;; amdgpu-corpus repo=pytorch/pytorch kind=compiled arch=gfx1201 opt=O3
	.amdgcn_target "amdgcn-amd-amdhsa--gfx1201"
	.amdhsa_code_object_version 6
	.section	.text._ZN2at6native12_GLOBAL__N_114gatherKthValueIhiLi1EEEvNS_4cuda6detail10TensorInfoIKT_T0_EES8_S8_S8_S8_NS5_IS6_S8_EENS5_IlS8_EE,"axG",@progbits,_ZN2at6native12_GLOBAL__N_114gatherKthValueIhiLi1EEEvNS_4cuda6detail10TensorInfoIKT_T0_EES8_S8_S8_S8_NS5_IS6_S8_EENS5_IlS8_EE,comdat
	.globl	_ZN2at6native12_GLOBAL__N_114gatherKthValueIhiLi1EEEvNS_4cuda6detail10TensorInfoIKT_T0_EES8_S8_S8_S8_NS5_IS6_S8_EENS5_IlS8_EE ; -- Begin function _ZN2at6native12_GLOBAL__N_114gatherKthValueIhiLi1EEEvNS_4cuda6detail10TensorInfoIKT_T0_EES8_S8_S8_S8_NS5_IS6_S8_EENS5_IlS8_EE
	.p2align	8
	.type	_ZN2at6native12_GLOBAL__N_114gatherKthValueIhiLi1EEEvNS_4cuda6detail10TensorInfoIKT_T0_EES8_S8_S8_S8_NS5_IS6_S8_EENS5_IlS8_EE,@function
_ZN2at6native12_GLOBAL__N_114gatherKthValueIhiLi1EEEvNS_4cuda6detail10TensorInfoIKT_T0_EES8_S8_S8_S8_NS5_IS6_S8_EENS5_IlS8_EE: ; @_ZN2at6native12_GLOBAL__N_114gatherKthValueIhiLi1EEEvNS_4cuda6detail10TensorInfoIKT_T0_EES8_S8_S8_S8_NS5_IS6_S8_EENS5_IlS8_EE
; %bb.0:
	s_clause 0x1
	s_load_b64 s[6:7], s[0:1], 0x298
	s_load_b128 s[36:39], s[0:1], 0xd8
	s_lshr_b32 s2, ttmp7, 16
	s_and_b32 s3, ttmp7, 0xffff
	s_wait_kmcnt 0x0
	s_mul_i32 s2, s7, s2
	s_delay_alu instid0(SALU_CYCLE_1) | instskip(NEXT) | instid1(SALU_CYCLE_1)
	s_add_co_i32 s2, s2, s3
	s_mul_i32 s29, s2, s6
	s_delay_alu instid0(SALU_CYCLE_1) | instskip(NEXT) | instid1(SALU_CYCLE_1)
	s_add_co_i32 s29, s29, ttmp9
	s_cmp_ge_i32 s29, s38
	s_cbranch_scc1 .LBB0_233
; %bb.1:
	s_clause 0x1
	s_load_b32 s3, s[0:1], 0x6c
	s_load_b64 s[4:5], s[0:1], 0x0
	v_cmp_eq_u32_e64 s2, 0, v0
	s_add_nc_u64 s[10:11], s[0:1], 0x298
	s_mov_b32 s41, 0
	s_and_saveexec_b32 s7, s2
; %bb.2:
	v_dual_mov_b32 v1, 0 :: v_dual_mov_b32 v2, s36
	s_delay_alu instid0(VALU_DEP_1)
	v_mov_b32_e32 v3, v1
	ds_store_b96 v1, v[1:3] offset:4096
; %bb.3:
	s_or_b32 exec_lo, exec_lo, s7
	s_wait_dscnt 0x0
	s_barrier_signal -1
	s_barrier_wait -1
	global_inv scope:SCOPE_SE
	s_load_b32 s7, s[10:11], 0xc
	v_mbcnt_lo_u32_b32 v12, -1, 0
	s_clause 0x3
	s_load_b32 s33, s[0:1], 0x22c
	s_load_b64 s[30:31], s[0:1], 0x1c0
	s_load_b32 s38, s[0:1], 0x154
	s_load_b64 s[34:35], s[0:1], 0xe8
	v_cmp_gt_u32_e32 vcc_lo, 32, v0
	s_wait_kmcnt 0x0
	s_mul_i32 s8, s3, s29
	v_mul_lo_u32 v11, s39, v0
	v_cmp_gt_i32_e64 s1, 4, v12
	s_ashr_i32 s9, s8, 31
	v_lshrrev_b32_e32 v3, 1, v0
	s_add_nc_u64 s[42:43], s[4:5], s[8:9]
	v_dual_mov_b32 v14, 0 :: v_dual_lshlrev_b32 v13, 2, v0
	s_and_b32 s51, vcc_lo, s1
	v_cmp_gt_u32_e64 s0, 2, v0
	v_cmp_gt_i32_e64 s3, s36, v0
	v_dual_mov_b32 v23, 0 :: v_dual_lshlrev_b32 v20, 2, v11
	v_lshl_or_b32 v22, v12, 2, 0xc00
	v_mov_b32_e32 v26, s37
	v_mov_b32_e32 v24, 0
	s_and_b32 s50, s7, 0xffff
	s_bfe_u32 s7, s7, 0xb0005
	s_lshl_b32 s52, s50, 2
	s_add_co_i32 s53, s50, -1
	s_cvt_f32_u32 s1, s52
	s_add_co_i32 s62, s53, s36
	s_cmp_gt_i32 s36, 0xc00
	s_mul_i32 s54, s39, s50
	v_rcp_iflag_f32_e32 v1, s1
	s_cselect_b32 s55, -1, 0
	s_cmp_gt_u32 s50, 31
	v_cmp_gt_u32_e64 s1, s36, v0
	s_cselect_b32 s56, -1, 0
	s_cmp_lt_u32 ttmp9, s6
	s_mov_b32 s70, 6
	s_cselect_b32 s40, 12, 18
	s_add_co_i32 s6, s7, -1
	s_bfe_u32 s57, s50, 0x30005
	v_readfirstlane_b32 s12, v1
	s_and_b32 s6, s6, 0xffff
	v_lshlrev_b64_e64 v[1:2], v12, -1
	s_cmp_gt_u32 s6, 6
	s_mov_b32 s45, s41
	s_mul_f32 s6, s12, 0x4f7ffffe
	s_cselect_b32 s58, -1, 0
	s_and_b32 s59, s7, 0x7f8
	s_cvt_f32_u32 s12, s50
	s_cmp_lg_u32 s57, 0
	s_cvt_u32_f32 s6, s6
	s_cselect_b32 s60, -1, 0
	s_sub_co_i32 s7, 0, s52
	v_rcp_iflag_f32_e32 v4, s12
	s_mul_i32 s7, s7, s6
	v_not_b32_e32 v15, v1
	s_mul_hi_u32 s4, s6, s7
	s_mov_b32 s47, s41
	s_add_co_i32 s44, s6, s4
	v_add_co_u32 v5, s6, s42, v11
	s_mul_hi_u32 s5, s36, s44
	v_add_co_ci_u32_e64 v6, null, s43, 0, s6
	s_mul_i32 s5, s5, s52
	v_readfirstlane_b32 s6, v4
	s_sub_co_i32 s5, s36, s5
	v_cmp_eq_u32_e64 s4, 0, v12
	s_sub_co_i32 s7, s5, s52
	s_cmp_ge_u32 s5, s52
	s_mul_f32 s6, s6, 0x4f7ffffe
	s_wait_alu 0xfffe
	s_cselect_b32 s5, s7, s5
	s_movk_i32 s7, 0x1f0
	s_sub_co_i32 s8, s5, s52
	s_cmp_ge_u32 s5, s52
	s_cvt_u32_f32 s6, s6
	s_cselect_b32 s9, s8, s5
	s_sub_co_i32 s5, 0, s50
	s_sub_co_i32 s61, s36, s9
	s_wait_alu 0xfffe
	s_mul_i32 s5, s5, s6
	v_dual_mov_b32 v25, 0 :: v_dual_add_nc_u32 v16, s61, v0
	s_mul_hi_u32 s5, s6, s5
	s_abs_i32 s8, s62
	s_add_co_i32 s46, s6, s5
	s_delay_alu instid0(VALU_DEP_1)
	v_mul_lo_u32 v1, v16, s39
	s_mul_hi_u32 s5, s8, s46
	v_and_or_b32 v17, v3, s7, 0xc00
	s_mul_i32 s5, s5, s50
	s_ashr_i32 s7, s62, 31
	s_sub_co_i32 s5, s8, s5
	v_or_b32_e32 v3, 3, v13
	s_sub_co_i32 s6, s5, s50
	s_cmp_ge_u32 s5, s50
	v_ashrrev_i32_e32 v2, 31, v1
	s_wait_alu 0xfffe
	s_cselect_b32 s8, s6, s5
	v_add_co_u32 v7, vcc_lo, s42, v1
	v_add3_u32 v1, s50, s36, v0
	s_sub_co_i32 s12, s8, s50
	s_cmp_ge_u32 s8, s50
	v_add_co_ci_u32_e64 v8, null, s43, v2, vcc_lo
	s_wait_alu 0xfffe
	s_cselect_b32 s8, s12, s8
	v_or_b32_e32 v2, 2, v13
	v_subrev_nc_u32_e32 v1, s9, v1
	s_xor_b32 s8, s8, s7
	s_mov_b32 s12, s39
	s_wait_alu 0xfffe
	s_sub_co_i32 s8, s7, s8
	v_mad_co_u64_u32 v[9:10], null, s39, v13, s[12:13]
	v_mul_lo_u32 v18, s39, v2
	v_mul_lo_u32 v19, s39, v3
	;; [unrolled: 1-line block ×3, first 2 shown]
	s_wait_alu 0xfffe
	s_add_co_i32 s62, s62, s8
	v_cmp_gt_i32_e64 s5, s61, v13
	v_cmp_gt_u32_e64 s6, s36, v16
	v_cmp_gt_i32_e64 s7, s36, v16
	v_cmp_gt_i32_e64 s8, s62, v0
	v_mov_b32_e32 v10, 0
	s_lshl_b32 s37, s54, 2
	s_add_nc_u64 s[48:49], s[10:11], s[40:41]
	s_mov_b32 s63, 0
                                        ; implicit-def: $sgpr67
                                        ; implicit-def: $sgpr69
                                        ; implicit-def: $sgpr64
                                        ; implicit-def: $sgpr66
                                        ; implicit-def: $sgpr68
                                        ; implicit-def: $sgpr65
	s_branch .LBB0_7
.LBB0_4:                                ;   in Loop: Header=BB0_7 Depth=1
	s_wait_alu 0xfffe
	s_or_b32 exec_lo, exec_lo, s13
	s_delay_alu instid0(SALU_CYCLE_1)
	s_and_b32 s10, s10, exec_lo
	s_and_not1_b32 s15, s15, exec_lo
	s_and_not1_b32 s14, s14, exec_lo
	s_or_not1_b32 s12, s12, exec_lo
.LBB0_5:                                ;   in Loop: Header=BB0_7 Depth=1
	s_wait_alu 0xfffe
	s_or_b32 exec_lo, exec_lo, s9
	s_delay_alu instid0(SALU_CYCLE_1)
	s_and_not1_b32 s9, s65, exec_lo
	s_and_b32 s10, s10, exec_lo
	s_and_not1_b32 s13, s66, exec_lo
	s_wait_alu 0xfffe
	s_or_b32 s65, s9, s10
	s_and_not1_b32 s9, s68, exec_lo
	s_and_b32 s10, s15, exec_lo
	s_and_b32 s14, s14, exec_lo
	s_wait_alu 0xfffe
	s_or_b32 s68, s9, s10
	s_or_b32 s66, s13, s14
	s_or_not1_b32 s13, s12, exec_lo
.LBB0_6:                                ;   in Loop: Header=BB0_7 Depth=1
	s_wait_alu 0xfffe
	s_or_b32 exec_lo, exec_lo, s11
	s_delay_alu instid0(SALU_CYCLE_1)
	s_and_b32 s9, exec_lo, s13
	v_mov_b32_e32 v26, v2
	s_wait_alu 0xfffe
	s_or_b32 s63, s9, s63
	s_and_not1_b32 s9, s64, exec_lo
	s_and_b32 s10, s65, exec_lo
	s_and_not1_b32 s11, s69, exec_lo
	s_wait_alu 0xfffe
	s_or_b32 s64, s9, s10
	s_and_b32 s9, s68, exec_lo
	s_and_not1_b32 s10, s67, exec_lo
	s_and_b32 s12, s66, exec_lo
	s_wait_alu 0xfffe
	s_or_b32 s69, s11, s9
	s_or_b32 s67, s10, s12
	s_mov_b32 s70, s21
	s_and_not1_b32 exec_lo, exec_lo, s63
	s_cbranch_execz .LBB0_229
.LBB0_7:                                ; =>This Loop Header: Depth=1
                                        ;     Child Loop BB0_12 Depth 2
                                        ;     Child Loop BB0_27 Depth 2
	;; [unrolled: 1-line block ×16, first 2 shown]
	ds_load_b64 v[1:2], v14 offset:4096
	s_wait_dscnt 0x0
	v_readfirstlane_b32 s40, v1
	s_cmp_gt_i32 s40, 0
	s_cbranch_scc1 .LBB0_34
; %bb.8:                                ;   in Loop: Header=BB0_7 Depth=1
	s_and_b32 vcc_lo, exec_lo, s55
	s_wait_alu 0xfffe
	s_cbranch_vccz .LBB0_20
; %bb.9:                                ;   in Loop: Header=BB0_7 Depth=1
	v_cmp_gt_i32_e32 vcc_lo, 0xc01, v2
	s_mov_b32 s10, 0
	s_mov_b32 s9, 0
	s_cbranch_vccz .LBB0_21
; %bb.10:                               ;   in Loop: Header=BB0_7 Depth=1
	global_load_u8 v2, v[5:6], off
	s_load_u16 s11, s[48:49], 0x0
	v_mov_b32_e32 v3, v0
	s_mov_b32 s12, 0
	s_wait_kmcnt 0x0
	v_add_nc_u32_e32 v1, s11, v0
	s_mul_i32 s13, s39, s11
	s_delay_alu instid0(VALU_DEP_1)
	v_mul_lo_u32 v1, s39, v1
	s_branch .LBB0_12
.LBB0_11:                               ;   in Loop: Header=BB0_12 Depth=2
	s_wait_alu 0xfffe
	s_or_b32 exec_lo, exec_lo, s9
	v_cmp_le_i32_e32 vcc_lo, s36, v3
	v_dual_mov_b32 v2, v4 :: v_dual_add_nc_u32 v1, s13, v1
	s_or_b32 s12, vcc_lo, s12
	s_wait_alu 0xfffe
	s_and_not1_b32 exec_lo, exec_lo, s12
	s_cbranch_execz .LBB0_66
.LBB0_12:                               ;   Parent Loop BB0_7 Depth=1
                                        ; =>  This Inner Loop Header: Depth=2
	v_dual_mov_b32 v4, 0 :: v_dual_add_nc_u32 v3, s11, v3
	s_wait_dscnt 0x0
	v_mov_b32_e32 v27, 0
	s_mov_b32 s9, exec_lo
	s_delay_alu instid0(VALU_DEP_2)
	v_cmpx_gt_u32_e64 s36, v3
	s_cbranch_execz .LBB0_14
; %bb.13:                               ;   in Loop: Header=BB0_12 Depth=2
	global_load_u8 v4, v1, s[42:43]
.LBB0_14:                               ;   in Loop: Header=BB0_12 Depth=2
	s_wait_alu 0xfffe
	s_or_b32 exec_lo, exec_lo, s9
	s_wait_loadcnt 0x0
	v_and_b32_e32 v28, v2, v24
	s_delay_alu instid0(VALU_DEP_1) | instskip(NEXT) | instid1(VALU_DEP_1)
	v_and_b32_e32 v28, 0xff, v28
	v_cmp_eq_u32_e32 vcc_lo, v28, v10
	s_cmp_lg_u32 vcc_lo, 0
	s_cselect_b32 s9, -1, 0
	s_wait_alu 0xfffe
	s_and_b32 s9, s4, s9
	s_wait_alu 0xfffe
	s_and_saveexec_b32 s14, s9
	s_cbranch_execz .LBB0_18
; %bb.15:                               ;   in Loop: Header=BB0_12 Depth=2
	s_mov_b32 s17, exec_lo
	s_bcnt1_i32_b32 s15, vcc_lo
	s_wait_alu 0xfffe
	v_mbcnt_lo_u32_b32 v27, s17, 0
	s_mov_b32 s16, exec_lo
                                        ; implicit-def: $vgpr28
	s_delay_alu instid0(VALU_DEP_1)
	v_cmpx_eq_u32_e32 0, v27
; %bb.16:                               ;   in Loop: Header=BB0_12 Depth=2
	s_bcnt1_i32_b32 s9, s17
	s_wait_alu 0xfffe
	s_mul_i32 s9, s15, s9
	s_wait_alu 0xfffe
	v_mov_b32_e32 v28, s9
	ds_add_rtn_u32 v28, v14, v28 offset:4104
; %bb.17:                               ;   in Loop: Header=BB0_12 Depth=2
	s_or_b32 exec_lo, exec_lo, s16
	s_wait_dscnt 0x0
	v_readfirstlane_b32 s9, v28
	s_wait_alu 0xf1ff
	s_delay_alu instid0(VALU_DEP_1)
	v_mad_u32_u24 v27, s15, v27, s9
.LBB0_18:                               ;   in Loop: Header=BB0_12 Depth=2
	s_wait_alu 0xfffe
	s_or_b32 exec_lo, exec_lo, s14
	ds_bpermute_b32 v27, v14, v27
	s_and_saveexec_b32 s9, vcc_lo
	s_cbranch_execz .LBB0_11
; %bb.19:                               ;   in Loop: Header=BB0_12 Depth=2
	v_and_b32_e32 v28, vcc_lo, v15
	s_wait_dscnt 0x0
	s_delay_alu instid0(VALU_DEP_1)
	v_bcnt_u32_b32 v27, v28, v27
	ds_store_b8 v27, v2
	s_branch .LBB0_11
.LBB0_20:                               ;   in Loop: Header=BB0_7 Depth=1
	s_mov_b32 s10, -1
	s_mov_b32 s9, 0
.LBB0_21:                               ;   in Loop: Header=BB0_7 Depth=1
	s_wait_alu 0xfffe
	s_and_b32 vcc_lo, exec_lo, s10
	s_wait_alu 0xfffe
	s_cbranch_vccz .LBB0_32
.LBB0_22:                               ;   in Loop: Header=BB0_7 Depth=1
	v_mov_b32_e32 v1, 0
	s_and_saveexec_b32 s9, s1
	s_cbranch_execz .LBB0_24
; %bb.23:                               ;   in Loop: Header=BB0_7 Depth=1
	global_load_u8 v1, v[5:6], off
.LBB0_24:                               ;   in Loop: Header=BB0_7 Depth=1
	s_wait_alu 0xfffe
	s_or_b32 exec_lo, exec_lo, s9
	s_and_saveexec_b32 s9, s3
	s_cbranch_execz .LBB0_29
; %bb.25:                               ;   in Loop: Header=BB0_7 Depth=1
	s_load_u16 s10, s[48:49], 0x0
	s_mov_b32 s12, 0
	s_wait_kmcnt 0x0
	v_dual_mov_b32 v3, v0 :: v_dual_add_nc_u32 v2, s10, v0
	s_mul_i32 s11, s39, s10
	s_delay_alu instid0(VALU_DEP_1)
	v_mul_lo_u32 v2, s39, v2
	s_branch .LBB0_27
.LBB0_26:                               ;   in Loop: Header=BB0_27 Depth=2
	s_wait_alu 0xfffe
	s_or_b32 exec_lo, exec_lo, s13
	v_cmp_le_i32_e32 vcc_lo, s36, v4
	s_wait_loadcnt 0x0
	ds_store_b8 v3, v1
	v_dual_mov_b32 v1, v27 :: v_dual_add_nc_u32 v2, s11, v2
	v_mov_b32_e32 v3, v4
	s_or_b32 s12, vcc_lo, s12
	s_wait_alu 0xfffe
	s_and_not1_b32 exec_lo, exec_lo, s12
	s_cbranch_execz .LBB0_29
.LBB0_27:                               ;   Parent Loop BB0_7 Depth=1
                                        ; =>  This Inner Loop Header: Depth=2
	s_delay_alu instid0(VALU_DEP_2) | instskip(SKIP_1) | instid1(VALU_DEP_1)
	v_dual_mov_b32 v27, 0 :: v_dual_add_nc_u32 v4, s10, v3
	s_mov_b32 s13, exec_lo
	v_cmpx_gt_u32_e64 s36, v4
	s_cbranch_execz .LBB0_26
; %bb.28:                               ;   in Loop: Header=BB0_27 Depth=2
	global_load_u8 v27, v2, s[42:43]
	s_branch .LBB0_26
.LBB0_29:                               ;   in Loop: Header=BB0_7 Depth=1
	s_wait_alu 0xfffe
	s_or_b32 exec_lo, exec_lo, s9
	s_wait_loadcnt_dscnt 0x0
	s_barrier_signal -1
	s_barrier_wait -1
	global_inv scope:SCOPE_SE
	s_and_saveexec_b32 s9, s2
; %bb.30:                               ;   in Loop: Header=BB0_7 Depth=1
	v_mov_b32_e32 v1, s36
	ds_store_b32 v14, v1 offset:4096
; %bb.31:                               ;   in Loop: Header=BB0_7 Depth=1
	s_wait_alu 0xfffe
	s_or_b32 exec_lo, exec_lo, s9
	s_mov_b32 s9, -1
	s_wait_loadcnt_dscnt 0x0
	s_barrier_signal -1
	s_barrier_wait -1
.LBB0_32:                               ;   in Loop: Header=BB0_7 Depth=1
	s_wait_alu 0xfffe
	s_and_b32 vcc_lo, exec_lo, s9
	s_wait_alu 0xfffe
	s_cbranch_vccz .LBB0_34
; %bb.33:                               ;   in Loop: Header=BB0_7 Depth=1
	s_wait_loadcnt 0x0
	global_inv scope:SCOPE_SE
	ds_load_b32 v1, v14 offset:4096
	s_wait_dscnt 0x0
	v_readfirstlane_b32 s40, v1
.LBB0_34:                               ;   in Loop: Header=BB0_7 Depth=1
	s_delay_alu instid0(VALU_DEP_1)
	s_cmp_lt_i32 s40, 1
	s_mov_b32 s9, -1
                                        ; implicit-def: $vgpr4
	s_cbranch_scc1 .LBB0_44
; %bb.35:                               ;   in Loop: Header=BB0_7 Depth=1
	s_wait_alu 0xfffe
	s_and_b32 vcc_lo, exec_lo, s9
	s_wait_alu 0xfffe
	s_cbranch_vccnz .LBB0_57
.LBB0_36:                               ;   in Loop: Header=BB0_7 Depth=1
	v_lshlrev_b32_e32 v27, 7, v23
	s_and_saveexec_b32 s9, s4
.LBB0_37:                               ;   in Loop: Header=BB0_7 Depth=1
	s_delay_alu instid0(VALU_DEP_1)
	v_lshl_add_u32 v28, v27, 2, v17
	ds_store_b128 v28, v[1:4]
.LBB0_38:                               ;   in Loop: Header=BB0_7 Depth=1
	s_wait_alu 0xfffe
	s_or_b32 exec_lo, exec_lo, s9
	s_wait_loadcnt_dscnt 0x0
	s_barrier_signal -1
	s_barrier_wait -1
	global_inv scope:SCOPE_SE
	s_and_saveexec_b32 s9, s51
	s_cbranch_execz .LBB0_73
; %bb.39:                               ;   in Loop: Header=BB0_7 Depth=1
	v_mov_b32_e32 v1, 0
	s_and_not1_b32 vcc_lo, exec_lo, s56
	s_wait_alu 0xfffe
	s_cbranch_vccnz .LBB0_72
; %bb.40:                               ;   in Loop: Header=BB0_7 Depth=1
	s_and_not1_b32 vcc_lo, exec_lo, s58
	s_wait_alu 0xfffe
	s_cbranch_vccnz .LBB0_69
; %bb.41:                               ;   in Loop: Header=BB0_7 Depth=1
	v_lshl_add_u32 v2, v23, 9, v22
	v_mov_b32_e32 v1, 0
	s_mov_b32 s10, 0
.LBB0_42:                               ;   Parent Loop BB0_7 Depth=1
                                        ; =>  This Inner Loop Header: Depth=2
	ds_load_2addr_b32 v[3:4], v2 offset1:4
	ds_load_2addr_b32 v[28:29], v2 offset0:8 offset1:12
	ds_load_2addr_b32 v[30:31], v2 offset0:16 offset1:20
	;; [unrolled: 1-line block ×3, first 2 shown]
	v_add_nc_u32_e32 v2, 0x80, v2
	s_wait_alu 0xfffe
	s_add_co_i32 s10, s10, 8
	s_wait_alu 0xfffe
	s_cmp_eq_u32 s59, s10
	s_wait_dscnt 0x3
	v_add3_u32 v1, v3, v1, v4
	s_wait_dscnt 0x2
	s_delay_alu instid0(VALU_DEP_1) | instskip(SKIP_1) | instid1(VALU_DEP_1)
	v_add3_u32 v1, v28, v1, v29
	s_wait_dscnt 0x1
	v_add3_u32 v1, v30, v1, v31
	s_wait_dscnt 0x0
	s_delay_alu instid0(VALU_DEP_1)
	v_add3_u32 v1, v32, v1, v33
	s_cbranch_scc0 .LBB0_42
; %bb.43:                               ;   in Loop: Header=BB0_7 Depth=1
	s_mov_b32 s10, s59
	s_and_not1_b32 vcc_lo, exec_lo, s60
	s_wait_alu 0xfffe
	s_cbranch_vccz .LBB0_70
	s_branch .LBB0_72
.LBB0_44:                               ;   in Loop: Header=BB0_7 Depth=1
	v_dual_mov_b32 v1, 0 :: v_dual_mov_b32 v2, 0
	v_dual_mov_b32 v3, 0 :: v_dual_mov_b32 v4, 0
	s_and_saveexec_b32 s71, s5
	s_cbranch_execnz .LBB0_47
; %bb.45:                               ;   in Loop: Header=BB0_7 Depth=1
	s_wait_alu 0xfffe
	s_or_b32 exec_lo, exec_lo, s71
	v_mov_b32_e32 v30, 0
	s_and_saveexec_b32 s9, s6
	s_cbranch_execnz .LBB0_50
.LBB0_46:                               ;   in Loop: Header=BB0_7 Depth=1
	s_wait_alu 0xfffe
	s_or_b32 exec_lo, exec_lo, s9
	s_and_saveexec_b32 s13, s7
	s_cbranch_execnz .LBB0_51
	s_branch .LBB0_56
.LBB0_47:                               ;   in Loop: Header=BB0_7 Depth=1
	v_mov_b32_e32 v27, v13
	s_mov_b32 s72, 0
	s_mov_b32 s73, 0
	;; [unrolled: 1-line block ×6, first 2 shown]
.LBB0_48:                               ;   Parent Loop BB0_7 Depth=1
                                        ; =>  This Inner Loop Header: Depth=2
	s_wait_alu 0xfffe
	v_add_nc_u32_e32 v2, s73, v20
	v_add_nc_u32_e32 v1, s73, v9
	;; [unrolled: 1-line block ×5, first 2 shown]
	v_ashrrev_i32_e32 v29, 31, v2
	v_ashrrev_i32_e32 v32, 31, v1
	;; [unrolled: 1-line block ×4, first 2 shown]
	v_add_co_u32 v30, s11, s42, v2
	v_add_co_u32 v1, vcc_lo, s42, v1
	v_add_co_u32 v3, s9, s42, v3
	s_wait_alu 0xf1ff
	v_add_co_ci_u32_e64 v31, null, s43, v29, s11
	v_add_co_u32 v28, s10, s42, v4
	s_wait_alu 0xfffd
	v_add_co_ci_u32_e64 v2, null, s43, v32, vcc_lo
	v_add_co_ci_u32_e64 v4, null, s43, v33, s9
	s_wait_alu 0xf1ff
	v_add_co_ci_u32_e64 v29, null, s43, v34, s10
	s_clause 0x3
	global_load_u8 v30, v[30:31], off
	global_load_u8 v1, v[1:2], off
	;; [unrolled: 1-line block ×4, first 2 shown]
	v_cmp_le_i32_e32 vcc_lo, s61, v27
	s_add_co_i32 s73, s73, s37
	s_wait_loadcnt 0x3
	v_and_b32_e32 v4, v24, v30
	v_bfe_u32 v30, v30, s70, 2
	s_wait_loadcnt 0x2
	v_and_b32_e32 v28, v24, v1
	v_bfe_u32 v1, v1, s70, 2
	;; [unrolled: 3-line block ×3, first 2 shown]
	v_cmp_eq_u32_e64 s9, v4, v10
	v_cmp_eq_u32_e64 s13, 0, v30
	s_wait_loadcnt 0x0
	v_and_b32_e32 v31, v24, v3
	v_bfe_u32 v3, v3, s70, 2
	v_cmp_eq_u32_e64 s10, v28, v10
	v_cmp_eq_u32_e64 s14, 0, v1
	;; [unrolled: 1-line block ×4, first 2 shown]
	s_and_b32 s13, s9, s13
	v_cmp_eq_u32_e64 s12, v31, v10
	v_cmp_eq_u32_e64 s16, 0, v3
	;; [unrolled: 1-line block ×5, first 2 shown]
	s_wait_alu 0xfffe
	v_cndmask_b32_e64 v1, 0, 1, s13
	s_and_b32 s13, s10, s14
	v_cmp_eq_u32_e64 s17, 1, v30
	v_cmp_eq_u32_e64 s19, 1, v2
	;; [unrolled: 1-line block ×4, first 2 shown]
	s_wait_alu 0xfffe
	v_cndmask_b32_e64 v2, 0, 1, s13
	s_and_b32 s13, s11, s15
	v_cmp_eq_u32_e64 s20, 1, v3
	v_cmp_eq_u32_e64 s24, 2, v3
	;; [unrolled: 1-line block ×3, first 2 shown]
	s_wait_alu 0xfffe
	v_cndmask_b32_e64 v3, 0, 1, s13
	s_and_b32 s13, s12, s16
	v_cmp_eq_u32_e64 s21, 2, v30
	s_wait_alu 0xfffe
	v_cndmask_b32_e64 v4, 0, 1, s13
	s_and_b32 s13, s9, s17
	v_cmp_eq_u32_e64 s25, 3, v30
	s_wait_alu 0xfffe
	v_cndmask_b32_e64 v28, 0, 1, s13
	s_and_b32 s13, s10, s18
	s_wait_alu 0xfffe
	v_cndmask_b32_e64 v29, 0, 1, s13
	s_and_b32 s13, s11, s19
	;; [unrolled: 3-line block ×3, first 2 shown]
	v_cmp_ne_u32_e64 s14, 0, v29
	s_wait_alu 0xfffe
	v_cndmask_b32_e64 v31, 0, 1, s13
	s_and_b32 s13, s9, s21
	s_and_b32 s9, s9, s25
	s_wait_alu 0xfffe
	v_cndmask_b32_e64 v32, 0, 1, s13
	s_and_b32 s13, s10, s22
	v_cndmask_b32_e64 v36, 0, 1, s9
	s_and_b32 s9, s10, s26
	s_wait_alu 0xfffe
	v_cndmask_b32_e64 v33, 0, 1, s13
	s_and_b32 s13, s11, s23
	v_cndmask_b32_e64 v37, 0, 1, s9
	;; [unrolled: 5-line block ×3, first 2 shown]
	s_and_b32 s9, s12, s28
	s_wait_alu 0xfffe
	v_cndmask_b32_e64 v35, 0, 1, s13
	v_cndmask_b32_e64 v39, 0, 1, s9
	v_cmp_ne_u32_e64 s9, 0, v1
	v_cmp_ne_u32_e64 s13, 0, v28
	;; [unrolled: 1-line block ×11, first 2 shown]
	s_bcnt1_i32_b32 s9, s9
	s_bcnt1_i32_b32 s13, s13
	;; [unrolled: 1-line block ×4, first 2 shown]
	v_cmp_ne_u32_e64 s12, 0, v4
	v_cmp_ne_u32_e64 s16, 0, v31
	;; [unrolled: 1-line block ×4, first 2 shown]
	s_bcnt1_i32_b32 s10, s10
	s_bcnt1_i32_b32 s14, s14
	s_bcnt1_i32_b32 s18, s18
	s_bcnt1_i32_b32 s22, s22
	s_wait_alu 0xfffe
	s_add_co_i32 s9, s9, s77
	s_add_co_i32 s13, s13, s76
	s_add_co_i32 s17, s17, s75
	s_add_co_i32 s21, s21, s74
	s_bcnt1_i32_b32 s11, s11
	s_bcnt1_i32_b32 s15, s15
	s_bcnt1_i32_b32 s19, s19
	s_bcnt1_i32_b32 s23, s23
	s_wait_alu 0xfffe
	s_add_co_i32 s9, s9, s10
	s_add_co_i32 s10, s13, s14
	s_add_co_i32 s13, s17, s18
	s_add_co_i32 s14, s21, s22
	;; [unrolled: 9-line block ×3, first 2 shown]
	s_wait_alu 0xfffe
	s_add_co_i32 s77, s9, s12
	s_add_co_i32 s76, s10, s16
	;; [unrolled: 1-line block ×4, first 2 shown]
	s_wait_alu 0xfffe
	v_dual_mov_b32 v1, s77 :: v_dual_mov_b32 v2, s76
	v_dual_mov_b32 v3, s75 :: v_dual_mov_b32 v4, s74
	s_or_b32 s72, vcc_lo, s72
	s_wait_alu 0xfffe
	s_and_not1_b32 exec_lo, exec_lo, s72
	s_cbranch_execnz .LBB0_48
; %bb.49:                               ;   in Loop: Header=BB0_7 Depth=1
	s_or_b32 exec_lo, exec_lo, s72
	s_delay_alu instid0(SALU_CYCLE_1)
	s_or_b32 exec_lo, exec_lo, s71
	v_mov_b32_e32 v30, 0
	s_and_saveexec_b32 s9, s6
	s_cbranch_execz .LBB0_46
.LBB0_50:                               ;   in Loop: Header=BB0_7 Depth=1
	global_load_u8 v30, v[7:8], off
	s_wait_alu 0xfffe
	s_or_b32 exec_lo, exec_lo, s9
	s_and_saveexec_b32 s13, s7
	s_cbranch_execz .LBB0_56
.LBB0_51:                               ;   in Loop: Header=BB0_7 Depth=1
	v_dual_mov_b32 v27, v21 :: v_dual_mov_b32 v28, v16
	s_mov_b32 s14, 0
	s_branch .LBB0_53
.LBB0_52:                               ;   in Loop: Header=BB0_53 Depth=2
	s_wait_alu 0xfffe
	s_or_b32 exec_lo, exec_lo, s9
	s_wait_loadcnt 0x0
	v_and_b32_e32 v30, 0xff, v30
	v_add_nc_u32_e32 v27, s54, v27
	s_delay_alu instid0(VALU_DEP_2) | instskip(SKIP_1) | instid1(VALU_DEP_2)
	v_and_b32_e32 v31, v24, v30
	v_bfe_u32 v30, v30, s70, 2
	v_cmp_eq_u32_e32 vcc_lo, v31, v10
	s_delay_alu instid0(VALU_DEP_2)
	v_cmp_eq_u32_e64 s9, 0, v30
	v_cmp_eq_u32_e64 s10, 1, v30
	;; [unrolled: 1-line block ×4, first 2 shown]
	s_and_b32 s9, vcc_lo, s9
	s_wait_alu 0xfffe
	v_cndmask_b32_e64 v30, 0, 1, s9
	s_and_b32 s9, vcc_lo, s10
	s_wait_alu 0xfffe
	v_cndmask_b32_e64 v31, 0, 1, s9
	;; [unrolled: 3-line block ×3, first 2 shown]
	s_and_b32 s9, vcc_lo, s12
	v_cmp_ne_u32_e32 vcc_lo, 0, v30
	s_wait_alu 0xfffe
	v_cndmask_b32_e64 v33, 0, 1, s9
	v_cmp_ne_u32_e64 s9, 0, v31
	v_cmp_ne_u32_e64 s10, 0, v32
	v_cmp_le_i32_e64 s12, s36, v28
	s_bcnt1_i32_b32 s15, vcc_lo
	v_cmp_ne_u32_e64 s11, 0, v33
	s_bcnt1_i32_b32 s9, s9
	s_bcnt1_i32_b32 s10, s10
	s_wait_alu 0xfffe
	v_add_nc_u32_e32 v1, s15, v1
	v_add_nc_u32_e32 v2, s9, v2
	s_bcnt1_i32_b32 s11, s11
	v_add_nc_u32_e32 v3, s10, v3
	s_wait_alu 0xfffe
	v_add_nc_u32_e32 v4, s11, v4
	v_mov_b32_e32 v30, v29
	s_or_b32 s14, s12, s14
	s_wait_alu 0xfffe
	s_and_not1_b32 exec_lo, exec_lo, s14
	s_cbranch_execz .LBB0_55
.LBB0_53:                               ;   Parent Loop BB0_7 Depth=1
                                        ; =>  This Inner Loop Header: Depth=2
	s_delay_alu instid0(VALU_DEP_1) | instskip(SKIP_1) | instid1(VALU_DEP_1)
	v_dual_mov_b32 v29, 0 :: v_dual_add_nc_u32 v28, s50, v28
	s_mov_b32 s9, exec_lo
	v_cmpx_gt_u32_e64 s36, v28
	s_cbranch_execz .LBB0_52
; %bb.54:                               ;   in Loop: Header=BB0_53 Depth=2
	v_ashrrev_i32_e32 v29, 31, v27
	v_add_co_u32 v31, vcc_lo, s42, v27
	s_wait_alu 0xfffd
	s_delay_alu instid0(VALU_DEP_2)
	v_add_co_ci_u32_e64 v32, null, s43, v29, vcc_lo
	global_load_u8 v29, v[31:32], off
	s_branch .LBB0_52
.LBB0_55:                               ;   in Loop: Header=BB0_7 Depth=1
	s_or_b32 exec_lo, exec_lo, s14
.LBB0_56:                               ;   in Loop: Header=BB0_7 Depth=1
	s_wait_alu 0xfffe
	s_or_b32 exec_lo, exec_lo, s13
	s_branch .LBB0_36
.LBB0_57:                               ;   in Loop: Header=BB0_7 Depth=1
	s_mul_u64 s[10:11], s[40:41], s[44:45]
	v_dual_mov_b32 v1, 0 :: v_dual_mov_b32 v2, 0
	s_wait_alu 0xfffe
	s_mul_i32 s9, s11, s52
	v_dual_mov_b32 v3, 0 :: v_dual_mov_b32 v4, 0
	s_wait_alu 0xfffe
	s_sub_co_i32 s9, s40, s9
	s_mov_b32 s72, exec_lo
	s_wait_alu 0xfffe
	s_sub_co_i32 s10, s9, s52
	s_cmp_ge_u32 s9, s52
	s_wait_alu 0xfffe
	s_cselect_b32 s9, s10, s9
	s_wait_alu 0xfffe
	s_sub_co_i32 s10, s9, s52
	s_cmp_ge_u32 s9, s52
	s_wait_alu 0xfffe
	s_cselect_b32 s9, s10, s9
	s_wait_alu 0xfffe
	s_sub_co_i32 s71, s40, s9
	s_wait_alu 0xfffe
	v_cmpx_gt_u32_e64 s71, v13
	s_cbranch_execz .LBB0_61
; %bb.58:                               ;   in Loop: Header=BB0_7 Depth=1
	v_mov_b32_e32 v27, v13
	s_mov_b32 s73, 0
	s_mov_b32 s74, 0
	;; [unrolled: 1-line block ×5, first 2 shown]
.LBB0_59:                               ;   Parent Loop BB0_7 Depth=1
                                        ; =>  This Inner Loop Header: Depth=2
	ds_load_b32 v1, v27
	s_wait_dscnt 0x0
	v_and_b32_e32 v2, 0xff, v1
	v_bfe_u32 v3, v1, 8, 8
	v_bfe_u32 v4, v1, 16, 8
	v_lshrrev_b32_e32 v1, 24, v1
	s_delay_alu instid0(VALU_DEP_4)
	v_and_b32_e32 v28, v24, v2
	v_bfe_u32 v2, v2, s70, 2
	v_and_b32_e32 v29, v24, v3
	v_bfe_u32 v3, v3, s70, 2
	s_wait_loadcnt 0x0
	v_and_b32_e32 v30, v24, v4
	v_bfe_u32 v4, v4, s70, 2
	v_cmp_eq_u32_e64 s9, v28, v10
	v_cmp_eq_u32_e64 s13, 0, v2
	v_and_b32_e32 v31, v24, v1
	v_bfe_u32 v1, v1, s70, 2
	v_cmp_eq_u32_e64 s10, v29, v10
	v_cmp_eq_u32_e64 s14, 0, v3
	;; [unrolled: 1-line block ×4, first 2 shown]
	s_and_b32 s13, s9, s13
	v_cmp_eq_u32_e64 s12, v31, v10
	v_cmp_eq_u32_e64 s16, 0, v1
	;; [unrolled: 1-line block ×5, first 2 shown]
	s_wait_alu 0xfffe
	v_cndmask_b32_e64 v1, 0, 1, s13
	s_and_b32 s13, s10, s14
	v_cmp_eq_u32_e64 s17, 1, v2
	v_cmp_eq_u32_e64 s21, 2, v2
	v_cmp_eq_u32_e64 s25, 3, v2
	s_wait_alu 0xfffe
	v_cndmask_b32_e64 v2, 0, 1, s13
	s_and_b32 s13, s11, s15
	v_cmp_eq_u32_e64 s18, 1, v3
	v_cmp_eq_u32_e64 s22, 2, v3
	v_cmp_eq_u32_e64 s26, 3, v3
	;; [unrolled: 6-line block ×3, first 2 shown]
	s_wait_alu 0xfffe
	v_cndmask_b32_e64 v4, 0, 1, s13
	s_and_b32 s13, s9, s17
	s_wait_alu 0xfffe
	v_cndmask_b32_e64 v28, 0, 1, s13
	s_and_b32 s13, s10, s18
	;; [unrolled: 3-line block ×4, first 2 shown]
	v_cmp_ne_u32_e64 s14, 0, v29
	s_wait_alu 0xfffe
	v_cndmask_b32_e64 v31, 0, 1, s13
	s_and_b32 s13, s9, s21
	s_and_b32 s9, s9, s25
	s_wait_alu 0xfffe
	v_cndmask_b32_e64 v32, 0, 1, s13
	s_and_b32 s13, s10, s22
	v_cndmask_b32_e64 v36, 0, 1, s9
	s_and_b32 s9, s10, s26
	s_wait_alu 0xfffe
	v_cndmask_b32_e64 v33, 0, 1, s13
	s_and_b32 s13, s11, s23
	v_cndmask_b32_e64 v37, 0, 1, s9
	;; [unrolled: 5-line block ×3, first 2 shown]
	s_and_b32 s9, s12, s28
	s_wait_alu 0xfffe
	v_cndmask_b32_e64 v35, 0, 1, s13
	v_cndmask_b32_e64 v39, 0, 1, s9
	v_cmp_ne_u32_e64 s9, 0, v1
	v_cmp_ne_u32_e64 s13, 0, v28
	;; [unrolled: 1-line block ×6, first 2 shown]
	s_bcnt1_i32_b32 s9, s9
	s_bcnt1_i32_b32 s13, s13
	v_cmp_ne_u32_e64 s16, 0, v31
	v_cmp_ne_u32_e64 s18, 0, v33
	;; [unrolled: 1-line block ×3, first 2 shown]
	s_bcnt1_i32_b32 s10, s10
	s_bcnt1_i32_b32 s14, s14
	s_wait_alu 0xfffe
	s_add_co_i32 s9, s9, s77
	s_add_co_i32 s13, s13, s76
	v_cmp_ne_u32_e64 s11, 0, v3
	v_cmp_ne_u32_e64 s19, 0, v34
	;; [unrolled: 1-line block ×3, first 2 shown]
	s_bcnt1_i32_b32 s15, s15
	s_wait_alu 0xfffe
	s_add_co_i32 s9, s9, s10
	s_add_co_i32 s10, s13, s14
	s_bcnt1_i32_b32 s17, s17
	s_bcnt1_i32_b32 s21, s21
	v_cmp_ne_u32_e64 s12, 0, v4
	v_cmp_ne_u32_e64 s20, 0, v35
	;; [unrolled: 1-line block ×3, first 2 shown]
	s_bcnt1_i32_b32 s16, s16
	s_wait_alu 0xfffe
	s_add_co_i32 s10, s10, s15
	s_bcnt1_i32_b32 s18, s18
	s_bcnt1_i32_b32 s22, s22
	s_add_co_i32 s17, s17, s75
	s_add_co_i32 s21, s21, s74
	s_wait_alu 0xfffe
	s_add_co_i32 s76, s10, s16
	s_wait_alu 0xfffe
	v_dual_mov_b32 v2, s76 :: v_dual_add_nc_u32 v27, s52, v27
	s_bcnt1_i32_b32 s11, s11
	s_bcnt1_i32_b32 s19, s19
	;; [unrolled: 1-line block ×3, first 2 shown]
	s_add_co_i32 s13, s17, s18
	s_add_co_i32 s14, s21, s22
	s_bcnt1_i32_b32 s12, s12
	s_bcnt1_i32_b32 s20, s20
	;; [unrolled: 1-line block ×3, first 2 shown]
	s_wait_alu 0xfffe
	s_add_co_i32 s9, s9, s11
	s_add_co_i32 s11, s13, s19
	;; [unrolled: 1-line block ×3, first 2 shown]
	v_cmp_le_i32_e32 vcc_lo, s71, v27
	s_wait_alu 0xfffe
	s_add_co_i32 s77, s9, s12
	s_add_co_i32 s75, s11, s20
	;; [unrolled: 1-line block ×3, first 2 shown]
	s_wait_alu 0xfffe
	v_mov_b32_e32 v1, s77
	v_dual_mov_b32 v3, s75 :: v_dual_mov_b32 v4, s74
	s_or_b32 s73, vcc_lo, s73
	s_wait_alu 0xfffe
	s_and_not1_b32 exec_lo, exec_lo, s73
	s_cbranch_execnz .LBB0_59
; %bb.60:                               ;   in Loop: Header=BB0_7 Depth=1
	s_or_b32 exec_lo, exec_lo, s73
.LBB0_61:                               ;   in Loop: Header=BB0_7 Depth=1
	s_delay_alu instid0(SALU_CYCLE_1) | instskip(SKIP_2) | instid1(VALU_DEP_1)
	s_or_b32 exec_lo, exec_lo, s72
	v_add_nc_u32_e32 v27, s71, v0
	s_mov_b32 s14, exec_lo
	v_cmpx_gt_i32_e64 s40, v27
	s_cbranch_execz .LBB0_65
; %bb.62:                               ;   in Loop: Header=BB0_7 Depth=1
	s_mov_b32 s15, 0
.LBB0_63:                               ;   Parent Loop BB0_7 Depth=1
                                        ; =>  This Inner Loop Header: Depth=2
	ds_load_u8 v28, v27
	v_add_nc_u32_e32 v27, s50, v27
	s_delay_alu instid0(VALU_DEP_1) | instskip(SKIP_3) | instid1(VALU_DEP_2)
	v_cmp_le_i32_e32 vcc_lo, s40, v27
	s_wait_dscnt 0x0
	v_and_b32_e32 v29, v24, v28
	v_bfe_u32 v28, v28, s70, 2
	v_cmp_eq_u32_e64 s9, v29, v10
	s_delay_alu instid0(VALU_DEP_2)
	v_cmp_eq_u32_e64 s10, 0, v28
	v_cmp_eq_u32_e64 s11, 1, v28
	;; [unrolled: 1-line block ×4, first 2 shown]
	s_and_b32 s10, s9, s10
	s_wait_alu 0xfffe
	v_cndmask_b32_e64 v28, 0, 1, s10
	s_and_b32 s10, s9, s11
	s_wait_alu 0xfffe
	v_cndmask_b32_e64 v29, 0, 1, s10
	s_and_b32 s10, s9, s12
	s_and_b32 s9, s9, s13
	s_wait_loadcnt 0x0
	s_wait_alu 0xfffe
	v_cndmask_b32_e64 v30, 0, 1, s10
	v_cndmask_b32_e64 v31, 0, 1, s9
	v_cmp_ne_u32_e64 s9, 0, v28
	v_cmp_ne_u32_e64 s10, 0, v29
	s_delay_alu instid0(VALU_DEP_4) | instskip(NEXT) | instid1(VALU_DEP_4)
	v_cmp_ne_u32_e64 s11, 0, v30
	v_cmp_ne_u32_e64 s12, 0, v31
	s_bcnt1_i32_b32 s9, s9
	s_bcnt1_i32_b32 s10, s10
	s_wait_alu 0xfffe
	v_add_nc_u32_e32 v1, s9, v1
	s_bcnt1_i32_b32 s11, s11
	s_bcnt1_i32_b32 s12, s12
	v_add_nc_u32_e32 v2, s10, v2
	s_wait_alu 0xfffe
	v_add_nc_u32_e32 v3, s11, v3
	v_add_nc_u32_e32 v4, s12, v4
	s_or_b32 s15, vcc_lo, s15
	s_wait_alu 0xfffe
	s_and_not1_b32 exec_lo, exec_lo, s15
	s_cbranch_execnz .LBB0_63
; %bb.64:                               ;   in Loop: Header=BB0_7 Depth=1
	s_or_b32 exec_lo, exec_lo, s15
.LBB0_65:                               ;   in Loop: Header=BB0_7 Depth=1
	s_wait_alu 0xfffe
	s_or_b32 exec_lo, exec_lo, s14
	v_lshlrev_b32_e32 v27, 7, v23
	s_and_saveexec_b32 s9, s4
	s_cbranch_execnz .LBB0_37
	s_branch .LBB0_38
.LBB0_66:                               ;   in Loop: Header=BB0_7 Depth=1
	s_or_b32 exec_lo, exec_lo, s12
	s_wait_dscnt 0x0
	s_barrier_signal -1
	s_barrier_wait -1
	global_inv scope:SCOPE_SE
	s_and_saveexec_b32 s9, s2
	s_cbranch_execz .LBB0_68
; %bb.67:                               ;   in Loop: Header=BB0_7 Depth=1
	ds_load_b32 v1, v14 offset:4104
	s_wait_dscnt 0x0
	ds_store_b32 v14, v1 offset:4096
.LBB0_68:                               ;   in Loop: Header=BB0_7 Depth=1
	s_wait_alu 0xfffe
	s_or_b32 exec_lo, exec_lo, s9
	s_wait_loadcnt_dscnt 0x0
	s_barrier_signal -1
	s_mov_b32 s9, -1
	s_barrier_wait -1
	s_and_b32 vcc_lo, exec_lo, s10
	s_wait_alu 0xfffe
	s_cbranch_vccnz .LBB0_22
	s_branch .LBB0_32
.LBB0_69:                               ;   in Loop: Header=BB0_7 Depth=1
	v_mov_b32_e32 v1, 0
	s_mov_b32 s10, 0
	s_and_not1_b32 vcc_lo, exec_lo, s60
	s_wait_alu 0xfffe
	s_cbranch_vccnz .LBB0_72
.LBB0_70:                               ;   in Loop: Header=BB0_7 Depth=1
	v_lshlrev_b32_e32 v2, 9, v23
	s_lshl_b32 s10, s10, 4
	s_wait_alu 0xfffe
	s_delay_alu instid0(VALU_DEP_1)
	v_add3_u32 v2, v2, s10, v22
	s_mov_b32 s10, s57
.LBB0_71:                               ;   Parent Loop BB0_7 Depth=1
                                        ; =>  This Inner Loop Header: Depth=2
	ds_load_b32 v3, v2
	v_add_nc_u32_e32 v2, 16, v2
	s_wait_alu 0xfffe
	s_add_co_i32 s10, s10, -1
	s_wait_alu 0xfffe
	s_cmp_lg_u32 s10, 0
	s_wait_dscnt 0x0
	v_add_nc_u32_e32 v1, v3, v1
	s_cbranch_scc1 .LBB0_71
.LBB0_72:                               ;   in Loop: Header=BB0_7 Depth=1
	v_add_lshl_u32 v2, v27, v12, 2
	ds_store_b32 v2, v1 offset:3072
.LBB0_73:                               ;   in Loop: Header=BB0_7 Depth=1
	s_wait_alu 0xfffe
	s_or_b32 exec_lo, exec_lo, s9
	v_lshlrev_b32_e32 v1, 2, v27
	s_wait_loadcnt_dscnt 0x0
	s_barrier_signal -1
	s_barrier_wait -1
	global_inv scope:SCOPE_SE
	ds_load_b128 v[1:4], v1 offset:3072
	s_lshl_b32 s10, 3, s70
	v_cmp_eq_u32_e32 vcc_lo, 1, v26
	s_wait_alu 0xfffe
	s_not_b32 s17, s10
	s_mov_b32 s13, -1
	s_mov_b32 s15, -1
                                        ; implicit-def: $sgpr20
                                        ; implicit-def: $sgpr18
	s_wait_dscnt 0x0
	v_readfirstlane_b32 s12, v1
	v_readfirstlane_b32 s19, v2
	;; [unrolled: 1-line block ×4, first 2 shown]
	s_cmp_eq_u32 s12, 1
	s_cselect_b32 s11, -1, 0
	s_wait_alu 0xfffe
	s_and_b32 s14, s11, vcc_lo
	s_wait_alu 0xfffe
	s_and_saveexec_b32 s11, s14
	s_cbranch_execz .LBB0_99
; %bb.74:                               ;   in Loop: Header=BB0_7 Depth=1
	ds_load_b32 v1, v14 offset:4096
	s_wait_loadcnt_dscnt 0x0
	s_barrier_signal -1
	s_barrier_wait -1
	global_inv scope:SCOPE_SE
	v_readfirstlane_b32 s15, v1
	s_and_saveexec_b32 s18, s0
; %bb.75:                               ;   in Loop: Header=BB0_7 Depth=1
	ds_store_b8 v0, v14 offset:3072
; %bb.76:                               ;   in Loop: Header=BB0_7 Depth=1
	s_wait_alu 0xfffe
	s_or_b32 exec_lo, exec_lo, s18
	v_and_b32_e32 v10, s17, v10
	v_or_b32_e32 v24, s10, v24
	s_mov_b32 s18, -1
	s_mov_b32 s20, 0
	s_cmp_lt_i32 s15, 1
	s_mov_b32 s21, 0
	s_mov_b32 s22, -1
	s_wait_loadcnt_dscnt 0x0
	s_barrier_signal -1
	s_barrier_wait -1
	global_inv scope:SCOPE_SE
                                        ; implicit-def: $vgpr25
	s_cbranch_scc0 .LBB0_87
; %bb.77:                               ;   in Loop: Header=BB0_7 Depth=1
	s_mov_b32 s22, 0
                                        ; implicit-def: $vgpr25
	s_and_saveexec_b32 s23, s8
	s_cbranch_execz .LBB0_86
; %bb.78:                               ;   in Loop: Header=BB0_7 Depth=1
	v_dual_mov_b32 v1, v11 :: v_dual_mov_b32 v2, v0
                                        ; implicit-def: $sgpr24
	s_branch .LBB0_81
.LBB0_79:                               ;   in Loop: Header=BB0_81 Depth=2
	s_wait_alu 0xfffe
	s_or_b32 exec_lo, exec_lo, s25
	s_wait_loadcnt_dscnt 0x0
	s_barrier_signal -1
	s_barrier_wait -1
	global_inv scope:SCOPE_SE
	ds_load_u16 v3, v14 offset:3072
	s_mov_b32 s25, -1
	s_mov_b32 s26, -1
	s_wait_loadcnt_dscnt 0x0
	s_barrier_signal -1
	s_barrier_wait -1
	global_inv scope:SCOPE_SE
	v_and_b32_e32 v4, 0xff, v3
	s_delay_alu instid0(VALU_DEP_1)
	v_cmp_ne_u32_e32 vcc_lo, 0, v4
	s_cbranch_vccz .LBB0_84
.LBB0_80:                               ;   in Loop: Header=BB0_81 Depth=2
	s_wait_alu 0xfffe
	s_and_b32 s25, exec_lo, s25
	s_wait_alu 0xfffe
	s_or_b32 s21, s25, s21
	s_and_not1_b32 s24, s24, exec_lo
	s_and_b32 s25, s26, exec_lo
	s_wait_alu 0xfffe
	s_or_b32 s24, s24, s25
	s_and_not1_b32 exec_lo, exec_lo, s21
	s_cbranch_execz .LBB0_85
.LBB0_81:                               ;   Parent Loop BB0_7 Depth=1
                                        ; =>  This Inner Loop Header: Depth=2
	s_mov_b32 s25, exec_lo
	s_delay_alu instid0(VALU_DEP_1)
	v_cmpx_gt_i32_e64 s36, v2
	s_cbranch_execz .LBB0_79
; %bb.82:                               ;   in Loop: Header=BB0_81 Depth=2
	v_ashrrev_i32_e32 v4, 31, v1
	v_add_co_u32 v3, vcc_lo, s42, v1
	s_wait_alu 0xfffd
	s_delay_alu instid0(VALU_DEP_2) | instskip(SKIP_3) | instid1(VALU_DEP_1)
	v_add_co_ci_u32_e64 v4, null, s43, v4, vcc_lo
	global_load_u8 v3, v[3:4], off
	s_wait_loadcnt 0x0
	v_and_b32_e32 v4, v3, v24
	v_and_b32_e32 v4, 0xff, v4
	s_delay_alu instid0(VALU_DEP_1)
	v_cmp_eq_u32_e32 vcc_lo, v4, v10
	s_and_b32 exec_lo, exec_lo, vcc_lo
	s_cbranch_execz .LBB0_79
; %bb.83:                               ;   in Loop: Header=BB0_81 Depth=2
	v_lshlrev_b16 v3, 8, v3
	s_delay_alu instid0(VALU_DEP_1)
	v_or_b32_e32 v3, 1, v3
	ds_store_b16 v14, v3 offset:3072
	s_branch .LBB0_79
.LBB0_84:                               ;   in Loop: Header=BB0_81 Depth=2
	v_add_nc_u32_e32 v2, s50, v2
	v_add_nc_u32_e32 v1, s54, v1
	s_mov_b32 s26, 0
	s_delay_alu instid0(VALU_DEP_2)
	v_cmp_le_i32_e32 vcc_lo, s62, v2
	s_or_not1_b32 s25, vcc_lo, exec_lo
	s_branch .LBB0_80
.LBB0_85:                               ;   in Loop: Header=BB0_7 Depth=1
	s_or_b32 exec_lo, exec_lo, s21
	v_and_b32_e32 v1, 0xffff, v3
	s_wait_alu 0xfffe
	s_and_b32 s21, s24, exec_lo
	s_delay_alu instid0(VALU_DEP_1)
	v_lshrrev_b32_e32 v25, 8, v1
.LBB0_86:                               ;   in Loop: Header=BB0_7 Depth=1
	s_wait_alu 0xfffe
	s_or_b32 exec_lo, exec_lo, s23
.LBB0_87:                               ;   in Loop: Header=BB0_7 Depth=1
	s_wait_alu 0xfffe
	s_and_b32 vcc_lo, exec_lo, s22
	s_wait_alu 0xfffe
	s_cbranch_vccz .LBB0_98
; %bb.88:                               ;   in Loop: Header=BB0_7 Depth=1
	s_add_co_i32 s20, s15, s53
                                        ; implicit-def: $vgpr25
	s_wait_alu 0xfffe
	s_abs_i32 s40, s20
	s_wait_alu 0xfffe
	s_mul_u64 s[22:23], s[40:41], s[46:47]
	s_ashr_i32 s22, s20, 31
	s_wait_alu 0xfffe
	s_mul_i32 s18, s23, s50
	s_wait_alu 0xfffe
	s_sub_co_i32 s18, s40, s18
	s_wait_alu 0xfffe
	s_sub_co_i32 s23, s18, s50
	s_cmp_ge_u32 s18, s50
	s_wait_alu 0xfffe
	s_cselect_b32 s18, s23, s18
	s_wait_alu 0xfffe
	s_sub_co_i32 s23, s18, s50
	s_cmp_ge_u32 s18, s50
	s_wait_alu 0xfffe
	s_cselect_b32 s18, s23, s18
	s_wait_alu 0xfffe
	s_xor_b32 s18, s18, s22
	s_wait_alu 0xfffe
	s_sub_co_i32 s18, s22, s18
	s_wait_alu 0xfffe
	s_add_co_i32 s20, s20, s18
	s_mov_b32 s18, exec_lo
	s_wait_alu 0xfffe
	v_cmpx_gt_i32_e64 s20, v0
	s_cbranch_execz .LBB0_97
; %bb.89:                               ;   in Loop: Header=BB0_7 Depth=1
	v_mov_b32_e32 v1, v0
	s_mov_b32 s23, 0
                                        ; implicit-def: $sgpr22
	s_branch .LBB0_92
.LBB0_90:                               ;   in Loop: Header=BB0_92 Depth=2
	s_wait_alu 0xfffe
	s_or_b32 exec_lo, exec_lo, s24
	s_wait_loadcnt_dscnt 0x0
	s_barrier_signal -1
	s_barrier_wait -1
	global_inv scope:SCOPE_SE
	ds_load_u16 v2, v14 offset:3072
	s_mov_b32 s25, -1
	s_mov_b32 s24, -1
	s_wait_loadcnt_dscnt 0x0
	s_barrier_signal -1
	s_barrier_wait -1
	global_inv scope:SCOPE_SE
	v_and_b32_e32 v3, 0xff, v2
	s_delay_alu instid0(VALU_DEP_1)
	v_cmp_ne_u32_e32 vcc_lo, 0, v3
	s_cbranch_vccz .LBB0_95
.LBB0_91:                               ;   in Loop: Header=BB0_92 Depth=2
	s_wait_alu 0xfffe
	s_and_b32 s25, exec_lo, s25
	s_wait_alu 0xfffe
	s_or_b32 s23, s25, s23
	s_and_not1_b32 s22, s22, exec_lo
	s_and_b32 s24, s24, exec_lo
	s_wait_alu 0xfffe
	s_or_b32 s22, s22, s24
	s_and_not1_b32 exec_lo, exec_lo, s23
	s_cbranch_execz .LBB0_96
.LBB0_92:                               ;   Parent Loop BB0_7 Depth=1
                                        ; =>  This Inner Loop Header: Depth=2
	s_mov_b32 s24, exec_lo
	s_delay_alu instid0(VALU_DEP_1)
	v_cmpx_gt_i32_e64 s15, v1
	s_cbranch_execz .LBB0_90
; %bb.93:                               ;   in Loop: Header=BB0_92 Depth=2
	ds_load_u8 v2, v1
	s_wait_dscnt 0x0
	v_and_b32_e32 v3, v2, v24
	s_delay_alu instid0(VALU_DEP_1) | instskip(NEXT) | instid1(VALU_DEP_1)
	v_and_b32_e32 v3, 0xff, v3
	v_cmp_eq_u32_e32 vcc_lo, v3, v10
	s_and_b32 exec_lo, exec_lo, vcc_lo
	s_cbranch_execz .LBB0_90
; %bb.94:                               ;   in Loop: Header=BB0_92 Depth=2
	v_lshlrev_b16 v2, 8, v2
	s_delay_alu instid0(VALU_DEP_1)
	v_or_b32_e32 v2, 1, v2
	ds_store_b16 v14, v2 offset:3072
	s_branch .LBB0_90
.LBB0_95:                               ;   in Loop: Header=BB0_92 Depth=2
	v_add_nc_u32_e32 v1, s50, v1
	s_mov_b32 s24, 0
	s_delay_alu instid0(VALU_DEP_1)
	v_cmp_le_i32_e32 vcc_lo, s20, v1
	s_or_not1_b32 s25, vcc_lo, exec_lo
	s_branch .LBB0_91
.LBB0_96:                               ;   in Loop: Header=BB0_7 Depth=1
	s_or_b32 exec_lo, exec_lo, s23
	v_and_b32_e32 v1, 0xffff, v2
	s_and_not1_b32 s15, s21, exec_lo
	s_wait_alu 0xfffe
	s_and_b32 s20, s22, exec_lo
	s_wait_alu 0xfffe
	s_or_b32 s21, s15, s20
	v_lshrrev_b32_e32 v25, 8, v1
.LBB0_97:                               ;   in Loop: Header=BB0_7 Depth=1
	s_or_b32 exec_lo, exec_lo, s18
	s_mov_b32 s18, 0
	s_mov_b32 s20, -1
.LBB0_98:                               ;   in Loop: Header=BB0_7 Depth=1
	s_wait_alu 0xfffe
	s_or_not1_b32 s15, s21, exec_lo
.LBB0_99:                               ;   in Loop: Header=BB0_7 Depth=1
	s_wait_alu 0xfffe
	s_or_b32 exec_lo, exec_lo, s11
	v_readfirstlane_b32 s21, v0
	s_and_not1_b32 s11, s68, exec_lo
	s_and_b32 s20, s20, exec_lo
	s_and_not1_b32 s22, s66, exec_lo
	s_and_b32 s18, s18, exec_lo
	s_and_not1_b32 s65, s65, exec_lo
	s_wait_alu 0xfffe
	s_or_b32 s68, s11, s20
	s_or_b32 s66, s22, s18
                                        ; implicit-def: $vgpr2
	s_and_saveexec_b32 s11, s15
	s_cbranch_execz .LBB0_6
; %bb.100:                              ;   in Loop: Header=BB0_7 Depth=1
	v_dual_mov_b32 v2, 1 :: v_dual_mov_b32 v1, 1
	s_xor_b32 s14, s14, -1
	s_mov_b32 s20, 0
	s_wait_alu 0xfffe
	s_and_saveexec_b32 s13, s14
	s_cbranch_execz .LBB0_109
; %bb.101:                              ;   in Loop: Header=BB0_7 Depth=1
	s_mov_b32 s14, exec_lo
	v_cmpx_ge_i32_e64 s12, v26
	s_wait_alu 0xfffe
	s_xor_b32 s14, exec_lo, s14
	s_cbranch_execz .LBB0_106
; %bb.102:                              ;   in Loop: Header=BB0_7 Depth=1
	ds_load_b32 v1, v14 offset:4096
	v_and_b32_e32 v10, s17, v10
	v_or_b32_e32 v24, s10, v24
	s_wait_dscnt 0x0
	v_cmp_ne_u32_e32 vcc_lo, 0, v1
	s_cbranch_vccnz .LBB0_106
; %bb.103:                              ;   in Loop: Header=BB0_7 Depth=1
	s_and_saveexec_b32 s15, s2
; %bb.104:                              ;   in Loop: Header=BB0_7 Depth=1
	v_mov_b32_e32 v1, s12
	ds_store_b32 v14, v1 offset:4100
; %bb.105:                              ;   in Loop: Header=BB0_7 Depth=1
	s_wait_alu 0xfffe
	s_or_b32 exec_lo, exec_lo, s15
	s_wait_loadcnt_dscnt 0x0
	s_barrier_signal -1
	s_barrier_wait -1
	global_inv scope:SCOPE_SE
.LBB0_106:                              ;   in Loop: Header=BB0_7 Depth=1
	s_wait_alu 0xfffe
	s_or_saveexec_b32 s14, s14
	v_mov_b32_e32 v1, 8
	s_mov_b32 s15, 0
	s_wait_alu 0xfffe
	s_xor_b32 exec_lo, exec_lo, s14
; %bb.107:                              ;   in Loop: Header=BB0_7 Depth=1
	v_subrev_nc_u32_e32 v26, s12, v26
	v_mov_b32_e32 v1, 0
	s_mov_b32 s15, exec_lo
; %bb.108:                              ;   in Loop: Header=BB0_7 Depth=1
	s_or_b32 exec_lo, exec_lo, s14
	s_delay_alu instid0(VALU_DEP_2)
	v_mov_b32_e32 v2, v26
	s_wait_alu 0xfffe
	s_and_b32 s20, s15, exec_lo
.LBB0_109:                              ;   in Loop: Header=BB0_7 Depth=1
	s_wait_alu 0xfffe
	s_or_b32 exec_lo, exec_lo, s13
	s_mov_b32 s12, -1
	s_mov_b32 s18, -1
                                        ; implicit-def: $sgpr14
                                        ; implicit-def: $sgpr15
	s_and_saveexec_b32 s13, s20
	s_wait_alu 0xfffe
	s_xor_b32 s13, exec_lo, s13
	s_cbranch_execz .LBB0_226
; %bb.110:                              ;   in Loop: Header=BB0_7 Depth=1
	v_cmp_eq_u32_e32 vcc_lo, 1, v2
	s_cmp_eq_u32 s19, 1
	s_mov_b32 s21, -1
	s_cselect_b32 s14, -1, 0
                                        ; implicit-def: $sgpr15
	s_wait_alu 0xfffe
	s_and_b32 s20, s14, vcc_lo
                                        ; implicit-def: $sgpr14
	s_wait_alu 0xfffe
	s_and_saveexec_b32 s18, s20
	s_cbranch_execz .LBB0_136
; %bb.111:                              ;   in Loop: Header=BB0_7 Depth=1
	ds_load_b32 v3, v14 offset:4096
	s_wait_loadcnt_dscnt 0x0
	s_barrier_signal -1
	s_barrier_wait -1
	global_inv scope:SCOPE_SE
	v_readfirstlane_b32 s21, v3
	s_and_saveexec_b32 s14, s0
; %bb.112:                              ;   in Loop: Header=BB0_7 Depth=1
	ds_store_b8 v0, v14 offset:3072
; %bb.113:                              ;   in Loop: Header=BB0_7 Depth=1
	s_wait_alu 0xfffe
	s_or_b32 exec_lo, exec_lo, s14
	s_lshl_b32 s14, 1, s70
	v_or_b32_e32 v24, s10, v24
	s_wait_alu 0xfffe
	v_and_or_b32 v10, v10, s17, s14
	s_mov_b32 s14, -1
	s_mov_b32 s15, 0
	s_cmp_gt_i32 s21, 0
	s_mov_b32 s22, 0
	s_mov_b32 s23, -1
	s_wait_loadcnt_dscnt 0x0
	s_barrier_signal -1
	s_barrier_wait -1
	global_inv scope:SCOPE_SE
                                        ; implicit-def: $vgpr25
	s_cbranch_scc1 .LBB0_124
; %bb.114:                              ;   in Loop: Header=BB0_7 Depth=1
	s_mov_b32 s23, 0
                                        ; implicit-def: $vgpr25
	s_and_saveexec_b32 s24, s8
	s_cbranch_execz .LBB0_123
; %bb.115:                              ;   in Loop: Header=BB0_7 Depth=1
	v_dual_mov_b32 v3, v11 :: v_dual_mov_b32 v4, v0
                                        ; implicit-def: $sgpr25
	s_branch .LBB0_118
.LBB0_116:                              ;   in Loop: Header=BB0_118 Depth=2
	s_wait_alu 0xfffe
	s_or_b32 exec_lo, exec_lo, s26
	s_wait_loadcnt_dscnt 0x0
	s_barrier_signal -1
	s_barrier_wait -1
	global_inv scope:SCOPE_SE
	ds_load_u16 v25, v14 offset:3072
	s_mov_b32 s26, -1
	s_mov_b32 s27, -1
	s_wait_loadcnt_dscnt 0x0
	s_barrier_signal -1
	s_barrier_wait -1
	global_inv scope:SCOPE_SE
	v_and_b32_e32 v26, 0xff, v25
	s_delay_alu instid0(VALU_DEP_1)
	v_cmp_ne_u32_e32 vcc_lo, 0, v26
	s_cbranch_vccz .LBB0_121
.LBB0_117:                              ;   in Loop: Header=BB0_118 Depth=2
	s_wait_alu 0xfffe
	s_and_b32 s26, exec_lo, s26
	s_wait_alu 0xfffe
	s_or_b32 s22, s26, s22
	s_and_not1_b32 s25, s25, exec_lo
	s_and_b32 s26, s27, exec_lo
	s_wait_alu 0xfffe
	s_or_b32 s25, s25, s26
	s_and_not1_b32 exec_lo, exec_lo, s22
	s_cbranch_execz .LBB0_122
.LBB0_118:                              ;   Parent Loop BB0_7 Depth=1
                                        ; =>  This Inner Loop Header: Depth=2
	s_mov_b32 s26, exec_lo
	s_delay_alu instid0(VALU_DEP_1)
	v_cmpx_gt_i32_e64 s36, v4
	s_cbranch_execz .LBB0_116
; %bb.119:                              ;   in Loop: Header=BB0_118 Depth=2
	v_ashrrev_i32_e32 v26, 31, v3
	v_add_co_u32 v25, vcc_lo, s42, v3
	s_wait_alu 0xfffd
	s_delay_alu instid0(VALU_DEP_2) | instskip(SKIP_3) | instid1(VALU_DEP_1)
	v_add_co_ci_u32_e64 v26, null, s43, v26, vcc_lo
	global_load_u8 v25, v[25:26], off
	s_wait_loadcnt 0x0
	v_and_b32_e32 v26, v25, v24
	v_and_b32_e32 v26, 0xff, v26
	s_delay_alu instid0(VALU_DEP_1)
	v_cmp_eq_u32_e32 vcc_lo, v26, v10
	s_and_b32 exec_lo, exec_lo, vcc_lo
	s_cbranch_execz .LBB0_116
; %bb.120:                              ;   in Loop: Header=BB0_118 Depth=2
	v_lshlrev_b16 v25, 8, v25
	s_delay_alu instid0(VALU_DEP_1)
	v_or_b32_e32 v25, 1, v25
	ds_store_b16 v14, v25 offset:3072
	s_branch .LBB0_116
.LBB0_121:                              ;   in Loop: Header=BB0_118 Depth=2
	v_add_nc_u32_e32 v4, s50, v4
	v_add_nc_u32_e32 v3, s54, v3
	s_mov_b32 s27, 0
	s_delay_alu instid0(VALU_DEP_2)
	v_cmp_le_i32_e32 vcc_lo, s62, v4
	s_or_not1_b32 s26, vcc_lo, exec_lo
	s_branch .LBB0_117
.LBB0_122:                              ;   in Loop: Header=BB0_7 Depth=1
	s_or_b32 exec_lo, exec_lo, s22
	v_and_b32_e32 v3, 0xffff, v25
	s_wait_alu 0xfffe
	s_and_b32 s22, s25, exec_lo
	s_delay_alu instid0(VALU_DEP_1)
	v_lshrrev_b32_e32 v25, 8, v3
.LBB0_123:                              ;   in Loop: Header=BB0_7 Depth=1
	s_wait_alu 0xfffe
	s_or_b32 exec_lo, exec_lo, s24
.LBB0_124:                              ;   in Loop: Header=BB0_7 Depth=1
	s_wait_alu 0xfffe
	s_and_b32 vcc_lo, exec_lo, s23
	s_wait_alu 0xfffe
	s_cbranch_vccz .LBB0_135
; %bb.125:                              ;   in Loop: Header=BB0_7 Depth=1
	s_add_co_i32 s23, s21, s53
                                        ; implicit-def: $vgpr25
	s_wait_alu 0xfffe
	s_abs_i32 s40, s23
	s_wait_alu 0xfffe
	s_mul_u64 s[14:15], s[40:41], s[46:47]
	s_wait_alu 0xfffe
	s_mul_i32 s14, s15, s50
	s_ashr_i32 s15, s23, 31
	s_wait_alu 0xfffe
	s_sub_co_i32 s14, s40, s14
	s_wait_alu 0xfffe
	s_sub_co_i32 s24, s14, s50
	s_cmp_ge_u32 s14, s50
	s_wait_alu 0xfffe
	s_cselect_b32 s14, s24, s14
	s_wait_alu 0xfffe
	s_sub_co_i32 s24, s14, s50
	s_cmp_ge_u32 s14, s50
	s_wait_alu 0xfffe
	s_cselect_b32 s14, s24, s14
	s_wait_alu 0xfffe
	s_xor_b32 s14, s14, s15
	s_wait_alu 0xfffe
	s_sub_co_i32 s14, s15, s14
	s_wait_alu 0xfffe
	s_add_co_i32 s15, s23, s14
	s_mov_b32 s14, exec_lo
	s_wait_alu 0xfffe
	v_cmpx_gt_i32_e64 s15, v0
	s_cbranch_execz .LBB0_134
; %bb.126:                              ;   in Loop: Header=BB0_7 Depth=1
	v_mov_b32_e32 v3, v0
	s_mov_b32 s23, 0
                                        ; implicit-def: $sgpr24
	s_branch .LBB0_129
.LBB0_127:                              ;   in Loop: Header=BB0_129 Depth=2
	s_wait_alu 0xfffe
	s_or_b32 exec_lo, exec_lo, s25
	s_wait_loadcnt_dscnt 0x0
	s_barrier_signal -1
	s_barrier_wait -1
	global_inv scope:SCOPE_SE
	ds_load_u16 v4, v14 offset:3072
	s_mov_b32 s26, -1
	s_mov_b32 s25, -1
	s_wait_loadcnt_dscnt 0x0
	s_barrier_signal -1
	s_barrier_wait -1
	global_inv scope:SCOPE_SE
	v_and_b32_e32 v25, 0xff, v4
	s_delay_alu instid0(VALU_DEP_1)
	v_cmp_eq_u32_e32 vcc_lo, 0, v25
	s_cbranch_vccnz .LBB0_132
.LBB0_128:                              ;   in Loop: Header=BB0_129 Depth=2
	s_wait_alu 0xfffe
	s_and_b32 s26, exec_lo, s26
	s_wait_alu 0xfffe
	s_or_b32 s23, s26, s23
	s_and_not1_b32 s24, s24, exec_lo
	s_and_b32 s25, s25, exec_lo
	s_wait_alu 0xfffe
	s_or_b32 s24, s24, s25
	s_and_not1_b32 exec_lo, exec_lo, s23
	s_cbranch_execz .LBB0_133
.LBB0_129:                              ;   Parent Loop BB0_7 Depth=1
                                        ; =>  This Inner Loop Header: Depth=2
	s_mov_b32 s25, exec_lo
	s_delay_alu instid0(VALU_DEP_1)
	v_cmpx_gt_i32_e64 s21, v3
	s_cbranch_execz .LBB0_127
; %bb.130:                              ;   in Loop: Header=BB0_129 Depth=2
	ds_load_u8 v4, v3
	s_wait_dscnt 0x0
	v_and_b32_e32 v25, v4, v24
	s_delay_alu instid0(VALU_DEP_1) | instskip(NEXT) | instid1(VALU_DEP_1)
	v_and_b32_e32 v25, 0xff, v25
	v_cmp_eq_u32_e32 vcc_lo, v25, v10
	s_and_b32 exec_lo, exec_lo, vcc_lo
	s_cbranch_execz .LBB0_127
; %bb.131:                              ;   in Loop: Header=BB0_129 Depth=2
	v_lshlrev_b16 v4, 8, v4
	s_delay_alu instid0(VALU_DEP_1)
	v_or_b32_e32 v4, 1, v4
	ds_store_b16 v14, v4 offset:3072
	s_branch .LBB0_127
.LBB0_132:                              ;   in Loop: Header=BB0_129 Depth=2
	v_add_nc_u32_e32 v3, s50, v3
	s_mov_b32 s25, 0
	s_delay_alu instid0(VALU_DEP_1)
	v_cmp_le_i32_e32 vcc_lo, s15, v3
	s_or_not1_b32 s26, vcc_lo, exec_lo
	s_branch .LBB0_128
.LBB0_133:                              ;   in Loop: Header=BB0_7 Depth=1
	s_or_b32 exec_lo, exec_lo, s23
	v_and_b32_e32 v3, 0xffff, v4
	s_and_not1_b32 s15, s22, exec_lo
	s_wait_alu 0xfffe
	s_and_b32 s21, s24, exec_lo
	s_wait_alu 0xfffe
	s_or_b32 s22, s15, s21
	v_lshrrev_b32_e32 v25, 8, v3
.LBB0_134:                              ;   in Loop: Header=BB0_7 Depth=1
	s_or_b32 exec_lo, exec_lo, s14
	s_mov_b32 s14, 0
	s_mov_b32 s15, -1
.LBB0_135:                              ;   in Loop: Header=BB0_7 Depth=1
	s_wait_alu 0xfffe
	s_or_not1_b32 s21, s22, exec_lo
.LBB0_136:                              ;   in Loop: Header=BB0_7 Depth=1
	s_wait_alu 0xfffe
	s_or_b32 exec_lo, exec_lo, s18
	s_mov_b32 s22, 0
	s_and_saveexec_b32 s18, s21
	s_cbranch_execz .LBB0_225
; %bb.137:                              ;   in Loop: Header=BB0_7 Depth=1
	v_mov_b32_e32 v3, 1
	v_mov_b32_e32 v1, 1
	s_xor_b32 s21, s20, -1
	s_mov_b32 s23, 0
	s_wait_alu 0xfffe
	s_and_saveexec_b32 s20, s21
	s_cbranch_execz .LBB0_146
; %bb.138:                              ;   in Loop: Header=BB0_7 Depth=1
	s_mov_b32 s21, exec_lo
	v_cmpx_ge_i32_e64 s19, v2
	s_wait_alu 0xfffe
	s_xor_b32 s21, exec_lo, s21
	s_cbranch_execz .LBB0_143
; %bb.139:                              ;   in Loop: Header=BB0_7 Depth=1
	ds_load_b32 v1, v14 offset:4096
	s_lshl_b32 s22, 1, s70
	v_or_b32_e32 v24, s10, v24
	s_wait_alu 0xfffe
	v_and_or_b32 v10, v10, s17, s22
	s_wait_dscnt 0x0
	v_cmp_ne_u32_e32 vcc_lo, 0, v1
	s_cbranch_vccnz .LBB0_143
; %bb.140:                              ;   in Loop: Header=BB0_7 Depth=1
	s_and_saveexec_b32 s22, s2
; %bb.141:                              ;   in Loop: Header=BB0_7 Depth=1
	v_mov_b32_e32 v1, s19
	ds_store_b32 v14, v1 offset:4100
; %bb.142:                              ;   in Loop: Header=BB0_7 Depth=1
	s_wait_alu 0xfffe
	s_or_b32 exec_lo, exec_lo, s22
	s_wait_loadcnt_dscnt 0x0
	s_barrier_signal -1
	s_barrier_wait -1
	global_inv scope:SCOPE_SE
.LBB0_143:                              ;   in Loop: Header=BB0_7 Depth=1
	s_wait_alu 0xfffe
	s_or_saveexec_b32 s21, s21
	v_mov_b32_e32 v1, 8
	s_mov_b32 s22, 0
	s_wait_alu 0xfffe
	s_xor_b32 exec_lo, exec_lo, s21
; %bb.144:                              ;   in Loop: Header=BB0_7 Depth=1
	v_subrev_nc_u32_e32 v2, s19, v2
	v_mov_b32_e32 v1, 0
	s_mov_b32 s22, exec_lo
; %bb.145:                              ;   in Loop: Header=BB0_7 Depth=1
	s_or_b32 exec_lo, exec_lo, s21
	s_delay_alu instid0(VALU_DEP_2)
	v_mov_b32_e32 v3, v2
	s_wait_alu 0xfffe
	s_and_b32 s23, s22, exec_lo
.LBB0_146:                              ;   in Loop: Header=BB0_7 Depth=1
	s_wait_alu 0xfffe
	s_or_b32 exec_lo, exec_lo, s20
	s_mov_b32 s22, -1
                                        ; implicit-def: $sgpr20
                                        ; implicit-def: $sgpr21
	s_and_saveexec_b32 s19, s23
	s_cbranch_execz .LBB0_224
; %bb.147:                              ;   in Loop: Header=BB0_7 Depth=1
	v_cmp_eq_u32_e32 vcc_lo, 1, v3
	s_cmp_eq_u32 s16, 1
	s_mov_b32 s24, -1
	s_cselect_b32 s20, -1, 0
                                        ; implicit-def: $sgpr21
	s_wait_alu 0xfffe
	s_and_b32 s23, s20, vcc_lo
                                        ; implicit-def: $sgpr20
	s_wait_alu 0xfffe
	s_and_saveexec_b32 s22, s23
	s_cbranch_execz .LBB0_173
; %bb.148:                              ;   in Loop: Header=BB0_7 Depth=1
	ds_load_b32 v2, v14 offset:4096
	s_wait_loadcnt_dscnt 0x0
	s_barrier_signal -1
	s_barrier_wait -1
	global_inv scope:SCOPE_SE
	v_readfirstlane_b32 s24, v2
	s_and_saveexec_b32 s20, s0
; %bb.149:                              ;   in Loop: Header=BB0_7 Depth=1
	ds_store_b8 v0, v14 offset:3072
; %bb.150:                              ;   in Loop: Header=BB0_7 Depth=1
	s_wait_alu 0xfffe
	s_or_b32 exec_lo, exec_lo, s20
	s_lshl_b32 s20, 2, s70
	v_or_b32_e32 v24, s10, v24
	s_wait_alu 0xfffe
	v_and_or_b32 v10, v10, s17, s20
	s_mov_b32 s20, -1
	s_mov_b32 s21, 0
	s_cmp_gt_i32 s24, 0
	s_mov_b32 s25, 0
	s_mov_b32 s26, -1
	s_wait_loadcnt_dscnt 0x0
	s_barrier_signal -1
	s_barrier_wait -1
	global_inv scope:SCOPE_SE
                                        ; implicit-def: $vgpr25
	s_cbranch_scc1 .LBB0_161
; %bb.151:                              ;   in Loop: Header=BB0_7 Depth=1
	s_mov_b32 s26, 0
                                        ; implicit-def: $vgpr25
	s_and_saveexec_b32 s27, s8
	s_cbranch_execz .LBB0_160
; %bb.152:                              ;   in Loop: Header=BB0_7 Depth=1
	v_mov_b32_e32 v2, v11
	v_mov_b32_e32 v4, v0
                                        ; implicit-def: $sgpr28
	s_branch .LBB0_155
.LBB0_153:                              ;   in Loop: Header=BB0_155 Depth=2
	s_wait_alu 0xfffe
	s_or_b32 exec_lo, exec_lo, s40
	s_wait_loadcnt_dscnt 0x0
	s_barrier_signal -1
	s_barrier_wait -1
	global_inv scope:SCOPE_SE
	ds_load_u16 v25, v14 offset:3072
	s_mov_b32 s40, -1
	s_mov_b32 s71, -1
	s_wait_loadcnt_dscnt 0x0
	s_barrier_signal -1
	s_barrier_wait -1
	global_inv scope:SCOPE_SE
	v_and_b32_e32 v26, 0xff, v25
	s_delay_alu instid0(VALU_DEP_1)
	v_cmp_ne_u32_e32 vcc_lo, 0, v26
	s_cbranch_vccz .LBB0_158
.LBB0_154:                              ;   in Loop: Header=BB0_155 Depth=2
	s_wait_alu 0xfffe
	s_and_b32 s40, exec_lo, s40
	s_wait_alu 0xfffe
	s_or_b32 s25, s40, s25
	s_and_not1_b32 s28, s28, exec_lo
	s_and_b32 s40, s71, exec_lo
	s_wait_alu 0xfffe
	s_or_b32 s28, s28, s40
	s_and_not1_b32 exec_lo, exec_lo, s25
	s_cbranch_execz .LBB0_159
.LBB0_155:                              ;   Parent Loop BB0_7 Depth=1
                                        ; =>  This Inner Loop Header: Depth=2
	s_mov_b32 s40, exec_lo
	s_delay_alu instid0(VALU_DEP_1)
	v_cmpx_gt_i32_e64 s36, v4
	s_cbranch_execz .LBB0_153
; %bb.156:                              ;   in Loop: Header=BB0_155 Depth=2
	v_ashrrev_i32_e32 v26, 31, v2
	v_add_co_u32 v25, vcc_lo, s42, v2
	s_wait_alu 0xfffd
	s_delay_alu instid0(VALU_DEP_2) | instskip(SKIP_3) | instid1(VALU_DEP_1)
	v_add_co_ci_u32_e64 v26, null, s43, v26, vcc_lo
	global_load_u8 v25, v[25:26], off
	s_wait_loadcnt 0x0
	v_and_b32_e32 v26, v25, v24
	v_and_b32_e32 v26, 0xff, v26
	s_delay_alu instid0(VALU_DEP_1)
	v_cmp_eq_u32_e32 vcc_lo, v26, v10
	s_and_b32 exec_lo, exec_lo, vcc_lo
	s_cbranch_execz .LBB0_153
; %bb.157:                              ;   in Loop: Header=BB0_155 Depth=2
	v_lshlrev_b16 v25, 8, v25
	s_delay_alu instid0(VALU_DEP_1)
	v_or_b32_e32 v25, 1, v25
	ds_store_b16 v14, v25 offset:3072
	s_branch .LBB0_153
.LBB0_158:                              ;   in Loop: Header=BB0_155 Depth=2
	v_add_nc_u32_e32 v4, s50, v4
	v_add_nc_u32_e32 v2, s54, v2
	s_mov_b32 s71, 0
	s_delay_alu instid0(VALU_DEP_2)
	v_cmp_le_i32_e32 vcc_lo, s62, v4
	s_or_not1_b32 s40, vcc_lo, exec_lo
	s_branch .LBB0_154
.LBB0_159:                              ;   in Loop: Header=BB0_7 Depth=1
	s_or_b32 exec_lo, exec_lo, s25
	v_and_b32_e32 v2, 0xffff, v25
	s_and_b32 s25, s28, exec_lo
	s_delay_alu instid0(VALU_DEP_1)
	v_lshrrev_b32_e32 v25, 8, v2
.LBB0_160:                              ;   in Loop: Header=BB0_7 Depth=1
	s_wait_alu 0xfffe
	s_or_b32 exec_lo, exec_lo, s27
.LBB0_161:                              ;   in Loop: Header=BB0_7 Depth=1
	s_wait_alu 0xfffe
	s_and_b32 vcc_lo, exec_lo, s26
	s_wait_alu 0xfffe
	s_cbranch_vccz .LBB0_172
; %bb.162:                              ;   in Loop: Header=BB0_7 Depth=1
	s_add_co_i32 s26, s24, s53
                                        ; implicit-def: $vgpr25
	s_wait_alu 0xfffe
	s_abs_i32 s40, s26
	s_wait_alu 0xfffe
	s_mul_u64 s[20:21], s[40:41], s[46:47]
	s_wait_alu 0xfffe
	s_mul_i32 s20, s21, s50
	s_ashr_i32 s21, s26, 31
	s_wait_alu 0xfffe
	s_sub_co_i32 s20, s40, s20
	s_wait_alu 0xfffe
	s_sub_co_i32 s27, s20, s50
	s_cmp_ge_u32 s20, s50
	s_wait_alu 0xfffe
	s_cselect_b32 s20, s27, s20
	s_wait_alu 0xfffe
	s_sub_co_i32 s27, s20, s50
	s_cmp_ge_u32 s20, s50
	s_wait_alu 0xfffe
	s_cselect_b32 s20, s27, s20
	s_wait_alu 0xfffe
	s_xor_b32 s20, s20, s21
	s_wait_alu 0xfffe
	s_sub_co_i32 s20, s21, s20
	s_wait_alu 0xfffe
	s_add_co_i32 s21, s26, s20
	s_mov_b32 s20, exec_lo
	s_wait_alu 0xfffe
	v_cmpx_gt_i32_e64 s21, v0
	s_cbranch_execz .LBB0_171
; %bb.163:                              ;   in Loop: Header=BB0_7 Depth=1
	v_mov_b32_e32 v2, v0
	s_mov_b32 s26, 0
                                        ; implicit-def: $sgpr27
	s_branch .LBB0_166
.LBB0_164:                              ;   in Loop: Header=BB0_166 Depth=2
	s_or_b32 exec_lo, exec_lo, s28
	s_wait_loadcnt_dscnt 0x0
	s_barrier_signal -1
	s_barrier_wait -1
	global_inv scope:SCOPE_SE
	ds_load_u16 v4, v14 offset:3072
	s_mov_b32 s40, -1
	s_mov_b32 s28, -1
	s_wait_loadcnt_dscnt 0x0
	s_barrier_signal -1
	s_barrier_wait -1
	global_inv scope:SCOPE_SE
	v_and_b32_e32 v25, 0xff, v4
	s_delay_alu instid0(VALU_DEP_1)
	v_cmp_eq_u32_e32 vcc_lo, 0, v25
	s_cbranch_vccnz .LBB0_169
.LBB0_165:                              ;   in Loop: Header=BB0_166 Depth=2
	s_wait_alu 0xfffe
	s_and_b32 s40, exec_lo, s40
	s_wait_alu 0xfffe
	s_or_b32 s26, s40, s26
	s_and_not1_b32 s27, s27, exec_lo
	s_and_b32 s28, s28, exec_lo
	s_wait_alu 0xfffe
	s_or_b32 s27, s27, s28
	s_and_not1_b32 exec_lo, exec_lo, s26
	s_cbranch_execz .LBB0_170
.LBB0_166:                              ;   Parent Loop BB0_7 Depth=1
                                        ; =>  This Inner Loop Header: Depth=2
	s_mov_b32 s28, exec_lo
	s_delay_alu instid0(VALU_DEP_1)
	v_cmpx_gt_i32_e64 s24, v2
	s_cbranch_execz .LBB0_164
; %bb.167:                              ;   in Loop: Header=BB0_166 Depth=2
	ds_load_u8 v4, v2
	s_wait_dscnt 0x0
	v_and_b32_e32 v25, v4, v24
	s_delay_alu instid0(VALU_DEP_1) | instskip(NEXT) | instid1(VALU_DEP_1)
	v_and_b32_e32 v25, 0xff, v25
	v_cmp_eq_u32_e32 vcc_lo, v25, v10
	s_and_b32 exec_lo, exec_lo, vcc_lo
	s_cbranch_execz .LBB0_164
; %bb.168:                              ;   in Loop: Header=BB0_166 Depth=2
	v_lshlrev_b16 v4, 8, v4
	s_delay_alu instid0(VALU_DEP_1)
	v_or_b32_e32 v4, 1, v4
	ds_store_b16 v14, v4 offset:3072
	s_branch .LBB0_164
.LBB0_169:                              ;   in Loop: Header=BB0_166 Depth=2
	v_add_nc_u32_e32 v2, s50, v2
	s_mov_b32 s28, 0
	s_delay_alu instid0(VALU_DEP_1)
	v_cmp_le_i32_e32 vcc_lo, s21, v2
	s_or_not1_b32 s40, vcc_lo, exec_lo
	s_branch .LBB0_165
.LBB0_170:                              ;   in Loop: Header=BB0_7 Depth=1
	s_or_b32 exec_lo, exec_lo, s26
	v_and_b32_e32 v2, 0xffff, v4
	s_and_not1_b32 s21, s25, exec_lo
	s_wait_alu 0xfffe
	s_and_b32 s24, s27, exec_lo
	s_wait_alu 0xfffe
	s_or_b32 s25, s21, s24
	v_lshrrev_b32_e32 v25, 8, v2
.LBB0_171:                              ;   in Loop: Header=BB0_7 Depth=1
	s_or_b32 exec_lo, exec_lo, s20
	s_mov_b32 s20, 0
	s_mov_b32 s21, -1
.LBB0_172:                              ;   in Loop: Header=BB0_7 Depth=1
	s_wait_alu 0xfffe
	s_or_not1_b32 s24, s25, exec_lo
.LBB0_173:                              ;   in Loop: Header=BB0_7 Depth=1
	s_wait_alu 0xfffe
	s_or_b32 exec_lo, exec_lo, s22
	s_mov_b32 s25, 0
	s_and_saveexec_b32 s22, s24
	s_cbranch_execz .LBB0_223
; %bb.174:                              ;   in Loop: Header=BB0_7 Depth=1
	v_dual_mov_b32 v2, 1 :: v_dual_mov_b32 v1, 1
	s_xor_b32 s24, s23, -1
	s_wait_alu 0xfffe
	s_and_saveexec_b32 s23, s24
	s_cbranch_execz .LBB0_183
; %bb.175:                              ;   in Loop: Header=BB0_7 Depth=1
	s_mov_b32 s24, exec_lo
	v_cmpx_ge_i32_e64 s16, v3
	s_wait_alu 0xfffe
	s_xor_b32 s24, exec_lo, s24
	s_cbranch_execz .LBB0_180
; %bb.176:                              ;   in Loop: Header=BB0_7 Depth=1
	ds_load_b32 v1, v14 offset:4096
	s_lshl_b32 s25, 2, s70
	v_or_b32_e32 v24, s10, v24
	s_wait_alu 0xfffe
	v_and_or_b32 v10, v10, s17, s25
	s_wait_dscnt 0x0
	v_cmp_ne_u32_e32 vcc_lo, 0, v1
	s_cbranch_vccnz .LBB0_180
; %bb.177:                              ;   in Loop: Header=BB0_7 Depth=1
	s_and_saveexec_b32 s17, s2
; %bb.178:                              ;   in Loop: Header=BB0_7 Depth=1
	v_mov_b32_e32 v1, s16
	ds_store_b32 v14, v1 offset:4100
; %bb.179:                              ;   in Loop: Header=BB0_7 Depth=1
	s_wait_alu 0xfffe
	s_or_b32 exec_lo, exec_lo, s17
	s_wait_loadcnt_dscnt 0x0
	s_barrier_signal -1
	s_barrier_wait -1
	global_inv scope:SCOPE_SE
.LBB0_180:                              ;   in Loop: Header=BB0_7 Depth=1
	s_wait_alu 0xfffe
	s_or_saveexec_b32 s17, s24
	v_mov_b32_e32 v1, 8
	s_mov_b32 s24, 0
	s_wait_alu 0xfffe
	s_xor_b32 exec_lo, exec_lo, s17
; %bb.181:                              ;   in Loop: Header=BB0_7 Depth=1
	v_subrev_nc_u32_e32 v3, s16, v3
	v_mov_b32_e32 v1, 0
	s_mov_b32 s24, exec_lo
; %bb.182:                              ;   in Loop: Header=BB0_7 Depth=1
	s_or_b32 exec_lo, exec_lo, s17
	s_delay_alu instid0(VALU_DEP_2)
	v_mov_b32_e32 v2, v3
	s_wait_alu 0xfffe
	s_and_b32 s25, s24, exec_lo
.LBB0_183:                              ;   in Loop: Header=BB0_7 Depth=1
	s_wait_alu 0xfffe
	s_or_b32 exec_lo, exec_lo, s23
	s_mov_b32 s17, -1
                                        ; implicit-def: $sgpr24
                                        ; implicit-def: $sgpr23
	s_and_saveexec_b32 s16, s25
	s_cbranch_execz .LBB0_222
; %bb.184:                              ;   in Loop: Header=BB0_7 Depth=1
	v_cmp_eq_u32_e32 vcc_lo, 1, v2
	s_cmp_eq_u32 s9, 1
	s_mov_b32 s26, -1
	s_cselect_b32 s17, -1, 0
                                        ; implicit-def: $sgpr24
                                        ; implicit-def: $sgpr23
	s_wait_alu 0xfffe
	s_and_b32 s17, s17, vcc_lo
	s_wait_alu 0xfffe
	s_and_saveexec_b32 s25, s17
	s_cbranch_execz .LBB0_210
; %bb.185:                              ;   in Loop: Header=BB0_7 Depth=1
	ds_load_b32 v3, v14 offset:4096
	s_wait_loadcnt_dscnt 0x0
	s_barrier_signal -1
	s_barrier_wait -1
	global_inv scope:SCOPE_SE
	v_readfirstlane_b32 s26, v3
	s_and_saveexec_b32 s23, s0
; %bb.186:                              ;   in Loop: Header=BB0_7 Depth=1
	ds_store_b8 v0, v14 offset:3072
; %bb.187:                              ;   in Loop: Header=BB0_7 Depth=1
	s_wait_alu 0xfffe
	s_or_b32 exec_lo, exec_lo, s23
	v_or_b32_e32 v10, s10, v10
	v_or_b32_e32 v24, s10, v24
	s_mov_b32 s23, -1
	s_mov_b32 s24, 0
	s_cmp_gt_i32 s26, 0
	s_mov_b32 s27, 0
	s_mov_b32 s28, -1
	s_wait_loadcnt_dscnt 0x0
	s_barrier_signal -1
	s_barrier_wait -1
	global_inv scope:SCOPE_SE
                                        ; implicit-def: $vgpr25
	s_cbranch_scc1 .LBB0_198
; %bb.188:                              ;   in Loop: Header=BB0_7 Depth=1
	s_mov_b32 s28, 0
                                        ; implicit-def: $vgpr25
	s_and_saveexec_b32 s40, s8
	s_cbranch_execz .LBB0_197
; %bb.189:                              ;   in Loop: Header=BB0_7 Depth=1
	v_dual_mov_b32 v3, v11 :: v_dual_mov_b32 v4, v0
                                        ; implicit-def: $sgpr71
	s_branch .LBB0_192
.LBB0_190:                              ;   in Loop: Header=BB0_192 Depth=2
	s_wait_alu 0xfffe
	s_or_b32 exec_lo, exec_lo, s72
	s_wait_loadcnt_dscnt 0x0
	s_barrier_signal -1
	s_barrier_wait -1
	global_inv scope:SCOPE_SE
	ds_load_u16 v25, v14 offset:3072
	s_mov_b32 s72, -1
	s_mov_b32 s73, -1
	s_wait_loadcnt_dscnt 0x0
	s_barrier_signal -1
	s_barrier_wait -1
	global_inv scope:SCOPE_SE
	v_and_b32_e32 v26, 0xff, v25
	s_delay_alu instid0(VALU_DEP_1)
	v_cmp_ne_u32_e32 vcc_lo, 0, v26
	s_cbranch_vccz .LBB0_195
.LBB0_191:                              ;   in Loop: Header=BB0_192 Depth=2
	s_wait_alu 0xfffe
	s_and_b32 s72, exec_lo, s72
	s_wait_alu 0xfffe
	s_or_b32 s27, s72, s27
	s_and_not1_b32 s71, s71, exec_lo
	s_and_b32 s72, s73, exec_lo
	s_wait_alu 0xfffe
	s_or_b32 s71, s71, s72
	s_and_not1_b32 exec_lo, exec_lo, s27
	s_cbranch_execz .LBB0_196
.LBB0_192:                              ;   Parent Loop BB0_7 Depth=1
                                        ; =>  This Inner Loop Header: Depth=2
	s_mov_b32 s72, exec_lo
	s_delay_alu instid0(VALU_DEP_1)
	v_cmpx_gt_i32_e64 s36, v4
	s_cbranch_execz .LBB0_190
; %bb.193:                              ;   in Loop: Header=BB0_192 Depth=2
	v_ashrrev_i32_e32 v26, 31, v3
	v_add_co_u32 v25, vcc_lo, s42, v3
	s_wait_alu 0xfffd
	s_delay_alu instid0(VALU_DEP_2) | instskip(SKIP_3) | instid1(VALU_DEP_1)
	v_add_co_ci_u32_e64 v26, null, s43, v26, vcc_lo
	global_load_u8 v25, v[25:26], off
	s_wait_loadcnt 0x0
	v_and_b32_e32 v26, v25, v24
	v_and_b32_e32 v26, 0xff, v26
	s_delay_alu instid0(VALU_DEP_1)
	v_cmp_eq_u32_e32 vcc_lo, v26, v10
	s_and_b32 exec_lo, exec_lo, vcc_lo
	s_cbranch_execz .LBB0_190
; %bb.194:                              ;   in Loop: Header=BB0_192 Depth=2
	v_lshlrev_b16 v25, 8, v25
	s_delay_alu instid0(VALU_DEP_1)
	v_or_b32_e32 v25, 1, v25
	ds_store_b16 v14, v25 offset:3072
	s_branch .LBB0_190
.LBB0_195:                              ;   in Loop: Header=BB0_192 Depth=2
	v_add_nc_u32_e32 v4, s50, v4
	v_add_nc_u32_e32 v3, s54, v3
	s_mov_b32 s73, 0
	s_delay_alu instid0(VALU_DEP_2)
	v_cmp_le_i32_e32 vcc_lo, s62, v4
	s_or_not1_b32 s72, vcc_lo, exec_lo
	s_branch .LBB0_191
.LBB0_196:                              ;   in Loop: Header=BB0_7 Depth=1
	s_or_b32 exec_lo, exec_lo, s27
	v_and_b32_e32 v3, 0xffff, v25
	s_wait_alu 0xfffe
	s_and_b32 s27, s71, exec_lo
	s_delay_alu instid0(VALU_DEP_1)
	v_lshrrev_b32_e32 v25, 8, v3
.LBB0_197:                              ;   in Loop: Header=BB0_7 Depth=1
	s_wait_alu 0xfffe
	s_or_b32 exec_lo, exec_lo, s40
.LBB0_198:                              ;   in Loop: Header=BB0_7 Depth=1
	s_delay_alu instid0(SALU_CYCLE_1)
	s_and_b32 vcc_lo, exec_lo, s28
	s_wait_alu 0xfffe
	s_cbranch_vccz .LBB0_209
; %bb.199:                              ;   in Loop: Header=BB0_7 Depth=1
	s_add_co_i32 s24, s26, s53
                                        ; implicit-def: $vgpr25
	s_wait_alu 0xfffe
	s_abs_i32 s40, s24
	s_ashr_i32 s28, s24, 31
	s_wait_alu 0xfffe
	s_mul_u64 s[72:73], s[40:41], s[46:47]
	s_wait_alu 0xfffe
	s_mul_i32 s23, s73, s50
	s_wait_alu 0xfffe
	s_sub_co_i32 s23, s40, s23
	s_wait_alu 0xfffe
	s_sub_co_i32 s40, s23, s50
	s_cmp_ge_u32 s23, s50
	s_wait_alu 0xfffe
	s_cselect_b32 s23, s40, s23
	s_wait_alu 0xfffe
	s_sub_co_i32 s40, s23, s50
	s_cmp_ge_u32 s23, s50
	s_wait_alu 0xfffe
	s_cselect_b32 s23, s40, s23
	s_wait_alu 0xfffe
	s_xor_b32 s23, s23, s28
	s_wait_alu 0xfffe
	s_sub_co_i32 s23, s28, s23
	s_wait_alu 0xfffe
	s_add_co_i32 s24, s24, s23
	s_mov_b32 s23, exec_lo
	s_wait_alu 0xfffe
	v_cmpx_gt_i32_e64 s24, v0
	s_cbranch_execz .LBB0_208
; %bb.200:                              ;   in Loop: Header=BB0_7 Depth=1
	v_mov_b32_e32 v3, v0
	s_mov_b32 s28, 0
                                        ; implicit-def: $sgpr40
	s_branch .LBB0_203
.LBB0_201:                              ;   in Loop: Header=BB0_203 Depth=2
	s_wait_alu 0xfffe
	s_or_b32 exec_lo, exec_lo, s71
	s_wait_loadcnt_dscnt 0x0
	s_barrier_signal -1
	s_barrier_wait -1
	global_inv scope:SCOPE_SE
	ds_load_u16 v4, v14 offset:3072
	s_mov_b32 s72, -1
	s_mov_b32 s71, -1
	s_wait_loadcnt_dscnt 0x0
	s_barrier_signal -1
	s_barrier_wait -1
	global_inv scope:SCOPE_SE
	v_and_b32_e32 v25, 0xff, v4
	s_delay_alu instid0(VALU_DEP_1)
	v_cmp_eq_u32_e32 vcc_lo, 0, v25
	s_cbranch_vccnz .LBB0_206
.LBB0_202:                              ;   in Loop: Header=BB0_203 Depth=2
	s_wait_alu 0xfffe
	s_and_b32 s72, exec_lo, s72
	s_wait_alu 0xfffe
	s_or_b32 s28, s72, s28
	s_and_not1_b32 s40, s40, exec_lo
	s_and_b32 s71, s71, exec_lo
	s_wait_alu 0xfffe
	s_or_b32 s40, s40, s71
	s_and_not1_b32 exec_lo, exec_lo, s28
	s_cbranch_execz .LBB0_207
.LBB0_203:                              ;   Parent Loop BB0_7 Depth=1
                                        ; =>  This Inner Loop Header: Depth=2
	s_mov_b32 s71, exec_lo
	s_delay_alu instid0(VALU_DEP_1)
	v_cmpx_gt_i32_e64 s26, v3
	s_cbranch_execz .LBB0_201
; %bb.204:                              ;   in Loop: Header=BB0_203 Depth=2
	ds_load_u8 v4, v3
	s_wait_dscnt 0x0
	v_and_b32_e32 v25, v4, v24
	s_delay_alu instid0(VALU_DEP_1) | instskip(NEXT) | instid1(VALU_DEP_1)
	v_and_b32_e32 v25, 0xff, v25
	v_cmp_eq_u32_e32 vcc_lo, v25, v10
	s_and_b32 exec_lo, exec_lo, vcc_lo
	s_cbranch_execz .LBB0_201
; %bb.205:                              ;   in Loop: Header=BB0_203 Depth=2
	v_lshlrev_b16 v4, 8, v4
	s_delay_alu instid0(VALU_DEP_1)
	v_or_b32_e32 v4, 1, v4
	ds_store_b16 v14, v4 offset:3072
	s_branch .LBB0_201
.LBB0_206:                              ;   in Loop: Header=BB0_203 Depth=2
	v_add_nc_u32_e32 v3, s50, v3
	s_mov_b32 s71, 0
	s_delay_alu instid0(VALU_DEP_1)
	v_cmp_le_i32_e32 vcc_lo, s24, v3
	s_or_not1_b32 s72, vcc_lo, exec_lo
	s_branch .LBB0_202
.LBB0_207:                              ;   in Loop: Header=BB0_7 Depth=1
	s_or_b32 exec_lo, exec_lo, s28
	v_and_b32_e32 v3, 0xffff, v4
	s_and_not1_b32 s24, s27, exec_lo
	s_wait_alu 0xfffe
	s_and_b32 s26, s40, exec_lo
	s_wait_alu 0xfffe
	s_or_b32 s27, s24, s26
	v_lshrrev_b32_e32 v25, 8, v3
.LBB0_208:                              ;   in Loop: Header=BB0_7 Depth=1
	s_or_b32 exec_lo, exec_lo, s23
	s_mov_b32 s23, 0
	s_mov_b32 s24, -1
.LBB0_209:                              ;   in Loop: Header=BB0_7 Depth=1
	s_wait_alu 0xfffe
	s_or_not1_b32 s26, s27, exec_lo
.LBB0_210:                              ;   in Loop: Header=BB0_7 Depth=1
	s_wait_alu 0xfffe
	s_or_b32 exec_lo, exec_lo, s25
	s_mov_b32 s27, 0
	s_and_saveexec_b32 s25, s26
	s_cbranch_execz .LBB0_221
; %bb.211:                              ;   in Loop: Header=BB0_7 Depth=1
	v_mov_b32_e32 v1, 1
	v_mov_b32_e32 v3, 1
	s_xor_b32 s26, s17, -1
	s_wait_alu 0xfffe
	s_and_saveexec_b32 s17, s26
	s_cbranch_execz .LBB0_220
; %bb.212:                              ;   in Loop: Header=BB0_7 Depth=1
	s_mov_b32 s26, exec_lo
	v_cmpx_ge_i32_e64 s9, v2
	s_wait_alu 0xfffe
	s_xor_b32 s26, exec_lo, s26
	s_cbranch_execz .LBB0_217
; %bb.213:                              ;   in Loop: Header=BB0_7 Depth=1
	ds_load_b32 v1, v14 offset:4096
	v_or_b32_e32 v10, s10, v10
	v_or_b32_e32 v24, s10, v24
	s_wait_dscnt 0x0
	v_cmp_ne_u32_e32 vcc_lo, 0, v1
	s_cbranch_vccnz .LBB0_217
; %bb.214:                              ;   in Loop: Header=BB0_7 Depth=1
	s_and_saveexec_b32 s10, s2
; %bb.215:                              ;   in Loop: Header=BB0_7 Depth=1
	v_mov_b32_e32 v1, s9
	ds_store_b32 v14, v1 offset:4100
; %bb.216:                              ;   in Loop: Header=BB0_7 Depth=1
	s_wait_alu 0xfffe
	s_or_b32 exec_lo, exec_lo, s10
	s_wait_loadcnt_dscnt 0x0
	s_barrier_signal -1
	s_barrier_wait -1
	global_inv scope:SCOPE_SE
.LBB0_217:                              ;   in Loop: Header=BB0_7 Depth=1
	s_wait_alu 0xfffe
	s_and_not1_saveexec_b32 s10, s26
; %bb.218:                              ;   in Loop: Header=BB0_7 Depth=1
	v_subrev_nc_u32_e32 v2, s9, v2
; %bb.219:                              ;   in Loop: Header=BB0_7 Depth=1
	s_wait_alu 0xfffe
	s_or_b32 exec_lo, exec_lo, s10
	v_mov_b32_e32 v1, 8
	s_delay_alu instid0(VALU_DEP_2)
	v_mov_b32_e32 v3, v2
.LBB0_220:                              ;   in Loop: Header=BB0_7 Depth=1
	s_wait_alu 0xfffe
	s_or_b32 exec_lo, exec_lo, s17
	s_delay_alu instid0(VALU_DEP_1)
	v_mov_b32_e32 v2, v3
	s_mov_b32 s27, exec_lo
.LBB0_221:                              ;   in Loop: Header=BB0_7 Depth=1
	s_wait_alu 0xfffe
	s_or_b32 exec_lo, exec_lo, s25
	s_delay_alu instid0(SALU_CYCLE_1)
	s_or_not1_b32 s17, s27, exec_lo
.LBB0_222:                              ;   in Loop: Header=BB0_7 Depth=1
	s_wait_alu 0xfffe
	s_or_b32 exec_lo, exec_lo, s16
	v_mov_b32_e32 v3, v2
	s_and_not1_b32 s9, s21, exec_lo
	s_and_b32 s10, s24, exec_lo
	s_and_not1_b32 s16, s20, exec_lo
	s_and_b32 s20, s23, exec_lo
	s_wait_alu 0xfffe
	s_or_b32 s21, s9, s10
	s_or_b32 s20, s16, s20
	s_and_b32 s25, s17, exec_lo
.LBB0_223:                              ;   in Loop: Header=BB0_7 Depth=1
	s_wait_alu 0xfffe
	s_or_b32 exec_lo, exec_lo, s22
	s_delay_alu instid0(SALU_CYCLE_1)
	s_or_not1_b32 s22, s25, exec_lo
.LBB0_224:                              ;   in Loop: Header=BB0_7 Depth=1
	s_wait_alu 0xfffe
	s_or_b32 exec_lo, exec_lo, s19
	v_mov_b32_e32 v2, v3
	s_and_not1_b32 s9, s15, exec_lo
	s_and_b32 s10, s21, exec_lo
	s_and_not1_b32 s14, s14, exec_lo
	s_and_b32 s16, s20, exec_lo
	s_wait_alu 0xfffe
	s_or_b32 s15, s9, s10
	s_or_b32 s14, s14, s16
	s_and_b32 s22, s22, exec_lo
.LBB0_225:                              ;   in Loop: Header=BB0_7 Depth=1
	s_wait_alu 0xfffe
	s_or_b32 exec_lo, exec_lo, s18
	s_delay_alu instid0(SALU_CYCLE_1)
	s_or_not1_b32 s18, s22, exec_lo
.LBB0_226:                              ;   in Loop: Header=BB0_7 Depth=1
	s_wait_alu 0xfffe
	s_or_b32 exec_lo, exec_lo, s13
	s_mov_b32 s10, 0
                                        ; implicit-def: $sgpr21
	s_and_saveexec_b32 s9, s18
	s_wait_alu 0xfffe
	s_xor_b32 s9, exec_lo, s9
	s_cbranch_execz .LBB0_5
; %bb.227:                              ;   in Loop: Header=BB0_7 Depth=1
	v_and_b32_e32 v1, 7, v1
	s_mov_b32 s12, -1
	s_mov_b32 s10, -1
	s_mov_b32 s13, exec_lo
                                        ; implicit-def: $sgpr21
	s_delay_alu instid0(VALU_DEP_1)
	v_cmpx_eq_u32_e32 0, v1
	s_cbranch_execz .LBB0_4
; %bb.228:                              ;   in Loop: Header=BB0_7 Depth=1
	s_add_co_i32 s21, s70, -2
	s_cmp_eq_u32 s70, 0
	v_xor_b32_e32 v23, 1, v23
	s_cselect_b32 s12, -1, 0
	s_xor_b32 s10, exec_lo, -1
	s_wait_alu 0xfffe
	s_or_not1_b32 s12, s12, exec_lo
	s_branch .LBB0_4
.LBB0_229:
	s_or_b32 exec_lo, exec_lo, s63
	s_xor_b32 s4, s69, -1
	s_xor_b32 s0, s67, -1
	;; [unrolled: 1-line block ×3, first 2 shown]
	s_mov_b32 s1, 0
	s_wait_alu 0xfffe
	s_and_saveexec_b32 s5, s0
	s_delay_alu instid0(SALU_CYCLE_1)
	s_xor_b32 s0, exec_lo, s5
	s_cbranch_execnz .LBB0_234
; %bb.230:
	s_wait_alu 0xfffe
	s_and_not1_saveexec_b32 s0, s0
	s_cbranch_execnz .LBB0_254
.LBB0_231:
	s_wait_alu 0xfffe
	s_or_b32 exec_lo, exec_lo, s0
	s_and_saveexec_b32 s0, s1
.LBB0_232:
	; divergent unreachable
.LBB0_233:
	s_endpgm
.LBB0_234:
	s_and_saveexec_b32 s1, s4
	s_wait_alu 0xfffe
	s_xor_b32 s1, exec_lo, s1
	s_cbranch_execz .LBB0_252
; %bb.235:
	s_and_saveexec_b32 s4, s3
	s_delay_alu instid0(SALU_CYCLE_1)
	s_xor_b32 s3, exec_lo, s4
; %bb.236:
	v_mov_b32_e32 v25, v10
; %bb.237:
	s_or_b32 exec_lo, exec_lo, s3
	s_and_saveexec_b32 s3, s2
; %bb.238:
	v_dual_mov_b32 v1, 0 :: v_dual_mov_b32 v2, s36
	ds_store_b32 v1, v2 offset:4108
; %bb.239:
	s_or_b32 exec_lo, exec_lo, s3
	v_mov_b32_e32 v1, 0
	s_wait_loadcnt_dscnt 0x0
	s_barrier_signal -1
	s_barrier_wait -1
	global_inv scope:SCOPE_SE
	ds_load_b32 v1, v1 offset:4108
	s_mov_b32 s3, exec_lo
	s_wait_dscnt 0x0
	v_min_i32_e32 v1, s36, v1
	s_delay_alu instid0(VALU_DEP_1)
	v_cmpx_lt_i32_e64 v0, v1
	s_cbranch_execz .LBB0_249
; %bb.240:
	v_and_b32_e32 v3, 0xff, v25
	s_mov_b32 s4, 0
                                        ; implicit-def: $sgpr5
                                        ; implicit-def: $sgpr7
                                        ; implicit-def: $sgpr6
	s_branch .LBB0_242
.LBB0_241:                              ;   in Loop: Header=BB0_242 Depth=1
	s_wait_alu 0xfffe
	s_or_b32 exec_lo, exec_lo, s8
	s_delay_alu instid0(SALU_CYCLE_1)
	s_and_b32 s8, exec_lo, s7
	s_wait_alu 0xfffe
	s_or_b32 s4, s8, s4
	s_and_not1_b32 s5, s5, exec_lo
	s_and_b32 s8, s6, exec_lo
	s_wait_alu 0xfffe
	s_or_b32 s5, s5, s8
	s_and_not1_b32 exec_lo, exec_lo, s4
	s_cbranch_execz .LBB0_244
.LBB0_242:                              ; =>This Inner Loop Header: Depth=1
	v_ashrrev_i32_e32 v2, 31, v11
	v_add_co_u32 v4, vcc_lo, s42, v11
	s_or_b32 s6, s6, exec_lo
	s_or_b32 s7, s7, exec_lo
	s_wait_alu 0xfffd
	v_add_co_ci_u32_e64 v5, null, s43, v2, vcc_lo
	v_mov_b32_e32 v2, v0
	s_mov_b32 s8, exec_lo
                                        ; implicit-def: $vgpr0
	global_load_u8 v4, v[4:5], off
	s_wait_loadcnt 0x0
	v_cmpx_ne_u16_e64 v4, v3
	s_cbranch_execz .LBB0_241
; %bb.243:                              ;   in Loop: Header=BB0_242 Depth=1
	v_add_nc_u32_e32 v0, s50, v2
	v_add_nc_u32_e32 v11, s54, v11
	s_wait_alu 0xfffe
	s_and_not1_b32 s7, s7, exec_lo
	s_and_not1_b32 s6, s6, exec_lo
	v_cmp_ge_i32_e32 vcc_lo, v0, v1
	s_and_b32 s9, vcc_lo, exec_lo
	s_wait_alu 0xfffe
	s_or_b32 s7, s7, s9
	s_branch .LBB0_241
.LBB0_244:
	s_or_b32 exec_lo, exec_lo, s4
	s_and_saveexec_b32 s4, s5
	s_delay_alu instid0(SALU_CYCLE_1)
	s_xor_b32 s4, exec_lo, s4
	s_cbranch_execz .LBB0_249
; %bb.245:
	s_mov_b32 s5, exec_lo
	s_brev_b32 s4, -2
.LBB0_246:                              ; =>This Inner Loop Header: Depth=1
	s_ctz_i32_b32 s6, s5
	s_wait_alu 0xfffe
	v_readlane_b32 s7, v2, s6
	s_lshl_b32 s6, 1, s6
	s_wait_alu 0xfffe
	s_and_not1_b32 s5, s5, s6
	s_min_i32 s4, s4, s7
	s_cmp_lg_u32 s5, 0
	s_cbranch_scc1 .LBB0_246
; %bb.247:
	v_mbcnt_lo_u32_b32 v0, exec_lo, 0
	s_mov_b32 s5, exec_lo
	s_delay_alu instid0(VALU_DEP_1)
	v_cmpx_eq_u32_e32 0, v0
	s_xor_b32 s5, exec_lo, s5
; %bb.248:
	v_dual_mov_b32 v0, 0 :: v_dual_mov_b32 v1, s4
	ds_min_i32 v0, v1 offset:4108
.LBB0_249:
	s_or_b32 exec_lo, exec_lo, s3
	s_wait_loadcnt_dscnt 0x0
	s_barrier_signal -1
	s_barrier_wait -1
	global_inv scope:SCOPE_SE
	s_and_saveexec_b32 s3, s2
	s_cbranch_execz .LBB0_251
; %bb.250:
	v_mov_b32_e32 v2, 0
	s_mul_i32 s4, s33, s29
	s_mul_i32 s6, s38, s29
	s_wait_alu 0xfffe
	s_ashr_i32 s5, s4, 31
	s_ashr_i32 s7, s6, 31
	ds_load_b32 v0, v2 offset:4108
	s_wait_alu 0xfffe
	s_lshl_b64 s[4:5], s[4:5], 3
	s_add_nc_u64 s[6:7], s[34:35], s[6:7]
	s_wait_alu 0xfffe
	s_add_nc_u64 s[4:5], s[30:31], s[4:5]
	s_wait_dscnt 0x0
	v_ashrrev_i32_e32 v1, 31, v0
	s_clause 0x1
	global_store_b64 v2, v[0:1], s[4:5]
	global_store_b8 v2, v25, s[6:7]
.LBB0_251:
	s_or_b32 exec_lo, exec_lo, s3
.LBB0_252:
	s_wait_alu 0xfffe
	s_or_saveexec_b32 s1, s1
	s_mov_b32 s2, 0
	s_wait_alu 0xfffe
	s_xor_b32 exec_lo, exec_lo, s1
	s_cbranch_execnz .LBB0_255
.LBB0_253:
	s_or_b32 exec_lo, exec_lo, s1
	s_delay_alu instid0(SALU_CYCLE_1)
	s_and_b32 s1, s2, exec_lo
	s_and_not1_saveexec_b32 s0, s0
	s_cbranch_execz .LBB0_231
.LBB0_254:
	s_wait_alu 0xfffe
	s_or_b32 s1, s1, exec_lo
	s_trap 2
	s_or_b32 exec_lo, exec_lo, s0
	s_wait_alu 0xfffe
	s_and_saveexec_b32 s0, s1
	s_cbranch_execnz .LBB0_232
	s_branch .LBB0_233
.LBB0_255:
	s_mov_b32 s2, exec_lo
	s_trap 2
	s_branch .LBB0_253
	.section	.rodata,"a",@progbits
	.p2align	6, 0x0
	.amdhsa_kernel _ZN2at6native12_GLOBAL__N_114gatherKthValueIhiLi1EEEvNS_4cuda6detail10TensorInfoIKT_T0_EES8_S8_S8_S8_NS5_IS6_S8_EENS5_IlS8_EE
		.amdhsa_group_segment_fixed_size 4112
		.amdhsa_private_segment_fixed_size 0
		.amdhsa_kernarg_size 920
		.amdhsa_user_sgpr_count 2
		.amdhsa_user_sgpr_dispatch_ptr 0
		.amdhsa_user_sgpr_queue_ptr 0
		.amdhsa_user_sgpr_kernarg_segment_ptr 1
		.amdhsa_user_sgpr_dispatch_id 0
		.amdhsa_user_sgpr_private_segment_size 0
		.amdhsa_wavefront_size32 1
		.amdhsa_uses_dynamic_stack 0
		.amdhsa_enable_private_segment 0
		.amdhsa_system_sgpr_workgroup_id_x 1
		.amdhsa_system_sgpr_workgroup_id_y 1
		.amdhsa_system_sgpr_workgroup_id_z 1
		.amdhsa_system_sgpr_workgroup_info 0
		.amdhsa_system_vgpr_workitem_id 0
		.amdhsa_next_free_vgpr 40
		.amdhsa_next_free_sgpr 78
		.amdhsa_reserve_vcc 1
		.amdhsa_float_round_mode_32 0
		.amdhsa_float_round_mode_16_64 0
		.amdhsa_float_denorm_mode_32 3
		.amdhsa_float_denorm_mode_16_64 3
		.amdhsa_fp16_overflow 0
		.amdhsa_workgroup_processor_mode 1
		.amdhsa_memory_ordered 1
		.amdhsa_forward_progress 1
		.amdhsa_inst_pref_size 83
		.amdhsa_round_robin_scheduling 0
		.amdhsa_exception_fp_ieee_invalid_op 0
		.amdhsa_exception_fp_denorm_src 0
		.amdhsa_exception_fp_ieee_div_zero 0
		.amdhsa_exception_fp_ieee_overflow 0
		.amdhsa_exception_fp_ieee_underflow 0
		.amdhsa_exception_fp_ieee_inexact 0
		.amdhsa_exception_int_div_zero 0
	.end_amdhsa_kernel
	.section	.text._ZN2at6native12_GLOBAL__N_114gatherKthValueIhiLi1EEEvNS_4cuda6detail10TensorInfoIKT_T0_EES8_S8_S8_S8_NS5_IS6_S8_EENS5_IlS8_EE,"axG",@progbits,_ZN2at6native12_GLOBAL__N_114gatherKthValueIhiLi1EEEvNS_4cuda6detail10TensorInfoIKT_T0_EES8_S8_S8_S8_NS5_IS6_S8_EENS5_IlS8_EE,comdat
.Lfunc_end0:
	.size	_ZN2at6native12_GLOBAL__N_114gatherKthValueIhiLi1EEEvNS_4cuda6detail10TensorInfoIKT_T0_EES8_S8_S8_S8_NS5_IS6_S8_EENS5_IlS8_EE, .Lfunc_end0-_ZN2at6native12_GLOBAL__N_114gatherKthValueIhiLi1EEEvNS_4cuda6detail10TensorInfoIKT_T0_EES8_S8_S8_S8_NS5_IS6_S8_EENS5_IlS8_EE
                                        ; -- End function
	.set _ZN2at6native12_GLOBAL__N_114gatherKthValueIhiLi1EEEvNS_4cuda6detail10TensorInfoIKT_T0_EES8_S8_S8_S8_NS5_IS6_S8_EENS5_IlS8_EE.num_vgpr, 40
	.set _ZN2at6native12_GLOBAL__N_114gatherKthValueIhiLi1EEEvNS_4cuda6detail10TensorInfoIKT_T0_EES8_S8_S8_S8_NS5_IS6_S8_EENS5_IlS8_EE.num_agpr, 0
	.set _ZN2at6native12_GLOBAL__N_114gatherKthValueIhiLi1EEEvNS_4cuda6detail10TensorInfoIKT_T0_EES8_S8_S8_S8_NS5_IS6_S8_EENS5_IlS8_EE.numbered_sgpr, 78
	.set _ZN2at6native12_GLOBAL__N_114gatherKthValueIhiLi1EEEvNS_4cuda6detail10TensorInfoIKT_T0_EES8_S8_S8_S8_NS5_IS6_S8_EENS5_IlS8_EE.num_named_barrier, 0
	.set _ZN2at6native12_GLOBAL__N_114gatherKthValueIhiLi1EEEvNS_4cuda6detail10TensorInfoIKT_T0_EES8_S8_S8_S8_NS5_IS6_S8_EENS5_IlS8_EE.private_seg_size, 0
	.set _ZN2at6native12_GLOBAL__N_114gatherKthValueIhiLi1EEEvNS_4cuda6detail10TensorInfoIKT_T0_EES8_S8_S8_S8_NS5_IS6_S8_EENS5_IlS8_EE.uses_vcc, 1
	.set _ZN2at6native12_GLOBAL__N_114gatherKthValueIhiLi1EEEvNS_4cuda6detail10TensorInfoIKT_T0_EES8_S8_S8_S8_NS5_IS6_S8_EENS5_IlS8_EE.uses_flat_scratch, 0
	.set _ZN2at6native12_GLOBAL__N_114gatherKthValueIhiLi1EEEvNS_4cuda6detail10TensorInfoIKT_T0_EES8_S8_S8_S8_NS5_IS6_S8_EENS5_IlS8_EE.has_dyn_sized_stack, 0
	.set _ZN2at6native12_GLOBAL__N_114gatherKthValueIhiLi1EEEvNS_4cuda6detail10TensorInfoIKT_T0_EES8_S8_S8_S8_NS5_IS6_S8_EENS5_IlS8_EE.has_recursion, 0
	.set _ZN2at6native12_GLOBAL__N_114gatherKthValueIhiLi1EEEvNS_4cuda6detail10TensorInfoIKT_T0_EES8_S8_S8_S8_NS5_IS6_S8_EENS5_IlS8_EE.has_indirect_call, 0
	.section	.AMDGPU.csdata,"",@progbits
; Kernel info:
; codeLenInByte = 10600
; TotalNumSgprs: 80
; NumVgprs: 40
; ScratchSize: 0
; MemoryBound: 0
; FloatMode: 240
; IeeeMode: 1
; LDSByteSize: 4112 bytes/workgroup (compile time only)
; SGPRBlocks: 0
; VGPRBlocks: 4
; NumSGPRsForWavesPerEU: 80
; NumVGPRsForWavesPerEU: 40
; Occupancy: 16
; WaveLimiterHint : 1
; COMPUTE_PGM_RSRC2:SCRATCH_EN: 0
; COMPUTE_PGM_RSRC2:USER_SGPR: 2
; COMPUTE_PGM_RSRC2:TRAP_HANDLER: 0
; COMPUTE_PGM_RSRC2:TGID_X_EN: 1
; COMPUTE_PGM_RSRC2:TGID_Y_EN: 1
; COMPUTE_PGM_RSRC2:TGID_Z_EN: 1
; COMPUTE_PGM_RSRC2:TIDIG_COMP_CNT: 0
	.section	.text._ZN2at6native12_GLOBAL__N_114gatherKthValueIhiLi2EEEvNS_4cuda6detail10TensorInfoIKT_T0_EES8_S8_S8_S8_NS5_IS6_S8_EENS5_IlS8_EE,"axG",@progbits,_ZN2at6native12_GLOBAL__N_114gatherKthValueIhiLi2EEEvNS_4cuda6detail10TensorInfoIKT_T0_EES8_S8_S8_S8_NS5_IS6_S8_EENS5_IlS8_EE,comdat
	.globl	_ZN2at6native12_GLOBAL__N_114gatherKthValueIhiLi2EEEvNS_4cuda6detail10TensorInfoIKT_T0_EES8_S8_S8_S8_NS5_IS6_S8_EENS5_IlS8_EE ; -- Begin function _ZN2at6native12_GLOBAL__N_114gatherKthValueIhiLi2EEEvNS_4cuda6detail10TensorInfoIKT_T0_EES8_S8_S8_S8_NS5_IS6_S8_EENS5_IlS8_EE
	.p2align	8
	.type	_ZN2at6native12_GLOBAL__N_114gatherKthValueIhiLi2EEEvNS_4cuda6detail10TensorInfoIKT_T0_EES8_S8_S8_S8_NS5_IS6_S8_EENS5_IlS8_EE,@function
_ZN2at6native12_GLOBAL__N_114gatherKthValueIhiLi2EEEvNS_4cuda6detail10TensorInfoIKT_T0_EES8_S8_S8_S8_NS5_IS6_S8_EENS5_IlS8_EE: ; @_ZN2at6native12_GLOBAL__N_114gatherKthValueIhiLi2EEEvNS_4cuda6detail10TensorInfoIKT_T0_EES8_S8_S8_S8_NS5_IS6_S8_EENS5_IlS8_EE
; %bb.0:
	s_clause 0x1
	s_load_b64 s[4:5], s[0:1], 0x298
	s_load_b128 s[36:39], s[0:1], 0xd8
	s_lshr_b32 s2, ttmp7, 16
	s_and_b32 s3, ttmp7, 0xffff
	s_wait_kmcnt 0x0
	s_mul_i32 s2, s5, s2
	s_delay_alu instid0(SALU_CYCLE_1) | instskip(NEXT) | instid1(SALU_CYCLE_1)
	s_add_co_i32 s2, s2, s3
	s_mul_i32 s33, s2, s4
	s_delay_alu instid0(SALU_CYCLE_1) | instskip(NEXT) | instid1(SALU_CYCLE_1)
	s_add_co_i32 s33, s33, ttmp9
	s_cmp_ge_i32 s33, s38
	s_cbranch_scc1 .LBB1_233
; %bb.1:
	s_clause 0x4
	s_load_b32 s5, s[0:1], 0xc
	s_load_b32 s58, s[0:1], 0xf4
	;; [unrolled: 1-line block ×3, first 2 shown]
	s_load_b64 s[6:7], s[0:1], 0x6c
	s_load_b64 s[30:31], s[0:1], 0x154
	s_mov_b32 s51, 0
	s_abs_i32 s40, s33
	s_mov_b32 s41, s51
	s_add_nc_u64 s[10:11], s[0:1], 0x298
	s_ashr_i32 s60, s33, 31
	s_wait_kmcnt 0x0
	s_abs_i32 s14, s5
	s_abs_i32 s61, s58
	s_cvt_f32_u32 s2, s14
	s_abs_i32 s59, s38
	s_cvt_f32_u32 s3, s61
	s_cvt_f32_u32 s8, s59
	v_rcp_iflag_f32_e32 v1, s2
	s_sub_co_i32 s13, 0, s14
	v_rcp_iflag_f32_e32 v2, s3
	v_rcp_iflag_f32_e32 v3, s8
	s_clause 0x1
	s_load_b64 s[8:9], s[0:1], 0x0
	s_load_b64 s[34:35], s[0:1], 0x22c
	s_sub_co_i32 s16, 0, s61
	s_ashr_i32 s15, s5, 31
	s_delay_alu instid0(TRANS32_DEP_3) | instskip(NEXT) | instid1(TRANS32_DEP_2)
	v_readfirstlane_b32 s2, v1
	v_readfirstlane_b32 s3, v2
	s_delay_alu instid0(TRANS32_DEP_1)
	v_readfirstlane_b32 s12, v3
	s_mul_f32 s2, s2, 0x4f7ffffe
	s_mul_f32 s3, s3, 0x4f7ffffe
	s_mul_f32 s12, s12, 0x4f7ffffe
	s_wait_alu 0xfffe
	s_cvt_u32_f32 s2, s2
	s_cvt_u32_f32 s17, s3
	;; [unrolled: 1-line block ×3, first 2 shown]
	s_wait_alu 0xfffe
	s_mul_i32 s13, s13, s2
	s_sub_co_i32 s3, 0, s59
	s_mul_hi_u32 s13, s2, s13
	s_wait_alu 0xfffe
	s_mul_i32 s3, s3, s12
	s_add_co_i32 s50, s2, s13
	s_mul_i32 s16, s16, s17
	s_wait_alu 0xfffe
	s_mul_hi_u32 s13, s12, s3
	s_mul_u64 s[2:3], s[40:41], s[50:51]
	v_cmp_eq_u32_e64 s2, 0, v0
	s_mul_hi_u32 s16, s17, s16
	s_add_co_i32 s12, s12, s13
	s_add_co_i32 s50, s17, s16
	s_mov_b32 s13, s51
	s_wait_alu 0xfffe
	s_and_saveexec_b32 s16, s2
; %bb.2:
	v_dual_mov_b32 v1, 0 :: v_dual_mov_b32 v2, s36
	s_delay_alu instid0(VALU_DEP_1)
	v_mov_b32_e32 v3, v1
	ds_store_b96 v1, v[1:3] offset:4096
; %bb.3:
	s_or_b32 exec_lo, exec_lo, s16
	s_mul_i32 s16, s3, s14
	s_ashr_i32 s63, s58, 31
	s_sub_co_i32 s16, s40, s16
	s_ashr_i32 s62, s38, 31
	s_xor_b32 s15, s60, s15
	s_add_co_i32 s17, s3, 1
	s_sub_co_i32 s18, s16, s14
	s_cmp_ge_u32 s16, s14
	s_wait_dscnt 0x0
	s_cselect_b32 s3, s17, s3
	s_cselect_b32 s16, s18, s16
	s_wait_alu 0xfffe
	s_add_co_i32 s17, s3, 1
	s_cmp_ge_u32 s16, s14
	s_barrier_signal -1
	s_barrier_wait -1
	global_inv scope:SCOPE_SE
	s_load_b32 s14, s[10:11], 0xc
	s_cselect_b32 s3, s17, s3
	v_mbcnt_lo_u32_b32 v12, -1, 0
	s_wait_alu 0xfffe
	s_xor_b32 s3, s3, s15
	s_clause 0x1
	s_load_b64 s[42:43], s[0:1], 0x1c0
	s_load_b64 s[44:45], s[0:1], 0xe8
	s_sub_co_i32 s3, s3, s15
	v_cmp_gt_u32_e32 vcc_lo, 32, v0
	s_wait_alu 0xfffe
	s_mul_i32 s5, s3, s5
	s_mul_i32 s0, s3, s6
	s_sub_co_i32 s5, s33, s5
	s_mul_u64 s[46:47], s[40:41], s[50:51]
	s_mul_i32 s5, s5, s7
	s_mul_u64 s[28:29], s[40:41], s[12:13]
	s_add_co_i32 s6, s0, s5
	v_cmp_gt_i32_e64 s0, 4, v12
	s_ashr_i32 s7, s6, 31
	v_mul_lo_u32 v11, s39, v0
	s_wait_kmcnt 0x0
	s_add_nc_u64 s[48:49], s[8:9], s[6:7]
	v_dual_mov_b32 v14, 0 :: v_dual_lshlrev_b32 v13, 2, v0
	s_and_b32 s41, s14, 0xffff
	s_and_b32 s65, vcc_lo, s0
	s_lshl_b32 s46, s41, 2
	s_add_co_i32 s64, s41, -1
	s_cvt_f32_u32 s0, s46
	s_bfe_u32 s3, s14, 0xb0005
	s_add_co_i32 s74, s64, s36
	s_cmp_gt_i32 s36, 0xc00
	v_rcp_iflag_f32_e32 v1, s0
	s_cselect_b32 s67, -1, 0
	s_cmp_gt_u32 s41, 31
	v_add_co_u32 v5, s6, s48, v11
	s_cselect_b32 s68, -1, 0
	s_cmp_lt_u32 ttmp9, s4
	v_add_co_ci_u32_e64 v6, null, s49, 0, s6
	s_cselect_b32 s50, 12, 18
	s_wait_alu 0xfffe
	s_add_co_i32 s4, s3, -1
	v_readfirstlane_b32 s5, v1
	s_and_b32 s4, s4, 0xffff
	s_bfe_u32 s69, s41, 0x30005
	s_cmp_gt_u32 s4, 6
	v_lshlrev_b64_e64 v[1:2], v12, -1
	s_cselect_b32 s70, -1, 0
	s_and_b32 s71, s3, 0x7f8
	s_mul_f32 s3, s5, 0x4f7ffffe
	s_cvt_f32_u32 s5, s41
	s_cmp_lg_u32 s69, 0
	v_not_b32_e32 v15, v1
	s_wait_alu 0xfffe
	s_cvt_u32_f32 s3, s3
	s_cselect_b32 s72, -1, 0
	s_sub_co_i32 s4, 0, s46
	v_rcp_iflag_f32_e32 v3, s5
	s_wait_alu 0xfffe
	s_mul_i32 s4, s4, s3
	v_lshrrev_b32_e32 v1, 1, v0
	s_wait_alu 0xfffe
	s_mul_hi_u32 s4, s3, s4
	v_cmp_eq_u32_e64 s0, 0, v12
	s_wait_alu 0xfffe
	s_add_co_i32 s52, s3, s4
	v_cmp_gt_u32_e64 s1, 2, v0
	s_mul_hi_u32 s5, s36, s52
	v_cmp_gt_u32_e64 s3, s36, v0
	s_wait_alu 0xfffe
	s_mul_i32 s5, s5, s46
	v_readfirstlane_b32 s6, v3
	s_wait_alu 0xfffe
	s_sub_co_i32 s5, s36, s5
	v_or_b32_e32 v3, 3, v13
	s_wait_alu 0xfffe
	s_sub_co_i32 s7, s5, s46
	s_cmp_ge_u32 s5, s46
	s_mul_f32 s6, s6, 0x4f7ffffe
	s_wait_alu 0xfffe
	s_cselect_b32 s5, s7, s5
	s_movk_i32 s7, 0x1f0
	s_wait_alu 0xfffe
	s_sub_co_i32 s8, s5, s46
	s_cmp_ge_u32 s5, s46
	s_cvt_u32_f32 s6, s6
	s_wait_alu 0xfffe
	s_cselect_b32 s9, s8, s5
	s_sub_co_i32 s5, 0, s41
	s_wait_alu 0xfffe
	s_sub_co_i32 s73, s36, s9
	s_mul_i32 s5, s5, s6
	v_dual_mov_b32 v25, 0 :: v_dual_add_nc_u32 v16, s73, v0
	s_wait_alu 0xfffe
	s_mul_hi_u32 s5, s6, s5
	s_abs_i32 s8, s74
	s_wait_alu 0xfffe
	s_add_co_i32 s54, s6, s5
	v_and_or_b32 v17, v1, s7, 0xc00
	s_mul_hi_u32 s5, s8, s54
	v_mul_lo_u32 v1, v16, s39
	s_wait_alu 0xfffe
	s_mul_i32 s5, s5, s41
	s_ashr_i32 s7, s74, 31
	s_wait_alu 0xfffe
	s_sub_co_i32 s5, s8, s5
	v_mul_lo_u32 v19, s39, v3
	s_wait_alu 0xfffe
	s_sub_co_i32 s6, s5, s41
	s_cmp_ge_u32 s5, s41
	v_cmp_gt_i32_e64 s4, s36, v0
	s_wait_alu 0xfffe
	s_cselect_b32 s8, s6, s5
	v_ashrrev_i32_e32 v2, 31, v1
	v_add_co_u32 v7, vcc_lo, s48, v1
	v_add3_u32 v1, s41, s36, v0
	s_wait_alu 0xfffe
	s_sub_co_i32 s12, s8, s41
	s_cmp_ge_u32 s8, s41
	v_add_co_ci_u32_e64 v8, null, s49, v2, vcc_lo
	s_cselect_b32 s8, s12, s8
	v_or_b32_e32 v2, 2, v13
	v_subrev_nc_u32_e32 v1, s9, v1
	s_wait_alu 0xfffe
	s_xor_b32 s8, s8, s7
	s_mov_b32 s12, s39
	s_wait_alu 0xfffe
	s_sub_co_i32 s8, s7, s8
	v_mad_co_u64_u32 v[9:10], null, s39, v13, s[12:13]
	v_mul_lo_u32 v18, s39, v2
	v_mul_lo_u32 v21, s39, v1
	s_wait_alu 0xfffe
	s_add_co_i32 s74, s74, s8
	v_cmp_gt_i32_e64 s5, s73, v13
	v_cmp_gt_u32_e64 s6, s36, v16
	v_cmp_gt_i32_e64 s7, s36, v16
	v_cmp_gt_i32_e64 s8, s74, v0
	v_dual_mov_b32 v23, 0 :: v_dual_lshlrev_b32 v20, 2, v11
	v_lshl_or_b32 v22, v12, 2, 0xc00
	v_mov_b32_e32 v26, s37
	v_mov_b32_e32 v10, 0
	v_mov_b32_e32 v24, 0
	s_mul_i32 s66, s39, s41
	s_mov_b32 s82, 6
	s_mov_b32 s53, s51
	;; [unrolled: 1-line block ×3, first 2 shown]
	s_lshl_b32 s37, s66, 2
	s_add_nc_u64 s[56:57], s[10:11], s[50:51]
	s_mov_b32 s75, s51
                                        ; implicit-def: $sgpr79
                                        ; implicit-def: $sgpr81
                                        ; implicit-def: $sgpr76
                                        ; implicit-def: $sgpr78
                                        ; implicit-def: $sgpr80
                                        ; implicit-def: $sgpr77
	s_branch .LBB1_7
.LBB1_4:                                ;   in Loop: Header=BB1_7 Depth=1
	s_wait_alu 0xfffe
	s_or_b32 exec_lo, exec_lo, s13
	s_delay_alu instid0(SALU_CYCLE_1)
	s_and_b32 s10, s10, exec_lo
	s_and_not1_b32 s15, s15, exec_lo
	s_and_not1_b32 s14, s14, exec_lo
	s_or_not1_b32 s12, s12, exec_lo
.LBB1_5:                                ;   in Loop: Header=BB1_7 Depth=1
	s_wait_alu 0xfffe
	s_or_b32 exec_lo, exec_lo, s9
	s_delay_alu instid0(SALU_CYCLE_1)
	s_and_not1_b32 s9, s77, exec_lo
	s_and_b32 s10, s10, exec_lo
	s_and_not1_b32 s13, s78, exec_lo
	s_wait_alu 0xfffe
	s_or_b32 s77, s9, s10
	s_and_not1_b32 s9, s80, exec_lo
	s_and_b32 s10, s15, exec_lo
	s_and_b32 s14, s14, exec_lo
	s_wait_alu 0xfffe
	s_or_b32 s80, s9, s10
	s_or_b32 s78, s13, s14
	s_or_not1_b32 s13, s12, exec_lo
.LBB1_6:                                ;   in Loop: Header=BB1_7 Depth=1
	s_wait_alu 0xfffe
	s_or_b32 exec_lo, exec_lo, s11
	s_delay_alu instid0(SALU_CYCLE_1)
	s_and_b32 s9, exec_lo, s13
	v_mov_b32_e32 v26, v2
	s_wait_alu 0xfffe
	s_or_b32 s75, s9, s75
	s_and_not1_b32 s9, s76, exec_lo
	s_and_b32 s10, s77, exec_lo
	s_and_not1_b32 s11, s81, exec_lo
	s_wait_alu 0xfffe
	s_or_b32 s76, s9, s10
	s_and_b32 s9, s80, exec_lo
	s_and_not1_b32 s10, s79, exec_lo
	s_and_b32 s12, s78, exec_lo
	s_wait_alu 0xfffe
	s_or_b32 s81, s11, s9
	s_or_b32 s79, s10, s12
	s_mov_b32 s82, s21
	s_and_not1_b32 exec_lo, exec_lo, s75
	s_cbranch_execz .LBB1_229
.LBB1_7:                                ; =>This Loop Header: Depth=1
                                        ;     Child Loop BB1_12 Depth 2
                                        ;     Child Loop BB1_27 Depth 2
	;; [unrolled: 1-line block ×16, first 2 shown]
	ds_load_b64 v[1:2], v14 offset:4096
	s_wait_dscnt 0x0
	v_readfirstlane_b32 s50, v1
	s_cmp_gt_i32 s50, 0
	s_cbranch_scc1 .LBB1_34
; %bb.8:                                ;   in Loop: Header=BB1_7 Depth=1
	s_and_b32 vcc_lo, exec_lo, s67
	s_wait_alu 0xfffe
	s_cbranch_vccz .LBB1_20
; %bb.9:                                ;   in Loop: Header=BB1_7 Depth=1
	v_cmp_gt_i32_e32 vcc_lo, 0xc01, v2
	s_mov_b32 s10, 0
	s_mov_b32 s9, 0
	s_cbranch_vccz .LBB1_21
; %bb.10:                               ;   in Loop: Header=BB1_7 Depth=1
	global_load_u8 v2, v[5:6], off
	s_load_u16 s11, s[56:57], 0x0
	v_mov_b32_e32 v3, v0
	s_mov_b32 s12, 0
	s_wait_kmcnt 0x0
	v_add_nc_u32_e32 v1, s11, v0
	s_mul_i32 s13, s39, s11
	s_delay_alu instid0(VALU_DEP_1)
	v_mul_lo_u32 v1, s39, v1
	s_branch .LBB1_12
.LBB1_11:                               ;   in Loop: Header=BB1_12 Depth=2
	s_wait_alu 0xfffe
	s_or_b32 exec_lo, exec_lo, s9
	v_cmp_le_i32_e32 vcc_lo, s36, v3
	v_dual_mov_b32 v2, v4 :: v_dual_add_nc_u32 v1, s13, v1
	s_or_b32 s12, vcc_lo, s12
	s_wait_alu 0xfffe
	s_and_not1_b32 exec_lo, exec_lo, s12
	s_cbranch_execz .LBB1_66
.LBB1_12:                               ;   Parent Loop BB1_7 Depth=1
                                        ; =>  This Inner Loop Header: Depth=2
	v_dual_mov_b32 v4, 0 :: v_dual_add_nc_u32 v3, s11, v3
	s_wait_dscnt 0x0
	v_mov_b32_e32 v27, 0
	s_mov_b32 s9, exec_lo
	s_delay_alu instid0(VALU_DEP_2)
	v_cmpx_gt_u32_e64 s36, v3
	s_cbranch_execz .LBB1_14
; %bb.13:                               ;   in Loop: Header=BB1_12 Depth=2
	global_load_u8 v4, v1, s[48:49]
.LBB1_14:                               ;   in Loop: Header=BB1_12 Depth=2
	s_wait_alu 0xfffe
	s_or_b32 exec_lo, exec_lo, s9
	s_wait_loadcnt 0x0
	v_and_b32_e32 v28, v2, v24
	s_delay_alu instid0(VALU_DEP_1) | instskip(NEXT) | instid1(VALU_DEP_1)
	v_and_b32_e32 v28, 0xff, v28
	v_cmp_eq_u32_e32 vcc_lo, v28, v10
	s_cmp_lg_u32 vcc_lo, 0
	s_cselect_b32 s9, -1, 0
	s_wait_alu 0xfffe
	s_and_b32 s9, s0, s9
	s_wait_alu 0xfffe
	s_and_saveexec_b32 s14, s9
	s_cbranch_execz .LBB1_18
; %bb.15:                               ;   in Loop: Header=BB1_12 Depth=2
	s_mov_b32 s17, exec_lo
	s_bcnt1_i32_b32 s15, vcc_lo
	s_wait_alu 0xfffe
	v_mbcnt_lo_u32_b32 v27, s17, 0
	s_mov_b32 s16, exec_lo
                                        ; implicit-def: $vgpr28
	s_delay_alu instid0(VALU_DEP_1)
	v_cmpx_eq_u32_e32 0, v27
; %bb.16:                               ;   in Loop: Header=BB1_12 Depth=2
	s_bcnt1_i32_b32 s9, s17
	s_wait_alu 0xfffe
	s_mul_i32 s9, s15, s9
	s_wait_alu 0xfffe
	v_mov_b32_e32 v28, s9
	ds_add_rtn_u32 v28, v14, v28 offset:4104
; %bb.17:                               ;   in Loop: Header=BB1_12 Depth=2
	s_or_b32 exec_lo, exec_lo, s16
	s_wait_dscnt 0x0
	v_readfirstlane_b32 s9, v28
	s_wait_alu 0xf1ff
	s_delay_alu instid0(VALU_DEP_1)
	v_mad_u32_u24 v27, s15, v27, s9
.LBB1_18:                               ;   in Loop: Header=BB1_12 Depth=2
	s_wait_alu 0xfffe
	s_or_b32 exec_lo, exec_lo, s14
	ds_bpermute_b32 v27, v14, v27
	s_and_saveexec_b32 s9, vcc_lo
	s_cbranch_execz .LBB1_11
; %bb.19:                               ;   in Loop: Header=BB1_12 Depth=2
	v_and_b32_e32 v28, vcc_lo, v15
	s_wait_dscnt 0x0
	s_delay_alu instid0(VALU_DEP_1)
	v_bcnt_u32_b32 v27, v28, v27
	ds_store_b8 v27, v2
	s_branch .LBB1_11
.LBB1_20:                               ;   in Loop: Header=BB1_7 Depth=1
	s_mov_b32 s10, -1
	s_mov_b32 s9, 0
.LBB1_21:                               ;   in Loop: Header=BB1_7 Depth=1
	s_wait_alu 0xfffe
	s_and_b32 vcc_lo, exec_lo, s10
	s_wait_alu 0xfffe
	s_cbranch_vccz .LBB1_32
.LBB1_22:                               ;   in Loop: Header=BB1_7 Depth=1
	v_mov_b32_e32 v1, 0
	s_and_saveexec_b32 s9, s3
	s_cbranch_execz .LBB1_24
; %bb.23:                               ;   in Loop: Header=BB1_7 Depth=1
	global_load_u8 v1, v[5:6], off
.LBB1_24:                               ;   in Loop: Header=BB1_7 Depth=1
	s_wait_alu 0xfffe
	s_or_b32 exec_lo, exec_lo, s9
	s_and_saveexec_b32 s9, s4
	s_cbranch_execz .LBB1_29
; %bb.25:                               ;   in Loop: Header=BB1_7 Depth=1
	s_load_u16 s10, s[56:57], 0x0
	s_mov_b32 s12, 0
	s_wait_kmcnt 0x0
	v_dual_mov_b32 v3, v0 :: v_dual_add_nc_u32 v2, s10, v0
	s_mul_i32 s11, s39, s10
	s_delay_alu instid0(VALU_DEP_1)
	v_mul_lo_u32 v2, s39, v2
	s_branch .LBB1_27
.LBB1_26:                               ;   in Loop: Header=BB1_27 Depth=2
	s_wait_alu 0xfffe
	s_or_b32 exec_lo, exec_lo, s13
	v_cmp_le_i32_e32 vcc_lo, s36, v4
	s_wait_loadcnt 0x0
	ds_store_b8 v3, v1
	v_dual_mov_b32 v1, v27 :: v_dual_add_nc_u32 v2, s11, v2
	v_mov_b32_e32 v3, v4
	s_or_b32 s12, vcc_lo, s12
	s_wait_alu 0xfffe
	s_and_not1_b32 exec_lo, exec_lo, s12
	s_cbranch_execz .LBB1_29
.LBB1_27:                               ;   Parent Loop BB1_7 Depth=1
                                        ; =>  This Inner Loop Header: Depth=2
	s_delay_alu instid0(VALU_DEP_2) | instskip(SKIP_1) | instid1(VALU_DEP_1)
	v_dual_mov_b32 v27, 0 :: v_dual_add_nc_u32 v4, s10, v3
	s_mov_b32 s13, exec_lo
	v_cmpx_gt_u32_e64 s36, v4
	s_cbranch_execz .LBB1_26
; %bb.28:                               ;   in Loop: Header=BB1_27 Depth=2
	global_load_u8 v27, v2, s[48:49]
	s_branch .LBB1_26
.LBB1_29:                               ;   in Loop: Header=BB1_7 Depth=1
	s_wait_alu 0xfffe
	s_or_b32 exec_lo, exec_lo, s9
	s_wait_loadcnt_dscnt 0x0
	s_barrier_signal -1
	s_barrier_wait -1
	global_inv scope:SCOPE_SE
	s_and_saveexec_b32 s9, s2
; %bb.30:                               ;   in Loop: Header=BB1_7 Depth=1
	v_mov_b32_e32 v1, s36
	ds_store_b32 v14, v1 offset:4096
; %bb.31:                               ;   in Loop: Header=BB1_7 Depth=1
	s_wait_alu 0xfffe
	s_or_b32 exec_lo, exec_lo, s9
	s_mov_b32 s9, -1
	s_wait_loadcnt_dscnt 0x0
	s_barrier_signal -1
	s_barrier_wait -1
.LBB1_32:                               ;   in Loop: Header=BB1_7 Depth=1
	s_wait_alu 0xfffe
	s_and_b32 vcc_lo, exec_lo, s9
	s_wait_alu 0xfffe
	s_cbranch_vccz .LBB1_34
; %bb.33:                               ;   in Loop: Header=BB1_7 Depth=1
	s_wait_loadcnt 0x0
	global_inv scope:SCOPE_SE
	ds_load_b32 v1, v14 offset:4096
	s_wait_dscnt 0x0
	v_readfirstlane_b32 s50, v1
.LBB1_34:                               ;   in Loop: Header=BB1_7 Depth=1
	s_delay_alu instid0(VALU_DEP_1)
	s_cmp_lt_i32 s50, 1
	s_mov_b32 s9, -1
                                        ; implicit-def: $vgpr4
	s_cbranch_scc1 .LBB1_44
; %bb.35:                               ;   in Loop: Header=BB1_7 Depth=1
	s_wait_alu 0xfffe
	s_and_b32 vcc_lo, exec_lo, s9
	s_wait_alu 0xfffe
	s_cbranch_vccnz .LBB1_57
.LBB1_36:                               ;   in Loop: Header=BB1_7 Depth=1
	v_lshlrev_b32_e32 v27, 7, v23
	s_and_saveexec_b32 s9, s0
.LBB1_37:                               ;   in Loop: Header=BB1_7 Depth=1
	s_delay_alu instid0(VALU_DEP_1)
	v_lshl_add_u32 v28, v27, 2, v17
	ds_store_b128 v28, v[1:4]
.LBB1_38:                               ;   in Loop: Header=BB1_7 Depth=1
	s_wait_alu 0xfffe
	s_or_b32 exec_lo, exec_lo, s9
	s_wait_loadcnt_dscnt 0x0
	s_barrier_signal -1
	s_barrier_wait -1
	global_inv scope:SCOPE_SE
	s_and_saveexec_b32 s9, s65
	s_cbranch_execz .LBB1_73
; %bb.39:                               ;   in Loop: Header=BB1_7 Depth=1
	v_mov_b32_e32 v1, 0
	s_and_not1_b32 vcc_lo, exec_lo, s68
	s_wait_alu 0xfffe
	s_cbranch_vccnz .LBB1_72
; %bb.40:                               ;   in Loop: Header=BB1_7 Depth=1
	s_and_not1_b32 vcc_lo, exec_lo, s70
	s_wait_alu 0xfffe
	s_cbranch_vccnz .LBB1_69
; %bb.41:                               ;   in Loop: Header=BB1_7 Depth=1
	v_lshl_add_u32 v2, v23, 9, v22
	v_mov_b32_e32 v1, 0
	s_mov_b32 s10, 0
.LBB1_42:                               ;   Parent Loop BB1_7 Depth=1
                                        ; =>  This Inner Loop Header: Depth=2
	ds_load_2addr_b32 v[3:4], v2 offset1:4
	ds_load_2addr_b32 v[28:29], v2 offset0:8 offset1:12
	ds_load_2addr_b32 v[30:31], v2 offset0:16 offset1:20
	;; [unrolled: 1-line block ×3, first 2 shown]
	v_add_nc_u32_e32 v2, 0x80, v2
	s_wait_alu 0xfffe
	s_add_co_i32 s10, s10, 8
	s_wait_alu 0xfffe
	s_cmp_eq_u32 s71, s10
	s_wait_dscnt 0x3
	v_add3_u32 v1, v3, v1, v4
	s_wait_dscnt 0x2
	s_delay_alu instid0(VALU_DEP_1) | instskip(SKIP_1) | instid1(VALU_DEP_1)
	v_add3_u32 v1, v28, v1, v29
	s_wait_dscnt 0x1
	v_add3_u32 v1, v30, v1, v31
	s_wait_dscnt 0x0
	s_delay_alu instid0(VALU_DEP_1)
	v_add3_u32 v1, v32, v1, v33
	s_cbranch_scc0 .LBB1_42
; %bb.43:                               ;   in Loop: Header=BB1_7 Depth=1
	s_mov_b32 s10, s71
	s_and_not1_b32 vcc_lo, exec_lo, s72
	s_wait_alu 0xfffe
	s_cbranch_vccz .LBB1_70
	s_branch .LBB1_72
.LBB1_44:                               ;   in Loop: Header=BB1_7 Depth=1
	v_dual_mov_b32 v1, 0 :: v_dual_mov_b32 v2, 0
	v_dual_mov_b32 v3, 0 :: v_dual_mov_b32 v4, 0
	s_and_saveexec_b32 s83, s5
	s_cbranch_execnz .LBB1_47
; %bb.45:                               ;   in Loop: Header=BB1_7 Depth=1
	s_wait_alu 0xfffe
	s_or_b32 exec_lo, exec_lo, s83
	v_mov_b32_e32 v30, 0
	s_and_saveexec_b32 s9, s6
	s_cbranch_execnz .LBB1_50
.LBB1_46:                               ;   in Loop: Header=BB1_7 Depth=1
	s_wait_alu 0xfffe
	s_or_b32 exec_lo, exec_lo, s9
	s_and_saveexec_b32 s13, s7
	s_cbranch_execnz .LBB1_51
	s_branch .LBB1_56
.LBB1_47:                               ;   in Loop: Header=BB1_7 Depth=1
	v_mov_b32_e32 v27, v13
	s_mov_b32 s84, 0
	s_mov_b32 s85, 0
	s_mov_b32 s86, 0
	s_mov_b32 s87, 0
	s_mov_b32 s88, 0
	s_mov_b32 s89, 0
.LBB1_48:                               ;   Parent Loop BB1_7 Depth=1
                                        ; =>  This Inner Loop Header: Depth=2
	s_wait_alu 0xfffe
	v_add_nc_u32_e32 v2, s85, v20
	v_add_nc_u32_e32 v1, s85, v9
	;; [unrolled: 1-line block ×5, first 2 shown]
	v_ashrrev_i32_e32 v29, 31, v2
	v_ashrrev_i32_e32 v32, 31, v1
	;; [unrolled: 1-line block ×4, first 2 shown]
	v_add_co_u32 v30, s11, s48, v2
	v_add_co_u32 v1, vcc_lo, s48, v1
	v_add_co_u32 v3, s9, s48, v3
	s_wait_alu 0xf1ff
	v_add_co_ci_u32_e64 v31, null, s49, v29, s11
	v_add_co_u32 v28, s10, s48, v4
	s_wait_alu 0xfffd
	v_add_co_ci_u32_e64 v2, null, s49, v32, vcc_lo
	v_add_co_ci_u32_e64 v4, null, s49, v33, s9
	s_wait_alu 0xf1ff
	v_add_co_ci_u32_e64 v29, null, s49, v34, s10
	s_clause 0x3
	global_load_u8 v30, v[30:31], off
	global_load_u8 v1, v[1:2], off
	;; [unrolled: 1-line block ×4, first 2 shown]
	v_cmp_le_i32_e32 vcc_lo, s73, v27
	s_add_co_i32 s85, s85, s37
	s_wait_loadcnt 0x3
	v_and_b32_e32 v4, v24, v30
	v_bfe_u32 v30, v30, s82, 2
	s_wait_loadcnt 0x2
	v_and_b32_e32 v28, v24, v1
	v_bfe_u32 v1, v1, s82, 2
	;; [unrolled: 3-line block ×3, first 2 shown]
	v_cmp_eq_u32_e64 s9, v4, v10
	v_cmp_eq_u32_e64 s13, 0, v30
	s_wait_loadcnt 0x0
	v_and_b32_e32 v31, v24, v3
	v_bfe_u32 v3, v3, s82, 2
	v_cmp_eq_u32_e64 s10, v28, v10
	v_cmp_eq_u32_e64 s14, 0, v1
	;; [unrolled: 1-line block ×4, first 2 shown]
	s_and_b32 s13, s9, s13
	v_cmp_eq_u32_e64 s12, v31, v10
	v_cmp_eq_u32_e64 s16, 0, v3
	;; [unrolled: 1-line block ×5, first 2 shown]
	s_wait_alu 0xfffe
	v_cndmask_b32_e64 v1, 0, 1, s13
	s_and_b32 s13, s10, s14
	v_cmp_eq_u32_e64 s17, 1, v30
	v_cmp_eq_u32_e64 s19, 1, v2
	;; [unrolled: 1-line block ×4, first 2 shown]
	s_wait_alu 0xfffe
	v_cndmask_b32_e64 v2, 0, 1, s13
	s_and_b32 s13, s11, s15
	v_cmp_eq_u32_e64 s20, 1, v3
	v_cmp_eq_u32_e64 s24, 2, v3
	;; [unrolled: 1-line block ×3, first 2 shown]
	s_wait_alu 0xfffe
	v_cndmask_b32_e64 v3, 0, 1, s13
	s_and_b32 s13, s12, s16
	v_cmp_eq_u32_e64 s21, 2, v30
	s_wait_alu 0xfffe
	v_cndmask_b32_e64 v4, 0, 1, s13
	s_and_b32 s13, s9, s17
	v_cmp_eq_u32_e64 s25, 3, v30
	s_wait_alu 0xfffe
	v_cndmask_b32_e64 v28, 0, 1, s13
	s_and_b32 s13, s10, s18
	s_wait_alu 0xfffe
	v_cndmask_b32_e64 v29, 0, 1, s13
	s_and_b32 s13, s11, s19
	;; [unrolled: 3-line block ×3, first 2 shown]
	v_cmp_ne_u32_e64 s14, 0, v29
	s_wait_alu 0xfffe
	v_cndmask_b32_e64 v31, 0, 1, s13
	s_and_b32 s13, s9, s21
	s_and_b32 s9, s9, s25
	s_wait_alu 0xfffe
	v_cndmask_b32_e64 v32, 0, 1, s13
	s_and_b32 s13, s10, s22
	v_cndmask_b32_e64 v36, 0, 1, s9
	s_and_b32 s9, s10, s26
	s_wait_alu 0xfffe
	v_cndmask_b32_e64 v33, 0, 1, s13
	s_and_b32 s13, s11, s23
	v_cndmask_b32_e64 v37, 0, 1, s9
	s_and_b32 s9, s11, s27
	s_wait_alu 0xfffe
	v_cndmask_b32_e64 v34, 0, 1, s13
	s_and_b32 s13, s12, s24
	v_cndmask_b32_e64 v38, 0, 1, s9
	s_and_b32 s9, s12, s28
	s_wait_alu 0xfffe
	v_cndmask_b32_e64 v35, 0, 1, s13
	v_cndmask_b32_e64 v39, 0, 1, s9
	v_cmp_ne_u32_e64 s9, 0, v1
	v_cmp_ne_u32_e64 s13, 0, v28
	;; [unrolled: 1-line block ×11, first 2 shown]
	s_bcnt1_i32_b32 s9, s9
	s_bcnt1_i32_b32 s13, s13
	;; [unrolled: 1-line block ×4, first 2 shown]
	v_cmp_ne_u32_e64 s12, 0, v4
	v_cmp_ne_u32_e64 s16, 0, v31
	;; [unrolled: 1-line block ×4, first 2 shown]
	s_bcnt1_i32_b32 s10, s10
	s_bcnt1_i32_b32 s14, s14
	s_bcnt1_i32_b32 s18, s18
	s_bcnt1_i32_b32 s22, s22
	s_wait_alu 0xfffe
	s_add_co_i32 s9, s9, s89
	s_add_co_i32 s13, s13, s88
	s_add_co_i32 s17, s17, s87
	s_add_co_i32 s21, s21, s86
	s_bcnt1_i32_b32 s11, s11
	s_bcnt1_i32_b32 s15, s15
	s_bcnt1_i32_b32 s19, s19
	s_bcnt1_i32_b32 s23, s23
	s_wait_alu 0xfffe
	s_add_co_i32 s9, s9, s10
	s_add_co_i32 s10, s13, s14
	s_add_co_i32 s13, s17, s18
	s_add_co_i32 s14, s21, s22
	;; [unrolled: 9-line block ×3, first 2 shown]
	s_wait_alu 0xfffe
	s_add_co_i32 s89, s9, s12
	s_add_co_i32 s88, s10, s16
	;; [unrolled: 1-line block ×4, first 2 shown]
	s_wait_alu 0xfffe
	v_dual_mov_b32 v1, s89 :: v_dual_mov_b32 v2, s88
	v_dual_mov_b32 v3, s87 :: v_dual_mov_b32 v4, s86
	s_or_b32 s84, vcc_lo, s84
	s_wait_alu 0xfffe
	s_and_not1_b32 exec_lo, exec_lo, s84
	s_cbranch_execnz .LBB1_48
; %bb.49:                               ;   in Loop: Header=BB1_7 Depth=1
	s_or_b32 exec_lo, exec_lo, s84
	s_delay_alu instid0(SALU_CYCLE_1)
	s_or_b32 exec_lo, exec_lo, s83
	v_mov_b32_e32 v30, 0
	s_and_saveexec_b32 s9, s6
	s_cbranch_execz .LBB1_46
.LBB1_50:                               ;   in Loop: Header=BB1_7 Depth=1
	global_load_u8 v30, v[7:8], off
	s_wait_alu 0xfffe
	s_or_b32 exec_lo, exec_lo, s9
	s_and_saveexec_b32 s13, s7
	s_cbranch_execz .LBB1_56
.LBB1_51:                               ;   in Loop: Header=BB1_7 Depth=1
	v_dual_mov_b32 v27, v21 :: v_dual_mov_b32 v28, v16
	s_mov_b32 s14, 0
	s_branch .LBB1_53
.LBB1_52:                               ;   in Loop: Header=BB1_53 Depth=2
	s_wait_alu 0xfffe
	s_or_b32 exec_lo, exec_lo, s9
	s_wait_loadcnt 0x0
	v_and_b32_e32 v30, 0xff, v30
	v_add_nc_u32_e32 v27, s66, v27
	s_delay_alu instid0(VALU_DEP_2) | instskip(SKIP_1) | instid1(VALU_DEP_2)
	v_and_b32_e32 v31, v24, v30
	v_bfe_u32 v30, v30, s82, 2
	v_cmp_eq_u32_e32 vcc_lo, v31, v10
	s_delay_alu instid0(VALU_DEP_2)
	v_cmp_eq_u32_e64 s9, 0, v30
	v_cmp_eq_u32_e64 s10, 1, v30
	;; [unrolled: 1-line block ×4, first 2 shown]
	s_and_b32 s9, vcc_lo, s9
	s_wait_alu 0xfffe
	v_cndmask_b32_e64 v30, 0, 1, s9
	s_and_b32 s9, vcc_lo, s10
	s_wait_alu 0xfffe
	v_cndmask_b32_e64 v31, 0, 1, s9
	;; [unrolled: 3-line block ×3, first 2 shown]
	s_and_b32 s9, vcc_lo, s12
	v_cmp_ne_u32_e32 vcc_lo, 0, v30
	s_wait_alu 0xfffe
	v_cndmask_b32_e64 v33, 0, 1, s9
	v_cmp_ne_u32_e64 s9, 0, v31
	v_cmp_ne_u32_e64 s10, 0, v32
	v_cmp_le_i32_e64 s12, s36, v28
	s_bcnt1_i32_b32 s15, vcc_lo
	v_cmp_ne_u32_e64 s11, 0, v33
	s_bcnt1_i32_b32 s9, s9
	s_bcnt1_i32_b32 s10, s10
	s_wait_alu 0xfffe
	v_add_nc_u32_e32 v1, s15, v1
	v_add_nc_u32_e32 v2, s9, v2
	s_bcnt1_i32_b32 s11, s11
	v_add_nc_u32_e32 v3, s10, v3
	s_wait_alu 0xfffe
	v_add_nc_u32_e32 v4, s11, v4
	v_mov_b32_e32 v30, v29
	s_or_b32 s14, s12, s14
	s_wait_alu 0xfffe
	s_and_not1_b32 exec_lo, exec_lo, s14
	s_cbranch_execz .LBB1_55
.LBB1_53:                               ;   Parent Loop BB1_7 Depth=1
                                        ; =>  This Inner Loop Header: Depth=2
	s_delay_alu instid0(VALU_DEP_1) | instskip(SKIP_1) | instid1(VALU_DEP_1)
	v_dual_mov_b32 v29, 0 :: v_dual_add_nc_u32 v28, s41, v28
	s_mov_b32 s9, exec_lo
	v_cmpx_gt_u32_e64 s36, v28
	s_cbranch_execz .LBB1_52
; %bb.54:                               ;   in Loop: Header=BB1_53 Depth=2
	v_ashrrev_i32_e32 v29, 31, v27
	v_add_co_u32 v31, vcc_lo, s48, v27
	s_wait_alu 0xfffd
	s_delay_alu instid0(VALU_DEP_2)
	v_add_co_ci_u32_e64 v32, null, s49, v29, vcc_lo
	global_load_u8 v29, v[31:32], off
	s_branch .LBB1_52
.LBB1_55:                               ;   in Loop: Header=BB1_7 Depth=1
	s_or_b32 exec_lo, exec_lo, s14
.LBB1_56:                               ;   in Loop: Header=BB1_7 Depth=1
	s_wait_alu 0xfffe
	s_or_b32 exec_lo, exec_lo, s13
	s_branch .LBB1_36
.LBB1_57:                               ;   in Loop: Header=BB1_7 Depth=1
	s_mul_u64 s[10:11], s[50:51], s[52:53]
	v_dual_mov_b32 v1, 0 :: v_dual_mov_b32 v2, 0
	s_wait_alu 0xfffe
	s_mul_i32 s9, s11, s46
	v_dual_mov_b32 v3, 0 :: v_dual_mov_b32 v4, 0
	s_wait_alu 0xfffe
	s_sub_co_i32 s9, s50, s9
	s_mov_b32 s84, exec_lo
	s_wait_alu 0xfffe
	s_sub_co_i32 s10, s9, s46
	s_cmp_ge_u32 s9, s46
	s_wait_alu 0xfffe
	s_cselect_b32 s9, s10, s9
	s_wait_alu 0xfffe
	s_sub_co_i32 s10, s9, s46
	s_cmp_ge_u32 s9, s46
	s_wait_alu 0xfffe
	s_cselect_b32 s9, s10, s9
	s_wait_alu 0xfffe
	s_sub_co_i32 s83, s50, s9
	s_wait_alu 0xfffe
	v_cmpx_gt_u32_e64 s83, v13
	s_cbranch_execz .LBB1_61
; %bb.58:                               ;   in Loop: Header=BB1_7 Depth=1
	v_mov_b32_e32 v27, v13
	s_mov_b32 s85, 0
	s_mov_b32 s86, 0
	;; [unrolled: 1-line block ×5, first 2 shown]
.LBB1_59:                               ;   Parent Loop BB1_7 Depth=1
                                        ; =>  This Inner Loop Header: Depth=2
	ds_load_b32 v1, v27
	s_wait_dscnt 0x0
	v_and_b32_e32 v2, 0xff, v1
	v_bfe_u32 v3, v1, 8, 8
	v_bfe_u32 v4, v1, 16, 8
	v_lshrrev_b32_e32 v1, 24, v1
	s_delay_alu instid0(VALU_DEP_4)
	v_and_b32_e32 v28, v24, v2
	v_bfe_u32 v2, v2, s82, 2
	v_and_b32_e32 v29, v24, v3
	v_bfe_u32 v3, v3, s82, 2
	s_wait_loadcnt 0x0
	v_and_b32_e32 v30, v24, v4
	v_bfe_u32 v4, v4, s82, 2
	v_cmp_eq_u32_e64 s9, v28, v10
	v_cmp_eq_u32_e64 s13, 0, v2
	v_and_b32_e32 v31, v24, v1
	v_bfe_u32 v1, v1, s82, 2
	v_cmp_eq_u32_e64 s10, v29, v10
	v_cmp_eq_u32_e64 s14, 0, v3
	;; [unrolled: 1-line block ×4, first 2 shown]
	s_and_b32 s13, s9, s13
	v_cmp_eq_u32_e64 s12, v31, v10
	v_cmp_eq_u32_e64 s16, 0, v1
	;; [unrolled: 1-line block ×5, first 2 shown]
	s_wait_alu 0xfffe
	v_cndmask_b32_e64 v1, 0, 1, s13
	s_and_b32 s13, s10, s14
	v_cmp_eq_u32_e64 s17, 1, v2
	v_cmp_eq_u32_e64 s21, 2, v2
	v_cmp_eq_u32_e64 s25, 3, v2
	s_wait_alu 0xfffe
	v_cndmask_b32_e64 v2, 0, 1, s13
	s_and_b32 s13, s11, s15
	v_cmp_eq_u32_e64 s18, 1, v3
	v_cmp_eq_u32_e64 s22, 2, v3
	v_cmp_eq_u32_e64 s26, 3, v3
	;; [unrolled: 6-line block ×3, first 2 shown]
	s_wait_alu 0xfffe
	v_cndmask_b32_e64 v4, 0, 1, s13
	s_and_b32 s13, s9, s17
	s_wait_alu 0xfffe
	v_cndmask_b32_e64 v28, 0, 1, s13
	s_and_b32 s13, s10, s18
	s_wait_alu 0xfffe
	v_cndmask_b32_e64 v29, 0, 1, s13
	s_and_b32 s13, s11, s19
	s_wait_alu 0xfffe
	v_cndmask_b32_e64 v30, 0, 1, s13
	s_and_b32 s13, s12, s20
	v_cmp_ne_u32_e64 s14, 0, v29
	s_wait_alu 0xfffe
	v_cndmask_b32_e64 v31, 0, 1, s13
	s_and_b32 s13, s9, s21
	s_and_b32 s9, s9, s25
	s_wait_alu 0xfffe
	v_cndmask_b32_e64 v32, 0, 1, s13
	s_and_b32 s13, s10, s22
	v_cndmask_b32_e64 v36, 0, 1, s9
	s_and_b32 s9, s10, s26
	s_wait_alu 0xfffe
	v_cndmask_b32_e64 v33, 0, 1, s13
	s_and_b32 s13, s11, s23
	v_cndmask_b32_e64 v37, 0, 1, s9
	;; [unrolled: 5-line block ×3, first 2 shown]
	s_and_b32 s9, s12, s28
	s_wait_alu 0xfffe
	v_cndmask_b32_e64 v35, 0, 1, s13
	v_cndmask_b32_e64 v39, 0, 1, s9
	v_cmp_ne_u32_e64 s9, 0, v1
	v_cmp_ne_u32_e64 s13, 0, v28
	;; [unrolled: 1-line block ×6, first 2 shown]
	s_bcnt1_i32_b32 s9, s9
	s_bcnt1_i32_b32 s13, s13
	v_cmp_ne_u32_e64 s16, 0, v31
	v_cmp_ne_u32_e64 s18, 0, v33
	v_cmp_ne_u32_e64 s22, 0, v37
	s_bcnt1_i32_b32 s10, s10
	s_bcnt1_i32_b32 s14, s14
	s_wait_alu 0xfffe
	s_add_co_i32 s9, s9, s89
	s_add_co_i32 s13, s13, s88
	v_cmp_ne_u32_e64 s11, 0, v3
	v_cmp_ne_u32_e64 s19, 0, v34
	v_cmp_ne_u32_e64 s23, 0, v38
	s_bcnt1_i32_b32 s15, s15
	s_wait_alu 0xfffe
	s_add_co_i32 s9, s9, s10
	s_add_co_i32 s10, s13, s14
	s_bcnt1_i32_b32 s17, s17
	s_bcnt1_i32_b32 s21, s21
	v_cmp_ne_u32_e64 s12, 0, v4
	v_cmp_ne_u32_e64 s20, 0, v35
	;; [unrolled: 1-line block ×3, first 2 shown]
	s_bcnt1_i32_b32 s16, s16
	s_wait_alu 0xfffe
	s_add_co_i32 s10, s10, s15
	s_bcnt1_i32_b32 s18, s18
	s_bcnt1_i32_b32 s22, s22
	s_add_co_i32 s17, s17, s87
	s_add_co_i32 s21, s21, s86
	s_wait_alu 0xfffe
	s_add_co_i32 s88, s10, s16
	s_wait_alu 0xfffe
	v_dual_mov_b32 v2, s88 :: v_dual_add_nc_u32 v27, s46, v27
	s_bcnt1_i32_b32 s11, s11
	s_bcnt1_i32_b32 s19, s19
	;; [unrolled: 1-line block ×3, first 2 shown]
	s_add_co_i32 s13, s17, s18
	s_add_co_i32 s14, s21, s22
	s_bcnt1_i32_b32 s12, s12
	s_bcnt1_i32_b32 s20, s20
	;; [unrolled: 1-line block ×3, first 2 shown]
	s_wait_alu 0xfffe
	s_add_co_i32 s9, s9, s11
	s_add_co_i32 s11, s13, s19
	;; [unrolled: 1-line block ×3, first 2 shown]
	v_cmp_le_i32_e32 vcc_lo, s83, v27
	s_wait_alu 0xfffe
	s_add_co_i32 s89, s9, s12
	s_add_co_i32 s87, s11, s20
	;; [unrolled: 1-line block ×3, first 2 shown]
	s_wait_alu 0xfffe
	v_mov_b32_e32 v1, s89
	v_dual_mov_b32 v3, s87 :: v_dual_mov_b32 v4, s86
	s_or_b32 s85, vcc_lo, s85
	s_wait_alu 0xfffe
	s_and_not1_b32 exec_lo, exec_lo, s85
	s_cbranch_execnz .LBB1_59
; %bb.60:                               ;   in Loop: Header=BB1_7 Depth=1
	s_or_b32 exec_lo, exec_lo, s85
.LBB1_61:                               ;   in Loop: Header=BB1_7 Depth=1
	s_delay_alu instid0(SALU_CYCLE_1) | instskip(SKIP_2) | instid1(VALU_DEP_1)
	s_or_b32 exec_lo, exec_lo, s84
	v_add_nc_u32_e32 v27, s83, v0
	s_mov_b32 s14, exec_lo
	v_cmpx_gt_i32_e64 s50, v27
	s_cbranch_execz .LBB1_65
; %bb.62:                               ;   in Loop: Header=BB1_7 Depth=1
	s_mov_b32 s15, 0
.LBB1_63:                               ;   Parent Loop BB1_7 Depth=1
                                        ; =>  This Inner Loop Header: Depth=2
	ds_load_u8 v28, v27
	v_add_nc_u32_e32 v27, s41, v27
	s_delay_alu instid0(VALU_DEP_1) | instskip(SKIP_3) | instid1(VALU_DEP_2)
	v_cmp_le_i32_e32 vcc_lo, s50, v27
	s_wait_dscnt 0x0
	v_and_b32_e32 v29, v24, v28
	v_bfe_u32 v28, v28, s82, 2
	v_cmp_eq_u32_e64 s9, v29, v10
	s_delay_alu instid0(VALU_DEP_2)
	v_cmp_eq_u32_e64 s10, 0, v28
	v_cmp_eq_u32_e64 s11, 1, v28
	;; [unrolled: 1-line block ×4, first 2 shown]
	s_and_b32 s10, s9, s10
	s_wait_alu 0xfffe
	v_cndmask_b32_e64 v28, 0, 1, s10
	s_and_b32 s10, s9, s11
	s_wait_alu 0xfffe
	v_cndmask_b32_e64 v29, 0, 1, s10
	s_and_b32 s10, s9, s12
	s_and_b32 s9, s9, s13
	s_wait_loadcnt 0x0
	s_wait_alu 0xfffe
	v_cndmask_b32_e64 v30, 0, 1, s10
	v_cndmask_b32_e64 v31, 0, 1, s9
	v_cmp_ne_u32_e64 s9, 0, v28
	v_cmp_ne_u32_e64 s10, 0, v29
	s_delay_alu instid0(VALU_DEP_4) | instskip(NEXT) | instid1(VALU_DEP_4)
	v_cmp_ne_u32_e64 s11, 0, v30
	v_cmp_ne_u32_e64 s12, 0, v31
	s_bcnt1_i32_b32 s9, s9
	s_bcnt1_i32_b32 s10, s10
	s_wait_alu 0xfffe
	v_add_nc_u32_e32 v1, s9, v1
	s_bcnt1_i32_b32 s11, s11
	s_bcnt1_i32_b32 s12, s12
	v_add_nc_u32_e32 v2, s10, v2
	s_wait_alu 0xfffe
	v_add_nc_u32_e32 v3, s11, v3
	v_add_nc_u32_e32 v4, s12, v4
	s_or_b32 s15, vcc_lo, s15
	s_wait_alu 0xfffe
	s_and_not1_b32 exec_lo, exec_lo, s15
	s_cbranch_execnz .LBB1_63
; %bb.64:                               ;   in Loop: Header=BB1_7 Depth=1
	s_or_b32 exec_lo, exec_lo, s15
.LBB1_65:                               ;   in Loop: Header=BB1_7 Depth=1
	s_wait_alu 0xfffe
	s_or_b32 exec_lo, exec_lo, s14
	v_lshlrev_b32_e32 v27, 7, v23
	s_and_saveexec_b32 s9, s0
	s_cbranch_execnz .LBB1_37
	s_branch .LBB1_38
.LBB1_66:                               ;   in Loop: Header=BB1_7 Depth=1
	s_or_b32 exec_lo, exec_lo, s12
	s_wait_dscnt 0x0
	s_barrier_signal -1
	s_barrier_wait -1
	global_inv scope:SCOPE_SE
	s_and_saveexec_b32 s9, s2
	s_cbranch_execz .LBB1_68
; %bb.67:                               ;   in Loop: Header=BB1_7 Depth=1
	ds_load_b32 v1, v14 offset:4104
	s_wait_dscnt 0x0
	ds_store_b32 v14, v1 offset:4096
.LBB1_68:                               ;   in Loop: Header=BB1_7 Depth=1
	s_wait_alu 0xfffe
	s_or_b32 exec_lo, exec_lo, s9
	s_wait_loadcnt_dscnt 0x0
	s_barrier_signal -1
	s_mov_b32 s9, -1
	s_barrier_wait -1
	s_and_b32 vcc_lo, exec_lo, s10
	s_wait_alu 0xfffe
	s_cbranch_vccnz .LBB1_22
	s_branch .LBB1_32
.LBB1_69:                               ;   in Loop: Header=BB1_7 Depth=1
	v_mov_b32_e32 v1, 0
	s_mov_b32 s10, 0
	s_and_not1_b32 vcc_lo, exec_lo, s72
	s_wait_alu 0xfffe
	s_cbranch_vccnz .LBB1_72
.LBB1_70:                               ;   in Loop: Header=BB1_7 Depth=1
	v_lshlrev_b32_e32 v2, 9, v23
	s_lshl_b32 s10, s10, 4
	s_wait_alu 0xfffe
	s_delay_alu instid0(VALU_DEP_1)
	v_add3_u32 v2, v2, s10, v22
	s_mov_b32 s10, s69
.LBB1_71:                               ;   Parent Loop BB1_7 Depth=1
                                        ; =>  This Inner Loop Header: Depth=2
	ds_load_b32 v3, v2
	v_add_nc_u32_e32 v2, 16, v2
	s_wait_alu 0xfffe
	s_add_co_i32 s10, s10, -1
	s_wait_alu 0xfffe
	s_cmp_lg_u32 s10, 0
	s_wait_dscnt 0x0
	v_add_nc_u32_e32 v1, v3, v1
	s_cbranch_scc1 .LBB1_71
.LBB1_72:                               ;   in Loop: Header=BB1_7 Depth=1
	v_add_lshl_u32 v2, v27, v12, 2
	ds_store_b32 v2, v1 offset:3072
.LBB1_73:                               ;   in Loop: Header=BB1_7 Depth=1
	s_wait_alu 0xfffe
	s_or_b32 exec_lo, exec_lo, s9
	v_lshlrev_b32_e32 v1, 2, v27
	s_wait_loadcnt_dscnt 0x0
	s_barrier_signal -1
	s_barrier_wait -1
	global_inv scope:SCOPE_SE
	ds_load_b128 v[1:4], v1 offset:3072
	s_lshl_b32 s10, 3, s82
	v_cmp_eq_u32_e32 vcc_lo, 1, v26
	s_wait_alu 0xfffe
	s_not_b32 s17, s10
	s_mov_b32 s13, -1
	s_mov_b32 s15, -1
                                        ; implicit-def: $sgpr20
                                        ; implicit-def: $sgpr18
	s_wait_dscnt 0x0
	v_readfirstlane_b32 s12, v1
	v_readfirstlane_b32 s19, v2
	;; [unrolled: 1-line block ×4, first 2 shown]
	s_cmp_eq_u32 s12, 1
	s_cselect_b32 s11, -1, 0
	s_wait_alu 0xfffe
	s_and_b32 s14, s11, vcc_lo
	s_wait_alu 0xfffe
	s_and_saveexec_b32 s11, s14
	s_cbranch_execz .LBB1_99
; %bb.74:                               ;   in Loop: Header=BB1_7 Depth=1
	ds_load_b32 v1, v14 offset:4096
	s_wait_loadcnt_dscnt 0x0
	s_barrier_signal -1
	s_barrier_wait -1
	global_inv scope:SCOPE_SE
	v_readfirstlane_b32 s15, v1
	s_and_saveexec_b32 s18, s1
; %bb.75:                               ;   in Loop: Header=BB1_7 Depth=1
	ds_store_b8 v0, v14 offset:3072
; %bb.76:                               ;   in Loop: Header=BB1_7 Depth=1
	s_wait_alu 0xfffe
	s_or_b32 exec_lo, exec_lo, s18
	v_and_b32_e32 v10, s17, v10
	v_or_b32_e32 v24, s10, v24
	s_mov_b32 s18, -1
	s_mov_b32 s20, 0
	s_cmp_lt_i32 s15, 1
	s_mov_b32 s21, 0
	s_mov_b32 s22, -1
	s_wait_loadcnt_dscnt 0x0
	s_barrier_signal -1
	s_barrier_wait -1
	global_inv scope:SCOPE_SE
                                        ; implicit-def: $vgpr25
	s_cbranch_scc0 .LBB1_87
; %bb.77:                               ;   in Loop: Header=BB1_7 Depth=1
	s_mov_b32 s22, 0
                                        ; implicit-def: $vgpr25
	s_and_saveexec_b32 s23, s8
	s_cbranch_execz .LBB1_86
; %bb.78:                               ;   in Loop: Header=BB1_7 Depth=1
	v_dual_mov_b32 v1, v11 :: v_dual_mov_b32 v2, v0
                                        ; implicit-def: $sgpr24
	s_branch .LBB1_81
.LBB1_79:                               ;   in Loop: Header=BB1_81 Depth=2
	s_wait_alu 0xfffe
	s_or_b32 exec_lo, exec_lo, s25
	s_wait_loadcnt_dscnt 0x0
	s_barrier_signal -1
	s_barrier_wait -1
	global_inv scope:SCOPE_SE
	ds_load_u16 v3, v14 offset:3072
	s_mov_b32 s25, -1
	s_mov_b32 s26, -1
	s_wait_loadcnt_dscnt 0x0
	s_barrier_signal -1
	s_barrier_wait -1
	global_inv scope:SCOPE_SE
	v_and_b32_e32 v4, 0xff, v3
	s_delay_alu instid0(VALU_DEP_1)
	v_cmp_ne_u32_e32 vcc_lo, 0, v4
	s_cbranch_vccz .LBB1_84
.LBB1_80:                               ;   in Loop: Header=BB1_81 Depth=2
	s_wait_alu 0xfffe
	s_and_b32 s25, exec_lo, s25
	s_wait_alu 0xfffe
	s_or_b32 s21, s25, s21
	s_and_not1_b32 s24, s24, exec_lo
	s_and_b32 s25, s26, exec_lo
	s_wait_alu 0xfffe
	s_or_b32 s24, s24, s25
	s_and_not1_b32 exec_lo, exec_lo, s21
	s_cbranch_execz .LBB1_85
.LBB1_81:                               ;   Parent Loop BB1_7 Depth=1
                                        ; =>  This Inner Loop Header: Depth=2
	s_mov_b32 s25, exec_lo
	s_delay_alu instid0(VALU_DEP_1)
	v_cmpx_gt_i32_e64 s36, v2
	s_cbranch_execz .LBB1_79
; %bb.82:                               ;   in Loop: Header=BB1_81 Depth=2
	v_ashrrev_i32_e32 v4, 31, v1
	v_add_co_u32 v3, vcc_lo, s48, v1
	s_wait_alu 0xfffd
	s_delay_alu instid0(VALU_DEP_2) | instskip(SKIP_3) | instid1(VALU_DEP_1)
	v_add_co_ci_u32_e64 v4, null, s49, v4, vcc_lo
	global_load_u8 v3, v[3:4], off
	s_wait_loadcnt 0x0
	v_and_b32_e32 v4, v3, v24
	v_and_b32_e32 v4, 0xff, v4
	s_delay_alu instid0(VALU_DEP_1)
	v_cmp_eq_u32_e32 vcc_lo, v4, v10
	s_and_b32 exec_lo, exec_lo, vcc_lo
	s_cbranch_execz .LBB1_79
; %bb.83:                               ;   in Loop: Header=BB1_81 Depth=2
	v_lshlrev_b16 v3, 8, v3
	s_delay_alu instid0(VALU_DEP_1)
	v_or_b32_e32 v3, 1, v3
	ds_store_b16 v14, v3 offset:3072
	s_branch .LBB1_79
.LBB1_84:                               ;   in Loop: Header=BB1_81 Depth=2
	v_add_nc_u32_e32 v2, s41, v2
	v_add_nc_u32_e32 v1, s66, v1
	s_mov_b32 s26, 0
	s_delay_alu instid0(VALU_DEP_2)
	v_cmp_le_i32_e32 vcc_lo, s74, v2
	s_or_not1_b32 s25, vcc_lo, exec_lo
	s_branch .LBB1_80
.LBB1_85:                               ;   in Loop: Header=BB1_7 Depth=1
	s_or_b32 exec_lo, exec_lo, s21
	v_and_b32_e32 v1, 0xffff, v3
	s_wait_alu 0xfffe
	s_and_b32 s21, s24, exec_lo
	s_delay_alu instid0(VALU_DEP_1)
	v_lshrrev_b32_e32 v25, 8, v1
.LBB1_86:                               ;   in Loop: Header=BB1_7 Depth=1
	s_wait_alu 0xfffe
	s_or_b32 exec_lo, exec_lo, s23
.LBB1_87:                               ;   in Loop: Header=BB1_7 Depth=1
	s_wait_alu 0xfffe
	s_and_b32 vcc_lo, exec_lo, s22
	s_wait_alu 0xfffe
	s_cbranch_vccz .LBB1_98
; %bb.88:                               ;   in Loop: Header=BB1_7 Depth=1
	s_add_co_i32 s20, s15, s64
                                        ; implicit-def: $vgpr25
	s_wait_alu 0xfffe
	s_abs_i32 s50, s20
	s_wait_alu 0xfffe
	s_mul_u64 s[22:23], s[50:51], s[54:55]
	s_ashr_i32 s22, s20, 31
	s_wait_alu 0xfffe
	s_mul_i32 s18, s23, s41
	s_wait_alu 0xfffe
	s_sub_co_i32 s18, s50, s18
	s_wait_alu 0xfffe
	s_sub_co_i32 s23, s18, s41
	s_cmp_ge_u32 s18, s41
	s_wait_alu 0xfffe
	s_cselect_b32 s18, s23, s18
	s_wait_alu 0xfffe
	s_sub_co_i32 s23, s18, s41
	s_cmp_ge_u32 s18, s41
	s_wait_alu 0xfffe
	s_cselect_b32 s18, s23, s18
	s_wait_alu 0xfffe
	s_xor_b32 s18, s18, s22
	s_wait_alu 0xfffe
	s_sub_co_i32 s18, s22, s18
	s_wait_alu 0xfffe
	s_add_co_i32 s20, s20, s18
	s_mov_b32 s18, exec_lo
	s_wait_alu 0xfffe
	v_cmpx_gt_i32_e64 s20, v0
	s_cbranch_execz .LBB1_97
; %bb.89:                               ;   in Loop: Header=BB1_7 Depth=1
	v_mov_b32_e32 v1, v0
	s_mov_b32 s23, 0
                                        ; implicit-def: $sgpr22
	s_branch .LBB1_92
.LBB1_90:                               ;   in Loop: Header=BB1_92 Depth=2
	s_wait_alu 0xfffe
	s_or_b32 exec_lo, exec_lo, s24
	s_wait_loadcnt_dscnt 0x0
	s_barrier_signal -1
	s_barrier_wait -1
	global_inv scope:SCOPE_SE
	ds_load_u16 v2, v14 offset:3072
	s_mov_b32 s25, -1
	s_mov_b32 s24, -1
	s_wait_loadcnt_dscnt 0x0
	s_barrier_signal -1
	s_barrier_wait -1
	global_inv scope:SCOPE_SE
	v_and_b32_e32 v3, 0xff, v2
	s_delay_alu instid0(VALU_DEP_1)
	v_cmp_ne_u32_e32 vcc_lo, 0, v3
	s_cbranch_vccz .LBB1_95
.LBB1_91:                               ;   in Loop: Header=BB1_92 Depth=2
	s_wait_alu 0xfffe
	s_and_b32 s25, exec_lo, s25
	s_wait_alu 0xfffe
	s_or_b32 s23, s25, s23
	s_and_not1_b32 s22, s22, exec_lo
	s_and_b32 s24, s24, exec_lo
	s_wait_alu 0xfffe
	s_or_b32 s22, s22, s24
	s_and_not1_b32 exec_lo, exec_lo, s23
	s_cbranch_execz .LBB1_96
.LBB1_92:                               ;   Parent Loop BB1_7 Depth=1
                                        ; =>  This Inner Loop Header: Depth=2
	s_mov_b32 s24, exec_lo
	s_delay_alu instid0(VALU_DEP_1)
	v_cmpx_gt_i32_e64 s15, v1
	s_cbranch_execz .LBB1_90
; %bb.93:                               ;   in Loop: Header=BB1_92 Depth=2
	ds_load_u8 v2, v1
	s_wait_dscnt 0x0
	v_and_b32_e32 v3, v2, v24
	s_delay_alu instid0(VALU_DEP_1) | instskip(NEXT) | instid1(VALU_DEP_1)
	v_and_b32_e32 v3, 0xff, v3
	v_cmp_eq_u32_e32 vcc_lo, v3, v10
	s_and_b32 exec_lo, exec_lo, vcc_lo
	s_cbranch_execz .LBB1_90
; %bb.94:                               ;   in Loop: Header=BB1_92 Depth=2
	v_lshlrev_b16 v2, 8, v2
	s_delay_alu instid0(VALU_DEP_1)
	v_or_b32_e32 v2, 1, v2
	ds_store_b16 v14, v2 offset:3072
	s_branch .LBB1_90
.LBB1_95:                               ;   in Loop: Header=BB1_92 Depth=2
	v_add_nc_u32_e32 v1, s41, v1
	s_mov_b32 s24, 0
	s_delay_alu instid0(VALU_DEP_1)
	v_cmp_le_i32_e32 vcc_lo, s20, v1
	s_or_not1_b32 s25, vcc_lo, exec_lo
	s_branch .LBB1_91
.LBB1_96:                               ;   in Loop: Header=BB1_7 Depth=1
	s_or_b32 exec_lo, exec_lo, s23
	v_and_b32_e32 v1, 0xffff, v2
	s_and_not1_b32 s15, s21, exec_lo
	s_wait_alu 0xfffe
	s_and_b32 s20, s22, exec_lo
	s_wait_alu 0xfffe
	s_or_b32 s21, s15, s20
	v_lshrrev_b32_e32 v25, 8, v1
.LBB1_97:                               ;   in Loop: Header=BB1_7 Depth=1
	s_or_b32 exec_lo, exec_lo, s18
	s_mov_b32 s18, 0
	s_mov_b32 s20, -1
.LBB1_98:                               ;   in Loop: Header=BB1_7 Depth=1
	s_wait_alu 0xfffe
	s_or_not1_b32 s15, s21, exec_lo
.LBB1_99:                               ;   in Loop: Header=BB1_7 Depth=1
	s_wait_alu 0xfffe
	s_or_b32 exec_lo, exec_lo, s11
	v_readfirstlane_b32 s21, v0
	s_and_not1_b32 s11, s80, exec_lo
	s_and_b32 s20, s20, exec_lo
	s_and_not1_b32 s22, s78, exec_lo
	s_and_b32 s18, s18, exec_lo
	s_and_not1_b32 s77, s77, exec_lo
	s_wait_alu 0xfffe
	s_or_b32 s80, s11, s20
	s_or_b32 s78, s22, s18
                                        ; implicit-def: $vgpr2
	s_and_saveexec_b32 s11, s15
	s_cbranch_execz .LBB1_6
; %bb.100:                              ;   in Loop: Header=BB1_7 Depth=1
	v_dual_mov_b32 v2, 1 :: v_dual_mov_b32 v1, 1
	s_xor_b32 s14, s14, -1
	s_mov_b32 s20, 0
	s_wait_alu 0xfffe
	s_and_saveexec_b32 s13, s14
	s_cbranch_execz .LBB1_109
; %bb.101:                              ;   in Loop: Header=BB1_7 Depth=1
	s_mov_b32 s14, exec_lo
	v_cmpx_ge_i32_e64 s12, v26
	s_wait_alu 0xfffe
	s_xor_b32 s14, exec_lo, s14
	s_cbranch_execz .LBB1_106
; %bb.102:                              ;   in Loop: Header=BB1_7 Depth=1
	ds_load_b32 v1, v14 offset:4096
	v_and_b32_e32 v10, s17, v10
	v_or_b32_e32 v24, s10, v24
	s_wait_dscnt 0x0
	v_cmp_ne_u32_e32 vcc_lo, 0, v1
	s_cbranch_vccnz .LBB1_106
; %bb.103:                              ;   in Loop: Header=BB1_7 Depth=1
	s_and_saveexec_b32 s15, s2
; %bb.104:                              ;   in Loop: Header=BB1_7 Depth=1
	v_mov_b32_e32 v1, s12
	ds_store_b32 v14, v1 offset:4100
; %bb.105:                              ;   in Loop: Header=BB1_7 Depth=1
	s_wait_alu 0xfffe
	s_or_b32 exec_lo, exec_lo, s15
	s_wait_loadcnt_dscnt 0x0
	s_barrier_signal -1
	s_barrier_wait -1
	global_inv scope:SCOPE_SE
.LBB1_106:                              ;   in Loop: Header=BB1_7 Depth=1
	s_wait_alu 0xfffe
	s_or_saveexec_b32 s14, s14
	v_mov_b32_e32 v1, 8
	s_mov_b32 s15, 0
	s_wait_alu 0xfffe
	s_xor_b32 exec_lo, exec_lo, s14
; %bb.107:                              ;   in Loop: Header=BB1_7 Depth=1
	v_subrev_nc_u32_e32 v26, s12, v26
	v_mov_b32_e32 v1, 0
	s_mov_b32 s15, exec_lo
; %bb.108:                              ;   in Loop: Header=BB1_7 Depth=1
	s_or_b32 exec_lo, exec_lo, s14
	s_delay_alu instid0(VALU_DEP_2)
	v_mov_b32_e32 v2, v26
	s_wait_alu 0xfffe
	s_and_b32 s20, s15, exec_lo
.LBB1_109:                              ;   in Loop: Header=BB1_7 Depth=1
	s_wait_alu 0xfffe
	s_or_b32 exec_lo, exec_lo, s13
	s_mov_b32 s12, -1
	s_mov_b32 s18, -1
                                        ; implicit-def: $sgpr14
                                        ; implicit-def: $sgpr15
	s_and_saveexec_b32 s13, s20
	s_wait_alu 0xfffe
	s_xor_b32 s13, exec_lo, s13
	s_cbranch_execz .LBB1_226
; %bb.110:                              ;   in Loop: Header=BB1_7 Depth=1
	v_cmp_eq_u32_e32 vcc_lo, 1, v2
	s_cmp_eq_u32 s19, 1
	s_mov_b32 s21, -1
	s_cselect_b32 s14, -1, 0
                                        ; implicit-def: $sgpr15
	s_wait_alu 0xfffe
	s_and_b32 s20, s14, vcc_lo
                                        ; implicit-def: $sgpr14
	s_wait_alu 0xfffe
	s_and_saveexec_b32 s18, s20
	s_cbranch_execz .LBB1_136
; %bb.111:                              ;   in Loop: Header=BB1_7 Depth=1
	ds_load_b32 v3, v14 offset:4096
	s_wait_loadcnt_dscnt 0x0
	s_barrier_signal -1
	s_barrier_wait -1
	global_inv scope:SCOPE_SE
	v_readfirstlane_b32 s21, v3
	s_and_saveexec_b32 s14, s1
; %bb.112:                              ;   in Loop: Header=BB1_7 Depth=1
	ds_store_b8 v0, v14 offset:3072
; %bb.113:                              ;   in Loop: Header=BB1_7 Depth=1
	s_wait_alu 0xfffe
	s_or_b32 exec_lo, exec_lo, s14
	s_lshl_b32 s14, 1, s82
	v_or_b32_e32 v24, s10, v24
	s_wait_alu 0xfffe
	v_and_or_b32 v10, v10, s17, s14
	s_mov_b32 s14, -1
	s_mov_b32 s15, 0
	s_cmp_gt_i32 s21, 0
	s_mov_b32 s22, 0
	s_mov_b32 s23, -1
	s_wait_loadcnt_dscnt 0x0
	s_barrier_signal -1
	s_barrier_wait -1
	global_inv scope:SCOPE_SE
                                        ; implicit-def: $vgpr25
	s_cbranch_scc1 .LBB1_124
; %bb.114:                              ;   in Loop: Header=BB1_7 Depth=1
	s_mov_b32 s23, 0
                                        ; implicit-def: $vgpr25
	s_and_saveexec_b32 s24, s8
	s_cbranch_execz .LBB1_123
; %bb.115:                              ;   in Loop: Header=BB1_7 Depth=1
	v_dual_mov_b32 v3, v11 :: v_dual_mov_b32 v4, v0
                                        ; implicit-def: $sgpr25
	s_branch .LBB1_118
.LBB1_116:                              ;   in Loop: Header=BB1_118 Depth=2
	s_wait_alu 0xfffe
	s_or_b32 exec_lo, exec_lo, s26
	s_wait_loadcnt_dscnt 0x0
	s_barrier_signal -1
	s_barrier_wait -1
	global_inv scope:SCOPE_SE
	ds_load_u16 v25, v14 offset:3072
	s_mov_b32 s26, -1
	s_mov_b32 s27, -1
	s_wait_loadcnt_dscnt 0x0
	s_barrier_signal -1
	s_barrier_wait -1
	global_inv scope:SCOPE_SE
	v_and_b32_e32 v26, 0xff, v25
	s_delay_alu instid0(VALU_DEP_1)
	v_cmp_ne_u32_e32 vcc_lo, 0, v26
	s_cbranch_vccz .LBB1_121
.LBB1_117:                              ;   in Loop: Header=BB1_118 Depth=2
	s_wait_alu 0xfffe
	s_and_b32 s26, exec_lo, s26
	s_wait_alu 0xfffe
	s_or_b32 s22, s26, s22
	s_and_not1_b32 s25, s25, exec_lo
	s_and_b32 s26, s27, exec_lo
	s_wait_alu 0xfffe
	s_or_b32 s25, s25, s26
	s_and_not1_b32 exec_lo, exec_lo, s22
	s_cbranch_execz .LBB1_122
.LBB1_118:                              ;   Parent Loop BB1_7 Depth=1
                                        ; =>  This Inner Loop Header: Depth=2
	s_mov_b32 s26, exec_lo
	s_delay_alu instid0(VALU_DEP_1)
	v_cmpx_gt_i32_e64 s36, v4
	s_cbranch_execz .LBB1_116
; %bb.119:                              ;   in Loop: Header=BB1_118 Depth=2
	v_ashrrev_i32_e32 v26, 31, v3
	v_add_co_u32 v25, vcc_lo, s48, v3
	s_wait_alu 0xfffd
	s_delay_alu instid0(VALU_DEP_2) | instskip(SKIP_3) | instid1(VALU_DEP_1)
	v_add_co_ci_u32_e64 v26, null, s49, v26, vcc_lo
	global_load_u8 v25, v[25:26], off
	s_wait_loadcnt 0x0
	v_and_b32_e32 v26, v25, v24
	v_and_b32_e32 v26, 0xff, v26
	s_delay_alu instid0(VALU_DEP_1)
	v_cmp_eq_u32_e32 vcc_lo, v26, v10
	s_and_b32 exec_lo, exec_lo, vcc_lo
	s_cbranch_execz .LBB1_116
; %bb.120:                              ;   in Loop: Header=BB1_118 Depth=2
	v_lshlrev_b16 v25, 8, v25
	s_delay_alu instid0(VALU_DEP_1)
	v_or_b32_e32 v25, 1, v25
	ds_store_b16 v14, v25 offset:3072
	s_branch .LBB1_116
.LBB1_121:                              ;   in Loop: Header=BB1_118 Depth=2
	v_add_nc_u32_e32 v4, s41, v4
	v_add_nc_u32_e32 v3, s66, v3
	s_mov_b32 s27, 0
	s_delay_alu instid0(VALU_DEP_2)
	v_cmp_le_i32_e32 vcc_lo, s74, v4
	s_or_not1_b32 s26, vcc_lo, exec_lo
	s_branch .LBB1_117
.LBB1_122:                              ;   in Loop: Header=BB1_7 Depth=1
	s_or_b32 exec_lo, exec_lo, s22
	v_and_b32_e32 v3, 0xffff, v25
	s_wait_alu 0xfffe
	s_and_b32 s22, s25, exec_lo
	s_delay_alu instid0(VALU_DEP_1)
	v_lshrrev_b32_e32 v25, 8, v3
.LBB1_123:                              ;   in Loop: Header=BB1_7 Depth=1
	s_wait_alu 0xfffe
	s_or_b32 exec_lo, exec_lo, s24
.LBB1_124:                              ;   in Loop: Header=BB1_7 Depth=1
	s_wait_alu 0xfffe
	s_and_b32 vcc_lo, exec_lo, s23
	s_wait_alu 0xfffe
	s_cbranch_vccz .LBB1_135
; %bb.125:                              ;   in Loop: Header=BB1_7 Depth=1
	s_add_co_i32 s23, s21, s64
                                        ; implicit-def: $vgpr25
	s_wait_alu 0xfffe
	s_abs_i32 s50, s23
	s_wait_alu 0xfffe
	s_mul_u64 s[14:15], s[50:51], s[54:55]
	s_wait_alu 0xfffe
	s_mul_i32 s14, s15, s41
	s_ashr_i32 s15, s23, 31
	s_wait_alu 0xfffe
	s_sub_co_i32 s14, s50, s14
	s_wait_alu 0xfffe
	s_sub_co_i32 s24, s14, s41
	s_cmp_ge_u32 s14, s41
	s_wait_alu 0xfffe
	s_cselect_b32 s14, s24, s14
	s_wait_alu 0xfffe
	s_sub_co_i32 s24, s14, s41
	s_cmp_ge_u32 s14, s41
	s_wait_alu 0xfffe
	s_cselect_b32 s14, s24, s14
	s_wait_alu 0xfffe
	s_xor_b32 s14, s14, s15
	s_wait_alu 0xfffe
	s_sub_co_i32 s14, s15, s14
	s_wait_alu 0xfffe
	s_add_co_i32 s15, s23, s14
	s_mov_b32 s14, exec_lo
	s_wait_alu 0xfffe
	v_cmpx_gt_i32_e64 s15, v0
	s_cbranch_execz .LBB1_134
; %bb.126:                              ;   in Loop: Header=BB1_7 Depth=1
	v_mov_b32_e32 v3, v0
	s_mov_b32 s23, 0
                                        ; implicit-def: $sgpr24
	s_branch .LBB1_129
.LBB1_127:                              ;   in Loop: Header=BB1_129 Depth=2
	s_wait_alu 0xfffe
	s_or_b32 exec_lo, exec_lo, s25
	s_wait_loadcnt_dscnt 0x0
	s_barrier_signal -1
	s_barrier_wait -1
	global_inv scope:SCOPE_SE
	ds_load_u16 v4, v14 offset:3072
	s_mov_b32 s26, -1
	s_mov_b32 s25, -1
	s_wait_loadcnt_dscnt 0x0
	s_barrier_signal -1
	s_barrier_wait -1
	global_inv scope:SCOPE_SE
	v_and_b32_e32 v25, 0xff, v4
	s_delay_alu instid0(VALU_DEP_1)
	v_cmp_eq_u32_e32 vcc_lo, 0, v25
	s_cbranch_vccnz .LBB1_132
.LBB1_128:                              ;   in Loop: Header=BB1_129 Depth=2
	s_wait_alu 0xfffe
	s_and_b32 s26, exec_lo, s26
	s_wait_alu 0xfffe
	s_or_b32 s23, s26, s23
	s_and_not1_b32 s24, s24, exec_lo
	s_and_b32 s25, s25, exec_lo
	s_wait_alu 0xfffe
	s_or_b32 s24, s24, s25
	s_and_not1_b32 exec_lo, exec_lo, s23
	s_cbranch_execz .LBB1_133
.LBB1_129:                              ;   Parent Loop BB1_7 Depth=1
                                        ; =>  This Inner Loop Header: Depth=2
	s_mov_b32 s25, exec_lo
	s_delay_alu instid0(VALU_DEP_1)
	v_cmpx_gt_i32_e64 s21, v3
	s_cbranch_execz .LBB1_127
; %bb.130:                              ;   in Loop: Header=BB1_129 Depth=2
	ds_load_u8 v4, v3
	s_wait_dscnt 0x0
	v_and_b32_e32 v25, v4, v24
	s_delay_alu instid0(VALU_DEP_1) | instskip(NEXT) | instid1(VALU_DEP_1)
	v_and_b32_e32 v25, 0xff, v25
	v_cmp_eq_u32_e32 vcc_lo, v25, v10
	s_and_b32 exec_lo, exec_lo, vcc_lo
	s_cbranch_execz .LBB1_127
; %bb.131:                              ;   in Loop: Header=BB1_129 Depth=2
	v_lshlrev_b16 v4, 8, v4
	s_delay_alu instid0(VALU_DEP_1)
	v_or_b32_e32 v4, 1, v4
	ds_store_b16 v14, v4 offset:3072
	s_branch .LBB1_127
.LBB1_132:                              ;   in Loop: Header=BB1_129 Depth=2
	v_add_nc_u32_e32 v3, s41, v3
	s_mov_b32 s25, 0
	s_delay_alu instid0(VALU_DEP_1)
	v_cmp_le_i32_e32 vcc_lo, s15, v3
	s_or_not1_b32 s26, vcc_lo, exec_lo
	s_branch .LBB1_128
.LBB1_133:                              ;   in Loop: Header=BB1_7 Depth=1
	s_or_b32 exec_lo, exec_lo, s23
	v_and_b32_e32 v3, 0xffff, v4
	s_and_not1_b32 s15, s22, exec_lo
	s_wait_alu 0xfffe
	s_and_b32 s21, s24, exec_lo
	s_wait_alu 0xfffe
	s_or_b32 s22, s15, s21
	v_lshrrev_b32_e32 v25, 8, v3
.LBB1_134:                              ;   in Loop: Header=BB1_7 Depth=1
	s_or_b32 exec_lo, exec_lo, s14
	s_mov_b32 s14, 0
	s_mov_b32 s15, -1
.LBB1_135:                              ;   in Loop: Header=BB1_7 Depth=1
	s_wait_alu 0xfffe
	s_or_not1_b32 s21, s22, exec_lo
.LBB1_136:                              ;   in Loop: Header=BB1_7 Depth=1
	s_wait_alu 0xfffe
	s_or_b32 exec_lo, exec_lo, s18
	s_mov_b32 s22, 0
	s_and_saveexec_b32 s18, s21
	s_cbranch_execz .LBB1_225
; %bb.137:                              ;   in Loop: Header=BB1_7 Depth=1
	v_mov_b32_e32 v3, 1
	v_mov_b32_e32 v1, 1
	s_xor_b32 s21, s20, -1
	s_mov_b32 s23, 0
	s_wait_alu 0xfffe
	s_and_saveexec_b32 s20, s21
	s_cbranch_execz .LBB1_146
; %bb.138:                              ;   in Loop: Header=BB1_7 Depth=1
	s_mov_b32 s21, exec_lo
	v_cmpx_ge_i32_e64 s19, v2
	s_wait_alu 0xfffe
	s_xor_b32 s21, exec_lo, s21
	s_cbranch_execz .LBB1_143
; %bb.139:                              ;   in Loop: Header=BB1_7 Depth=1
	ds_load_b32 v1, v14 offset:4096
	s_lshl_b32 s22, 1, s82
	v_or_b32_e32 v24, s10, v24
	s_wait_alu 0xfffe
	v_and_or_b32 v10, v10, s17, s22
	s_wait_dscnt 0x0
	v_cmp_ne_u32_e32 vcc_lo, 0, v1
	s_cbranch_vccnz .LBB1_143
; %bb.140:                              ;   in Loop: Header=BB1_7 Depth=1
	s_and_saveexec_b32 s22, s2
; %bb.141:                              ;   in Loop: Header=BB1_7 Depth=1
	v_mov_b32_e32 v1, s19
	ds_store_b32 v14, v1 offset:4100
; %bb.142:                              ;   in Loop: Header=BB1_7 Depth=1
	s_wait_alu 0xfffe
	s_or_b32 exec_lo, exec_lo, s22
	s_wait_loadcnt_dscnt 0x0
	s_barrier_signal -1
	s_barrier_wait -1
	global_inv scope:SCOPE_SE
.LBB1_143:                              ;   in Loop: Header=BB1_7 Depth=1
	s_wait_alu 0xfffe
	s_or_saveexec_b32 s21, s21
	v_mov_b32_e32 v1, 8
	s_mov_b32 s22, 0
	s_wait_alu 0xfffe
	s_xor_b32 exec_lo, exec_lo, s21
; %bb.144:                              ;   in Loop: Header=BB1_7 Depth=1
	v_subrev_nc_u32_e32 v2, s19, v2
	v_mov_b32_e32 v1, 0
	s_mov_b32 s22, exec_lo
; %bb.145:                              ;   in Loop: Header=BB1_7 Depth=1
	s_or_b32 exec_lo, exec_lo, s21
	s_delay_alu instid0(VALU_DEP_2)
	v_mov_b32_e32 v3, v2
	s_wait_alu 0xfffe
	s_and_b32 s23, s22, exec_lo
.LBB1_146:                              ;   in Loop: Header=BB1_7 Depth=1
	s_wait_alu 0xfffe
	s_or_b32 exec_lo, exec_lo, s20
	s_mov_b32 s22, -1
                                        ; implicit-def: $sgpr20
                                        ; implicit-def: $sgpr21
	s_and_saveexec_b32 s19, s23
	s_cbranch_execz .LBB1_224
; %bb.147:                              ;   in Loop: Header=BB1_7 Depth=1
	v_cmp_eq_u32_e32 vcc_lo, 1, v3
	s_cmp_eq_u32 s16, 1
	s_mov_b32 s24, -1
	s_cselect_b32 s20, -1, 0
                                        ; implicit-def: $sgpr21
	s_wait_alu 0xfffe
	s_and_b32 s23, s20, vcc_lo
                                        ; implicit-def: $sgpr20
	s_wait_alu 0xfffe
	s_and_saveexec_b32 s22, s23
	s_cbranch_execz .LBB1_173
; %bb.148:                              ;   in Loop: Header=BB1_7 Depth=1
	ds_load_b32 v2, v14 offset:4096
	s_wait_loadcnt_dscnt 0x0
	s_barrier_signal -1
	s_barrier_wait -1
	global_inv scope:SCOPE_SE
	v_readfirstlane_b32 s24, v2
	s_and_saveexec_b32 s20, s1
; %bb.149:                              ;   in Loop: Header=BB1_7 Depth=1
	ds_store_b8 v0, v14 offset:3072
; %bb.150:                              ;   in Loop: Header=BB1_7 Depth=1
	s_wait_alu 0xfffe
	s_or_b32 exec_lo, exec_lo, s20
	s_lshl_b32 s20, 2, s82
	v_or_b32_e32 v24, s10, v24
	s_wait_alu 0xfffe
	v_and_or_b32 v10, v10, s17, s20
	s_mov_b32 s20, -1
	s_mov_b32 s21, 0
	s_cmp_gt_i32 s24, 0
	s_mov_b32 s25, 0
	s_mov_b32 s26, -1
	s_wait_loadcnt_dscnt 0x0
	s_barrier_signal -1
	s_barrier_wait -1
	global_inv scope:SCOPE_SE
                                        ; implicit-def: $vgpr25
	s_cbranch_scc1 .LBB1_161
; %bb.151:                              ;   in Loop: Header=BB1_7 Depth=1
	s_mov_b32 s26, 0
                                        ; implicit-def: $vgpr25
	s_and_saveexec_b32 s27, s8
	s_cbranch_execz .LBB1_160
; %bb.152:                              ;   in Loop: Header=BB1_7 Depth=1
	v_mov_b32_e32 v2, v11
	v_mov_b32_e32 v4, v0
                                        ; implicit-def: $sgpr28
	s_branch .LBB1_155
.LBB1_153:                              ;   in Loop: Header=BB1_155 Depth=2
	s_wait_alu 0xfffe
	s_or_b32 exec_lo, exec_lo, s50
	s_wait_loadcnt_dscnt 0x0
	s_barrier_signal -1
	s_barrier_wait -1
	global_inv scope:SCOPE_SE
	ds_load_u16 v25, v14 offset:3072
	s_mov_b32 s50, -1
	s_mov_b32 s83, -1
	s_wait_loadcnt_dscnt 0x0
	s_barrier_signal -1
	s_barrier_wait -1
	global_inv scope:SCOPE_SE
	v_and_b32_e32 v26, 0xff, v25
	s_delay_alu instid0(VALU_DEP_1)
	v_cmp_ne_u32_e32 vcc_lo, 0, v26
	s_cbranch_vccz .LBB1_158
.LBB1_154:                              ;   in Loop: Header=BB1_155 Depth=2
	s_wait_alu 0xfffe
	s_and_b32 s50, exec_lo, s50
	s_wait_alu 0xfffe
	s_or_b32 s25, s50, s25
	s_and_not1_b32 s28, s28, exec_lo
	s_and_b32 s50, s83, exec_lo
	s_wait_alu 0xfffe
	s_or_b32 s28, s28, s50
	s_and_not1_b32 exec_lo, exec_lo, s25
	s_cbranch_execz .LBB1_159
.LBB1_155:                              ;   Parent Loop BB1_7 Depth=1
                                        ; =>  This Inner Loop Header: Depth=2
	s_mov_b32 s50, exec_lo
	s_delay_alu instid0(VALU_DEP_1)
	v_cmpx_gt_i32_e64 s36, v4
	s_cbranch_execz .LBB1_153
; %bb.156:                              ;   in Loop: Header=BB1_155 Depth=2
	v_ashrrev_i32_e32 v26, 31, v2
	v_add_co_u32 v25, vcc_lo, s48, v2
	s_wait_alu 0xfffd
	s_delay_alu instid0(VALU_DEP_2) | instskip(SKIP_3) | instid1(VALU_DEP_1)
	v_add_co_ci_u32_e64 v26, null, s49, v26, vcc_lo
	global_load_u8 v25, v[25:26], off
	s_wait_loadcnt 0x0
	v_and_b32_e32 v26, v25, v24
	v_and_b32_e32 v26, 0xff, v26
	s_delay_alu instid0(VALU_DEP_1)
	v_cmp_eq_u32_e32 vcc_lo, v26, v10
	s_and_b32 exec_lo, exec_lo, vcc_lo
	s_cbranch_execz .LBB1_153
; %bb.157:                              ;   in Loop: Header=BB1_155 Depth=2
	v_lshlrev_b16 v25, 8, v25
	s_delay_alu instid0(VALU_DEP_1)
	v_or_b32_e32 v25, 1, v25
	ds_store_b16 v14, v25 offset:3072
	s_branch .LBB1_153
.LBB1_158:                              ;   in Loop: Header=BB1_155 Depth=2
	v_add_nc_u32_e32 v4, s41, v4
	v_add_nc_u32_e32 v2, s66, v2
	s_mov_b32 s83, 0
	s_delay_alu instid0(VALU_DEP_2)
	v_cmp_le_i32_e32 vcc_lo, s74, v4
	s_or_not1_b32 s50, vcc_lo, exec_lo
	s_branch .LBB1_154
.LBB1_159:                              ;   in Loop: Header=BB1_7 Depth=1
	s_or_b32 exec_lo, exec_lo, s25
	v_and_b32_e32 v2, 0xffff, v25
	s_and_b32 s25, s28, exec_lo
	s_delay_alu instid0(VALU_DEP_1)
	v_lshrrev_b32_e32 v25, 8, v2
.LBB1_160:                              ;   in Loop: Header=BB1_7 Depth=1
	s_wait_alu 0xfffe
	s_or_b32 exec_lo, exec_lo, s27
.LBB1_161:                              ;   in Loop: Header=BB1_7 Depth=1
	s_wait_alu 0xfffe
	s_and_b32 vcc_lo, exec_lo, s26
	s_wait_alu 0xfffe
	s_cbranch_vccz .LBB1_172
; %bb.162:                              ;   in Loop: Header=BB1_7 Depth=1
	s_add_co_i32 s26, s24, s64
                                        ; implicit-def: $vgpr25
	s_wait_alu 0xfffe
	s_abs_i32 s50, s26
	s_wait_alu 0xfffe
	s_mul_u64 s[20:21], s[50:51], s[54:55]
	s_wait_alu 0xfffe
	s_mul_i32 s20, s21, s41
	s_ashr_i32 s21, s26, 31
	s_wait_alu 0xfffe
	s_sub_co_i32 s20, s50, s20
	s_wait_alu 0xfffe
	s_sub_co_i32 s27, s20, s41
	s_cmp_ge_u32 s20, s41
	s_wait_alu 0xfffe
	s_cselect_b32 s20, s27, s20
	s_wait_alu 0xfffe
	s_sub_co_i32 s27, s20, s41
	s_cmp_ge_u32 s20, s41
	s_wait_alu 0xfffe
	s_cselect_b32 s20, s27, s20
	s_wait_alu 0xfffe
	s_xor_b32 s20, s20, s21
	s_wait_alu 0xfffe
	s_sub_co_i32 s20, s21, s20
	s_wait_alu 0xfffe
	s_add_co_i32 s21, s26, s20
	s_mov_b32 s20, exec_lo
	s_wait_alu 0xfffe
	v_cmpx_gt_i32_e64 s21, v0
	s_cbranch_execz .LBB1_171
; %bb.163:                              ;   in Loop: Header=BB1_7 Depth=1
	v_mov_b32_e32 v2, v0
	s_mov_b32 s26, 0
                                        ; implicit-def: $sgpr27
	s_branch .LBB1_166
.LBB1_164:                              ;   in Loop: Header=BB1_166 Depth=2
	s_or_b32 exec_lo, exec_lo, s28
	s_wait_loadcnt_dscnt 0x0
	s_barrier_signal -1
	s_barrier_wait -1
	global_inv scope:SCOPE_SE
	ds_load_u16 v4, v14 offset:3072
	s_mov_b32 s50, -1
	s_mov_b32 s28, -1
	s_wait_loadcnt_dscnt 0x0
	s_barrier_signal -1
	s_barrier_wait -1
	global_inv scope:SCOPE_SE
	v_and_b32_e32 v25, 0xff, v4
	s_delay_alu instid0(VALU_DEP_1)
	v_cmp_eq_u32_e32 vcc_lo, 0, v25
	s_cbranch_vccnz .LBB1_169
.LBB1_165:                              ;   in Loop: Header=BB1_166 Depth=2
	s_wait_alu 0xfffe
	s_and_b32 s50, exec_lo, s50
	s_wait_alu 0xfffe
	s_or_b32 s26, s50, s26
	s_and_not1_b32 s27, s27, exec_lo
	s_and_b32 s28, s28, exec_lo
	s_wait_alu 0xfffe
	s_or_b32 s27, s27, s28
	s_and_not1_b32 exec_lo, exec_lo, s26
	s_cbranch_execz .LBB1_170
.LBB1_166:                              ;   Parent Loop BB1_7 Depth=1
                                        ; =>  This Inner Loop Header: Depth=2
	s_mov_b32 s28, exec_lo
	s_delay_alu instid0(VALU_DEP_1)
	v_cmpx_gt_i32_e64 s24, v2
	s_cbranch_execz .LBB1_164
; %bb.167:                              ;   in Loop: Header=BB1_166 Depth=2
	ds_load_u8 v4, v2
	s_wait_dscnt 0x0
	v_and_b32_e32 v25, v4, v24
	s_delay_alu instid0(VALU_DEP_1) | instskip(NEXT) | instid1(VALU_DEP_1)
	v_and_b32_e32 v25, 0xff, v25
	v_cmp_eq_u32_e32 vcc_lo, v25, v10
	s_and_b32 exec_lo, exec_lo, vcc_lo
	s_cbranch_execz .LBB1_164
; %bb.168:                              ;   in Loop: Header=BB1_166 Depth=2
	v_lshlrev_b16 v4, 8, v4
	s_delay_alu instid0(VALU_DEP_1)
	v_or_b32_e32 v4, 1, v4
	ds_store_b16 v14, v4 offset:3072
	s_branch .LBB1_164
.LBB1_169:                              ;   in Loop: Header=BB1_166 Depth=2
	v_add_nc_u32_e32 v2, s41, v2
	s_mov_b32 s28, 0
	s_delay_alu instid0(VALU_DEP_1)
	v_cmp_le_i32_e32 vcc_lo, s21, v2
	s_or_not1_b32 s50, vcc_lo, exec_lo
	s_branch .LBB1_165
.LBB1_170:                              ;   in Loop: Header=BB1_7 Depth=1
	s_or_b32 exec_lo, exec_lo, s26
	v_and_b32_e32 v2, 0xffff, v4
	s_and_not1_b32 s21, s25, exec_lo
	s_wait_alu 0xfffe
	s_and_b32 s24, s27, exec_lo
	s_wait_alu 0xfffe
	s_or_b32 s25, s21, s24
	v_lshrrev_b32_e32 v25, 8, v2
.LBB1_171:                              ;   in Loop: Header=BB1_7 Depth=1
	s_or_b32 exec_lo, exec_lo, s20
	s_mov_b32 s20, 0
	s_mov_b32 s21, -1
.LBB1_172:                              ;   in Loop: Header=BB1_7 Depth=1
	s_wait_alu 0xfffe
	s_or_not1_b32 s24, s25, exec_lo
.LBB1_173:                              ;   in Loop: Header=BB1_7 Depth=1
	s_wait_alu 0xfffe
	s_or_b32 exec_lo, exec_lo, s22
	s_mov_b32 s25, 0
	s_and_saveexec_b32 s22, s24
	s_cbranch_execz .LBB1_223
; %bb.174:                              ;   in Loop: Header=BB1_7 Depth=1
	v_dual_mov_b32 v2, 1 :: v_dual_mov_b32 v1, 1
	s_xor_b32 s24, s23, -1
	s_wait_alu 0xfffe
	s_and_saveexec_b32 s23, s24
	s_cbranch_execz .LBB1_183
; %bb.175:                              ;   in Loop: Header=BB1_7 Depth=1
	s_mov_b32 s24, exec_lo
	v_cmpx_ge_i32_e64 s16, v3
	s_wait_alu 0xfffe
	s_xor_b32 s24, exec_lo, s24
	s_cbranch_execz .LBB1_180
; %bb.176:                              ;   in Loop: Header=BB1_7 Depth=1
	ds_load_b32 v1, v14 offset:4096
	s_lshl_b32 s25, 2, s82
	v_or_b32_e32 v24, s10, v24
	s_wait_alu 0xfffe
	v_and_or_b32 v10, v10, s17, s25
	s_wait_dscnt 0x0
	v_cmp_ne_u32_e32 vcc_lo, 0, v1
	s_cbranch_vccnz .LBB1_180
; %bb.177:                              ;   in Loop: Header=BB1_7 Depth=1
	s_and_saveexec_b32 s17, s2
; %bb.178:                              ;   in Loop: Header=BB1_7 Depth=1
	v_mov_b32_e32 v1, s16
	ds_store_b32 v14, v1 offset:4100
; %bb.179:                              ;   in Loop: Header=BB1_7 Depth=1
	s_wait_alu 0xfffe
	s_or_b32 exec_lo, exec_lo, s17
	s_wait_loadcnt_dscnt 0x0
	s_barrier_signal -1
	s_barrier_wait -1
	global_inv scope:SCOPE_SE
.LBB1_180:                              ;   in Loop: Header=BB1_7 Depth=1
	s_wait_alu 0xfffe
	s_or_saveexec_b32 s17, s24
	v_mov_b32_e32 v1, 8
	s_mov_b32 s24, 0
	s_wait_alu 0xfffe
	s_xor_b32 exec_lo, exec_lo, s17
; %bb.181:                              ;   in Loop: Header=BB1_7 Depth=1
	v_subrev_nc_u32_e32 v3, s16, v3
	v_mov_b32_e32 v1, 0
	s_mov_b32 s24, exec_lo
; %bb.182:                              ;   in Loop: Header=BB1_7 Depth=1
	s_or_b32 exec_lo, exec_lo, s17
	s_delay_alu instid0(VALU_DEP_2)
	v_mov_b32_e32 v2, v3
	s_wait_alu 0xfffe
	s_and_b32 s25, s24, exec_lo
.LBB1_183:                              ;   in Loop: Header=BB1_7 Depth=1
	s_wait_alu 0xfffe
	s_or_b32 exec_lo, exec_lo, s23
	s_mov_b32 s17, -1
                                        ; implicit-def: $sgpr24
                                        ; implicit-def: $sgpr23
	s_and_saveexec_b32 s16, s25
	s_cbranch_execz .LBB1_222
; %bb.184:                              ;   in Loop: Header=BB1_7 Depth=1
	v_cmp_eq_u32_e32 vcc_lo, 1, v2
	s_cmp_eq_u32 s9, 1
	s_mov_b32 s26, -1
	s_cselect_b32 s17, -1, 0
                                        ; implicit-def: $sgpr24
                                        ; implicit-def: $sgpr23
	s_wait_alu 0xfffe
	s_and_b32 s17, s17, vcc_lo
	s_wait_alu 0xfffe
	s_and_saveexec_b32 s25, s17
	s_cbranch_execz .LBB1_210
; %bb.185:                              ;   in Loop: Header=BB1_7 Depth=1
	ds_load_b32 v3, v14 offset:4096
	s_wait_loadcnt_dscnt 0x0
	s_barrier_signal -1
	s_barrier_wait -1
	global_inv scope:SCOPE_SE
	v_readfirstlane_b32 s26, v3
	s_and_saveexec_b32 s23, s1
; %bb.186:                              ;   in Loop: Header=BB1_7 Depth=1
	ds_store_b8 v0, v14 offset:3072
; %bb.187:                              ;   in Loop: Header=BB1_7 Depth=1
	s_wait_alu 0xfffe
	s_or_b32 exec_lo, exec_lo, s23
	v_or_b32_e32 v10, s10, v10
	v_or_b32_e32 v24, s10, v24
	s_mov_b32 s23, -1
	s_mov_b32 s24, 0
	s_cmp_gt_i32 s26, 0
	s_mov_b32 s27, 0
	s_mov_b32 s28, -1
	s_wait_loadcnt_dscnt 0x0
	s_barrier_signal -1
	s_barrier_wait -1
	global_inv scope:SCOPE_SE
                                        ; implicit-def: $vgpr25
	s_cbranch_scc1 .LBB1_198
; %bb.188:                              ;   in Loop: Header=BB1_7 Depth=1
	s_mov_b32 s28, 0
                                        ; implicit-def: $vgpr25
	s_and_saveexec_b32 s50, s8
	s_cbranch_execz .LBB1_197
; %bb.189:                              ;   in Loop: Header=BB1_7 Depth=1
	v_dual_mov_b32 v3, v11 :: v_dual_mov_b32 v4, v0
                                        ; implicit-def: $sgpr83
	s_branch .LBB1_192
.LBB1_190:                              ;   in Loop: Header=BB1_192 Depth=2
	s_wait_alu 0xfffe
	s_or_b32 exec_lo, exec_lo, s84
	s_wait_loadcnt_dscnt 0x0
	s_barrier_signal -1
	s_barrier_wait -1
	global_inv scope:SCOPE_SE
	ds_load_u16 v25, v14 offset:3072
	s_mov_b32 s84, -1
	s_mov_b32 s85, -1
	s_wait_loadcnt_dscnt 0x0
	s_barrier_signal -1
	s_barrier_wait -1
	global_inv scope:SCOPE_SE
	v_and_b32_e32 v26, 0xff, v25
	s_delay_alu instid0(VALU_DEP_1)
	v_cmp_ne_u32_e32 vcc_lo, 0, v26
	s_cbranch_vccz .LBB1_195
.LBB1_191:                              ;   in Loop: Header=BB1_192 Depth=2
	s_wait_alu 0xfffe
	s_and_b32 s84, exec_lo, s84
	s_wait_alu 0xfffe
	s_or_b32 s27, s84, s27
	s_and_not1_b32 s83, s83, exec_lo
	s_and_b32 s84, s85, exec_lo
	s_wait_alu 0xfffe
	s_or_b32 s83, s83, s84
	s_and_not1_b32 exec_lo, exec_lo, s27
	s_cbranch_execz .LBB1_196
.LBB1_192:                              ;   Parent Loop BB1_7 Depth=1
                                        ; =>  This Inner Loop Header: Depth=2
	s_mov_b32 s84, exec_lo
	s_delay_alu instid0(VALU_DEP_1)
	v_cmpx_gt_i32_e64 s36, v4
	s_cbranch_execz .LBB1_190
; %bb.193:                              ;   in Loop: Header=BB1_192 Depth=2
	v_ashrrev_i32_e32 v26, 31, v3
	v_add_co_u32 v25, vcc_lo, s48, v3
	s_wait_alu 0xfffd
	s_delay_alu instid0(VALU_DEP_2) | instskip(SKIP_3) | instid1(VALU_DEP_1)
	v_add_co_ci_u32_e64 v26, null, s49, v26, vcc_lo
	global_load_u8 v25, v[25:26], off
	s_wait_loadcnt 0x0
	v_and_b32_e32 v26, v25, v24
	v_and_b32_e32 v26, 0xff, v26
	s_delay_alu instid0(VALU_DEP_1)
	v_cmp_eq_u32_e32 vcc_lo, v26, v10
	s_and_b32 exec_lo, exec_lo, vcc_lo
	s_cbranch_execz .LBB1_190
; %bb.194:                              ;   in Loop: Header=BB1_192 Depth=2
	v_lshlrev_b16 v25, 8, v25
	s_delay_alu instid0(VALU_DEP_1)
	v_or_b32_e32 v25, 1, v25
	ds_store_b16 v14, v25 offset:3072
	s_branch .LBB1_190
.LBB1_195:                              ;   in Loop: Header=BB1_192 Depth=2
	v_add_nc_u32_e32 v4, s41, v4
	v_add_nc_u32_e32 v3, s66, v3
	s_mov_b32 s85, 0
	s_delay_alu instid0(VALU_DEP_2)
	v_cmp_le_i32_e32 vcc_lo, s74, v4
	s_or_not1_b32 s84, vcc_lo, exec_lo
	s_branch .LBB1_191
.LBB1_196:                              ;   in Loop: Header=BB1_7 Depth=1
	s_or_b32 exec_lo, exec_lo, s27
	v_and_b32_e32 v3, 0xffff, v25
	s_wait_alu 0xfffe
	s_and_b32 s27, s83, exec_lo
	s_delay_alu instid0(VALU_DEP_1)
	v_lshrrev_b32_e32 v25, 8, v3
.LBB1_197:                              ;   in Loop: Header=BB1_7 Depth=1
	s_wait_alu 0xfffe
	s_or_b32 exec_lo, exec_lo, s50
.LBB1_198:                              ;   in Loop: Header=BB1_7 Depth=1
	s_delay_alu instid0(SALU_CYCLE_1)
	s_and_b32 vcc_lo, exec_lo, s28
	s_wait_alu 0xfffe
	s_cbranch_vccz .LBB1_209
; %bb.199:                              ;   in Loop: Header=BB1_7 Depth=1
	s_add_co_i32 s24, s26, s64
                                        ; implicit-def: $vgpr25
	s_wait_alu 0xfffe
	s_abs_i32 s50, s24
	s_ashr_i32 s28, s24, 31
	s_wait_alu 0xfffe
	s_mul_u64 s[84:85], s[50:51], s[54:55]
	s_wait_alu 0xfffe
	s_mul_i32 s23, s85, s41
	s_wait_alu 0xfffe
	s_sub_co_i32 s23, s50, s23
	s_wait_alu 0xfffe
	s_sub_co_i32 s50, s23, s41
	s_cmp_ge_u32 s23, s41
	s_wait_alu 0xfffe
	s_cselect_b32 s23, s50, s23
	s_wait_alu 0xfffe
	s_sub_co_i32 s50, s23, s41
	s_cmp_ge_u32 s23, s41
	s_wait_alu 0xfffe
	s_cselect_b32 s23, s50, s23
	s_wait_alu 0xfffe
	s_xor_b32 s23, s23, s28
	s_wait_alu 0xfffe
	s_sub_co_i32 s23, s28, s23
	s_wait_alu 0xfffe
	s_add_co_i32 s24, s24, s23
	s_mov_b32 s23, exec_lo
	s_wait_alu 0xfffe
	v_cmpx_gt_i32_e64 s24, v0
	s_cbranch_execz .LBB1_208
; %bb.200:                              ;   in Loop: Header=BB1_7 Depth=1
	v_mov_b32_e32 v3, v0
	s_mov_b32 s28, 0
                                        ; implicit-def: $sgpr50
	s_branch .LBB1_203
.LBB1_201:                              ;   in Loop: Header=BB1_203 Depth=2
	s_wait_alu 0xfffe
	s_or_b32 exec_lo, exec_lo, s83
	s_wait_loadcnt_dscnt 0x0
	s_barrier_signal -1
	s_barrier_wait -1
	global_inv scope:SCOPE_SE
	ds_load_u16 v4, v14 offset:3072
	s_mov_b32 s84, -1
	s_mov_b32 s83, -1
	s_wait_loadcnt_dscnt 0x0
	s_barrier_signal -1
	s_barrier_wait -1
	global_inv scope:SCOPE_SE
	v_and_b32_e32 v25, 0xff, v4
	s_delay_alu instid0(VALU_DEP_1)
	v_cmp_eq_u32_e32 vcc_lo, 0, v25
	s_cbranch_vccnz .LBB1_206
.LBB1_202:                              ;   in Loop: Header=BB1_203 Depth=2
	s_wait_alu 0xfffe
	s_and_b32 s84, exec_lo, s84
	s_wait_alu 0xfffe
	s_or_b32 s28, s84, s28
	s_and_not1_b32 s50, s50, exec_lo
	s_and_b32 s83, s83, exec_lo
	s_wait_alu 0xfffe
	s_or_b32 s50, s50, s83
	s_and_not1_b32 exec_lo, exec_lo, s28
	s_cbranch_execz .LBB1_207
.LBB1_203:                              ;   Parent Loop BB1_7 Depth=1
                                        ; =>  This Inner Loop Header: Depth=2
	s_mov_b32 s83, exec_lo
	s_delay_alu instid0(VALU_DEP_1)
	v_cmpx_gt_i32_e64 s26, v3
	s_cbranch_execz .LBB1_201
; %bb.204:                              ;   in Loop: Header=BB1_203 Depth=2
	ds_load_u8 v4, v3
	s_wait_dscnt 0x0
	v_and_b32_e32 v25, v4, v24
	s_delay_alu instid0(VALU_DEP_1) | instskip(NEXT) | instid1(VALU_DEP_1)
	v_and_b32_e32 v25, 0xff, v25
	v_cmp_eq_u32_e32 vcc_lo, v25, v10
	s_and_b32 exec_lo, exec_lo, vcc_lo
	s_cbranch_execz .LBB1_201
; %bb.205:                              ;   in Loop: Header=BB1_203 Depth=2
	v_lshlrev_b16 v4, 8, v4
	s_delay_alu instid0(VALU_DEP_1)
	v_or_b32_e32 v4, 1, v4
	ds_store_b16 v14, v4 offset:3072
	s_branch .LBB1_201
.LBB1_206:                              ;   in Loop: Header=BB1_203 Depth=2
	v_add_nc_u32_e32 v3, s41, v3
	s_mov_b32 s83, 0
	s_delay_alu instid0(VALU_DEP_1)
	v_cmp_le_i32_e32 vcc_lo, s24, v3
	s_or_not1_b32 s84, vcc_lo, exec_lo
	s_branch .LBB1_202
.LBB1_207:                              ;   in Loop: Header=BB1_7 Depth=1
	s_or_b32 exec_lo, exec_lo, s28
	v_and_b32_e32 v3, 0xffff, v4
	s_and_not1_b32 s24, s27, exec_lo
	s_wait_alu 0xfffe
	s_and_b32 s26, s50, exec_lo
	s_wait_alu 0xfffe
	s_or_b32 s27, s24, s26
	v_lshrrev_b32_e32 v25, 8, v3
.LBB1_208:                              ;   in Loop: Header=BB1_7 Depth=1
	s_or_b32 exec_lo, exec_lo, s23
	s_mov_b32 s23, 0
	s_mov_b32 s24, -1
.LBB1_209:                              ;   in Loop: Header=BB1_7 Depth=1
	s_wait_alu 0xfffe
	s_or_not1_b32 s26, s27, exec_lo
.LBB1_210:                              ;   in Loop: Header=BB1_7 Depth=1
	s_wait_alu 0xfffe
	s_or_b32 exec_lo, exec_lo, s25
	s_mov_b32 s27, 0
	s_and_saveexec_b32 s25, s26
	s_cbranch_execz .LBB1_221
; %bb.211:                              ;   in Loop: Header=BB1_7 Depth=1
	v_mov_b32_e32 v1, 1
	v_mov_b32_e32 v3, 1
	s_xor_b32 s26, s17, -1
	s_wait_alu 0xfffe
	s_and_saveexec_b32 s17, s26
	s_cbranch_execz .LBB1_220
; %bb.212:                              ;   in Loop: Header=BB1_7 Depth=1
	s_mov_b32 s26, exec_lo
	v_cmpx_ge_i32_e64 s9, v2
	s_wait_alu 0xfffe
	s_xor_b32 s26, exec_lo, s26
	s_cbranch_execz .LBB1_217
; %bb.213:                              ;   in Loop: Header=BB1_7 Depth=1
	ds_load_b32 v1, v14 offset:4096
	v_or_b32_e32 v10, s10, v10
	v_or_b32_e32 v24, s10, v24
	s_wait_dscnt 0x0
	v_cmp_ne_u32_e32 vcc_lo, 0, v1
	s_cbranch_vccnz .LBB1_217
; %bb.214:                              ;   in Loop: Header=BB1_7 Depth=1
	s_and_saveexec_b32 s10, s2
; %bb.215:                              ;   in Loop: Header=BB1_7 Depth=1
	v_mov_b32_e32 v1, s9
	ds_store_b32 v14, v1 offset:4100
; %bb.216:                              ;   in Loop: Header=BB1_7 Depth=1
	s_wait_alu 0xfffe
	s_or_b32 exec_lo, exec_lo, s10
	s_wait_loadcnt_dscnt 0x0
	s_barrier_signal -1
	s_barrier_wait -1
	global_inv scope:SCOPE_SE
.LBB1_217:                              ;   in Loop: Header=BB1_7 Depth=1
	s_wait_alu 0xfffe
	s_and_not1_saveexec_b32 s10, s26
; %bb.218:                              ;   in Loop: Header=BB1_7 Depth=1
	v_subrev_nc_u32_e32 v2, s9, v2
; %bb.219:                              ;   in Loop: Header=BB1_7 Depth=1
	s_wait_alu 0xfffe
	s_or_b32 exec_lo, exec_lo, s10
	v_mov_b32_e32 v1, 8
	s_delay_alu instid0(VALU_DEP_2)
	v_mov_b32_e32 v3, v2
.LBB1_220:                              ;   in Loop: Header=BB1_7 Depth=1
	s_wait_alu 0xfffe
	s_or_b32 exec_lo, exec_lo, s17
	s_delay_alu instid0(VALU_DEP_1)
	v_mov_b32_e32 v2, v3
	s_mov_b32 s27, exec_lo
.LBB1_221:                              ;   in Loop: Header=BB1_7 Depth=1
	s_wait_alu 0xfffe
	s_or_b32 exec_lo, exec_lo, s25
	s_delay_alu instid0(SALU_CYCLE_1)
	s_or_not1_b32 s17, s27, exec_lo
.LBB1_222:                              ;   in Loop: Header=BB1_7 Depth=1
	s_wait_alu 0xfffe
	s_or_b32 exec_lo, exec_lo, s16
	v_mov_b32_e32 v3, v2
	s_and_not1_b32 s9, s21, exec_lo
	s_and_b32 s10, s24, exec_lo
	s_and_not1_b32 s16, s20, exec_lo
	s_and_b32 s20, s23, exec_lo
	s_wait_alu 0xfffe
	s_or_b32 s21, s9, s10
	s_or_b32 s20, s16, s20
	s_and_b32 s25, s17, exec_lo
.LBB1_223:                              ;   in Loop: Header=BB1_7 Depth=1
	s_wait_alu 0xfffe
	s_or_b32 exec_lo, exec_lo, s22
	s_delay_alu instid0(SALU_CYCLE_1)
	s_or_not1_b32 s22, s25, exec_lo
.LBB1_224:                              ;   in Loop: Header=BB1_7 Depth=1
	s_wait_alu 0xfffe
	s_or_b32 exec_lo, exec_lo, s19
	v_mov_b32_e32 v2, v3
	s_and_not1_b32 s9, s15, exec_lo
	s_and_b32 s10, s21, exec_lo
	s_and_not1_b32 s14, s14, exec_lo
	s_and_b32 s16, s20, exec_lo
	s_wait_alu 0xfffe
	s_or_b32 s15, s9, s10
	s_or_b32 s14, s14, s16
	s_and_b32 s22, s22, exec_lo
.LBB1_225:                              ;   in Loop: Header=BB1_7 Depth=1
	s_wait_alu 0xfffe
	s_or_b32 exec_lo, exec_lo, s18
	s_delay_alu instid0(SALU_CYCLE_1)
	s_or_not1_b32 s18, s22, exec_lo
.LBB1_226:                              ;   in Loop: Header=BB1_7 Depth=1
	s_wait_alu 0xfffe
	s_or_b32 exec_lo, exec_lo, s13
	s_mov_b32 s10, 0
                                        ; implicit-def: $sgpr21
	s_and_saveexec_b32 s9, s18
	s_wait_alu 0xfffe
	s_xor_b32 s9, exec_lo, s9
	s_cbranch_execz .LBB1_5
; %bb.227:                              ;   in Loop: Header=BB1_7 Depth=1
	v_and_b32_e32 v1, 7, v1
	s_mov_b32 s12, -1
	s_mov_b32 s10, -1
	s_mov_b32 s13, exec_lo
                                        ; implicit-def: $sgpr21
	s_delay_alu instid0(VALU_DEP_1)
	v_cmpx_eq_u32_e32 0, v1
	s_cbranch_execz .LBB1_4
; %bb.228:                              ;   in Loop: Header=BB1_7 Depth=1
	s_add_co_i32 s21, s82, -2
	s_cmp_eq_u32 s82, 0
	v_xor_b32_e32 v23, 1, v23
	s_cselect_b32 s12, -1, 0
	s_xor_b32 s10, exec_lo, -1
	s_wait_alu 0xfffe
	s_or_not1_b32 s12, s12, exec_lo
	s_branch .LBB1_4
.LBB1_229:
	s_or_b32 exec_lo, exec_lo, s75
	s_xor_b32 s4, s81, -1
	s_xor_b32 s0, s79, -1
	s_xor_b32 s3, s76, -1
	s_mov_b32 s1, 0
	s_wait_alu 0xfffe
	s_and_saveexec_b32 s5, s0
	s_wait_alu 0xfffe
	s_xor_b32 s0, exec_lo, s5
	s_cbranch_execnz .LBB1_234
; %bb.230:
	s_wait_alu 0xfffe
	s_and_not1_saveexec_b32 s0, s0
	s_cbranch_execnz .LBB1_254
.LBB1_231:
	s_wait_alu 0xfffe
	s_or_b32 exec_lo, exec_lo, s0
	s_and_saveexec_b32 s0, s1
.LBB1_232:
	; divergent unreachable
.LBB1_233:
	s_endpgm
.LBB1_234:
	s_and_saveexec_b32 s1, s4
	s_wait_alu 0xfffe
	s_xor_b32 s1, exec_lo, s1
	s_cbranch_execz .LBB1_252
; %bb.235:
	s_and_saveexec_b32 s4, s3
	s_wait_alu 0xfffe
	s_xor_b32 s3, exec_lo, s4
; %bb.236:
	v_mov_b32_e32 v25, v10
; %bb.237:
	s_wait_alu 0xfffe
	s_or_b32 exec_lo, exec_lo, s3
	s_and_saveexec_b32 s3, s2
; %bb.238:
	v_dual_mov_b32 v1, 0 :: v_dual_mov_b32 v2, s36
	ds_store_b32 v1, v2 offset:4108
; %bb.239:
	s_wait_alu 0xfffe
	s_or_b32 exec_lo, exec_lo, s3
	v_mov_b32_e32 v1, 0
	s_wait_loadcnt_dscnt 0x0
	s_barrier_signal -1
	s_barrier_wait -1
	global_inv scope:SCOPE_SE
	ds_load_b32 v1, v1 offset:4108
	s_mov_b32 s3, exec_lo
	s_wait_dscnt 0x0
	v_min_i32_e32 v1, s36, v1
	s_delay_alu instid0(VALU_DEP_1)
	v_cmpx_lt_i32_e64 v0, v1
	s_cbranch_execz .LBB1_249
; %bb.240:
	v_and_b32_e32 v3, 0xff, v25
	s_mov_b32 s4, 0
                                        ; implicit-def: $sgpr5
                                        ; implicit-def: $sgpr7
                                        ; implicit-def: $sgpr6
	s_branch .LBB1_242
.LBB1_241:                              ;   in Loop: Header=BB1_242 Depth=1
	s_wait_alu 0xfffe
	s_or_b32 exec_lo, exec_lo, s8
	s_delay_alu instid0(SALU_CYCLE_1)
	s_and_b32 s8, exec_lo, s7
	s_wait_alu 0xfffe
	s_or_b32 s4, s8, s4
	s_and_not1_b32 s5, s5, exec_lo
	s_and_b32 s8, s6, exec_lo
	s_wait_alu 0xfffe
	s_or_b32 s5, s5, s8
	s_and_not1_b32 exec_lo, exec_lo, s4
	s_cbranch_execz .LBB1_244
.LBB1_242:                              ; =>This Inner Loop Header: Depth=1
	v_ashrrev_i32_e32 v2, 31, v11
	v_add_co_u32 v4, vcc_lo, s48, v11
	s_or_b32 s6, s6, exec_lo
	s_or_b32 s7, s7, exec_lo
	s_wait_alu 0xfffd
	v_add_co_ci_u32_e64 v5, null, s49, v2, vcc_lo
	v_mov_b32_e32 v2, v0
	s_mov_b32 s8, exec_lo
                                        ; implicit-def: $vgpr0
	global_load_u8 v4, v[4:5], off
	s_wait_loadcnt 0x0
	v_cmpx_ne_u16_e64 v4, v3
	s_cbranch_execz .LBB1_241
; %bb.243:                              ;   in Loop: Header=BB1_242 Depth=1
	v_add_nc_u32_e32 v0, s41, v2
	v_add_nc_u32_e32 v11, s66, v11
	s_wait_alu 0xfffe
	s_and_not1_b32 s7, s7, exec_lo
	s_and_not1_b32 s6, s6, exec_lo
	v_cmp_ge_i32_e32 vcc_lo, v0, v1
	s_and_b32 s9, vcc_lo, exec_lo
	s_wait_alu 0xfffe
	s_or_b32 s7, s7, s9
	s_branch .LBB1_241
.LBB1_244:
	s_or_b32 exec_lo, exec_lo, s4
	s_wait_alu 0xfffe
	s_and_saveexec_b32 s4, s5
	s_wait_alu 0xfffe
	s_xor_b32 s4, exec_lo, s4
	s_cbranch_execz .LBB1_249
; %bb.245:
	s_mov_b32 s5, exec_lo
	s_brev_b32 s4, -2
.LBB1_246:                              ; =>This Inner Loop Header: Depth=1
	s_wait_alu 0xfffe
	s_ctz_i32_b32 s6, s5
	s_wait_alu 0xfffe
	v_readlane_b32 s7, v2, s6
	s_lshl_b32 s6, 1, s6
	s_wait_alu 0xfffe
	s_and_not1_b32 s5, s5, s6
	s_min_i32 s4, s4, s7
	s_wait_alu 0xfffe
	s_cmp_lg_u32 s5, 0
	s_cbranch_scc1 .LBB1_246
; %bb.247:
	v_mbcnt_lo_u32_b32 v0, exec_lo, 0
	s_mov_b32 s5, exec_lo
	s_delay_alu instid0(VALU_DEP_1)
	v_cmpx_eq_u32_e32 0, v0
	s_wait_alu 0xfffe
	s_xor_b32 s5, exec_lo, s5
; %bb.248:
	v_dual_mov_b32 v0, 0 :: v_dual_mov_b32 v1, s4
	ds_min_i32 v0, v1 offset:4108
.LBB1_249:
	s_wait_alu 0xfffe
	s_or_b32 exec_lo, exec_lo, s3
	s_wait_loadcnt_dscnt 0x0
	s_barrier_signal -1
	s_barrier_wait -1
	global_inv scope:SCOPE_SE
	s_and_saveexec_b32 s3, s2
	s_cbranch_execz .LBB1_251
; %bb.250:
	s_mul_i32 s2, s47, s61
	s_xor_b32 s4, s60, s63
	s_wait_alu 0xfffe
	s_sub_co_i32 s2, s40, s2
	s_add_co_i32 s5, s47, 1
	s_wait_alu 0xfffe
	s_sub_co_i32 s6, s2, s61
	s_cmp_ge_u32 s2, s61
	v_mov_b32_e32 v2, 0
	s_cselect_b32 s5, s5, s47
	s_wait_alu 0xfffe
	s_cselect_b32 s2, s6, s2
	s_add_co_i32 s6, s5, 1
	s_wait_alu 0xfffe
	s_cmp_ge_u32 s2, s61
	s_mul_i32 s2, s29, s59
	s_cselect_b32 s5, s6, s5
	s_wait_alu 0xfffe
	s_sub_co_i32 s2, s40, s2
	s_xor_b32 s5, s5, s4
	s_xor_b32 s6, s60, s62
	s_wait_alu 0xfffe
	s_sub_co_i32 s4, s5, s4
	s_add_co_i32 s7, s29, 1
	s_wait_alu 0xfffe
	s_mul_i32 s5, s4, s58
	s_mul_i32 s4, s4, s30
	s_wait_alu 0xfffe
	s_sub_co_i32 s5, s33, s5
	s_sub_co_i32 s8, s2, s59
	s_wait_alu 0xfffe
	s_mul_i32 s5, s5, s31
	ds_load_b32 v0, v2 offset:4108
	s_wait_alu 0xfffe
	s_add_co_i32 s4, s4, s5
	s_cmp_ge_u32 s2, s59
	s_cselect_b32 s5, s7, s29
	s_cselect_b32 s2, s8, s2
	s_wait_alu 0xfffe
	s_add_co_i32 s7, s5, 1
	s_cmp_ge_u32 s2, s59
	s_wait_alu 0xfffe
	s_cselect_b32 s2, s7, s5
	s_wait_alu 0xfffe
	s_xor_b32 s2, s2, s6
	s_wait_alu 0xfffe
	s_sub_co_i32 s2, s2, s6
	s_wait_alu 0xfffe
	s_mul_i32 s5, s2, s38
	s_mul_i32 s2, s2, s34
	s_wait_alu 0xfffe
	s_sub_co_i32 s5, s33, s5
	s_wait_alu 0xfffe
	s_mul_i32 s5, s5, s35
	s_wait_dscnt 0x0
	v_ashrrev_i32_e32 v1, 31, v0
	s_wait_alu 0xfffe
	s_add_co_i32 s6, s2, s5
	s_ashr_i32 s5, s4, 31
	s_wait_alu 0xfffe
	s_ashr_i32 s7, s6, 31
	s_add_nc_u64 s[4:5], s[44:45], s[4:5]
	s_wait_alu 0xfffe
	s_lshl_b64 s[6:7], s[6:7], 3
	s_wait_alu 0xfffe
	s_add_nc_u64 s[6:7], s[42:43], s[6:7]
	s_clause 0x1
	global_store_b64 v2, v[0:1], s[6:7]
	global_store_b8 v2, v25, s[4:5]
.LBB1_251:
	s_wait_alu 0xfffe
	s_or_b32 exec_lo, exec_lo, s3
.LBB1_252:
	s_wait_alu 0xfffe
	s_or_saveexec_b32 s1, s1
	s_mov_b32 s2, 0
	s_wait_alu 0xfffe
	s_xor_b32 exec_lo, exec_lo, s1
	s_cbranch_execnz .LBB1_255
.LBB1_253:
	s_or_b32 exec_lo, exec_lo, s1
	s_wait_alu 0xfffe
	s_and_b32 s1, s2, exec_lo
	s_and_not1_saveexec_b32 s0, s0
	s_cbranch_execz .LBB1_231
.LBB1_254:
	s_wait_alu 0xfffe
	s_or_b32 s1, s1, exec_lo
	s_trap 2
	s_or_b32 exec_lo, exec_lo, s0
	s_wait_alu 0xfffe
	s_and_saveexec_b32 s0, s1
	s_cbranch_execnz .LBB1_232
	s_branch .LBB1_233
.LBB1_255:
	s_mov_b32 s2, exec_lo
	s_trap 2
	s_branch .LBB1_253
	.section	.rodata,"a",@progbits
	.p2align	6, 0x0
	.amdhsa_kernel _ZN2at6native12_GLOBAL__N_114gatherKthValueIhiLi2EEEvNS_4cuda6detail10TensorInfoIKT_T0_EES8_S8_S8_S8_NS5_IS6_S8_EENS5_IlS8_EE
		.amdhsa_group_segment_fixed_size 4112
		.amdhsa_private_segment_fixed_size 0
		.amdhsa_kernarg_size 920
		.amdhsa_user_sgpr_count 2
		.amdhsa_user_sgpr_dispatch_ptr 0
		.amdhsa_user_sgpr_queue_ptr 0
		.amdhsa_user_sgpr_kernarg_segment_ptr 1
		.amdhsa_user_sgpr_dispatch_id 0
		.amdhsa_user_sgpr_private_segment_size 0
		.amdhsa_wavefront_size32 1
		.amdhsa_uses_dynamic_stack 0
		.amdhsa_enable_private_segment 0
		.amdhsa_system_sgpr_workgroup_id_x 1
		.amdhsa_system_sgpr_workgroup_id_y 1
		.amdhsa_system_sgpr_workgroup_id_z 1
		.amdhsa_system_sgpr_workgroup_info 0
		.amdhsa_system_vgpr_workitem_id 0
		.amdhsa_next_free_vgpr 40
		.amdhsa_next_free_sgpr 90
		.amdhsa_reserve_vcc 1
		.amdhsa_float_round_mode_32 0
		.amdhsa_float_round_mode_16_64 0
		.amdhsa_float_denorm_mode_32 3
		.amdhsa_float_denorm_mode_16_64 3
		.amdhsa_fp16_overflow 0
		.amdhsa_workgroup_processor_mode 1
		.amdhsa_memory_ordered 1
		.amdhsa_forward_progress 1
		.amdhsa_inst_pref_size 88
		.amdhsa_round_robin_scheduling 0
		.amdhsa_exception_fp_ieee_invalid_op 0
		.amdhsa_exception_fp_denorm_src 0
		.amdhsa_exception_fp_ieee_div_zero 0
		.amdhsa_exception_fp_ieee_overflow 0
		.amdhsa_exception_fp_ieee_underflow 0
		.amdhsa_exception_fp_ieee_inexact 0
		.amdhsa_exception_int_div_zero 0
	.end_amdhsa_kernel
	.section	.text._ZN2at6native12_GLOBAL__N_114gatherKthValueIhiLi2EEEvNS_4cuda6detail10TensorInfoIKT_T0_EES8_S8_S8_S8_NS5_IS6_S8_EENS5_IlS8_EE,"axG",@progbits,_ZN2at6native12_GLOBAL__N_114gatherKthValueIhiLi2EEEvNS_4cuda6detail10TensorInfoIKT_T0_EES8_S8_S8_S8_NS5_IS6_S8_EENS5_IlS8_EE,comdat
.Lfunc_end1:
	.size	_ZN2at6native12_GLOBAL__N_114gatherKthValueIhiLi2EEEvNS_4cuda6detail10TensorInfoIKT_T0_EES8_S8_S8_S8_NS5_IS6_S8_EENS5_IlS8_EE, .Lfunc_end1-_ZN2at6native12_GLOBAL__N_114gatherKthValueIhiLi2EEEvNS_4cuda6detail10TensorInfoIKT_T0_EES8_S8_S8_S8_NS5_IS6_S8_EENS5_IlS8_EE
                                        ; -- End function
	.set _ZN2at6native12_GLOBAL__N_114gatherKthValueIhiLi2EEEvNS_4cuda6detail10TensorInfoIKT_T0_EES8_S8_S8_S8_NS5_IS6_S8_EENS5_IlS8_EE.num_vgpr, 40
	.set _ZN2at6native12_GLOBAL__N_114gatherKthValueIhiLi2EEEvNS_4cuda6detail10TensorInfoIKT_T0_EES8_S8_S8_S8_NS5_IS6_S8_EENS5_IlS8_EE.num_agpr, 0
	.set _ZN2at6native12_GLOBAL__N_114gatherKthValueIhiLi2EEEvNS_4cuda6detail10TensorInfoIKT_T0_EES8_S8_S8_S8_NS5_IS6_S8_EENS5_IlS8_EE.numbered_sgpr, 90
	.set _ZN2at6native12_GLOBAL__N_114gatherKthValueIhiLi2EEEvNS_4cuda6detail10TensorInfoIKT_T0_EES8_S8_S8_S8_NS5_IS6_S8_EENS5_IlS8_EE.num_named_barrier, 0
	.set _ZN2at6native12_GLOBAL__N_114gatherKthValueIhiLi2EEEvNS_4cuda6detail10TensorInfoIKT_T0_EES8_S8_S8_S8_NS5_IS6_S8_EENS5_IlS8_EE.private_seg_size, 0
	.set _ZN2at6native12_GLOBAL__N_114gatherKthValueIhiLi2EEEvNS_4cuda6detail10TensorInfoIKT_T0_EES8_S8_S8_S8_NS5_IS6_S8_EENS5_IlS8_EE.uses_vcc, 1
	.set _ZN2at6native12_GLOBAL__N_114gatherKthValueIhiLi2EEEvNS_4cuda6detail10TensorInfoIKT_T0_EES8_S8_S8_S8_NS5_IS6_S8_EENS5_IlS8_EE.uses_flat_scratch, 0
	.set _ZN2at6native12_GLOBAL__N_114gatherKthValueIhiLi2EEEvNS_4cuda6detail10TensorInfoIKT_T0_EES8_S8_S8_S8_NS5_IS6_S8_EENS5_IlS8_EE.has_dyn_sized_stack, 0
	.set _ZN2at6native12_GLOBAL__N_114gatherKthValueIhiLi2EEEvNS_4cuda6detail10TensorInfoIKT_T0_EES8_S8_S8_S8_NS5_IS6_S8_EENS5_IlS8_EE.has_recursion, 0
	.set _ZN2at6native12_GLOBAL__N_114gatherKthValueIhiLi2EEEvNS_4cuda6detail10TensorInfoIKT_T0_EES8_S8_S8_S8_NS5_IS6_S8_EENS5_IlS8_EE.has_indirect_call, 0
	.section	.AMDGPU.csdata,"",@progbits
; Kernel info:
; codeLenInByte = 11212
; TotalNumSgprs: 92
; NumVgprs: 40
; ScratchSize: 0
; MemoryBound: 0
; FloatMode: 240
; IeeeMode: 1
; LDSByteSize: 4112 bytes/workgroup (compile time only)
; SGPRBlocks: 0
; VGPRBlocks: 4
; NumSGPRsForWavesPerEU: 92
; NumVGPRsForWavesPerEU: 40
; Occupancy: 16
; WaveLimiterHint : 1
; COMPUTE_PGM_RSRC2:SCRATCH_EN: 0
; COMPUTE_PGM_RSRC2:USER_SGPR: 2
; COMPUTE_PGM_RSRC2:TRAP_HANDLER: 0
; COMPUTE_PGM_RSRC2:TGID_X_EN: 1
; COMPUTE_PGM_RSRC2:TGID_Y_EN: 1
; COMPUTE_PGM_RSRC2:TGID_Z_EN: 1
; COMPUTE_PGM_RSRC2:TIDIG_COMP_CNT: 0
	.section	.text._ZN2at6native12_GLOBAL__N_114gatherKthValueIhiLi3EEEvNS_4cuda6detail10TensorInfoIKT_T0_EES8_S8_S8_S8_NS5_IS6_S8_EENS5_IlS8_EE,"axG",@progbits,_ZN2at6native12_GLOBAL__N_114gatherKthValueIhiLi3EEEvNS_4cuda6detail10TensorInfoIKT_T0_EES8_S8_S8_S8_NS5_IS6_S8_EENS5_IlS8_EE,comdat
	.globl	_ZN2at6native12_GLOBAL__N_114gatherKthValueIhiLi3EEEvNS_4cuda6detail10TensorInfoIKT_T0_EES8_S8_S8_S8_NS5_IS6_S8_EENS5_IlS8_EE ; -- Begin function _ZN2at6native12_GLOBAL__N_114gatherKthValueIhiLi3EEEvNS_4cuda6detail10TensorInfoIKT_T0_EES8_S8_S8_S8_NS5_IS6_S8_EENS5_IlS8_EE
	.p2align	8
	.type	_ZN2at6native12_GLOBAL__N_114gatherKthValueIhiLi3EEEvNS_4cuda6detail10TensorInfoIKT_T0_EES8_S8_S8_S8_NS5_IS6_S8_EENS5_IlS8_EE,@function
_ZN2at6native12_GLOBAL__N_114gatherKthValueIhiLi3EEEvNS_4cuda6detail10TensorInfoIKT_T0_EES8_S8_S8_S8_NS5_IS6_S8_EENS5_IlS8_EE: ; @_ZN2at6native12_GLOBAL__N_114gatherKthValueIhiLi3EEEvNS_4cuda6detail10TensorInfoIKT_T0_EES8_S8_S8_S8_NS5_IS6_S8_EENS5_IlS8_EE
; %bb.0:
	s_clause 0x1
	s_load_b64 s[8:9], s[0:1], 0x298
	s_load_b128 s[36:39], s[0:1], 0xd8
	s_lshr_b32 s2, ttmp7, 16
	s_and_b32 s3, ttmp7, 0xffff
	s_wait_kmcnt 0x0
	s_mul_i32 s2, s9, s2
	s_delay_alu instid0(SALU_CYCLE_1) | instskip(NEXT) | instid1(SALU_CYCLE_1)
	s_add_co_i32 s2, s2, s3
	s_mul_i32 s33, s2, s8
	s_delay_alu instid0(SALU_CYCLE_1) | instskip(NEXT) | instid1(SALU_CYCLE_1)
	s_add_co_i32 s33, s33, ttmp9
	s_cmp_ge_i32 s33, s38
	s_cbranch_scc1 .LBB2_233
; %bb.1:
	s_clause 0x2
	s_load_b64 s[12:13], s[0:1], 0xc
	s_load_b64 s[30:31], s[0:1], 0xf4
	;; [unrolled: 1-line block ×3, first 2 shown]
	s_abs_i32 s10, s33
	s_ashr_i32 s11, s33, 31
	s_mov_b32 s59, 0
	s_delay_alu instid0(SALU_CYCLE_1) | instskip(SKIP_3) | instid1(SALU_CYCLE_1)
	s_mov_b32 s49, s59
	s_mov_b32 s51, s59
	s_wait_kmcnt 0x0
	s_abs_i32 s2, s13
	s_cvt_f32_u32 s3, s2
	s_sub_co_i32 s4, 0, s2
	s_delay_alu instid0(SALU_CYCLE_2) | instskip(NEXT) | instid1(TRANS32_DEP_1)
	v_rcp_iflag_f32_e32 v1, s3
	v_readfirstlane_b32 s3, v1
	s_mul_f32 s3, s3, 0x4f7ffffe
	s_wait_alu 0xfffe
	s_delay_alu instid0(SALU_CYCLE_2) | instskip(SKIP_1) | instid1(SALU_CYCLE_2)
	s_cvt_u32_f32 s3, s3
	s_wait_alu 0xfffe
	s_mul_i32 s4, s4, s3
	s_delay_alu instid0(SALU_CYCLE_1) | instskip(NEXT) | instid1(SALU_CYCLE_1)
	s_mul_hi_u32 s4, s3, s4
	s_add_co_i32 s3, s3, s4
	s_ashr_i32 s4, s13, 31
	s_wait_alu 0xfffe
	s_mul_hi_u32 s3, s10, s3
	s_xor_b32 s7, s11, s4
	s_wait_alu 0xfffe
	s_mul_i32 s5, s3, s2
	s_delay_alu instid0(SALU_CYCLE_1)
	s_sub_co_i32 s4, s10, s5
	s_add_co_i32 s5, s3, 1
	s_sub_co_i32 s6, s4, s2
	s_cmp_ge_u32 s4, s2
	s_cselect_b32 s3, s5, s3
	s_cselect_b32 s4, s6, s4
	s_wait_alu 0xfffe
	s_add_co_i32 s9, s3, 1
	s_cmp_ge_u32 s4, s2
	s_load_b96 s[4:6], s[0:1], 0x6c
	s_cselect_b32 s2, s9, s3
	s_abs_i32 s3, s31
	s_abs_i32 s9, s12
	s_wait_alu 0xfffe
	s_cvt_f32_u32 s14, s3
	s_cvt_f32_u32 s15, s9
	s_xor_b32 s2, s2, s7
	s_sub_co_i32 s17, 0, s9
	v_rcp_iflag_f32_e32 v1, s14
	v_rcp_iflag_f32_e32 v2, s15
	s_ashr_i32 s15, s31, 31
	s_wait_alu 0xfffe
	s_sub_co_i32 s7, s2, s7
	s_xor_b32 s18, s11, s15
	s_sub_co_i32 s15, 0, s3
	s_ashr_i32 s20, s12, 31
	s_ashr_i32 s21, s7, 31
	s_delay_alu instid0(TRANS32_DEP_2) | instskip(NEXT) | instid1(TRANS32_DEP_1)
	v_readfirstlane_b32 s14, v1
	v_readfirstlane_b32 s16, v2
	s_mul_f32 s14, s14, 0x4f7ffffe
	s_wait_alu 0xfffe
	s_delay_alu instid0(SALU_CYCLE_2) | instskip(SKIP_2) | instid1(SALU_CYCLE_1)
	s_cvt_u32_f32 s2, s14
	s_mul_f32 s14, s16, 0x4f7ffffe
	s_wait_alu 0xfffe
	s_mul_i32 s15, s15, s2
	s_delay_alu instid0(SALU_CYCLE_1)
	s_cvt_u32_f32 s16, s14
	s_wait_alu 0xfffe
	s_mul_hi_u32 s15, s2, s15
	s_abs_i32 s14, s7
	s_wait_alu 0xfffe
	s_add_co_i32 s2, s2, s15
	s_mul_i32 s17, s17, s16
	s_wait_alu 0xfffe
	s_mul_hi_u32 s2, s10, s2
	s_mul_hi_u32 s15, s16, s17
	s_wait_alu 0xfffe
	s_mul_i32 s17, s2, s3
	s_add_co_i32 s58, s16, s15
	s_sub_co_i32 s15, s10, s17
	s_add_co_i32 s16, s2, 1
	s_wait_alu 0xfffe
	s_sub_co_i32 s17, s15, s3
	s_cmp_ge_u32 s15, s3
	s_cselect_b32 s2, s16, s2
	s_cselect_b32 s15, s17, s15
	s_wait_alu 0xfffe
	s_add_co_i32 s16, s2, 1
	s_cmp_ge_u32 s15, s3
	s_mov_b32 s15, s59
	s_cselect_b32 s16, s16, s2
	s_abs_i32 s17, s35
	s_abs_i32 s47, s30
	s_cvt_f32_u32 s2, s17
	s_cvt_f32_u32 s3, s47
	s_xor_b32 s16, s16, s18
	s_sub_co_i32 s22, 0, s47
	s_wait_alu 0xfffe
	v_rcp_iflag_f32_e32 v1, s2
	v_rcp_iflag_f32_e32 v2, s3
	s_mul_u64 s[2:3], s[14:15], s[58:59]
	s_ashr_i32 s2, s35, 31
	s_sub_co_i32 s43, s16, s18
	s_wait_alu 0xfffe
	s_xor_b32 s23, s11, s2
	s_abs_i32 s48, s43
	s_delay_alu instid0(TRANS32_DEP_2) | instskip(NEXT) | instid1(TRANS32_DEP_1)
	v_readfirstlane_b32 s19, v1
	v_readfirstlane_b32 s15, v2
	s_mul_f32 s19, s19, 0x4f7ffffe
	s_mul_f32 s11, s15, 0x4f7ffffe
	s_sub_co_i32 s15, 0, s17
	s_delay_alu instid0(SALU_CYCLE_1) | instskip(NEXT) | instid1(SALU_CYCLE_1)
	s_cvt_u32_f32 s2, s19
	s_cvt_u32_f32 s11, s11
	s_wait_alu 0xfffe
	s_delay_alu instid0(SALU_CYCLE_1) | instskip(NEXT) | instid1(SALU_CYCLE_1)
	s_mul_i32 s15, s15, s2
	s_mul_i32 s22, s22, s11
	s_wait_alu 0xfffe
	s_mul_hi_u32 s15, s2, s15
	s_wait_alu 0xfffe
	s_add_co_i32 s2, s2, s15
	s_mul_hi_u32 s15, s11, s22
	s_wait_alu 0xfffe
	s_mul_hi_u32 s2, s10, s2
	s_add_co_i32 s58, s11, s15
	s_wait_alu 0xfffe
	s_mul_i32 s16, s2, s17
	s_add_co_i32 s11, s2, 1
	s_sub_co_i32 s10, s10, s16
	s_delay_alu instid0(SALU_CYCLE_1)
	s_sub_co_i32 s15, s10, s17
	s_cmp_ge_u32 s10, s17
	s_cselect_b32 s2, s11, s2
	s_wait_alu 0xfffe
	s_cselect_b32 s10, s15, s10
	s_add_co_i32 s11, s2, 1
	s_cmp_ge_u32 s10, s17
	s_load_b64 s[16:17], s[0:1], 0x0
	s_cselect_b32 s15, s11, s2
	s_abs_i32 s38, s34
	s_wait_alu 0xfffe
	s_xor_b32 s15, s15, s23
	s_cvt_f32_u32 s2, s38
	s_sub_co_i32 s19, 0, s38
	s_wait_alu 0xfffe
	s_sub_co_i32 s68, s15, s23
	s_add_nc_u64 s[10:11], s[0:1], 0x298
	v_rcp_iflag_f32_e32 v1, s2
	s_abs_i32 s50, s68
	s_delay_alu instid0(TRANS32_DEP_1) | instskip(SKIP_2) | instid1(SALU_CYCLE_2)
	v_readfirstlane_b32 s2, v1
	s_mul_f32 s18, s2, 0x4f7ffffe
	v_cmp_eq_u32_e64 s2, 0, v0
	s_cvt_u32_f32 s18, s18
	s_delay_alu instid0(SALU_CYCLE_3) | instskip(NEXT) | instid1(SALU_CYCLE_1)
	s_mul_i32 s19, s19, s18
	s_mul_hi_u32 s15, s18, s19
	s_mov_b32 s19, s59
	s_wait_alu 0xfffe
	s_add_co_i32 s18, s18, s15
	s_and_saveexec_b32 s15, s2
; %bb.2:
	v_dual_mov_b32 v1, 0 :: v_dual_mov_b32 v2, s36
	s_delay_alu instid0(VALU_DEP_1)
	v_mov_b32_e32 v3, v1
	ds_store_b96 v1, v[1:3] offset:4096
; %bb.3:
	s_wait_alu 0xfffe
	s_or_b32 exec_lo, exec_lo, s15
	s_mul_i32 s15, s3, s9
	s_mul_i32 s13, s7, s13
	s_wait_alu 0xfffe
	s_sub_co_i32 s14, s14, s15
	s_ashr_i32 s71, s43, 31
	s_ashr_i32 s72, s30, 31
	;; [unrolled: 1-line block ×4, first 2 shown]
	s_sub_co_i32 s13, s33, s13
	s_xor_b32 s20, s21, s20
	s_add_co_i32 s15, s3, 1
	s_wait_alu 0xfffe
	s_sub_co_i32 s21, s14, s9
	s_cmp_ge_u32 s14, s9
	s_wait_dscnt 0x0
	s_cselect_b32 s3, s15, s3
	s_cselect_b32 s14, s21, s14
	s_wait_alu 0xfffe
	s_add_co_i32 s15, s3, 1
	s_cmp_ge_u32 s14, s9
	s_barrier_signal -1
	s_barrier_wait -1
	global_inv scope:SCOPE_SE
	s_load_b32 s9, s[10:11], 0xc
	s_cselect_b32 s3, s15, s3
	v_mbcnt_lo_u32_b32 v12, -1, 0
	s_wait_alu 0xfffe
	s_xor_b32 s3, s3, s20
	s_wait_kmcnt 0x0
	s_mul_i32 s13, s13, s6
	s_wait_alu 0xfffe
	s_sub_co_i32 s3, s3, s20
	s_clause 0x1
	s_load_b96 s[40:42], s[0:1], 0x22c
	s_load_b64 s[52:53], s[0:1], 0x1c0
	s_mul_i32 s12, s3, s12
	s_clause 0x1
	s_load_b96 s[44:46], s[0:1], 0x154
	s_load_b64 s[54:55], s[0:1], 0xe8
	s_sub_co_i32 s7, s7, s12
	s_mul_i32 s3, s3, s4
	s_mul_i32 s5, s7, s5
	v_cmp_gt_u32_e32 vcc_lo, 32, v0
	s_add_co_i32 s0, s5, s13
	s_mul_u64 s[56:57], s[48:49], s[58:59]
	s_wait_alu 0xfffe
	s_add_co_i32 s4, s0, s3
	v_cmp_gt_i32_e64 s0, 4, v12
	s_mul_u64 s[28:29], s[50:51], s[18:19]
	s_ashr_i32 s5, s4, 31
	v_mul_lo_u32 v11, s39, v0
	s_and_b32 s49, s9, 0xffff
	s_and_b32 s73, vcc_lo, s0
	s_lshl_b32 s51, s49, 2
	s_add_co_i32 s56, s49, -1
	s_cvt_f32_u32 s0, s51
	s_bfe_u32 s3, s9, 0xb0005
	s_add_co_i32 s82, s56, s36
	s_cmp_gt_i32 s36, 0xc00
	v_rcp_iflag_f32_e32 v1, s0
	s_cselect_b32 s75, -1, 0
	s_cmp_gt_u32 s49, 31
	s_add_nc_u64 s[60:61], s[16:17], s[4:5]
	s_cselect_b32 s76, -1, 0
	s_cmp_lt_u32 ttmp9, s8
	v_add_co_u32 v5, s6, s60, v11
	s_cselect_b32 s58, 12, 18
	s_wait_alu 0xfffe
	s_add_co_i32 s4, s3, -1
	v_readfirstlane_b32 s5, v1
	s_and_b32 s4, s4, 0xffff
	s_bfe_u32 s77, s49, 0x30005
	s_cmp_gt_u32 s4, 6
	v_add_co_ci_u32_e64 v6, null, s61, 0, s6
	s_cselect_b32 s78, -1, 0
	s_and_b32 s79, s3, 0x7f8
	s_mul_f32 s3, s5, 0x4f7ffffe
	s_cvt_f32_u32 s5, s49
	s_cmp_lg_u32 s77, 0
	v_lshlrev_b64_e64 v[1:2], v12, -1
	s_wait_alu 0xfffe
	s_cvt_u32_f32 s3, s3
	s_cselect_b32 s80, -1, 0
	s_sub_co_i32 s4, 0, s51
	v_rcp_iflag_f32_e32 v3, s5
	s_wait_alu 0xfffe
	s_mul_i32 s4, s4, s3
	v_not_b32_e32 v15, v1
	s_wait_alu 0xfffe
	s_mul_hi_u32 s4, s3, s4
	v_lshrrev_b32_e32 v1, 1, v0
	s_wait_alu 0xfffe
	s_add_co_i32 s62, s3, s4
	v_dual_mov_b32 v14, 0 :: v_dual_lshlrev_b32 v13, 2, v0
	s_mul_hi_u32 s5, s36, s62
	v_cmp_eq_u32_e64 s0, 0, v12
	s_wait_alu 0xfffe
	s_mul_i32 s5, s5, s51
	v_readfirstlane_b32 s6, v3
	s_wait_alu 0xfffe
	s_sub_co_i32 s5, s36, s5
	v_mov_b32_e32 v25, 0
	s_wait_alu 0xfffe
	s_sub_co_i32 s7, s5, s51
	s_cmp_ge_u32 s5, s51
	s_mul_f32 s6, s6, 0x4f7ffffe
	s_wait_alu 0xfffe
	s_cselect_b32 s5, s7, s5
	s_movk_i32 s7, 0x1f0
	s_wait_alu 0xfffe
	s_sub_co_i32 s8, s5, s51
	s_cmp_ge_u32 s5, s51
	s_cvt_u32_f32 s6, s6
	s_cselect_b32 s9, s8, s5
	s_sub_co_i32 s5, 0, s49
	s_sub_co_i32 s81, s36, s9
	s_wait_alu 0xfffe
	s_mul_i32 s5, s5, s6
	v_add_nc_u32_e32 v16, s81, v0
	s_wait_alu 0xfffe
	s_mul_hi_u32 s5, s6, s5
	s_abs_i32 s8, s82
	s_wait_alu 0xfffe
	s_add_co_i32 s64, s6, s5
	v_and_or_b32 v17, v1, s7, 0xc00
	s_mul_hi_u32 s5, s8, s64
	v_mul_lo_u32 v1, v16, s39
	s_wait_alu 0xfffe
	s_mul_i32 s5, s5, s49
	s_ashr_i32 s7, s82, 31
	s_wait_alu 0xfffe
	s_sub_co_i32 s5, s8, s5
	v_or_b32_e32 v3, 3, v13
	s_wait_alu 0xfffe
	s_sub_co_i32 s6, s5, s49
	s_cmp_ge_u32 s5, s49
	v_cmp_gt_u32_e64 s1, 2, v0
	s_wait_alu 0xfffe
	s_cselect_b32 s8, s6, s5
	v_ashrrev_i32_e32 v2, 31, v1
	v_add_co_u32 v7, vcc_lo, s60, v1
	v_add3_u32 v1, s49, s36, v0
	s_sub_co_i32 s12, s8, s49
	s_cmp_ge_u32 s8, s49
	v_add_co_ci_u32_e64 v8, null, s61, v2, vcc_lo
	s_cselect_b32 s8, s12, s8
	v_or_b32_e32 v2, 2, v13
	v_subrev_nc_u32_e32 v1, s9, v1
	s_xor_b32 s8, s8, s7
	s_mov_b32 s12, s39
	s_wait_alu 0xfffe
	s_sub_co_i32 s8, s7, s8
	v_mad_co_u64_u32 v[9:10], null, s39, v13, s[12:13]
	v_mul_lo_u32 v18, s39, v2
	v_mul_lo_u32 v19, s39, v3
	;; [unrolled: 1-line block ×3, first 2 shown]
	s_wait_alu 0xfffe
	s_add_co_i32 s82, s82, s8
	v_cmp_gt_u32_e64 s3, s36, v0
	v_cmp_gt_i32_e64 s4, s36, v0
	v_cmp_gt_i32_e64 s5, s81, v13
	v_cmp_gt_u32_e64 s6, s36, v16
	v_cmp_gt_i32_e64 s7, s36, v16
	v_cmp_gt_i32_e64 s8, s82, v0
	v_dual_mov_b32 v23, 0 :: v_dual_lshlrev_b32 v20, 2, v11
	v_lshl_or_b32 v22, v12, 2, 0xc00
	v_mov_b32_e32 v26, s37
	v_mov_b32_e32 v10, 0
	v_mov_b32_e32 v24, 0
	s_mul_i32 s74, s39, s49
	s_mov_b32 s90, 6
	s_mov_b32 s63, s59
	s_mov_b32 s65, s59
	s_lshl_b32 s37, s74, 2
	s_add_nc_u64 s[66:67], s[10:11], s[58:59]
	s_mov_b32 s83, s59
                                        ; implicit-def: $sgpr87
                                        ; implicit-def: $sgpr89
                                        ; implicit-def: $sgpr84
                                        ; implicit-def: $sgpr86
                                        ; implicit-def: $sgpr88
                                        ; implicit-def: $sgpr85
	s_branch .LBB2_7
.LBB2_4:                                ;   in Loop: Header=BB2_7 Depth=1
	s_wait_alu 0xfffe
	s_or_b32 exec_lo, exec_lo, s13
	s_delay_alu instid0(SALU_CYCLE_1)
	s_and_b32 s10, s10, exec_lo
	s_and_not1_b32 s15, s15, exec_lo
	s_and_not1_b32 s14, s14, exec_lo
	s_or_not1_b32 s12, s12, exec_lo
.LBB2_5:                                ;   in Loop: Header=BB2_7 Depth=1
	s_wait_alu 0xfffe
	s_or_b32 exec_lo, exec_lo, s9
	s_delay_alu instid0(SALU_CYCLE_1)
	s_and_not1_b32 s9, s85, exec_lo
	s_and_b32 s10, s10, exec_lo
	s_and_not1_b32 s13, s86, exec_lo
	s_wait_alu 0xfffe
	s_or_b32 s85, s9, s10
	s_and_not1_b32 s9, s88, exec_lo
	s_and_b32 s10, s15, exec_lo
	s_and_b32 s14, s14, exec_lo
	s_wait_alu 0xfffe
	s_or_b32 s88, s9, s10
	s_or_b32 s86, s13, s14
	s_or_not1_b32 s13, s12, exec_lo
.LBB2_6:                                ;   in Loop: Header=BB2_7 Depth=1
	s_wait_alu 0xfffe
	s_or_b32 exec_lo, exec_lo, s11
	s_delay_alu instid0(SALU_CYCLE_1)
	s_and_b32 s9, exec_lo, s13
	v_mov_b32_e32 v26, v2
	s_wait_alu 0xfffe
	s_or_b32 s83, s9, s83
	s_and_not1_b32 s9, s84, exec_lo
	s_and_b32 s10, s85, exec_lo
	s_and_not1_b32 s11, s89, exec_lo
	s_wait_alu 0xfffe
	s_or_b32 s84, s9, s10
	s_and_b32 s9, s88, exec_lo
	s_and_not1_b32 s10, s87, exec_lo
	s_and_b32 s12, s86, exec_lo
	s_wait_alu 0xfffe
	s_or_b32 s89, s11, s9
	s_or_b32 s87, s10, s12
	s_mov_b32 s90, s21
	s_and_not1_b32 exec_lo, exec_lo, s83
	s_cbranch_execz .LBB2_229
.LBB2_7:                                ; =>This Loop Header: Depth=1
                                        ;     Child Loop BB2_12 Depth 2
                                        ;     Child Loop BB2_27 Depth 2
	;; [unrolled: 1-line block ×16, first 2 shown]
	ds_load_b64 v[1:2], v14 offset:4096
	s_wait_dscnt 0x0
	v_readfirstlane_b32 s58, v1
	s_cmp_gt_i32 s58, 0
	s_cbranch_scc1 .LBB2_34
; %bb.8:                                ;   in Loop: Header=BB2_7 Depth=1
	s_and_b32 vcc_lo, exec_lo, s75
	s_wait_alu 0xfffe
	s_cbranch_vccz .LBB2_20
; %bb.9:                                ;   in Loop: Header=BB2_7 Depth=1
	v_cmp_gt_i32_e32 vcc_lo, 0xc01, v2
	s_mov_b32 s10, 0
	s_mov_b32 s9, 0
	s_cbranch_vccz .LBB2_21
; %bb.10:                               ;   in Loop: Header=BB2_7 Depth=1
	global_load_u8 v2, v[5:6], off
	s_load_u16 s11, s[66:67], 0x0
	v_mov_b32_e32 v3, v0
	s_mov_b32 s12, 0
	s_wait_kmcnt 0x0
	v_add_nc_u32_e32 v1, s11, v0
	s_mul_i32 s13, s39, s11
	s_delay_alu instid0(VALU_DEP_1)
	v_mul_lo_u32 v1, s39, v1
	s_branch .LBB2_12
.LBB2_11:                               ;   in Loop: Header=BB2_12 Depth=2
	s_wait_alu 0xfffe
	s_or_b32 exec_lo, exec_lo, s9
	v_cmp_le_i32_e32 vcc_lo, s36, v3
	v_dual_mov_b32 v2, v4 :: v_dual_add_nc_u32 v1, s13, v1
	s_or_b32 s12, vcc_lo, s12
	s_wait_alu 0xfffe
	s_and_not1_b32 exec_lo, exec_lo, s12
	s_cbranch_execz .LBB2_66
.LBB2_12:                               ;   Parent Loop BB2_7 Depth=1
                                        ; =>  This Inner Loop Header: Depth=2
	v_dual_mov_b32 v4, 0 :: v_dual_add_nc_u32 v3, s11, v3
	s_wait_dscnt 0x0
	v_mov_b32_e32 v27, 0
	s_mov_b32 s9, exec_lo
	s_delay_alu instid0(VALU_DEP_2)
	v_cmpx_gt_u32_e64 s36, v3
	s_cbranch_execz .LBB2_14
; %bb.13:                               ;   in Loop: Header=BB2_12 Depth=2
	global_load_u8 v4, v1, s[60:61]
.LBB2_14:                               ;   in Loop: Header=BB2_12 Depth=2
	s_wait_alu 0xfffe
	s_or_b32 exec_lo, exec_lo, s9
	s_wait_loadcnt 0x0
	v_and_b32_e32 v28, v2, v24
	s_delay_alu instid0(VALU_DEP_1) | instskip(NEXT) | instid1(VALU_DEP_1)
	v_and_b32_e32 v28, 0xff, v28
	v_cmp_eq_u32_e32 vcc_lo, v28, v10
	s_cmp_lg_u32 vcc_lo, 0
	s_cselect_b32 s9, -1, 0
	s_wait_alu 0xfffe
	s_and_b32 s9, s0, s9
	s_wait_alu 0xfffe
	s_and_saveexec_b32 s14, s9
	s_cbranch_execz .LBB2_18
; %bb.15:                               ;   in Loop: Header=BB2_12 Depth=2
	s_mov_b32 s17, exec_lo
	s_bcnt1_i32_b32 s15, vcc_lo
	s_wait_alu 0xfffe
	v_mbcnt_lo_u32_b32 v27, s17, 0
	s_mov_b32 s16, exec_lo
                                        ; implicit-def: $vgpr28
	s_delay_alu instid0(VALU_DEP_1)
	v_cmpx_eq_u32_e32 0, v27
; %bb.16:                               ;   in Loop: Header=BB2_12 Depth=2
	s_bcnt1_i32_b32 s9, s17
	s_wait_alu 0xfffe
	s_mul_i32 s9, s15, s9
	s_wait_alu 0xfffe
	v_mov_b32_e32 v28, s9
	ds_add_rtn_u32 v28, v14, v28 offset:4104
; %bb.17:                               ;   in Loop: Header=BB2_12 Depth=2
	s_or_b32 exec_lo, exec_lo, s16
	s_wait_dscnt 0x0
	v_readfirstlane_b32 s9, v28
	s_wait_alu 0xf1ff
	s_delay_alu instid0(VALU_DEP_1)
	v_mad_u32_u24 v27, s15, v27, s9
.LBB2_18:                               ;   in Loop: Header=BB2_12 Depth=2
	s_wait_alu 0xfffe
	s_or_b32 exec_lo, exec_lo, s14
	ds_bpermute_b32 v27, v14, v27
	s_and_saveexec_b32 s9, vcc_lo
	s_cbranch_execz .LBB2_11
; %bb.19:                               ;   in Loop: Header=BB2_12 Depth=2
	v_and_b32_e32 v28, vcc_lo, v15
	s_wait_dscnt 0x0
	s_delay_alu instid0(VALU_DEP_1)
	v_bcnt_u32_b32 v27, v28, v27
	ds_store_b8 v27, v2
	s_branch .LBB2_11
.LBB2_20:                               ;   in Loop: Header=BB2_7 Depth=1
	s_mov_b32 s10, -1
	s_mov_b32 s9, 0
.LBB2_21:                               ;   in Loop: Header=BB2_7 Depth=1
	s_wait_alu 0xfffe
	s_and_b32 vcc_lo, exec_lo, s10
	s_wait_alu 0xfffe
	s_cbranch_vccz .LBB2_32
.LBB2_22:                               ;   in Loop: Header=BB2_7 Depth=1
	v_mov_b32_e32 v1, 0
	s_and_saveexec_b32 s9, s3
	s_cbranch_execz .LBB2_24
; %bb.23:                               ;   in Loop: Header=BB2_7 Depth=1
	global_load_u8 v1, v[5:6], off
.LBB2_24:                               ;   in Loop: Header=BB2_7 Depth=1
	s_wait_alu 0xfffe
	s_or_b32 exec_lo, exec_lo, s9
	s_and_saveexec_b32 s9, s4
	s_cbranch_execz .LBB2_29
; %bb.25:                               ;   in Loop: Header=BB2_7 Depth=1
	s_load_u16 s10, s[66:67], 0x0
	s_mov_b32 s12, 0
	s_wait_kmcnt 0x0
	v_dual_mov_b32 v3, v0 :: v_dual_add_nc_u32 v2, s10, v0
	s_mul_i32 s11, s39, s10
	s_delay_alu instid0(VALU_DEP_1)
	v_mul_lo_u32 v2, s39, v2
	s_branch .LBB2_27
.LBB2_26:                               ;   in Loop: Header=BB2_27 Depth=2
	s_wait_alu 0xfffe
	s_or_b32 exec_lo, exec_lo, s13
	v_cmp_le_i32_e32 vcc_lo, s36, v4
	s_wait_loadcnt 0x0
	ds_store_b8 v3, v1
	v_dual_mov_b32 v1, v27 :: v_dual_add_nc_u32 v2, s11, v2
	v_mov_b32_e32 v3, v4
	s_or_b32 s12, vcc_lo, s12
	s_wait_alu 0xfffe
	s_and_not1_b32 exec_lo, exec_lo, s12
	s_cbranch_execz .LBB2_29
.LBB2_27:                               ;   Parent Loop BB2_7 Depth=1
                                        ; =>  This Inner Loop Header: Depth=2
	s_delay_alu instid0(VALU_DEP_2) | instskip(SKIP_1) | instid1(VALU_DEP_1)
	v_dual_mov_b32 v27, 0 :: v_dual_add_nc_u32 v4, s10, v3
	s_mov_b32 s13, exec_lo
	v_cmpx_gt_u32_e64 s36, v4
	s_cbranch_execz .LBB2_26
; %bb.28:                               ;   in Loop: Header=BB2_27 Depth=2
	global_load_u8 v27, v2, s[60:61]
	s_branch .LBB2_26
.LBB2_29:                               ;   in Loop: Header=BB2_7 Depth=1
	s_wait_alu 0xfffe
	s_or_b32 exec_lo, exec_lo, s9
	s_wait_loadcnt_dscnt 0x0
	s_barrier_signal -1
	s_barrier_wait -1
	global_inv scope:SCOPE_SE
	s_and_saveexec_b32 s9, s2
; %bb.30:                               ;   in Loop: Header=BB2_7 Depth=1
	v_mov_b32_e32 v1, s36
	ds_store_b32 v14, v1 offset:4096
; %bb.31:                               ;   in Loop: Header=BB2_7 Depth=1
	s_wait_alu 0xfffe
	s_or_b32 exec_lo, exec_lo, s9
	s_mov_b32 s9, -1
	s_wait_loadcnt_dscnt 0x0
	s_barrier_signal -1
	s_barrier_wait -1
.LBB2_32:                               ;   in Loop: Header=BB2_7 Depth=1
	s_wait_alu 0xfffe
	s_and_b32 vcc_lo, exec_lo, s9
	s_wait_alu 0xfffe
	s_cbranch_vccz .LBB2_34
; %bb.33:                               ;   in Loop: Header=BB2_7 Depth=1
	s_wait_loadcnt 0x0
	global_inv scope:SCOPE_SE
	ds_load_b32 v1, v14 offset:4096
	s_wait_dscnt 0x0
	v_readfirstlane_b32 s58, v1
.LBB2_34:                               ;   in Loop: Header=BB2_7 Depth=1
	s_delay_alu instid0(VALU_DEP_1)
	s_cmp_lt_i32 s58, 1
	s_mov_b32 s9, -1
                                        ; implicit-def: $vgpr4
	s_cbranch_scc1 .LBB2_44
; %bb.35:                               ;   in Loop: Header=BB2_7 Depth=1
	s_wait_alu 0xfffe
	s_and_b32 vcc_lo, exec_lo, s9
	s_wait_alu 0xfffe
	s_cbranch_vccnz .LBB2_57
.LBB2_36:                               ;   in Loop: Header=BB2_7 Depth=1
	v_lshlrev_b32_e32 v27, 7, v23
	s_and_saveexec_b32 s9, s0
.LBB2_37:                               ;   in Loop: Header=BB2_7 Depth=1
	s_delay_alu instid0(VALU_DEP_1)
	v_lshl_add_u32 v28, v27, 2, v17
	ds_store_b128 v28, v[1:4]
.LBB2_38:                               ;   in Loop: Header=BB2_7 Depth=1
	s_wait_alu 0xfffe
	s_or_b32 exec_lo, exec_lo, s9
	s_wait_loadcnt_dscnt 0x0
	s_barrier_signal -1
	s_barrier_wait -1
	global_inv scope:SCOPE_SE
	s_and_saveexec_b32 s9, s73
	s_cbranch_execz .LBB2_73
; %bb.39:                               ;   in Loop: Header=BB2_7 Depth=1
	v_mov_b32_e32 v1, 0
	s_and_not1_b32 vcc_lo, exec_lo, s76
	s_wait_alu 0xfffe
	s_cbranch_vccnz .LBB2_72
; %bb.40:                               ;   in Loop: Header=BB2_7 Depth=1
	s_and_not1_b32 vcc_lo, exec_lo, s78
	s_wait_alu 0xfffe
	s_cbranch_vccnz .LBB2_69
; %bb.41:                               ;   in Loop: Header=BB2_7 Depth=1
	v_lshl_add_u32 v2, v23, 9, v22
	v_mov_b32_e32 v1, 0
	s_mov_b32 s10, 0
.LBB2_42:                               ;   Parent Loop BB2_7 Depth=1
                                        ; =>  This Inner Loop Header: Depth=2
	ds_load_2addr_b32 v[3:4], v2 offset1:4
	ds_load_2addr_b32 v[28:29], v2 offset0:8 offset1:12
	ds_load_2addr_b32 v[30:31], v2 offset0:16 offset1:20
	;; [unrolled: 1-line block ×3, first 2 shown]
	v_add_nc_u32_e32 v2, 0x80, v2
	s_wait_alu 0xfffe
	s_add_co_i32 s10, s10, 8
	s_wait_alu 0xfffe
	s_cmp_eq_u32 s79, s10
	s_wait_dscnt 0x3
	v_add3_u32 v1, v3, v1, v4
	s_wait_dscnt 0x2
	s_delay_alu instid0(VALU_DEP_1) | instskip(SKIP_1) | instid1(VALU_DEP_1)
	v_add3_u32 v1, v28, v1, v29
	s_wait_dscnt 0x1
	v_add3_u32 v1, v30, v1, v31
	s_wait_dscnt 0x0
	s_delay_alu instid0(VALU_DEP_1)
	v_add3_u32 v1, v32, v1, v33
	s_cbranch_scc0 .LBB2_42
; %bb.43:                               ;   in Loop: Header=BB2_7 Depth=1
	s_mov_b32 s10, s79
	s_and_not1_b32 vcc_lo, exec_lo, s80
	s_wait_alu 0xfffe
	s_cbranch_vccz .LBB2_70
	s_branch .LBB2_72
.LBB2_44:                               ;   in Loop: Header=BB2_7 Depth=1
	v_dual_mov_b32 v1, 0 :: v_dual_mov_b32 v2, 0
	v_dual_mov_b32 v3, 0 :: v_dual_mov_b32 v4, 0
	s_and_saveexec_b32 s91, s5
	s_cbranch_execnz .LBB2_47
; %bb.45:                               ;   in Loop: Header=BB2_7 Depth=1
	s_wait_alu 0xfffe
	s_or_b32 exec_lo, exec_lo, s91
	v_mov_b32_e32 v30, 0
	s_and_saveexec_b32 s9, s6
	s_cbranch_execnz .LBB2_50
.LBB2_46:                               ;   in Loop: Header=BB2_7 Depth=1
	s_wait_alu 0xfffe
	s_or_b32 exec_lo, exec_lo, s9
	s_and_saveexec_b32 s13, s7
	s_cbranch_execnz .LBB2_51
	s_branch .LBB2_56
.LBB2_47:                               ;   in Loop: Header=BB2_7 Depth=1
	v_mov_b32_e32 v27, v13
	s_mov_b32 s92, 0
	s_mov_b32 s93, 0
	;; [unrolled: 1-line block ×6, first 2 shown]
.LBB2_48:                               ;   Parent Loop BB2_7 Depth=1
                                        ; =>  This Inner Loop Header: Depth=2
	s_wait_alu 0xfffe
	v_add_nc_u32_e32 v2, s93, v20
	v_add_nc_u32_e32 v1, s93, v9
	;; [unrolled: 1-line block ×5, first 2 shown]
	v_ashrrev_i32_e32 v29, 31, v2
	v_ashrrev_i32_e32 v32, 31, v1
	v_ashrrev_i32_e32 v33, 31, v3
	v_ashrrev_i32_e32 v34, 31, v4
	v_add_co_u32 v30, s11, s60, v2
	v_add_co_u32 v1, vcc_lo, s60, v1
	v_add_co_u32 v3, s9, s60, v3
	s_wait_alu 0xf1ff
	v_add_co_ci_u32_e64 v31, null, s61, v29, s11
	v_add_co_u32 v28, s10, s60, v4
	s_wait_alu 0xfffd
	v_add_co_ci_u32_e64 v2, null, s61, v32, vcc_lo
	v_add_co_ci_u32_e64 v4, null, s61, v33, s9
	s_wait_alu 0xf1ff
	v_add_co_ci_u32_e64 v29, null, s61, v34, s10
	s_clause 0x3
	global_load_u8 v30, v[30:31], off
	global_load_u8 v1, v[1:2], off
	;; [unrolled: 1-line block ×4, first 2 shown]
	v_cmp_le_i32_e32 vcc_lo, s81, v27
	s_add_co_i32 s93, s93, s37
	s_wait_loadcnt 0x3
	v_and_b32_e32 v4, v24, v30
	v_bfe_u32 v30, v30, s90, 2
	s_wait_loadcnt 0x2
	v_and_b32_e32 v28, v24, v1
	v_bfe_u32 v1, v1, s90, 2
	;; [unrolled: 3-line block ×3, first 2 shown]
	v_cmp_eq_u32_e64 s9, v4, v10
	v_cmp_eq_u32_e64 s13, 0, v30
	s_wait_loadcnt 0x0
	v_and_b32_e32 v31, v24, v3
	v_bfe_u32 v3, v3, s90, 2
	v_cmp_eq_u32_e64 s10, v28, v10
	v_cmp_eq_u32_e64 s14, 0, v1
	;; [unrolled: 1-line block ×4, first 2 shown]
	s_and_b32 s13, s9, s13
	v_cmp_eq_u32_e64 s12, v31, v10
	v_cmp_eq_u32_e64 s16, 0, v3
	;; [unrolled: 1-line block ×5, first 2 shown]
	s_wait_alu 0xfffe
	v_cndmask_b32_e64 v1, 0, 1, s13
	s_and_b32 s13, s10, s14
	v_cmp_eq_u32_e64 s17, 1, v30
	v_cmp_eq_u32_e64 s19, 1, v2
	v_cmp_eq_u32_e64 s23, 2, v2
	v_cmp_eq_u32_e64 s27, 3, v2
	s_wait_alu 0xfffe
	v_cndmask_b32_e64 v2, 0, 1, s13
	s_and_b32 s13, s11, s15
	v_cmp_eq_u32_e64 s20, 1, v3
	v_cmp_eq_u32_e64 s24, 2, v3
	;; [unrolled: 1-line block ×3, first 2 shown]
	s_wait_alu 0xfffe
	v_cndmask_b32_e64 v3, 0, 1, s13
	s_and_b32 s13, s12, s16
	v_cmp_eq_u32_e64 s21, 2, v30
	s_wait_alu 0xfffe
	v_cndmask_b32_e64 v4, 0, 1, s13
	s_and_b32 s13, s9, s17
	v_cmp_eq_u32_e64 s25, 3, v30
	s_wait_alu 0xfffe
	v_cndmask_b32_e64 v28, 0, 1, s13
	s_and_b32 s13, s10, s18
	s_wait_alu 0xfffe
	v_cndmask_b32_e64 v29, 0, 1, s13
	s_and_b32 s13, s11, s19
	;; [unrolled: 3-line block ×3, first 2 shown]
	v_cmp_ne_u32_e64 s14, 0, v29
	s_wait_alu 0xfffe
	v_cndmask_b32_e64 v31, 0, 1, s13
	s_and_b32 s13, s9, s21
	s_and_b32 s9, s9, s25
	s_wait_alu 0xfffe
	v_cndmask_b32_e64 v32, 0, 1, s13
	s_and_b32 s13, s10, s22
	v_cndmask_b32_e64 v36, 0, 1, s9
	s_and_b32 s9, s10, s26
	s_wait_alu 0xfffe
	v_cndmask_b32_e64 v33, 0, 1, s13
	s_and_b32 s13, s11, s23
	v_cndmask_b32_e64 v37, 0, 1, s9
	;; [unrolled: 5-line block ×3, first 2 shown]
	s_and_b32 s9, s12, s28
	s_wait_alu 0xfffe
	v_cndmask_b32_e64 v35, 0, 1, s13
	v_cndmask_b32_e64 v39, 0, 1, s9
	v_cmp_ne_u32_e64 s9, 0, v1
	v_cmp_ne_u32_e64 s13, 0, v28
	;; [unrolled: 1-line block ×11, first 2 shown]
	s_bcnt1_i32_b32 s9, s9
	s_bcnt1_i32_b32 s13, s13
	;; [unrolled: 1-line block ×4, first 2 shown]
	v_cmp_ne_u32_e64 s12, 0, v4
	v_cmp_ne_u32_e64 s16, 0, v31
	;; [unrolled: 1-line block ×4, first 2 shown]
	s_bcnt1_i32_b32 s10, s10
	s_bcnt1_i32_b32 s14, s14
	s_bcnt1_i32_b32 s18, s18
	s_bcnt1_i32_b32 s22, s22
	s_wait_alu 0xfffe
	s_add_co_i32 s9, s9, s97
	s_add_co_i32 s13, s13, s96
	s_add_co_i32 s17, s17, s95
	s_add_co_i32 s21, s21, s94
	s_bcnt1_i32_b32 s11, s11
	s_bcnt1_i32_b32 s15, s15
	s_bcnt1_i32_b32 s19, s19
	s_bcnt1_i32_b32 s23, s23
	s_wait_alu 0xfffe
	s_add_co_i32 s9, s9, s10
	s_add_co_i32 s10, s13, s14
	s_add_co_i32 s13, s17, s18
	s_add_co_i32 s14, s21, s22
	;; [unrolled: 9-line block ×3, first 2 shown]
	s_wait_alu 0xfffe
	s_add_co_i32 s97, s9, s12
	s_add_co_i32 s96, s10, s16
	;; [unrolled: 1-line block ×4, first 2 shown]
	s_wait_alu 0xfffe
	v_dual_mov_b32 v1, s97 :: v_dual_mov_b32 v2, s96
	v_dual_mov_b32 v3, s95 :: v_dual_mov_b32 v4, s94
	s_or_b32 s92, vcc_lo, s92
	s_wait_alu 0xfffe
	s_and_not1_b32 exec_lo, exec_lo, s92
	s_cbranch_execnz .LBB2_48
; %bb.49:                               ;   in Loop: Header=BB2_7 Depth=1
	s_or_b32 exec_lo, exec_lo, s92
	s_delay_alu instid0(SALU_CYCLE_1)
	s_or_b32 exec_lo, exec_lo, s91
	v_mov_b32_e32 v30, 0
	s_and_saveexec_b32 s9, s6
	s_cbranch_execz .LBB2_46
.LBB2_50:                               ;   in Loop: Header=BB2_7 Depth=1
	global_load_u8 v30, v[7:8], off
	s_wait_alu 0xfffe
	s_or_b32 exec_lo, exec_lo, s9
	s_and_saveexec_b32 s13, s7
	s_cbranch_execz .LBB2_56
.LBB2_51:                               ;   in Loop: Header=BB2_7 Depth=1
	v_dual_mov_b32 v27, v21 :: v_dual_mov_b32 v28, v16
	s_mov_b32 s14, 0
	s_branch .LBB2_53
.LBB2_52:                               ;   in Loop: Header=BB2_53 Depth=2
	s_wait_alu 0xfffe
	s_or_b32 exec_lo, exec_lo, s9
	s_wait_loadcnt 0x0
	v_and_b32_e32 v30, 0xff, v30
	v_add_nc_u32_e32 v27, s74, v27
	s_delay_alu instid0(VALU_DEP_2) | instskip(SKIP_1) | instid1(VALU_DEP_2)
	v_and_b32_e32 v31, v24, v30
	v_bfe_u32 v30, v30, s90, 2
	v_cmp_eq_u32_e32 vcc_lo, v31, v10
	s_delay_alu instid0(VALU_DEP_2)
	v_cmp_eq_u32_e64 s9, 0, v30
	v_cmp_eq_u32_e64 s10, 1, v30
	;; [unrolled: 1-line block ×4, first 2 shown]
	s_and_b32 s9, vcc_lo, s9
	s_wait_alu 0xfffe
	v_cndmask_b32_e64 v30, 0, 1, s9
	s_and_b32 s9, vcc_lo, s10
	s_wait_alu 0xfffe
	v_cndmask_b32_e64 v31, 0, 1, s9
	;; [unrolled: 3-line block ×3, first 2 shown]
	s_and_b32 s9, vcc_lo, s12
	v_cmp_ne_u32_e32 vcc_lo, 0, v30
	s_wait_alu 0xfffe
	v_cndmask_b32_e64 v33, 0, 1, s9
	v_cmp_ne_u32_e64 s9, 0, v31
	v_cmp_ne_u32_e64 s10, 0, v32
	v_cmp_le_i32_e64 s12, s36, v28
	s_bcnt1_i32_b32 s15, vcc_lo
	v_cmp_ne_u32_e64 s11, 0, v33
	s_bcnt1_i32_b32 s9, s9
	s_bcnt1_i32_b32 s10, s10
	s_wait_alu 0xfffe
	v_add_nc_u32_e32 v1, s15, v1
	v_add_nc_u32_e32 v2, s9, v2
	s_bcnt1_i32_b32 s11, s11
	v_add_nc_u32_e32 v3, s10, v3
	s_wait_alu 0xfffe
	v_add_nc_u32_e32 v4, s11, v4
	v_mov_b32_e32 v30, v29
	s_or_b32 s14, s12, s14
	s_wait_alu 0xfffe
	s_and_not1_b32 exec_lo, exec_lo, s14
	s_cbranch_execz .LBB2_55
.LBB2_53:                               ;   Parent Loop BB2_7 Depth=1
                                        ; =>  This Inner Loop Header: Depth=2
	s_delay_alu instid0(VALU_DEP_1) | instskip(SKIP_1) | instid1(VALU_DEP_1)
	v_dual_mov_b32 v29, 0 :: v_dual_add_nc_u32 v28, s49, v28
	s_mov_b32 s9, exec_lo
	v_cmpx_gt_u32_e64 s36, v28
	s_cbranch_execz .LBB2_52
; %bb.54:                               ;   in Loop: Header=BB2_53 Depth=2
	v_ashrrev_i32_e32 v29, 31, v27
	v_add_co_u32 v31, vcc_lo, s60, v27
	s_wait_alu 0xfffd
	s_delay_alu instid0(VALU_DEP_2)
	v_add_co_ci_u32_e64 v32, null, s61, v29, vcc_lo
	global_load_u8 v29, v[31:32], off
	s_branch .LBB2_52
.LBB2_55:                               ;   in Loop: Header=BB2_7 Depth=1
	s_or_b32 exec_lo, exec_lo, s14
.LBB2_56:                               ;   in Loop: Header=BB2_7 Depth=1
	s_wait_alu 0xfffe
	s_or_b32 exec_lo, exec_lo, s13
	s_branch .LBB2_36
.LBB2_57:                               ;   in Loop: Header=BB2_7 Depth=1
	s_mul_u64 s[10:11], s[58:59], s[62:63]
	v_dual_mov_b32 v1, 0 :: v_dual_mov_b32 v2, 0
	s_wait_alu 0xfffe
	s_mul_i32 s9, s11, s51
	v_dual_mov_b32 v3, 0 :: v_dual_mov_b32 v4, 0
	s_wait_alu 0xfffe
	s_sub_co_i32 s9, s58, s9
	s_mov_b32 s92, exec_lo
	s_wait_alu 0xfffe
	s_sub_co_i32 s10, s9, s51
	s_cmp_ge_u32 s9, s51
	s_wait_alu 0xfffe
	s_cselect_b32 s9, s10, s9
	s_wait_alu 0xfffe
	s_sub_co_i32 s10, s9, s51
	s_cmp_ge_u32 s9, s51
	s_wait_alu 0xfffe
	s_cselect_b32 s9, s10, s9
	s_wait_alu 0xfffe
	s_sub_co_i32 s91, s58, s9
	s_wait_alu 0xfffe
	v_cmpx_gt_u32_e64 s91, v13
	s_cbranch_execz .LBB2_61
; %bb.58:                               ;   in Loop: Header=BB2_7 Depth=1
	v_mov_b32_e32 v27, v13
	s_mov_b32 s93, 0
	s_mov_b32 s94, 0
	;; [unrolled: 1-line block ×5, first 2 shown]
.LBB2_59:                               ;   Parent Loop BB2_7 Depth=1
                                        ; =>  This Inner Loop Header: Depth=2
	ds_load_b32 v1, v27
	s_wait_dscnt 0x0
	v_and_b32_e32 v2, 0xff, v1
	v_bfe_u32 v3, v1, 8, 8
	v_bfe_u32 v4, v1, 16, 8
	v_lshrrev_b32_e32 v1, 24, v1
	s_delay_alu instid0(VALU_DEP_4)
	v_and_b32_e32 v28, v24, v2
	v_bfe_u32 v2, v2, s90, 2
	v_and_b32_e32 v29, v24, v3
	v_bfe_u32 v3, v3, s90, 2
	s_wait_loadcnt 0x0
	v_and_b32_e32 v30, v24, v4
	v_bfe_u32 v4, v4, s90, 2
	v_cmp_eq_u32_e64 s9, v28, v10
	v_cmp_eq_u32_e64 s13, 0, v2
	v_and_b32_e32 v31, v24, v1
	v_bfe_u32 v1, v1, s90, 2
	v_cmp_eq_u32_e64 s10, v29, v10
	v_cmp_eq_u32_e64 s14, 0, v3
	;; [unrolled: 1-line block ×4, first 2 shown]
	s_and_b32 s13, s9, s13
	v_cmp_eq_u32_e64 s12, v31, v10
	v_cmp_eq_u32_e64 s16, 0, v1
	;; [unrolled: 1-line block ×5, first 2 shown]
	s_wait_alu 0xfffe
	v_cndmask_b32_e64 v1, 0, 1, s13
	s_and_b32 s13, s10, s14
	v_cmp_eq_u32_e64 s17, 1, v2
	v_cmp_eq_u32_e64 s21, 2, v2
	v_cmp_eq_u32_e64 s25, 3, v2
	s_wait_alu 0xfffe
	v_cndmask_b32_e64 v2, 0, 1, s13
	s_and_b32 s13, s11, s15
	v_cmp_eq_u32_e64 s18, 1, v3
	v_cmp_eq_u32_e64 s22, 2, v3
	v_cmp_eq_u32_e64 s26, 3, v3
	;; [unrolled: 6-line block ×3, first 2 shown]
	s_wait_alu 0xfffe
	v_cndmask_b32_e64 v4, 0, 1, s13
	s_and_b32 s13, s9, s17
	s_wait_alu 0xfffe
	v_cndmask_b32_e64 v28, 0, 1, s13
	s_and_b32 s13, s10, s18
	;; [unrolled: 3-line block ×4, first 2 shown]
	v_cmp_ne_u32_e64 s14, 0, v29
	s_wait_alu 0xfffe
	v_cndmask_b32_e64 v31, 0, 1, s13
	s_and_b32 s13, s9, s21
	s_and_b32 s9, s9, s25
	s_wait_alu 0xfffe
	v_cndmask_b32_e64 v32, 0, 1, s13
	s_and_b32 s13, s10, s22
	v_cndmask_b32_e64 v36, 0, 1, s9
	s_and_b32 s9, s10, s26
	s_wait_alu 0xfffe
	v_cndmask_b32_e64 v33, 0, 1, s13
	s_and_b32 s13, s11, s23
	v_cndmask_b32_e64 v37, 0, 1, s9
	;; [unrolled: 5-line block ×3, first 2 shown]
	s_and_b32 s9, s12, s28
	s_wait_alu 0xfffe
	v_cndmask_b32_e64 v35, 0, 1, s13
	v_cndmask_b32_e64 v39, 0, 1, s9
	v_cmp_ne_u32_e64 s9, 0, v1
	v_cmp_ne_u32_e64 s13, 0, v28
	v_cmp_ne_u32_e64 s10, 0, v2
	v_cmp_ne_u32_e64 s15, 0, v30
	v_cmp_ne_u32_e64 s17, 0, v32
	v_cmp_ne_u32_e64 s21, 0, v36
	s_bcnt1_i32_b32 s9, s9
	s_bcnt1_i32_b32 s13, s13
	v_cmp_ne_u32_e64 s16, 0, v31
	v_cmp_ne_u32_e64 s18, 0, v33
	;; [unrolled: 1-line block ×3, first 2 shown]
	s_bcnt1_i32_b32 s10, s10
	s_bcnt1_i32_b32 s14, s14
	s_wait_alu 0xfffe
	s_add_co_i32 s9, s9, s97
	s_add_co_i32 s13, s13, s96
	v_cmp_ne_u32_e64 s11, 0, v3
	v_cmp_ne_u32_e64 s19, 0, v34
	;; [unrolled: 1-line block ×3, first 2 shown]
	s_bcnt1_i32_b32 s15, s15
	s_wait_alu 0xfffe
	s_add_co_i32 s9, s9, s10
	s_add_co_i32 s10, s13, s14
	s_bcnt1_i32_b32 s17, s17
	s_bcnt1_i32_b32 s21, s21
	v_cmp_ne_u32_e64 s12, 0, v4
	v_cmp_ne_u32_e64 s20, 0, v35
	;; [unrolled: 1-line block ×3, first 2 shown]
	s_bcnt1_i32_b32 s16, s16
	s_wait_alu 0xfffe
	s_add_co_i32 s10, s10, s15
	s_bcnt1_i32_b32 s18, s18
	s_bcnt1_i32_b32 s22, s22
	s_add_co_i32 s17, s17, s95
	s_add_co_i32 s21, s21, s94
	s_wait_alu 0xfffe
	s_add_co_i32 s96, s10, s16
	s_wait_alu 0xfffe
	v_dual_mov_b32 v2, s96 :: v_dual_add_nc_u32 v27, s51, v27
	s_bcnt1_i32_b32 s11, s11
	s_bcnt1_i32_b32 s19, s19
	;; [unrolled: 1-line block ×3, first 2 shown]
	s_add_co_i32 s13, s17, s18
	s_add_co_i32 s14, s21, s22
	s_bcnt1_i32_b32 s12, s12
	s_bcnt1_i32_b32 s20, s20
	;; [unrolled: 1-line block ×3, first 2 shown]
	s_wait_alu 0xfffe
	s_add_co_i32 s9, s9, s11
	s_add_co_i32 s11, s13, s19
	;; [unrolled: 1-line block ×3, first 2 shown]
	v_cmp_le_i32_e32 vcc_lo, s91, v27
	s_wait_alu 0xfffe
	s_add_co_i32 s97, s9, s12
	s_add_co_i32 s95, s11, s20
	;; [unrolled: 1-line block ×3, first 2 shown]
	s_wait_alu 0xfffe
	v_mov_b32_e32 v1, s97
	v_dual_mov_b32 v3, s95 :: v_dual_mov_b32 v4, s94
	s_or_b32 s93, vcc_lo, s93
	s_wait_alu 0xfffe
	s_and_not1_b32 exec_lo, exec_lo, s93
	s_cbranch_execnz .LBB2_59
; %bb.60:                               ;   in Loop: Header=BB2_7 Depth=1
	s_or_b32 exec_lo, exec_lo, s93
.LBB2_61:                               ;   in Loop: Header=BB2_7 Depth=1
	s_delay_alu instid0(SALU_CYCLE_1) | instskip(SKIP_2) | instid1(VALU_DEP_1)
	s_or_b32 exec_lo, exec_lo, s92
	v_add_nc_u32_e32 v27, s91, v0
	s_mov_b32 s14, exec_lo
	v_cmpx_gt_i32_e64 s58, v27
	s_cbranch_execz .LBB2_65
; %bb.62:                               ;   in Loop: Header=BB2_7 Depth=1
	s_mov_b32 s15, 0
.LBB2_63:                               ;   Parent Loop BB2_7 Depth=1
                                        ; =>  This Inner Loop Header: Depth=2
	ds_load_u8 v28, v27
	v_add_nc_u32_e32 v27, s49, v27
	s_delay_alu instid0(VALU_DEP_1) | instskip(SKIP_3) | instid1(VALU_DEP_2)
	v_cmp_le_i32_e32 vcc_lo, s58, v27
	s_wait_dscnt 0x0
	v_and_b32_e32 v29, v24, v28
	v_bfe_u32 v28, v28, s90, 2
	v_cmp_eq_u32_e64 s9, v29, v10
	s_delay_alu instid0(VALU_DEP_2)
	v_cmp_eq_u32_e64 s10, 0, v28
	v_cmp_eq_u32_e64 s11, 1, v28
	;; [unrolled: 1-line block ×4, first 2 shown]
	s_and_b32 s10, s9, s10
	s_wait_alu 0xfffe
	v_cndmask_b32_e64 v28, 0, 1, s10
	s_and_b32 s10, s9, s11
	s_wait_alu 0xfffe
	v_cndmask_b32_e64 v29, 0, 1, s10
	s_and_b32 s10, s9, s12
	s_and_b32 s9, s9, s13
	s_wait_loadcnt 0x0
	s_wait_alu 0xfffe
	v_cndmask_b32_e64 v30, 0, 1, s10
	v_cndmask_b32_e64 v31, 0, 1, s9
	v_cmp_ne_u32_e64 s9, 0, v28
	v_cmp_ne_u32_e64 s10, 0, v29
	s_delay_alu instid0(VALU_DEP_4) | instskip(NEXT) | instid1(VALU_DEP_4)
	v_cmp_ne_u32_e64 s11, 0, v30
	v_cmp_ne_u32_e64 s12, 0, v31
	s_bcnt1_i32_b32 s9, s9
	s_bcnt1_i32_b32 s10, s10
	s_wait_alu 0xfffe
	v_add_nc_u32_e32 v1, s9, v1
	s_bcnt1_i32_b32 s11, s11
	s_bcnt1_i32_b32 s12, s12
	v_add_nc_u32_e32 v2, s10, v2
	s_wait_alu 0xfffe
	v_add_nc_u32_e32 v3, s11, v3
	v_add_nc_u32_e32 v4, s12, v4
	s_or_b32 s15, vcc_lo, s15
	s_wait_alu 0xfffe
	s_and_not1_b32 exec_lo, exec_lo, s15
	s_cbranch_execnz .LBB2_63
; %bb.64:                               ;   in Loop: Header=BB2_7 Depth=1
	s_or_b32 exec_lo, exec_lo, s15
.LBB2_65:                               ;   in Loop: Header=BB2_7 Depth=1
	s_wait_alu 0xfffe
	s_or_b32 exec_lo, exec_lo, s14
	v_lshlrev_b32_e32 v27, 7, v23
	s_and_saveexec_b32 s9, s0
	s_cbranch_execnz .LBB2_37
	s_branch .LBB2_38
.LBB2_66:                               ;   in Loop: Header=BB2_7 Depth=1
	s_or_b32 exec_lo, exec_lo, s12
	s_wait_dscnt 0x0
	s_barrier_signal -1
	s_barrier_wait -1
	global_inv scope:SCOPE_SE
	s_and_saveexec_b32 s9, s2
	s_cbranch_execz .LBB2_68
; %bb.67:                               ;   in Loop: Header=BB2_7 Depth=1
	ds_load_b32 v1, v14 offset:4104
	s_wait_dscnt 0x0
	ds_store_b32 v14, v1 offset:4096
.LBB2_68:                               ;   in Loop: Header=BB2_7 Depth=1
	s_wait_alu 0xfffe
	s_or_b32 exec_lo, exec_lo, s9
	s_wait_loadcnt_dscnt 0x0
	s_barrier_signal -1
	s_mov_b32 s9, -1
	s_barrier_wait -1
	s_and_b32 vcc_lo, exec_lo, s10
	s_wait_alu 0xfffe
	s_cbranch_vccnz .LBB2_22
	s_branch .LBB2_32
.LBB2_69:                               ;   in Loop: Header=BB2_7 Depth=1
	v_mov_b32_e32 v1, 0
	s_mov_b32 s10, 0
	s_and_not1_b32 vcc_lo, exec_lo, s80
	s_wait_alu 0xfffe
	s_cbranch_vccnz .LBB2_72
.LBB2_70:                               ;   in Loop: Header=BB2_7 Depth=1
	v_lshlrev_b32_e32 v2, 9, v23
	s_lshl_b32 s10, s10, 4
	s_wait_alu 0xfffe
	s_delay_alu instid0(VALU_DEP_1)
	v_add3_u32 v2, v2, s10, v22
	s_mov_b32 s10, s77
.LBB2_71:                               ;   Parent Loop BB2_7 Depth=1
                                        ; =>  This Inner Loop Header: Depth=2
	ds_load_b32 v3, v2
	v_add_nc_u32_e32 v2, 16, v2
	s_wait_alu 0xfffe
	s_add_co_i32 s10, s10, -1
	s_wait_alu 0xfffe
	s_cmp_lg_u32 s10, 0
	s_wait_dscnt 0x0
	v_add_nc_u32_e32 v1, v3, v1
	s_cbranch_scc1 .LBB2_71
.LBB2_72:                               ;   in Loop: Header=BB2_7 Depth=1
	v_add_lshl_u32 v2, v27, v12, 2
	ds_store_b32 v2, v1 offset:3072
.LBB2_73:                               ;   in Loop: Header=BB2_7 Depth=1
	s_wait_alu 0xfffe
	s_or_b32 exec_lo, exec_lo, s9
	v_lshlrev_b32_e32 v1, 2, v27
	s_wait_loadcnt_dscnt 0x0
	s_barrier_signal -1
	s_barrier_wait -1
	global_inv scope:SCOPE_SE
	ds_load_b128 v[1:4], v1 offset:3072
	s_lshl_b32 s10, 3, s90
	v_cmp_eq_u32_e32 vcc_lo, 1, v26
	s_wait_alu 0xfffe
	s_not_b32 s17, s10
	s_mov_b32 s13, -1
	s_mov_b32 s15, -1
                                        ; implicit-def: $sgpr20
                                        ; implicit-def: $sgpr18
	s_wait_dscnt 0x0
	v_readfirstlane_b32 s12, v1
	v_readfirstlane_b32 s19, v2
	;; [unrolled: 1-line block ×4, first 2 shown]
	s_cmp_eq_u32 s12, 1
	s_cselect_b32 s11, -1, 0
	s_wait_alu 0xfffe
	s_and_b32 s14, s11, vcc_lo
	s_wait_alu 0xfffe
	s_and_saveexec_b32 s11, s14
	s_cbranch_execz .LBB2_99
; %bb.74:                               ;   in Loop: Header=BB2_7 Depth=1
	ds_load_b32 v1, v14 offset:4096
	s_wait_loadcnt_dscnt 0x0
	s_barrier_signal -1
	s_barrier_wait -1
	global_inv scope:SCOPE_SE
	v_readfirstlane_b32 s15, v1
	s_and_saveexec_b32 s18, s1
; %bb.75:                               ;   in Loop: Header=BB2_7 Depth=1
	ds_store_b8 v0, v14 offset:3072
; %bb.76:                               ;   in Loop: Header=BB2_7 Depth=1
	s_wait_alu 0xfffe
	s_or_b32 exec_lo, exec_lo, s18
	v_and_b32_e32 v10, s17, v10
	v_or_b32_e32 v24, s10, v24
	s_mov_b32 s18, -1
	s_mov_b32 s20, 0
	s_cmp_lt_i32 s15, 1
	s_mov_b32 s21, 0
	s_mov_b32 s22, -1
	s_wait_loadcnt_dscnt 0x0
	s_barrier_signal -1
	s_barrier_wait -1
	global_inv scope:SCOPE_SE
                                        ; implicit-def: $vgpr25
	s_cbranch_scc0 .LBB2_87
; %bb.77:                               ;   in Loop: Header=BB2_7 Depth=1
	s_mov_b32 s22, 0
                                        ; implicit-def: $vgpr25
	s_and_saveexec_b32 s23, s8
	s_cbranch_execz .LBB2_86
; %bb.78:                               ;   in Loop: Header=BB2_7 Depth=1
	v_dual_mov_b32 v1, v11 :: v_dual_mov_b32 v2, v0
                                        ; implicit-def: $sgpr24
	s_branch .LBB2_81
.LBB2_79:                               ;   in Loop: Header=BB2_81 Depth=2
	s_wait_alu 0xfffe
	s_or_b32 exec_lo, exec_lo, s25
	s_wait_loadcnt_dscnt 0x0
	s_barrier_signal -1
	s_barrier_wait -1
	global_inv scope:SCOPE_SE
	ds_load_u16 v3, v14 offset:3072
	s_mov_b32 s25, -1
	s_mov_b32 s26, -1
	s_wait_loadcnt_dscnt 0x0
	s_barrier_signal -1
	s_barrier_wait -1
	global_inv scope:SCOPE_SE
	v_and_b32_e32 v4, 0xff, v3
	s_delay_alu instid0(VALU_DEP_1)
	v_cmp_ne_u32_e32 vcc_lo, 0, v4
	s_cbranch_vccz .LBB2_84
.LBB2_80:                               ;   in Loop: Header=BB2_81 Depth=2
	s_wait_alu 0xfffe
	s_and_b32 s25, exec_lo, s25
	s_wait_alu 0xfffe
	s_or_b32 s21, s25, s21
	s_and_not1_b32 s24, s24, exec_lo
	s_and_b32 s25, s26, exec_lo
	s_wait_alu 0xfffe
	s_or_b32 s24, s24, s25
	s_and_not1_b32 exec_lo, exec_lo, s21
	s_cbranch_execz .LBB2_85
.LBB2_81:                               ;   Parent Loop BB2_7 Depth=1
                                        ; =>  This Inner Loop Header: Depth=2
	s_mov_b32 s25, exec_lo
	s_delay_alu instid0(VALU_DEP_1)
	v_cmpx_gt_i32_e64 s36, v2
	s_cbranch_execz .LBB2_79
; %bb.82:                               ;   in Loop: Header=BB2_81 Depth=2
	v_ashrrev_i32_e32 v4, 31, v1
	v_add_co_u32 v3, vcc_lo, s60, v1
	s_wait_alu 0xfffd
	s_delay_alu instid0(VALU_DEP_2) | instskip(SKIP_3) | instid1(VALU_DEP_1)
	v_add_co_ci_u32_e64 v4, null, s61, v4, vcc_lo
	global_load_u8 v3, v[3:4], off
	s_wait_loadcnt 0x0
	v_and_b32_e32 v4, v3, v24
	v_and_b32_e32 v4, 0xff, v4
	s_delay_alu instid0(VALU_DEP_1)
	v_cmp_eq_u32_e32 vcc_lo, v4, v10
	s_and_b32 exec_lo, exec_lo, vcc_lo
	s_cbranch_execz .LBB2_79
; %bb.83:                               ;   in Loop: Header=BB2_81 Depth=2
	v_lshlrev_b16 v3, 8, v3
	s_delay_alu instid0(VALU_DEP_1)
	v_or_b32_e32 v3, 1, v3
	ds_store_b16 v14, v3 offset:3072
	s_branch .LBB2_79
.LBB2_84:                               ;   in Loop: Header=BB2_81 Depth=2
	v_add_nc_u32_e32 v2, s49, v2
	v_add_nc_u32_e32 v1, s74, v1
	s_mov_b32 s26, 0
	s_delay_alu instid0(VALU_DEP_2)
	v_cmp_le_i32_e32 vcc_lo, s82, v2
	s_or_not1_b32 s25, vcc_lo, exec_lo
	s_branch .LBB2_80
.LBB2_85:                               ;   in Loop: Header=BB2_7 Depth=1
	s_or_b32 exec_lo, exec_lo, s21
	v_and_b32_e32 v1, 0xffff, v3
	s_wait_alu 0xfffe
	s_and_b32 s21, s24, exec_lo
	s_delay_alu instid0(VALU_DEP_1)
	v_lshrrev_b32_e32 v25, 8, v1
.LBB2_86:                               ;   in Loop: Header=BB2_7 Depth=1
	s_wait_alu 0xfffe
	s_or_b32 exec_lo, exec_lo, s23
.LBB2_87:                               ;   in Loop: Header=BB2_7 Depth=1
	s_wait_alu 0xfffe
	s_and_b32 vcc_lo, exec_lo, s22
	s_wait_alu 0xfffe
	s_cbranch_vccz .LBB2_98
; %bb.88:                               ;   in Loop: Header=BB2_7 Depth=1
	s_add_co_i32 s20, s15, s56
                                        ; implicit-def: $vgpr25
	s_wait_alu 0xfffe
	s_abs_i32 s58, s20
	s_wait_alu 0xfffe
	s_mul_u64 s[22:23], s[58:59], s[64:65]
	s_ashr_i32 s22, s20, 31
	s_wait_alu 0xfffe
	s_mul_i32 s18, s23, s49
	s_wait_alu 0xfffe
	s_sub_co_i32 s18, s58, s18
	s_wait_alu 0xfffe
	s_sub_co_i32 s23, s18, s49
	s_cmp_ge_u32 s18, s49
	s_wait_alu 0xfffe
	s_cselect_b32 s18, s23, s18
	s_wait_alu 0xfffe
	s_sub_co_i32 s23, s18, s49
	s_cmp_ge_u32 s18, s49
	s_wait_alu 0xfffe
	s_cselect_b32 s18, s23, s18
	s_wait_alu 0xfffe
	s_xor_b32 s18, s18, s22
	s_wait_alu 0xfffe
	s_sub_co_i32 s18, s22, s18
	s_wait_alu 0xfffe
	s_add_co_i32 s20, s20, s18
	s_mov_b32 s18, exec_lo
	s_wait_alu 0xfffe
	v_cmpx_gt_i32_e64 s20, v0
	s_cbranch_execz .LBB2_97
; %bb.89:                               ;   in Loop: Header=BB2_7 Depth=1
	v_mov_b32_e32 v1, v0
	s_mov_b32 s23, 0
                                        ; implicit-def: $sgpr22
	s_branch .LBB2_92
.LBB2_90:                               ;   in Loop: Header=BB2_92 Depth=2
	s_wait_alu 0xfffe
	s_or_b32 exec_lo, exec_lo, s24
	s_wait_loadcnt_dscnt 0x0
	s_barrier_signal -1
	s_barrier_wait -1
	global_inv scope:SCOPE_SE
	ds_load_u16 v2, v14 offset:3072
	s_mov_b32 s25, -1
	s_mov_b32 s24, -1
	s_wait_loadcnt_dscnt 0x0
	s_barrier_signal -1
	s_barrier_wait -1
	global_inv scope:SCOPE_SE
	v_and_b32_e32 v3, 0xff, v2
	s_delay_alu instid0(VALU_DEP_1)
	v_cmp_ne_u32_e32 vcc_lo, 0, v3
	s_cbranch_vccz .LBB2_95
.LBB2_91:                               ;   in Loop: Header=BB2_92 Depth=2
	s_wait_alu 0xfffe
	s_and_b32 s25, exec_lo, s25
	s_wait_alu 0xfffe
	s_or_b32 s23, s25, s23
	s_and_not1_b32 s22, s22, exec_lo
	s_and_b32 s24, s24, exec_lo
	s_wait_alu 0xfffe
	s_or_b32 s22, s22, s24
	s_and_not1_b32 exec_lo, exec_lo, s23
	s_cbranch_execz .LBB2_96
.LBB2_92:                               ;   Parent Loop BB2_7 Depth=1
                                        ; =>  This Inner Loop Header: Depth=2
	s_mov_b32 s24, exec_lo
	s_delay_alu instid0(VALU_DEP_1)
	v_cmpx_gt_i32_e64 s15, v1
	s_cbranch_execz .LBB2_90
; %bb.93:                               ;   in Loop: Header=BB2_92 Depth=2
	ds_load_u8 v2, v1
	s_wait_dscnt 0x0
	v_and_b32_e32 v3, v2, v24
	s_delay_alu instid0(VALU_DEP_1) | instskip(NEXT) | instid1(VALU_DEP_1)
	v_and_b32_e32 v3, 0xff, v3
	v_cmp_eq_u32_e32 vcc_lo, v3, v10
	s_and_b32 exec_lo, exec_lo, vcc_lo
	s_cbranch_execz .LBB2_90
; %bb.94:                               ;   in Loop: Header=BB2_92 Depth=2
	v_lshlrev_b16 v2, 8, v2
	s_delay_alu instid0(VALU_DEP_1)
	v_or_b32_e32 v2, 1, v2
	ds_store_b16 v14, v2 offset:3072
	s_branch .LBB2_90
.LBB2_95:                               ;   in Loop: Header=BB2_92 Depth=2
	v_add_nc_u32_e32 v1, s49, v1
	s_mov_b32 s24, 0
	s_delay_alu instid0(VALU_DEP_1)
	v_cmp_le_i32_e32 vcc_lo, s20, v1
	s_or_not1_b32 s25, vcc_lo, exec_lo
	s_branch .LBB2_91
.LBB2_96:                               ;   in Loop: Header=BB2_7 Depth=1
	s_or_b32 exec_lo, exec_lo, s23
	v_and_b32_e32 v1, 0xffff, v2
	s_and_not1_b32 s15, s21, exec_lo
	s_wait_alu 0xfffe
	s_and_b32 s20, s22, exec_lo
	s_wait_alu 0xfffe
	s_or_b32 s21, s15, s20
	v_lshrrev_b32_e32 v25, 8, v1
.LBB2_97:                               ;   in Loop: Header=BB2_7 Depth=1
	s_or_b32 exec_lo, exec_lo, s18
	s_mov_b32 s18, 0
	s_mov_b32 s20, -1
.LBB2_98:                               ;   in Loop: Header=BB2_7 Depth=1
	s_wait_alu 0xfffe
	s_or_not1_b32 s15, s21, exec_lo
.LBB2_99:                               ;   in Loop: Header=BB2_7 Depth=1
	s_wait_alu 0xfffe
	s_or_b32 exec_lo, exec_lo, s11
	v_readfirstlane_b32 s21, v0
	s_and_not1_b32 s11, s88, exec_lo
	s_and_b32 s20, s20, exec_lo
	s_and_not1_b32 s22, s86, exec_lo
	s_and_b32 s18, s18, exec_lo
	s_and_not1_b32 s85, s85, exec_lo
	s_wait_alu 0xfffe
	s_or_b32 s88, s11, s20
	s_or_b32 s86, s22, s18
                                        ; implicit-def: $vgpr2
	s_and_saveexec_b32 s11, s15
	s_cbranch_execz .LBB2_6
; %bb.100:                              ;   in Loop: Header=BB2_7 Depth=1
	v_dual_mov_b32 v2, 1 :: v_dual_mov_b32 v1, 1
	s_xor_b32 s14, s14, -1
	s_mov_b32 s20, 0
	s_wait_alu 0xfffe
	s_and_saveexec_b32 s13, s14
	s_cbranch_execz .LBB2_109
; %bb.101:                              ;   in Loop: Header=BB2_7 Depth=1
	s_mov_b32 s14, exec_lo
	v_cmpx_ge_i32_e64 s12, v26
	s_wait_alu 0xfffe
	s_xor_b32 s14, exec_lo, s14
	s_cbranch_execz .LBB2_106
; %bb.102:                              ;   in Loop: Header=BB2_7 Depth=1
	ds_load_b32 v1, v14 offset:4096
	v_and_b32_e32 v10, s17, v10
	v_or_b32_e32 v24, s10, v24
	s_wait_dscnt 0x0
	v_cmp_ne_u32_e32 vcc_lo, 0, v1
	s_cbranch_vccnz .LBB2_106
; %bb.103:                              ;   in Loop: Header=BB2_7 Depth=1
	s_and_saveexec_b32 s15, s2
; %bb.104:                              ;   in Loop: Header=BB2_7 Depth=1
	v_mov_b32_e32 v1, s12
	ds_store_b32 v14, v1 offset:4100
; %bb.105:                              ;   in Loop: Header=BB2_7 Depth=1
	s_wait_alu 0xfffe
	s_or_b32 exec_lo, exec_lo, s15
	s_wait_loadcnt_dscnt 0x0
	s_barrier_signal -1
	s_barrier_wait -1
	global_inv scope:SCOPE_SE
.LBB2_106:                              ;   in Loop: Header=BB2_7 Depth=1
	s_wait_alu 0xfffe
	s_or_saveexec_b32 s14, s14
	v_mov_b32_e32 v1, 8
	s_mov_b32 s15, 0
	s_wait_alu 0xfffe
	s_xor_b32 exec_lo, exec_lo, s14
; %bb.107:                              ;   in Loop: Header=BB2_7 Depth=1
	v_subrev_nc_u32_e32 v26, s12, v26
	v_mov_b32_e32 v1, 0
	s_mov_b32 s15, exec_lo
; %bb.108:                              ;   in Loop: Header=BB2_7 Depth=1
	s_or_b32 exec_lo, exec_lo, s14
	s_delay_alu instid0(VALU_DEP_2)
	v_mov_b32_e32 v2, v26
	s_wait_alu 0xfffe
	s_and_b32 s20, s15, exec_lo
.LBB2_109:                              ;   in Loop: Header=BB2_7 Depth=1
	s_wait_alu 0xfffe
	s_or_b32 exec_lo, exec_lo, s13
	s_mov_b32 s12, -1
	s_mov_b32 s18, -1
                                        ; implicit-def: $sgpr14
                                        ; implicit-def: $sgpr15
	s_and_saveexec_b32 s13, s20
	s_wait_alu 0xfffe
	s_xor_b32 s13, exec_lo, s13
	s_cbranch_execz .LBB2_226
; %bb.110:                              ;   in Loop: Header=BB2_7 Depth=1
	v_cmp_eq_u32_e32 vcc_lo, 1, v2
	s_cmp_eq_u32 s19, 1
	s_mov_b32 s21, -1
	s_cselect_b32 s14, -1, 0
                                        ; implicit-def: $sgpr15
	s_wait_alu 0xfffe
	s_and_b32 s20, s14, vcc_lo
                                        ; implicit-def: $sgpr14
	s_wait_alu 0xfffe
	s_and_saveexec_b32 s18, s20
	s_cbranch_execz .LBB2_136
; %bb.111:                              ;   in Loop: Header=BB2_7 Depth=1
	ds_load_b32 v3, v14 offset:4096
	s_wait_loadcnt_dscnt 0x0
	s_barrier_signal -1
	s_barrier_wait -1
	global_inv scope:SCOPE_SE
	v_readfirstlane_b32 s21, v3
	s_and_saveexec_b32 s14, s1
; %bb.112:                              ;   in Loop: Header=BB2_7 Depth=1
	ds_store_b8 v0, v14 offset:3072
; %bb.113:                              ;   in Loop: Header=BB2_7 Depth=1
	s_wait_alu 0xfffe
	s_or_b32 exec_lo, exec_lo, s14
	s_lshl_b32 s14, 1, s90
	v_or_b32_e32 v24, s10, v24
	s_wait_alu 0xfffe
	v_and_or_b32 v10, v10, s17, s14
	s_mov_b32 s14, -1
	s_mov_b32 s15, 0
	s_cmp_gt_i32 s21, 0
	s_mov_b32 s22, 0
	s_mov_b32 s23, -1
	s_wait_loadcnt_dscnt 0x0
	s_barrier_signal -1
	s_barrier_wait -1
	global_inv scope:SCOPE_SE
                                        ; implicit-def: $vgpr25
	s_cbranch_scc1 .LBB2_124
; %bb.114:                              ;   in Loop: Header=BB2_7 Depth=1
	s_mov_b32 s23, 0
                                        ; implicit-def: $vgpr25
	s_and_saveexec_b32 s24, s8
	s_cbranch_execz .LBB2_123
; %bb.115:                              ;   in Loop: Header=BB2_7 Depth=1
	v_dual_mov_b32 v3, v11 :: v_dual_mov_b32 v4, v0
                                        ; implicit-def: $sgpr25
	s_branch .LBB2_118
.LBB2_116:                              ;   in Loop: Header=BB2_118 Depth=2
	s_wait_alu 0xfffe
	s_or_b32 exec_lo, exec_lo, s26
	s_wait_loadcnt_dscnt 0x0
	s_barrier_signal -1
	s_barrier_wait -1
	global_inv scope:SCOPE_SE
	ds_load_u16 v25, v14 offset:3072
	s_mov_b32 s26, -1
	s_mov_b32 s27, -1
	s_wait_loadcnt_dscnt 0x0
	s_barrier_signal -1
	s_barrier_wait -1
	global_inv scope:SCOPE_SE
	v_and_b32_e32 v26, 0xff, v25
	s_delay_alu instid0(VALU_DEP_1)
	v_cmp_ne_u32_e32 vcc_lo, 0, v26
	s_cbranch_vccz .LBB2_121
.LBB2_117:                              ;   in Loop: Header=BB2_118 Depth=2
	s_wait_alu 0xfffe
	s_and_b32 s26, exec_lo, s26
	s_wait_alu 0xfffe
	s_or_b32 s22, s26, s22
	s_and_not1_b32 s25, s25, exec_lo
	s_and_b32 s26, s27, exec_lo
	s_wait_alu 0xfffe
	s_or_b32 s25, s25, s26
	s_and_not1_b32 exec_lo, exec_lo, s22
	s_cbranch_execz .LBB2_122
.LBB2_118:                              ;   Parent Loop BB2_7 Depth=1
                                        ; =>  This Inner Loop Header: Depth=2
	s_mov_b32 s26, exec_lo
	s_delay_alu instid0(VALU_DEP_1)
	v_cmpx_gt_i32_e64 s36, v4
	s_cbranch_execz .LBB2_116
; %bb.119:                              ;   in Loop: Header=BB2_118 Depth=2
	v_ashrrev_i32_e32 v26, 31, v3
	v_add_co_u32 v25, vcc_lo, s60, v3
	s_wait_alu 0xfffd
	s_delay_alu instid0(VALU_DEP_2) | instskip(SKIP_3) | instid1(VALU_DEP_1)
	v_add_co_ci_u32_e64 v26, null, s61, v26, vcc_lo
	global_load_u8 v25, v[25:26], off
	s_wait_loadcnt 0x0
	v_and_b32_e32 v26, v25, v24
	v_and_b32_e32 v26, 0xff, v26
	s_delay_alu instid0(VALU_DEP_1)
	v_cmp_eq_u32_e32 vcc_lo, v26, v10
	s_and_b32 exec_lo, exec_lo, vcc_lo
	s_cbranch_execz .LBB2_116
; %bb.120:                              ;   in Loop: Header=BB2_118 Depth=2
	v_lshlrev_b16 v25, 8, v25
	s_delay_alu instid0(VALU_DEP_1)
	v_or_b32_e32 v25, 1, v25
	ds_store_b16 v14, v25 offset:3072
	s_branch .LBB2_116
.LBB2_121:                              ;   in Loop: Header=BB2_118 Depth=2
	v_add_nc_u32_e32 v4, s49, v4
	v_add_nc_u32_e32 v3, s74, v3
	s_mov_b32 s27, 0
	s_delay_alu instid0(VALU_DEP_2)
	v_cmp_le_i32_e32 vcc_lo, s82, v4
	s_or_not1_b32 s26, vcc_lo, exec_lo
	s_branch .LBB2_117
.LBB2_122:                              ;   in Loop: Header=BB2_7 Depth=1
	s_or_b32 exec_lo, exec_lo, s22
	v_and_b32_e32 v3, 0xffff, v25
	s_wait_alu 0xfffe
	s_and_b32 s22, s25, exec_lo
	s_delay_alu instid0(VALU_DEP_1)
	v_lshrrev_b32_e32 v25, 8, v3
.LBB2_123:                              ;   in Loop: Header=BB2_7 Depth=1
	s_wait_alu 0xfffe
	s_or_b32 exec_lo, exec_lo, s24
.LBB2_124:                              ;   in Loop: Header=BB2_7 Depth=1
	s_wait_alu 0xfffe
	s_and_b32 vcc_lo, exec_lo, s23
	s_wait_alu 0xfffe
	s_cbranch_vccz .LBB2_135
; %bb.125:                              ;   in Loop: Header=BB2_7 Depth=1
	s_add_co_i32 s23, s21, s56
                                        ; implicit-def: $vgpr25
	s_wait_alu 0xfffe
	s_abs_i32 s58, s23
	s_wait_alu 0xfffe
	s_mul_u64 s[14:15], s[58:59], s[64:65]
	s_wait_alu 0xfffe
	s_mul_i32 s14, s15, s49
	s_ashr_i32 s15, s23, 31
	s_wait_alu 0xfffe
	s_sub_co_i32 s14, s58, s14
	s_wait_alu 0xfffe
	s_sub_co_i32 s24, s14, s49
	s_cmp_ge_u32 s14, s49
	s_wait_alu 0xfffe
	s_cselect_b32 s14, s24, s14
	s_wait_alu 0xfffe
	s_sub_co_i32 s24, s14, s49
	s_cmp_ge_u32 s14, s49
	s_wait_alu 0xfffe
	s_cselect_b32 s14, s24, s14
	s_wait_alu 0xfffe
	s_xor_b32 s14, s14, s15
	s_wait_alu 0xfffe
	s_sub_co_i32 s14, s15, s14
	s_wait_alu 0xfffe
	s_add_co_i32 s15, s23, s14
	s_mov_b32 s14, exec_lo
	s_wait_alu 0xfffe
	v_cmpx_gt_i32_e64 s15, v0
	s_cbranch_execz .LBB2_134
; %bb.126:                              ;   in Loop: Header=BB2_7 Depth=1
	v_mov_b32_e32 v3, v0
	s_mov_b32 s23, 0
                                        ; implicit-def: $sgpr24
	s_branch .LBB2_129
.LBB2_127:                              ;   in Loop: Header=BB2_129 Depth=2
	s_wait_alu 0xfffe
	s_or_b32 exec_lo, exec_lo, s25
	s_wait_loadcnt_dscnt 0x0
	s_barrier_signal -1
	s_barrier_wait -1
	global_inv scope:SCOPE_SE
	ds_load_u16 v4, v14 offset:3072
	s_mov_b32 s26, -1
	s_mov_b32 s25, -1
	s_wait_loadcnt_dscnt 0x0
	s_barrier_signal -1
	s_barrier_wait -1
	global_inv scope:SCOPE_SE
	v_and_b32_e32 v25, 0xff, v4
	s_delay_alu instid0(VALU_DEP_1)
	v_cmp_eq_u32_e32 vcc_lo, 0, v25
	s_cbranch_vccnz .LBB2_132
.LBB2_128:                              ;   in Loop: Header=BB2_129 Depth=2
	s_wait_alu 0xfffe
	s_and_b32 s26, exec_lo, s26
	s_wait_alu 0xfffe
	s_or_b32 s23, s26, s23
	s_and_not1_b32 s24, s24, exec_lo
	s_and_b32 s25, s25, exec_lo
	s_wait_alu 0xfffe
	s_or_b32 s24, s24, s25
	s_and_not1_b32 exec_lo, exec_lo, s23
	s_cbranch_execz .LBB2_133
.LBB2_129:                              ;   Parent Loop BB2_7 Depth=1
                                        ; =>  This Inner Loop Header: Depth=2
	s_mov_b32 s25, exec_lo
	s_delay_alu instid0(VALU_DEP_1)
	v_cmpx_gt_i32_e64 s21, v3
	s_cbranch_execz .LBB2_127
; %bb.130:                              ;   in Loop: Header=BB2_129 Depth=2
	ds_load_u8 v4, v3
	s_wait_dscnt 0x0
	v_and_b32_e32 v25, v4, v24
	s_delay_alu instid0(VALU_DEP_1) | instskip(NEXT) | instid1(VALU_DEP_1)
	v_and_b32_e32 v25, 0xff, v25
	v_cmp_eq_u32_e32 vcc_lo, v25, v10
	s_and_b32 exec_lo, exec_lo, vcc_lo
	s_cbranch_execz .LBB2_127
; %bb.131:                              ;   in Loop: Header=BB2_129 Depth=2
	v_lshlrev_b16 v4, 8, v4
	s_delay_alu instid0(VALU_DEP_1)
	v_or_b32_e32 v4, 1, v4
	ds_store_b16 v14, v4 offset:3072
	s_branch .LBB2_127
.LBB2_132:                              ;   in Loop: Header=BB2_129 Depth=2
	v_add_nc_u32_e32 v3, s49, v3
	s_mov_b32 s25, 0
	s_delay_alu instid0(VALU_DEP_1)
	v_cmp_le_i32_e32 vcc_lo, s15, v3
	s_or_not1_b32 s26, vcc_lo, exec_lo
	s_branch .LBB2_128
.LBB2_133:                              ;   in Loop: Header=BB2_7 Depth=1
	s_or_b32 exec_lo, exec_lo, s23
	v_and_b32_e32 v3, 0xffff, v4
	s_and_not1_b32 s15, s22, exec_lo
	s_wait_alu 0xfffe
	s_and_b32 s21, s24, exec_lo
	s_wait_alu 0xfffe
	s_or_b32 s22, s15, s21
	v_lshrrev_b32_e32 v25, 8, v3
.LBB2_134:                              ;   in Loop: Header=BB2_7 Depth=1
	s_or_b32 exec_lo, exec_lo, s14
	s_mov_b32 s14, 0
	s_mov_b32 s15, -1
.LBB2_135:                              ;   in Loop: Header=BB2_7 Depth=1
	s_wait_alu 0xfffe
	s_or_not1_b32 s21, s22, exec_lo
.LBB2_136:                              ;   in Loop: Header=BB2_7 Depth=1
	s_wait_alu 0xfffe
	s_or_b32 exec_lo, exec_lo, s18
	s_mov_b32 s22, 0
	s_and_saveexec_b32 s18, s21
	s_cbranch_execz .LBB2_225
; %bb.137:                              ;   in Loop: Header=BB2_7 Depth=1
	v_mov_b32_e32 v3, 1
	v_mov_b32_e32 v1, 1
	s_xor_b32 s21, s20, -1
	s_mov_b32 s23, 0
	s_wait_alu 0xfffe
	s_and_saveexec_b32 s20, s21
	s_cbranch_execz .LBB2_146
; %bb.138:                              ;   in Loop: Header=BB2_7 Depth=1
	s_mov_b32 s21, exec_lo
	v_cmpx_ge_i32_e64 s19, v2
	s_wait_alu 0xfffe
	s_xor_b32 s21, exec_lo, s21
	s_cbranch_execz .LBB2_143
; %bb.139:                              ;   in Loop: Header=BB2_7 Depth=1
	ds_load_b32 v1, v14 offset:4096
	s_lshl_b32 s22, 1, s90
	v_or_b32_e32 v24, s10, v24
	s_wait_alu 0xfffe
	v_and_or_b32 v10, v10, s17, s22
	s_wait_dscnt 0x0
	v_cmp_ne_u32_e32 vcc_lo, 0, v1
	s_cbranch_vccnz .LBB2_143
; %bb.140:                              ;   in Loop: Header=BB2_7 Depth=1
	s_and_saveexec_b32 s22, s2
; %bb.141:                              ;   in Loop: Header=BB2_7 Depth=1
	v_mov_b32_e32 v1, s19
	ds_store_b32 v14, v1 offset:4100
; %bb.142:                              ;   in Loop: Header=BB2_7 Depth=1
	s_wait_alu 0xfffe
	s_or_b32 exec_lo, exec_lo, s22
	s_wait_loadcnt_dscnt 0x0
	s_barrier_signal -1
	s_barrier_wait -1
	global_inv scope:SCOPE_SE
.LBB2_143:                              ;   in Loop: Header=BB2_7 Depth=1
	s_wait_alu 0xfffe
	s_or_saveexec_b32 s21, s21
	v_mov_b32_e32 v1, 8
	s_mov_b32 s22, 0
	s_wait_alu 0xfffe
	s_xor_b32 exec_lo, exec_lo, s21
; %bb.144:                              ;   in Loop: Header=BB2_7 Depth=1
	v_subrev_nc_u32_e32 v2, s19, v2
	v_mov_b32_e32 v1, 0
	s_mov_b32 s22, exec_lo
; %bb.145:                              ;   in Loop: Header=BB2_7 Depth=1
	s_or_b32 exec_lo, exec_lo, s21
	s_delay_alu instid0(VALU_DEP_2)
	v_mov_b32_e32 v3, v2
	s_wait_alu 0xfffe
	s_and_b32 s23, s22, exec_lo
.LBB2_146:                              ;   in Loop: Header=BB2_7 Depth=1
	s_wait_alu 0xfffe
	s_or_b32 exec_lo, exec_lo, s20
	s_mov_b32 s22, -1
                                        ; implicit-def: $sgpr20
                                        ; implicit-def: $sgpr21
	s_and_saveexec_b32 s19, s23
	s_cbranch_execz .LBB2_224
; %bb.147:                              ;   in Loop: Header=BB2_7 Depth=1
	v_cmp_eq_u32_e32 vcc_lo, 1, v3
	s_cmp_eq_u32 s16, 1
	s_mov_b32 s24, -1
	s_cselect_b32 s20, -1, 0
                                        ; implicit-def: $sgpr21
	s_wait_alu 0xfffe
	s_and_b32 s23, s20, vcc_lo
                                        ; implicit-def: $sgpr20
	s_wait_alu 0xfffe
	s_and_saveexec_b32 s22, s23
	s_cbranch_execz .LBB2_173
; %bb.148:                              ;   in Loop: Header=BB2_7 Depth=1
	ds_load_b32 v2, v14 offset:4096
	s_wait_loadcnt_dscnt 0x0
	s_barrier_signal -1
	s_barrier_wait -1
	global_inv scope:SCOPE_SE
	v_readfirstlane_b32 s24, v2
	s_and_saveexec_b32 s20, s1
; %bb.149:                              ;   in Loop: Header=BB2_7 Depth=1
	ds_store_b8 v0, v14 offset:3072
; %bb.150:                              ;   in Loop: Header=BB2_7 Depth=1
	s_wait_alu 0xfffe
	s_or_b32 exec_lo, exec_lo, s20
	s_lshl_b32 s20, 2, s90
	v_or_b32_e32 v24, s10, v24
	s_wait_alu 0xfffe
	v_and_or_b32 v10, v10, s17, s20
	s_mov_b32 s20, -1
	s_mov_b32 s21, 0
	s_cmp_gt_i32 s24, 0
	s_mov_b32 s25, 0
	s_mov_b32 s26, -1
	s_wait_loadcnt_dscnt 0x0
	s_barrier_signal -1
	s_barrier_wait -1
	global_inv scope:SCOPE_SE
                                        ; implicit-def: $vgpr25
	s_cbranch_scc1 .LBB2_161
; %bb.151:                              ;   in Loop: Header=BB2_7 Depth=1
	s_mov_b32 s26, 0
                                        ; implicit-def: $vgpr25
	s_and_saveexec_b32 s27, s8
	s_cbranch_execz .LBB2_160
; %bb.152:                              ;   in Loop: Header=BB2_7 Depth=1
	v_mov_b32_e32 v2, v11
	v_mov_b32_e32 v4, v0
                                        ; implicit-def: $sgpr28
	s_branch .LBB2_155
.LBB2_153:                              ;   in Loop: Header=BB2_155 Depth=2
	s_wait_alu 0xfffe
	s_or_b32 exec_lo, exec_lo, s58
	s_wait_loadcnt_dscnt 0x0
	s_barrier_signal -1
	s_barrier_wait -1
	global_inv scope:SCOPE_SE
	ds_load_u16 v25, v14 offset:3072
	s_mov_b32 s58, -1
	s_mov_b32 s91, -1
	s_wait_loadcnt_dscnt 0x0
	s_barrier_signal -1
	s_barrier_wait -1
	global_inv scope:SCOPE_SE
	v_and_b32_e32 v26, 0xff, v25
	s_delay_alu instid0(VALU_DEP_1)
	v_cmp_ne_u32_e32 vcc_lo, 0, v26
	s_cbranch_vccz .LBB2_158
.LBB2_154:                              ;   in Loop: Header=BB2_155 Depth=2
	s_wait_alu 0xfffe
	s_and_b32 s58, exec_lo, s58
	s_wait_alu 0xfffe
	s_or_b32 s25, s58, s25
	s_and_not1_b32 s28, s28, exec_lo
	s_and_b32 s58, s91, exec_lo
	s_wait_alu 0xfffe
	s_or_b32 s28, s28, s58
	s_and_not1_b32 exec_lo, exec_lo, s25
	s_cbranch_execz .LBB2_159
.LBB2_155:                              ;   Parent Loop BB2_7 Depth=1
                                        ; =>  This Inner Loop Header: Depth=2
	s_mov_b32 s58, exec_lo
	s_delay_alu instid0(VALU_DEP_1)
	v_cmpx_gt_i32_e64 s36, v4
	s_cbranch_execz .LBB2_153
; %bb.156:                              ;   in Loop: Header=BB2_155 Depth=2
	v_ashrrev_i32_e32 v26, 31, v2
	v_add_co_u32 v25, vcc_lo, s60, v2
	s_wait_alu 0xfffd
	s_delay_alu instid0(VALU_DEP_2) | instskip(SKIP_3) | instid1(VALU_DEP_1)
	v_add_co_ci_u32_e64 v26, null, s61, v26, vcc_lo
	global_load_u8 v25, v[25:26], off
	s_wait_loadcnt 0x0
	v_and_b32_e32 v26, v25, v24
	v_and_b32_e32 v26, 0xff, v26
	s_delay_alu instid0(VALU_DEP_1)
	v_cmp_eq_u32_e32 vcc_lo, v26, v10
	s_and_b32 exec_lo, exec_lo, vcc_lo
	s_cbranch_execz .LBB2_153
; %bb.157:                              ;   in Loop: Header=BB2_155 Depth=2
	v_lshlrev_b16 v25, 8, v25
	s_delay_alu instid0(VALU_DEP_1)
	v_or_b32_e32 v25, 1, v25
	ds_store_b16 v14, v25 offset:3072
	s_branch .LBB2_153
.LBB2_158:                              ;   in Loop: Header=BB2_155 Depth=2
	v_add_nc_u32_e32 v4, s49, v4
	v_add_nc_u32_e32 v2, s74, v2
	s_mov_b32 s91, 0
	s_delay_alu instid0(VALU_DEP_2)
	v_cmp_le_i32_e32 vcc_lo, s82, v4
	s_or_not1_b32 s58, vcc_lo, exec_lo
	s_branch .LBB2_154
.LBB2_159:                              ;   in Loop: Header=BB2_7 Depth=1
	s_or_b32 exec_lo, exec_lo, s25
	v_and_b32_e32 v2, 0xffff, v25
	s_and_b32 s25, s28, exec_lo
	s_delay_alu instid0(VALU_DEP_1)
	v_lshrrev_b32_e32 v25, 8, v2
.LBB2_160:                              ;   in Loop: Header=BB2_7 Depth=1
	s_wait_alu 0xfffe
	s_or_b32 exec_lo, exec_lo, s27
.LBB2_161:                              ;   in Loop: Header=BB2_7 Depth=1
	s_wait_alu 0xfffe
	s_and_b32 vcc_lo, exec_lo, s26
	s_wait_alu 0xfffe
	s_cbranch_vccz .LBB2_172
; %bb.162:                              ;   in Loop: Header=BB2_7 Depth=1
	s_add_co_i32 s26, s24, s56
                                        ; implicit-def: $vgpr25
	s_wait_alu 0xfffe
	s_abs_i32 s58, s26
	s_wait_alu 0xfffe
	s_mul_u64 s[20:21], s[58:59], s[64:65]
	s_wait_alu 0xfffe
	s_mul_i32 s20, s21, s49
	s_ashr_i32 s21, s26, 31
	s_wait_alu 0xfffe
	s_sub_co_i32 s20, s58, s20
	s_wait_alu 0xfffe
	s_sub_co_i32 s27, s20, s49
	s_cmp_ge_u32 s20, s49
	s_wait_alu 0xfffe
	s_cselect_b32 s20, s27, s20
	s_wait_alu 0xfffe
	s_sub_co_i32 s27, s20, s49
	s_cmp_ge_u32 s20, s49
	s_wait_alu 0xfffe
	s_cselect_b32 s20, s27, s20
	s_wait_alu 0xfffe
	s_xor_b32 s20, s20, s21
	s_wait_alu 0xfffe
	s_sub_co_i32 s20, s21, s20
	s_wait_alu 0xfffe
	s_add_co_i32 s21, s26, s20
	s_mov_b32 s20, exec_lo
	s_wait_alu 0xfffe
	v_cmpx_gt_i32_e64 s21, v0
	s_cbranch_execz .LBB2_171
; %bb.163:                              ;   in Loop: Header=BB2_7 Depth=1
	v_mov_b32_e32 v2, v0
	s_mov_b32 s26, 0
                                        ; implicit-def: $sgpr27
	s_branch .LBB2_166
.LBB2_164:                              ;   in Loop: Header=BB2_166 Depth=2
	s_or_b32 exec_lo, exec_lo, s28
	s_wait_loadcnt_dscnt 0x0
	s_barrier_signal -1
	s_barrier_wait -1
	global_inv scope:SCOPE_SE
	ds_load_u16 v4, v14 offset:3072
	s_mov_b32 s58, -1
	s_mov_b32 s28, -1
	s_wait_loadcnt_dscnt 0x0
	s_barrier_signal -1
	s_barrier_wait -1
	global_inv scope:SCOPE_SE
	v_and_b32_e32 v25, 0xff, v4
	s_delay_alu instid0(VALU_DEP_1)
	v_cmp_eq_u32_e32 vcc_lo, 0, v25
	s_cbranch_vccnz .LBB2_169
.LBB2_165:                              ;   in Loop: Header=BB2_166 Depth=2
	s_wait_alu 0xfffe
	s_and_b32 s58, exec_lo, s58
	s_wait_alu 0xfffe
	s_or_b32 s26, s58, s26
	s_and_not1_b32 s27, s27, exec_lo
	s_and_b32 s28, s28, exec_lo
	s_wait_alu 0xfffe
	s_or_b32 s27, s27, s28
	s_and_not1_b32 exec_lo, exec_lo, s26
	s_cbranch_execz .LBB2_170
.LBB2_166:                              ;   Parent Loop BB2_7 Depth=1
                                        ; =>  This Inner Loop Header: Depth=2
	s_mov_b32 s28, exec_lo
	s_delay_alu instid0(VALU_DEP_1)
	v_cmpx_gt_i32_e64 s24, v2
	s_cbranch_execz .LBB2_164
; %bb.167:                              ;   in Loop: Header=BB2_166 Depth=2
	ds_load_u8 v4, v2
	s_wait_dscnt 0x0
	v_and_b32_e32 v25, v4, v24
	s_delay_alu instid0(VALU_DEP_1) | instskip(NEXT) | instid1(VALU_DEP_1)
	v_and_b32_e32 v25, 0xff, v25
	v_cmp_eq_u32_e32 vcc_lo, v25, v10
	s_and_b32 exec_lo, exec_lo, vcc_lo
	s_cbranch_execz .LBB2_164
; %bb.168:                              ;   in Loop: Header=BB2_166 Depth=2
	v_lshlrev_b16 v4, 8, v4
	s_delay_alu instid0(VALU_DEP_1)
	v_or_b32_e32 v4, 1, v4
	ds_store_b16 v14, v4 offset:3072
	s_branch .LBB2_164
.LBB2_169:                              ;   in Loop: Header=BB2_166 Depth=2
	v_add_nc_u32_e32 v2, s49, v2
	s_mov_b32 s28, 0
	s_delay_alu instid0(VALU_DEP_1)
	v_cmp_le_i32_e32 vcc_lo, s21, v2
	s_or_not1_b32 s58, vcc_lo, exec_lo
	s_branch .LBB2_165
.LBB2_170:                              ;   in Loop: Header=BB2_7 Depth=1
	s_or_b32 exec_lo, exec_lo, s26
	v_and_b32_e32 v2, 0xffff, v4
	s_and_not1_b32 s21, s25, exec_lo
	s_wait_alu 0xfffe
	s_and_b32 s24, s27, exec_lo
	s_wait_alu 0xfffe
	s_or_b32 s25, s21, s24
	v_lshrrev_b32_e32 v25, 8, v2
.LBB2_171:                              ;   in Loop: Header=BB2_7 Depth=1
	s_or_b32 exec_lo, exec_lo, s20
	s_mov_b32 s20, 0
	s_mov_b32 s21, -1
.LBB2_172:                              ;   in Loop: Header=BB2_7 Depth=1
	s_wait_alu 0xfffe
	s_or_not1_b32 s24, s25, exec_lo
.LBB2_173:                              ;   in Loop: Header=BB2_7 Depth=1
	s_wait_alu 0xfffe
	s_or_b32 exec_lo, exec_lo, s22
	s_mov_b32 s25, 0
	s_and_saveexec_b32 s22, s24
	s_cbranch_execz .LBB2_223
; %bb.174:                              ;   in Loop: Header=BB2_7 Depth=1
	v_dual_mov_b32 v2, 1 :: v_dual_mov_b32 v1, 1
	s_xor_b32 s24, s23, -1
	s_wait_alu 0xfffe
	s_and_saveexec_b32 s23, s24
	s_cbranch_execz .LBB2_183
; %bb.175:                              ;   in Loop: Header=BB2_7 Depth=1
	s_mov_b32 s24, exec_lo
	v_cmpx_ge_i32_e64 s16, v3
	s_wait_alu 0xfffe
	s_xor_b32 s24, exec_lo, s24
	s_cbranch_execz .LBB2_180
; %bb.176:                              ;   in Loop: Header=BB2_7 Depth=1
	ds_load_b32 v1, v14 offset:4096
	s_lshl_b32 s25, 2, s90
	v_or_b32_e32 v24, s10, v24
	s_wait_alu 0xfffe
	v_and_or_b32 v10, v10, s17, s25
	s_wait_dscnt 0x0
	v_cmp_ne_u32_e32 vcc_lo, 0, v1
	s_cbranch_vccnz .LBB2_180
; %bb.177:                              ;   in Loop: Header=BB2_7 Depth=1
	s_and_saveexec_b32 s17, s2
; %bb.178:                              ;   in Loop: Header=BB2_7 Depth=1
	v_mov_b32_e32 v1, s16
	ds_store_b32 v14, v1 offset:4100
; %bb.179:                              ;   in Loop: Header=BB2_7 Depth=1
	s_wait_alu 0xfffe
	s_or_b32 exec_lo, exec_lo, s17
	s_wait_loadcnt_dscnt 0x0
	s_barrier_signal -1
	s_barrier_wait -1
	global_inv scope:SCOPE_SE
.LBB2_180:                              ;   in Loop: Header=BB2_7 Depth=1
	s_wait_alu 0xfffe
	s_or_saveexec_b32 s17, s24
	v_mov_b32_e32 v1, 8
	s_mov_b32 s24, 0
	s_wait_alu 0xfffe
	s_xor_b32 exec_lo, exec_lo, s17
; %bb.181:                              ;   in Loop: Header=BB2_7 Depth=1
	v_subrev_nc_u32_e32 v3, s16, v3
	v_mov_b32_e32 v1, 0
	s_mov_b32 s24, exec_lo
; %bb.182:                              ;   in Loop: Header=BB2_7 Depth=1
	s_or_b32 exec_lo, exec_lo, s17
	s_delay_alu instid0(VALU_DEP_2)
	v_mov_b32_e32 v2, v3
	s_wait_alu 0xfffe
	s_and_b32 s25, s24, exec_lo
.LBB2_183:                              ;   in Loop: Header=BB2_7 Depth=1
	s_wait_alu 0xfffe
	s_or_b32 exec_lo, exec_lo, s23
	s_mov_b32 s17, -1
                                        ; implicit-def: $sgpr24
                                        ; implicit-def: $sgpr23
	s_and_saveexec_b32 s16, s25
	s_cbranch_execz .LBB2_222
; %bb.184:                              ;   in Loop: Header=BB2_7 Depth=1
	v_cmp_eq_u32_e32 vcc_lo, 1, v2
	s_cmp_eq_u32 s9, 1
	s_mov_b32 s26, -1
	s_cselect_b32 s17, -1, 0
                                        ; implicit-def: $sgpr24
                                        ; implicit-def: $sgpr23
	s_wait_alu 0xfffe
	s_and_b32 s17, s17, vcc_lo
	s_wait_alu 0xfffe
	s_and_saveexec_b32 s25, s17
	s_cbranch_execz .LBB2_210
; %bb.185:                              ;   in Loop: Header=BB2_7 Depth=1
	ds_load_b32 v3, v14 offset:4096
	s_wait_loadcnt_dscnt 0x0
	s_barrier_signal -1
	s_barrier_wait -1
	global_inv scope:SCOPE_SE
	v_readfirstlane_b32 s26, v3
	s_and_saveexec_b32 s23, s1
; %bb.186:                              ;   in Loop: Header=BB2_7 Depth=1
	ds_store_b8 v0, v14 offset:3072
; %bb.187:                              ;   in Loop: Header=BB2_7 Depth=1
	s_wait_alu 0xfffe
	s_or_b32 exec_lo, exec_lo, s23
	v_or_b32_e32 v10, s10, v10
	v_or_b32_e32 v24, s10, v24
	s_mov_b32 s23, -1
	s_mov_b32 s24, 0
	s_cmp_gt_i32 s26, 0
	s_mov_b32 s27, 0
	s_mov_b32 s28, -1
	s_wait_loadcnt_dscnt 0x0
	s_barrier_signal -1
	s_barrier_wait -1
	global_inv scope:SCOPE_SE
                                        ; implicit-def: $vgpr25
	s_cbranch_scc1 .LBB2_198
; %bb.188:                              ;   in Loop: Header=BB2_7 Depth=1
	s_mov_b32 s28, 0
                                        ; implicit-def: $vgpr25
	s_and_saveexec_b32 s58, s8
	s_cbranch_execz .LBB2_197
; %bb.189:                              ;   in Loop: Header=BB2_7 Depth=1
	v_dual_mov_b32 v3, v11 :: v_dual_mov_b32 v4, v0
                                        ; implicit-def: $sgpr91
	s_branch .LBB2_192
.LBB2_190:                              ;   in Loop: Header=BB2_192 Depth=2
	s_wait_alu 0xfffe
	s_or_b32 exec_lo, exec_lo, s92
	s_wait_loadcnt_dscnt 0x0
	s_barrier_signal -1
	s_barrier_wait -1
	global_inv scope:SCOPE_SE
	ds_load_u16 v25, v14 offset:3072
	s_mov_b32 s92, -1
	s_mov_b32 s93, -1
	s_wait_loadcnt_dscnt 0x0
	s_barrier_signal -1
	s_barrier_wait -1
	global_inv scope:SCOPE_SE
	v_and_b32_e32 v26, 0xff, v25
	s_delay_alu instid0(VALU_DEP_1)
	v_cmp_ne_u32_e32 vcc_lo, 0, v26
	s_cbranch_vccz .LBB2_195
.LBB2_191:                              ;   in Loop: Header=BB2_192 Depth=2
	s_wait_alu 0xfffe
	s_and_b32 s92, exec_lo, s92
	s_wait_alu 0xfffe
	s_or_b32 s27, s92, s27
	s_and_not1_b32 s91, s91, exec_lo
	s_and_b32 s92, s93, exec_lo
	s_wait_alu 0xfffe
	s_or_b32 s91, s91, s92
	s_and_not1_b32 exec_lo, exec_lo, s27
	s_cbranch_execz .LBB2_196
.LBB2_192:                              ;   Parent Loop BB2_7 Depth=1
                                        ; =>  This Inner Loop Header: Depth=2
	s_mov_b32 s92, exec_lo
	s_delay_alu instid0(VALU_DEP_1)
	v_cmpx_gt_i32_e64 s36, v4
	s_cbranch_execz .LBB2_190
; %bb.193:                              ;   in Loop: Header=BB2_192 Depth=2
	v_ashrrev_i32_e32 v26, 31, v3
	v_add_co_u32 v25, vcc_lo, s60, v3
	s_wait_alu 0xfffd
	s_delay_alu instid0(VALU_DEP_2) | instskip(SKIP_3) | instid1(VALU_DEP_1)
	v_add_co_ci_u32_e64 v26, null, s61, v26, vcc_lo
	global_load_u8 v25, v[25:26], off
	s_wait_loadcnt 0x0
	v_and_b32_e32 v26, v25, v24
	v_and_b32_e32 v26, 0xff, v26
	s_delay_alu instid0(VALU_DEP_1)
	v_cmp_eq_u32_e32 vcc_lo, v26, v10
	s_and_b32 exec_lo, exec_lo, vcc_lo
	s_cbranch_execz .LBB2_190
; %bb.194:                              ;   in Loop: Header=BB2_192 Depth=2
	v_lshlrev_b16 v25, 8, v25
	s_delay_alu instid0(VALU_DEP_1)
	v_or_b32_e32 v25, 1, v25
	ds_store_b16 v14, v25 offset:3072
	s_branch .LBB2_190
.LBB2_195:                              ;   in Loop: Header=BB2_192 Depth=2
	v_add_nc_u32_e32 v4, s49, v4
	v_add_nc_u32_e32 v3, s74, v3
	s_mov_b32 s93, 0
	s_delay_alu instid0(VALU_DEP_2)
	v_cmp_le_i32_e32 vcc_lo, s82, v4
	s_or_not1_b32 s92, vcc_lo, exec_lo
	s_branch .LBB2_191
.LBB2_196:                              ;   in Loop: Header=BB2_7 Depth=1
	s_or_b32 exec_lo, exec_lo, s27
	v_and_b32_e32 v3, 0xffff, v25
	s_wait_alu 0xfffe
	s_and_b32 s27, s91, exec_lo
	s_delay_alu instid0(VALU_DEP_1)
	v_lshrrev_b32_e32 v25, 8, v3
.LBB2_197:                              ;   in Loop: Header=BB2_7 Depth=1
	s_wait_alu 0xfffe
	s_or_b32 exec_lo, exec_lo, s58
.LBB2_198:                              ;   in Loop: Header=BB2_7 Depth=1
	s_delay_alu instid0(SALU_CYCLE_1)
	s_and_b32 vcc_lo, exec_lo, s28
	s_wait_alu 0xfffe
	s_cbranch_vccz .LBB2_209
; %bb.199:                              ;   in Loop: Header=BB2_7 Depth=1
	s_add_co_i32 s24, s26, s56
                                        ; implicit-def: $vgpr25
	s_wait_alu 0xfffe
	s_abs_i32 s58, s24
	s_ashr_i32 s28, s24, 31
	s_wait_alu 0xfffe
	s_mul_u64 s[92:93], s[58:59], s[64:65]
	s_wait_alu 0xfffe
	s_mul_i32 s23, s93, s49
	s_wait_alu 0xfffe
	s_sub_co_i32 s23, s58, s23
	s_wait_alu 0xfffe
	s_sub_co_i32 s58, s23, s49
	s_cmp_ge_u32 s23, s49
	s_wait_alu 0xfffe
	s_cselect_b32 s23, s58, s23
	s_wait_alu 0xfffe
	s_sub_co_i32 s58, s23, s49
	s_cmp_ge_u32 s23, s49
	s_wait_alu 0xfffe
	s_cselect_b32 s23, s58, s23
	s_wait_alu 0xfffe
	s_xor_b32 s23, s23, s28
	s_wait_alu 0xfffe
	s_sub_co_i32 s23, s28, s23
	s_wait_alu 0xfffe
	s_add_co_i32 s24, s24, s23
	s_mov_b32 s23, exec_lo
	s_wait_alu 0xfffe
	v_cmpx_gt_i32_e64 s24, v0
	s_cbranch_execz .LBB2_208
; %bb.200:                              ;   in Loop: Header=BB2_7 Depth=1
	v_mov_b32_e32 v3, v0
	s_mov_b32 s28, 0
                                        ; implicit-def: $sgpr58
	s_branch .LBB2_203
.LBB2_201:                              ;   in Loop: Header=BB2_203 Depth=2
	s_wait_alu 0xfffe
	s_or_b32 exec_lo, exec_lo, s91
	s_wait_loadcnt_dscnt 0x0
	s_barrier_signal -1
	s_barrier_wait -1
	global_inv scope:SCOPE_SE
	ds_load_u16 v4, v14 offset:3072
	s_mov_b32 s92, -1
	s_mov_b32 s91, -1
	s_wait_loadcnt_dscnt 0x0
	s_barrier_signal -1
	s_barrier_wait -1
	global_inv scope:SCOPE_SE
	v_and_b32_e32 v25, 0xff, v4
	s_delay_alu instid0(VALU_DEP_1)
	v_cmp_eq_u32_e32 vcc_lo, 0, v25
	s_cbranch_vccnz .LBB2_206
.LBB2_202:                              ;   in Loop: Header=BB2_203 Depth=2
	s_wait_alu 0xfffe
	s_and_b32 s92, exec_lo, s92
	s_wait_alu 0xfffe
	s_or_b32 s28, s92, s28
	s_and_not1_b32 s58, s58, exec_lo
	s_and_b32 s91, s91, exec_lo
	s_wait_alu 0xfffe
	s_or_b32 s58, s58, s91
	s_and_not1_b32 exec_lo, exec_lo, s28
	s_cbranch_execz .LBB2_207
.LBB2_203:                              ;   Parent Loop BB2_7 Depth=1
                                        ; =>  This Inner Loop Header: Depth=2
	s_mov_b32 s91, exec_lo
	s_delay_alu instid0(VALU_DEP_1)
	v_cmpx_gt_i32_e64 s26, v3
	s_cbranch_execz .LBB2_201
; %bb.204:                              ;   in Loop: Header=BB2_203 Depth=2
	ds_load_u8 v4, v3
	s_wait_dscnt 0x0
	v_and_b32_e32 v25, v4, v24
	s_delay_alu instid0(VALU_DEP_1) | instskip(NEXT) | instid1(VALU_DEP_1)
	v_and_b32_e32 v25, 0xff, v25
	v_cmp_eq_u32_e32 vcc_lo, v25, v10
	s_and_b32 exec_lo, exec_lo, vcc_lo
	s_cbranch_execz .LBB2_201
; %bb.205:                              ;   in Loop: Header=BB2_203 Depth=2
	v_lshlrev_b16 v4, 8, v4
	s_delay_alu instid0(VALU_DEP_1)
	v_or_b32_e32 v4, 1, v4
	ds_store_b16 v14, v4 offset:3072
	s_branch .LBB2_201
.LBB2_206:                              ;   in Loop: Header=BB2_203 Depth=2
	v_add_nc_u32_e32 v3, s49, v3
	s_mov_b32 s91, 0
	s_delay_alu instid0(VALU_DEP_1)
	v_cmp_le_i32_e32 vcc_lo, s24, v3
	s_or_not1_b32 s92, vcc_lo, exec_lo
	s_branch .LBB2_202
.LBB2_207:                              ;   in Loop: Header=BB2_7 Depth=1
	s_or_b32 exec_lo, exec_lo, s28
	v_and_b32_e32 v3, 0xffff, v4
	s_and_not1_b32 s24, s27, exec_lo
	s_wait_alu 0xfffe
	s_and_b32 s26, s58, exec_lo
	s_wait_alu 0xfffe
	s_or_b32 s27, s24, s26
	v_lshrrev_b32_e32 v25, 8, v3
.LBB2_208:                              ;   in Loop: Header=BB2_7 Depth=1
	s_or_b32 exec_lo, exec_lo, s23
	s_mov_b32 s23, 0
	s_mov_b32 s24, -1
.LBB2_209:                              ;   in Loop: Header=BB2_7 Depth=1
	s_wait_alu 0xfffe
	s_or_not1_b32 s26, s27, exec_lo
.LBB2_210:                              ;   in Loop: Header=BB2_7 Depth=1
	s_wait_alu 0xfffe
	s_or_b32 exec_lo, exec_lo, s25
	s_mov_b32 s27, 0
	s_and_saveexec_b32 s25, s26
	s_cbranch_execz .LBB2_221
; %bb.211:                              ;   in Loop: Header=BB2_7 Depth=1
	v_mov_b32_e32 v1, 1
	v_mov_b32_e32 v3, 1
	s_xor_b32 s26, s17, -1
	s_wait_alu 0xfffe
	s_and_saveexec_b32 s17, s26
	s_cbranch_execz .LBB2_220
; %bb.212:                              ;   in Loop: Header=BB2_7 Depth=1
	s_mov_b32 s26, exec_lo
	v_cmpx_ge_i32_e64 s9, v2
	s_wait_alu 0xfffe
	s_xor_b32 s26, exec_lo, s26
	s_cbranch_execz .LBB2_217
; %bb.213:                              ;   in Loop: Header=BB2_7 Depth=1
	ds_load_b32 v1, v14 offset:4096
	v_or_b32_e32 v10, s10, v10
	v_or_b32_e32 v24, s10, v24
	s_wait_dscnt 0x0
	v_cmp_ne_u32_e32 vcc_lo, 0, v1
	s_cbranch_vccnz .LBB2_217
; %bb.214:                              ;   in Loop: Header=BB2_7 Depth=1
	s_and_saveexec_b32 s10, s2
; %bb.215:                              ;   in Loop: Header=BB2_7 Depth=1
	v_mov_b32_e32 v1, s9
	ds_store_b32 v14, v1 offset:4100
; %bb.216:                              ;   in Loop: Header=BB2_7 Depth=1
	s_wait_alu 0xfffe
	s_or_b32 exec_lo, exec_lo, s10
	s_wait_loadcnt_dscnt 0x0
	s_barrier_signal -1
	s_barrier_wait -1
	global_inv scope:SCOPE_SE
.LBB2_217:                              ;   in Loop: Header=BB2_7 Depth=1
	s_wait_alu 0xfffe
	s_and_not1_saveexec_b32 s10, s26
; %bb.218:                              ;   in Loop: Header=BB2_7 Depth=1
	v_subrev_nc_u32_e32 v2, s9, v2
; %bb.219:                              ;   in Loop: Header=BB2_7 Depth=1
	s_wait_alu 0xfffe
	s_or_b32 exec_lo, exec_lo, s10
	v_mov_b32_e32 v1, 8
	s_delay_alu instid0(VALU_DEP_2)
	v_mov_b32_e32 v3, v2
.LBB2_220:                              ;   in Loop: Header=BB2_7 Depth=1
	s_wait_alu 0xfffe
	s_or_b32 exec_lo, exec_lo, s17
	s_delay_alu instid0(VALU_DEP_1)
	v_mov_b32_e32 v2, v3
	s_mov_b32 s27, exec_lo
.LBB2_221:                              ;   in Loop: Header=BB2_7 Depth=1
	s_wait_alu 0xfffe
	s_or_b32 exec_lo, exec_lo, s25
	s_delay_alu instid0(SALU_CYCLE_1)
	s_or_not1_b32 s17, s27, exec_lo
.LBB2_222:                              ;   in Loop: Header=BB2_7 Depth=1
	s_wait_alu 0xfffe
	s_or_b32 exec_lo, exec_lo, s16
	v_mov_b32_e32 v3, v2
	s_and_not1_b32 s9, s21, exec_lo
	s_and_b32 s10, s24, exec_lo
	s_and_not1_b32 s16, s20, exec_lo
	s_and_b32 s20, s23, exec_lo
	s_wait_alu 0xfffe
	s_or_b32 s21, s9, s10
	s_or_b32 s20, s16, s20
	s_and_b32 s25, s17, exec_lo
.LBB2_223:                              ;   in Loop: Header=BB2_7 Depth=1
	s_wait_alu 0xfffe
	s_or_b32 exec_lo, exec_lo, s22
	s_delay_alu instid0(SALU_CYCLE_1)
	s_or_not1_b32 s22, s25, exec_lo
.LBB2_224:                              ;   in Loop: Header=BB2_7 Depth=1
	s_wait_alu 0xfffe
	s_or_b32 exec_lo, exec_lo, s19
	v_mov_b32_e32 v2, v3
	s_and_not1_b32 s9, s15, exec_lo
	s_and_b32 s10, s21, exec_lo
	s_and_not1_b32 s14, s14, exec_lo
	s_and_b32 s16, s20, exec_lo
	s_wait_alu 0xfffe
	s_or_b32 s15, s9, s10
	s_or_b32 s14, s14, s16
	s_and_b32 s22, s22, exec_lo
.LBB2_225:                              ;   in Loop: Header=BB2_7 Depth=1
	s_wait_alu 0xfffe
	s_or_b32 exec_lo, exec_lo, s18
	s_delay_alu instid0(SALU_CYCLE_1)
	s_or_not1_b32 s18, s22, exec_lo
.LBB2_226:                              ;   in Loop: Header=BB2_7 Depth=1
	s_wait_alu 0xfffe
	s_or_b32 exec_lo, exec_lo, s13
	s_mov_b32 s10, 0
                                        ; implicit-def: $sgpr21
	s_and_saveexec_b32 s9, s18
	s_wait_alu 0xfffe
	s_xor_b32 s9, exec_lo, s9
	s_cbranch_execz .LBB2_5
; %bb.227:                              ;   in Loop: Header=BB2_7 Depth=1
	v_and_b32_e32 v1, 7, v1
	s_mov_b32 s12, -1
	s_mov_b32 s10, -1
	s_mov_b32 s13, exec_lo
                                        ; implicit-def: $sgpr21
	s_delay_alu instid0(VALU_DEP_1)
	v_cmpx_eq_u32_e32 0, v1
	s_cbranch_execz .LBB2_4
; %bb.228:                              ;   in Loop: Header=BB2_7 Depth=1
	s_add_co_i32 s21, s90, -2
	s_cmp_eq_u32 s90, 0
	v_xor_b32_e32 v23, 1, v23
	s_cselect_b32 s12, -1, 0
	s_xor_b32 s10, exec_lo, -1
	s_wait_alu 0xfffe
	s_or_not1_b32 s12, s12, exec_lo
	s_branch .LBB2_4
.LBB2_229:
	s_or_b32 exec_lo, exec_lo, s83
	s_xor_b32 s4, s89, -1
	s_xor_b32 s0, s87, -1
	s_xor_b32 s3, s84, -1
	s_mov_b32 s1, 0
	s_wait_alu 0xfffe
	s_and_saveexec_b32 s5, s0
	s_wait_alu 0xfffe
	s_xor_b32 s0, exec_lo, s5
	s_cbranch_execnz .LBB2_234
; %bb.230:
	s_wait_alu 0xfffe
	s_and_not1_saveexec_b32 s0, s0
	s_cbranch_execnz .LBB2_254
.LBB2_231:
	s_wait_alu 0xfffe
	s_or_b32 exec_lo, exec_lo, s0
	s_and_saveexec_b32 s0, s1
.LBB2_232:
	; divergent unreachable
.LBB2_233:
	s_endpgm
.LBB2_234:
	s_and_saveexec_b32 s1, s4
	s_wait_alu 0xfffe
	s_xor_b32 s1, exec_lo, s1
	s_cbranch_execz .LBB2_252
; %bb.235:
	s_and_saveexec_b32 s4, s3
	s_wait_alu 0xfffe
	s_xor_b32 s3, exec_lo, s4
; %bb.236:
	v_mov_b32_e32 v25, v10
; %bb.237:
	s_wait_alu 0xfffe
	s_or_b32 exec_lo, exec_lo, s3
	s_and_saveexec_b32 s3, s2
; %bb.238:
	v_dual_mov_b32 v1, 0 :: v_dual_mov_b32 v2, s36
	ds_store_b32 v1, v2 offset:4108
; %bb.239:
	s_wait_alu 0xfffe
	s_or_b32 exec_lo, exec_lo, s3
	v_mov_b32_e32 v1, 0
	s_wait_loadcnt_dscnt 0x0
	s_barrier_signal -1
	s_barrier_wait -1
	global_inv scope:SCOPE_SE
	ds_load_b32 v1, v1 offset:4108
	s_mov_b32 s3, exec_lo
	s_wait_dscnt 0x0
	v_min_i32_e32 v1, s36, v1
	s_delay_alu instid0(VALU_DEP_1)
	v_cmpx_lt_i32_e64 v0, v1
	s_cbranch_execz .LBB2_249
; %bb.240:
	v_and_b32_e32 v3, 0xff, v25
	s_mov_b32 s4, 0
                                        ; implicit-def: $sgpr5
                                        ; implicit-def: $sgpr7
                                        ; implicit-def: $sgpr6
	s_branch .LBB2_242
.LBB2_241:                              ;   in Loop: Header=BB2_242 Depth=1
	s_wait_alu 0xfffe
	s_or_b32 exec_lo, exec_lo, s8
	s_delay_alu instid0(SALU_CYCLE_1)
	s_and_b32 s8, exec_lo, s7
	s_wait_alu 0xfffe
	s_or_b32 s4, s8, s4
	s_and_not1_b32 s5, s5, exec_lo
	s_and_b32 s8, s6, exec_lo
	s_wait_alu 0xfffe
	s_or_b32 s5, s5, s8
	s_and_not1_b32 exec_lo, exec_lo, s4
	s_cbranch_execz .LBB2_244
.LBB2_242:                              ; =>This Inner Loop Header: Depth=1
	v_ashrrev_i32_e32 v2, 31, v11
	v_add_co_u32 v4, vcc_lo, s60, v11
	s_or_b32 s6, s6, exec_lo
	s_or_b32 s7, s7, exec_lo
	s_wait_alu 0xfffd
	v_add_co_ci_u32_e64 v5, null, s61, v2, vcc_lo
	v_mov_b32_e32 v2, v0
	s_mov_b32 s8, exec_lo
                                        ; implicit-def: $vgpr0
	global_load_u8 v4, v[4:5], off
	s_wait_loadcnt 0x0
	v_cmpx_ne_u16_e64 v4, v3
	s_cbranch_execz .LBB2_241
; %bb.243:                              ;   in Loop: Header=BB2_242 Depth=1
	v_add_nc_u32_e32 v0, s49, v2
	v_add_nc_u32_e32 v11, s74, v11
	s_wait_alu 0xfffe
	s_and_not1_b32 s7, s7, exec_lo
	s_and_not1_b32 s6, s6, exec_lo
	v_cmp_ge_i32_e32 vcc_lo, v0, v1
	s_and_b32 s9, vcc_lo, exec_lo
	s_wait_alu 0xfffe
	s_or_b32 s7, s7, s9
	s_branch .LBB2_241
.LBB2_244:
	s_or_b32 exec_lo, exec_lo, s4
	s_wait_alu 0xfffe
	s_and_saveexec_b32 s4, s5
	s_wait_alu 0xfffe
	s_xor_b32 s4, exec_lo, s4
	s_cbranch_execz .LBB2_249
; %bb.245:
	s_mov_b32 s5, exec_lo
	s_brev_b32 s4, -2
.LBB2_246:                              ; =>This Inner Loop Header: Depth=1
	s_wait_alu 0xfffe
	s_ctz_i32_b32 s6, s5
	s_wait_alu 0xfffe
	v_readlane_b32 s7, v2, s6
	s_lshl_b32 s6, 1, s6
	s_wait_alu 0xfffe
	s_and_not1_b32 s5, s5, s6
	s_min_i32 s4, s4, s7
	s_wait_alu 0xfffe
	s_cmp_lg_u32 s5, 0
	s_cbranch_scc1 .LBB2_246
; %bb.247:
	v_mbcnt_lo_u32_b32 v0, exec_lo, 0
	s_mov_b32 s5, exec_lo
	s_delay_alu instid0(VALU_DEP_1)
	v_cmpx_eq_u32_e32 0, v0
	s_wait_alu 0xfffe
	s_xor_b32 s5, exec_lo, s5
; %bb.248:
	v_dual_mov_b32 v0, 0 :: v_dual_mov_b32 v1, s4
	ds_min_i32 v0, v1 offset:4108
.LBB2_249:
	s_wait_alu 0xfffe
	s_or_b32 exec_lo, exec_lo, s3
	s_wait_loadcnt_dscnt 0x0
	s_barrier_signal -1
	s_barrier_wait -1
	global_inv scope:SCOPE_SE
	s_and_saveexec_b32 s3, s2
	s_cbranch_execz .LBB2_251
; %bb.250:
	s_mul_i32 s4, s57, s47
	s_mul_i32 s2, s43, s31
	s_wait_alu 0xfffe
	s_sub_co_i32 s4, s48, s4
	s_sub_co_i32 s2, s33, s2
	s_xor_b32 s5, s71, s72
	s_add_co_i32 s6, s57, 1
	s_wait_alu 0xfffe
	s_sub_co_i32 s7, s4, s47
	s_cmp_ge_u32 s4, s47
	s_wait_kmcnt 0x0
	s_mul_i32 s2, s2, s46
	s_cselect_b32 s6, s6, s57
	s_wait_alu 0xfffe
	s_cselect_b32 s4, s7, s4
	s_add_co_i32 s7, s6, 1
	s_wait_alu 0xfffe
	s_cmp_ge_u32 s4, s47
	v_mov_b32_e32 v2, 0
	s_cselect_b32 s4, s7, s6
	s_mul_i32 s7, s29, s38
	s_wait_alu 0xfffe
	s_xor_b32 s4, s4, s5
	s_mul_i32 s6, s68, s35
	s_wait_alu 0xfffe
	s_sub_co_i32 s4, s4, s5
	s_sub_co_i32 s6, s33, s6
	s_wait_alu 0xfffe
	s_mul_i32 s5, s4, s30
	s_mul_i32 s4, s4, s44
	s_wait_alu 0xfffe
	s_sub_co_i32 s5, s43, s5
	s_xor_b32 s8, s69, s70
	s_wait_alu 0xfffe
	s_mul_i32 s5, s5, s45
	ds_load_b32 v0, v2 offset:4108
	s_wait_alu 0xfffe
	s_add_co_i32 s2, s5, s2
	s_sub_co_i32 s5, s50, s7
	s_wait_alu 0xfffe
	s_add_co_i32 s4, s2, s4
	s_add_co_i32 s2, s29, 1
	s_sub_co_i32 s7, s5, s38
	s_cmp_ge_u32 s5, s38
	s_mul_i32 s6, s6, s42
	s_wait_alu 0xfffe
	s_cselect_b32 s2, s2, s29
	s_cselect_b32 s5, s7, s5
	s_wait_alu 0xfffe
	s_add_co_i32 s7, s2, 1
	s_cmp_ge_u32 s5, s38
	s_wait_alu 0xfffe
	s_cselect_b32 s2, s7, s2
	s_wait_alu 0xfffe
	s_xor_b32 s2, s2, s8
	s_wait_alu 0xfffe
	s_sub_co_i32 s2, s2, s8
	s_wait_alu 0xfffe
	s_mul_i32 s5, s2, s34
	s_mul_i32 s2, s2, s40
	s_wait_alu 0xfffe
	s_sub_co_i32 s5, s68, s5
	s_wait_dscnt 0x0
	v_ashrrev_i32_e32 v1, 31, v0
	s_wait_alu 0xfffe
	s_mul_i32 s5, s5, s41
	s_wait_alu 0xfffe
	s_add_co_i32 s5, s5, s6
	s_wait_alu 0xfffe
	s_add_co_i32 s6, s5, s2
	s_ashr_i32 s5, s4, 31
	s_wait_alu 0xfffe
	s_ashr_i32 s7, s6, 31
	s_add_nc_u64 s[4:5], s[54:55], s[4:5]
	s_wait_alu 0xfffe
	s_lshl_b64 s[6:7], s[6:7], 3
	s_wait_alu 0xfffe
	s_add_nc_u64 s[6:7], s[52:53], s[6:7]
	s_clause 0x1
	global_store_b64 v2, v[0:1], s[6:7]
	global_store_b8 v2, v25, s[4:5]
.LBB2_251:
	s_wait_alu 0xfffe
	s_or_b32 exec_lo, exec_lo, s3
.LBB2_252:
	s_wait_alu 0xfffe
	s_or_saveexec_b32 s1, s1
	s_mov_b32 s2, 0
	s_wait_alu 0xfffe
	s_xor_b32 exec_lo, exec_lo, s1
	s_cbranch_execnz .LBB2_255
.LBB2_253:
	s_or_b32 exec_lo, exec_lo, s1
	s_wait_alu 0xfffe
	s_and_b32 s1, s2, exec_lo
	s_and_not1_saveexec_b32 s0, s0
	s_cbranch_execz .LBB2_231
.LBB2_254:
	s_wait_alu 0xfffe
	s_or_b32 s1, s1, exec_lo
	s_trap 2
	s_or_b32 exec_lo, exec_lo, s0
	s_wait_alu 0xfffe
	s_and_saveexec_b32 s0, s1
	s_cbranch_execnz .LBB2_232
	s_branch .LBB2_233
.LBB2_255:
	s_mov_b32 s2, exec_lo
	s_trap 2
	s_branch .LBB2_253
	.section	.rodata,"a",@progbits
	.p2align	6, 0x0
	.amdhsa_kernel _ZN2at6native12_GLOBAL__N_114gatherKthValueIhiLi3EEEvNS_4cuda6detail10TensorInfoIKT_T0_EES8_S8_S8_S8_NS5_IS6_S8_EENS5_IlS8_EE
		.amdhsa_group_segment_fixed_size 4112
		.amdhsa_private_segment_fixed_size 0
		.amdhsa_kernarg_size 920
		.amdhsa_user_sgpr_count 2
		.amdhsa_user_sgpr_dispatch_ptr 0
		.amdhsa_user_sgpr_queue_ptr 0
		.amdhsa_user_sgpr_kernarg_segment_ptr 1
		.amdhsa_user_sgpr_dispatch_id 0
		.amdhsa_user_sgpr_private_segment_size 0
		.amdhsa_wavefront_size32 1
		.amdhsa_uses_dynamic_stack 0
		.amdhsa_enable_private_segment 0
		.amdhsa_system_sgpr_workgroup_id_x 1
		.amdhsa_system_sgpr_workgroup_id_y 1
		.amdhsa_system_sgpr_workgroup_id_z 1
		.amdhsa_system_sgpr_workgroup_info 0
		.amdhsa_system_vgpr_workitem_id 0
		.amdhsa_next_free_vgpr 40
		.amdhsa_next_free_sgpr 98
		.amdhsa_reserve_vcc 1
		.amdhsa_float_round_mode_32 0
		.amdhsa_float_round_mode_16_64 0
		.amdhsa_float_denorm_mode_32 3
		.amdhsa_float_denorm_mode_16_64 3
		.amdhsa_fp16_overflow 0
		.amdhsa_workgroup_processor_mode 1
		.amdhsa_memory_ordered 1
		.amdhsa_forward_progress 1
		.amdhsa_inst_pref_size 92
		.amdhsa_round_robin_scheduling 0
		.amdhsa_exception_fp_ieee_invalid_op 0
		.amdhsa_exception_fp_denorm_src 0
		.amdhsa_exception_fp_ieee_div_zero 0
		.amdhsa_exception_fp_ieee_overflow 0
		.amdhsa_exception_fp_ieee_underflow 0
		.amdhsa_exception_fp_ieee_inexact 0
		.amdhsa_exception_int_div_zero 0
	.end_amdhsa_kernel
	.section	.text._ZN2at6native12_GLOBAL__N_114gatherKthValueIhiLi3EEEvNS_4cuda6detail10TensorInfoIKT_T0_EES8_S8_S8_S8_NS5_IS6_S8_EENS5_IlS8_EE,"axG",@progbits,_ZN2at6native12_GLOBAL__N_114gatherKthValueIhiLi3EEEvNS_4cuda6detail10TensorInfoIKT_T0_EES8_S8_S8_S8_NS5_IS6_S8_EENS5_IlS8_EE,comdat
.Lfunc_end2:
	.size	_ZN2at6native12_GLOBAL__N_114gatherKthValueIhiLi3EEEvNS_4cuda6detail10TensorInfoIKT_T0_EES8_S8_S8_S8_NS5_IS6_S8_EENS5_IlS8_EE, .Lfunc_end2-_ZN2at6native12_GLOBAL__N_114gatherKthValueIhiLi3EEEvNS_4cuda6detail10TensorInfoIKT_T0_EES8_S8_S8_S8_NS5_IS6_S8_EENS5_IlS8_EE
                                        ; -- End function
	.set _ZN2at6native12_GLOBAL__N_114gatherKthValueIhiLi3EEEvNS_4cuda6detail10TensorInfoIKT_T0_EES8_S8_S8_S8_NS5_IS6_S8_EENS5_IlS8_EE.num_vgpr, 40
	.set _ZN2at6native12_GLOBAL__N_114gatherKthValueIhiLi3EEEvNS_4cuda6detail10TensorInfoIKT_T0_EES8_S8_S8_S8_NS5_IS6_S8_EENS5_IlS8_EE.num_agpr, 0
	.set _ZN2at6native12_GLOBAL__N_114gatherKthValueIhiLi3EEEvNS_4cuda6detail10TensorInfoIKT_T0_EES8_S8_S8_S8_NS5_IS6_S8_EENS5_IlS8_EE.numbered_sgpr, 98
	.set _ZN2at6native12_GLOBAL__N_114gatherKthValueIhiLi3EEEvNS_4cuda6detail10TensorInfoIKT_T0_EES8_S8_S8_S8_NS5_IS6_S8_EENS5_IlS8_EE.num_named_barrier, 0
	.set _ZN2at6native12_GLOBAL__N_114gatherKthValueIhiLi3EEEvNS_4cuda6detail10TensorInfoIKT_T0_EES8_S8_S8_S8_NS5_IS6_S8_EENS5_IlS8_EE.private_seg_size, 0
	.set _ZN2at6native12_GLOBAL__N_114gatherKthValueIhiLi3EEEvNS_4cuda6detail10TensorInfoIKT_T0_EES8_S8_S8_S8_NS5_IS6_S8_EENS5_IlS8_EE.uses_vcc, 1
	.set _ZN2at6native12_GLOBAL__N_114gatherKthValueIhiLi3EEEvNS_4cuda6detail10TensorInfoIKT_T0_EES8_S8_S8_S8_NS5_IS6_S8_EENS5_IlS8_EE.uses_flat_scratch, 0
	.set _ZN2at6native12_GLOBAL__N_114gatherKthValueIhiLi3EEEvNS_4cuda6detail10TensorInfoIKT_T0_EES8_S8_S8_S8_NS5_IS6_S8_EENS5_IlS8_EE.has_dyn_sized_stack, 0
	.set _ZN2at6native12_GLOBAL__N_114gatherKthValueIhiLi3EEEvNS_4cuda6detail10TensorInfoIKT_T0_EES8_S8_S8_S8_NS5_IS6_S8_EENS5_IlS8_EE.has_recursion, 0
	.set _ZN2at6native12_GLOBAL__N_114gatherKthValueIhiLi3EEEvNS_4cuda6detail10TensorInfoIKT_T0_EES8_S8_S8_S8_NS5_IS6_S8_EENS5_IlS8_EE.has_indirect_call, 0
	.section	.AMDGPU.csdata,"",@progbits
; Kernel info:
; codeLenInByte = 11756
; TotalNumSgprs: 100
; NumVgprs: 40
; ScratchSize: 0
; MemoryBound: 0
; FloatMode: 240
; IeeeMode: 1
; LDSByteSize: 4112 bytes/workgroup (compile time only)
; SGPRBlocks: 0
; VGPRBlocks: 4
; NumSGPRsForWavesPerEU: 100
; NumVGPRsForWavesPerEU: 40
; Occupancy: 16
; WaveLimiterHint : 1
; COMPUTE_PGM_RSRC2:SCRATCH_EN: 0
; COMPUTE_PGM_RSRC2:USER_SGPR: 2
; COMPUTE_PGM_RSRC2:TRAP_HANDLER: 0
; COMPUTE_PGM_RSRC2:TGID_X_EN: 1
; COMPUTE_PGM_RSRC2:TGID_Y_EN: 1
; COMPUTE_PGM_RSRC2:TGID_Z_EN: 1
; COMPUTE_PGM_RSRC2:TIDIG_COMP_CNT: 0
	.section	.text._ZN2at6native12_GLOBAL__N_114gatherKthValueIhiLin1EEEvNS_4cuda6detail10TensorInfoIKT_T0_EES8_S8_S8_S8_NS5_IS6_S8_EENS5_IlS8_EE,"axG",@progbits,_ZN2at6native12_GLOBAL__N_114gatherKthValueIhiLin1EEEvNS_4cuda6detail10TensorInfoIKT_T0_EES8_S8_S8_S8_NS5_IS6_S8_EENS5_IlS8_EE,comdat
	.globl	_ZN2at6native12_GLOBAL__N_114gatherKthValueIhiLin1EEEvNS_4cuda6detail10TensorInfoIKT_T0_EES8_S8_S8_S8_NS5_IS6_S8_EENS5_IlS8_EE ; -- Begin function _ZN2at6native12_GLOBAL__N_114gatherKthValueIhiLin1EEEvNS_4cuda6detail10TensorInfoIKT_T0_EES8_S8_S8_S8_NS5_IS6_S8_EENS5_IlS8_EE
	.p2align	8
	.type	_ZN2at6native12_GLOBAL__N_114gatherKthValueIhiLin1EEEvNS_4cuda6detail10TensorInfoIKT_T0_EES8_S8_S8_S8_NS5_IS6_S8_EENS5_IlS8_EE,@function
_ZN2at6native12_GLOBAL__N_114gatherKthValueIhiLin1EEEvNS_4cuda6detail10TensorInfoIKT_T0_EES8_S8_S8_S8_NS5_IS6_S8_EENS5_IlS8_EE: ; @_ZN2at6native12_GLOBAL__N_114gatherKthValueIhiLin1EEEvNS_4cuda6detail10TensorInfoIKT_T0_EES8_S8_S8_S8_NS5_IS6_S8_EENS5_IlS8_EE
; %bb.0:
	s_clause 0x1
	s_load_b64 s[4:5], s[0:1], 0x298
	s_load_b128 s[36:39], s[0:1], 0xd8
	s_lshr_b32 s2, ttmp7, 16
	s_and_b32 s3, ttmp7, 0xffff
	s_wait_kmcnt 0x0
	s_mul_i32 s2, s5, s2
	s_delay_alu instid0(SALU_CYCLE_1) | instskip(NEXT) | instid1(SALU_CYCLE_1)
	s_add_co_i32 s2, s2, s3
	s_mul_i32 s2, s2, s4
	s_delay_alu instid0(SALU_CYCLE_1) | instskip(NEXT) | instid1(SALU_CYCLE_1)
	s_add_co_i32 s33, s2, ttmp9
	s_cmp_ge_i32 s33, s38
	s_cbranch_scc1 .LBB3_242
; %bb.1:
	s_load_b32 s6, s[0:1], 0xd0
	s_mov_b32 s3, 0
	s_mov_b32 s5, s33
	s_wait_kmcnt 0x0
	s_cmp_lt_i32 s6, 2
	s_cbranch_scc1 .LBB3_4
; %bb.2:
	s_add_co_i32 s2, s6, -1
	s_mov_b32 s5, s33
	s_lshl_b64 s[8:9], s[2:3], 2
	s_add_co_i32 s2, s6, 1
	s_add_nc_u64 s[8:9], s[0:1], s[8:9]
	s_delay_alu instid0(SALU_CYCLE_1)
	s_add_nc_u64 s[6:7], s[8:9], 8
.LBB3_3:                                ; =>This Inner Loop Header: Depth=1
	s_clause 0x1
	s_load_b32 s8, s[6:7], 0x0
	s_load_b32 s9, s[6:7], 0x64
	s_mov_b32 s13, s5
	s_add_nc_u64 s[6:7], s[6:7], -4
	s_wait_kmcnt 0x0
	s_abs_i32 s10, s8
	s_wait_alu 0xfffe
	s_cvt_f32_u32 s11, s10
	s_sub_co_i32 s12, 0, s10
	s_wait_alu 0xfffe
	s_delay_alu instid0(SALU_CYCLE_1) | instskip(NEXT) | instid1(TRANS32_DEP_1)
	v_rcp_iflag_f32_e32 v1, s11
	v_readfirstlane_b32 s11, v1
	s_mul_f32 s11, s11, 0x4f7ffffe
	s_wait_alu 0xfffe
	s_delay_alu instid0(SALU_CYCLE_2) | instskip(SKIP_1) | instid1(SALU_CYCLE_2)
	s_cvt_u32_f32 s11, s11
	s_wait_alu 0xfffe
	s_mul_i32 s12, s12, s11
	s_delay_alu instid0(SALU_CYCLE_1)
	s_mul_hi_u32 s5, s11, s12
	s_abs_i32 s12, s13
	s_add_co_i32 s11, s11, s5
	s_wait_alu 0xfffe
	s_mul_hi_u32 s5, s12, s11
	s_xor_b32 s11, s13, s8
	s_mul_i32 s14, s5, s10
	s_wait_alu 0xfffe
	s_ashr_i32 s11, s11, 31
	s_sub_co_i32 s12, s12, s14
	s_add_co_i32 s14, s5, 1
	s_sub_co_i32 s15, s12, s10
	s_cmp_ge_u32 s12, s10
	s_cselect_b32 s5, s14, s5
	s_cselect_b32 s12, s15, s12
	s_add_co_i32 s14, s5, 1
	s_cmp_ge_u32 s12, s10
	s_cselect_b32 s5, s14, s5
	s_add_co_i32 s2, s2, -1
	s_wait_alu 0xfffe
	s_xor_b32 s5, s5, s11
	s_delay_alu instid0(SALU_CYCLE_1) | instskip(NEXT) | instid1(SALU_CYCLE_1)
	s_sub_co_i32 s5, s5, s11
	s_mul_i32 s8, s5, s8
	s_delay_alu instid0(SALU_CYCLE_1) | instskip(NEXT) | instid1(SALU_CYCLE_1)
	s_sub_co_i32 s8, s13, s8
	s_mul_i32 s8, s9, s8
	s_delay_alu instid0(SALU_CYCLE_1)
	s_add_co_i32 s3, s8, s3
	s_cmp_gt_u32 s2, 2
	s_cbranch_scc1 .LBB3_3
.LBB3_4:
	s_load_b32 s2, s[0:1], 0x1b8
	s_add_nc_u64 s[10:11], s[0:1], 0x298
	s_add_nc_u64 s[6:7], s[0:1], 0xe8
	s_mov_b32 s29, 0
	s_mov_b32 s38, s33
	s_wait_kmcnt 0x0
	s_cmp_lt_i32 s2, 2
	s_cbranch_scc1 .LBB3_7
; %bb.5:
	s_add_co_i32 s28, s2, -1
	s_add_co_i32 s2, s2, 1
	s_lshl_b64 s[8:9], s[28:29], 2
	s_mov_b32 s38, s33
	s_add_nc_u64 s[8:9], s[6:7], s[8:9]
	s_delay_alu instid0(SALU_CYCLE_1)
	s_add_nc_u64 s[8:9], s[8:9], 8
.LBB3_6:                                ; =>This Inner Loop Header: Depth=1
	s_clause 0x1
	s_load_b32 s12, s[8:9], 0x0
	s_load_b32 s13, s[8:9], 0x64
	s_abs_i32 s18, s38
	s_mov_b32 s17, s38
	s_add_nc_u64 s[8:9], s[8:9], -4
	s_wait_kmcnt 0x0
	s_abs_i32 s14, s12
	s_wait_alu 0xfffe
	s_cvt_f32_u32 s15, s14
	s_sub_co_i32 s16, 0, s14
	s_wait_alu 0xfffe
	s_delay_alu instid0(SALU_CYCLE_1) | instskip(NEXT) | instid1(TRANS32_DEP_1)
	v_rcp_iflag_f32_e32 v1, s15
	v_readfirstlane_b32 s15, v1
	s_mul_f32 s15, s15, 0x4f7ffffe
	s_wait_alu 0xfffe
	s_delay_alu instid0(SALU_CYCLE_2) | instskip(SKIP_1) | instid1(SALU_CYCLE_2)
	s_cvt_u32_f32 s15, s15
	s_wait_alu 0xfffe
	s_mul_i32 s16, s16, s15
	s_delay_alu instid0(SALU_CYCLE_1) | instskip(NEXT) | instid1(SALU_CYCLE_1)
	s_mul_hi_u32 s16, s15, s16
	s_add_co_i32 s15, s15, s16
	s_xor_b32 s16, s38, s12
	s_wait_alu 0xfffe
	s_mul_hi_u32 s15, s18, s15
	s_ashr_i32 s16, s16, 31
	s_wait_alu 0xfffe
	s_mul_i32 s19, s15, s14
	s_delay_alu instid0(SALU_CYCLE_1)
	s_sub_co_i32 s18, s18, s19
	s_add_co_i32 s19, s15, 1
	s_sub_co_i32 s20, s18, s14
	s_cmp_ge_u32 s18, s14
	s_cselect_b32 s15, s19, s15
	s_cselect_b32 s18, s20, s18
	s_wait_alu 0xfffe
	s_add_co_i32 s19, s15, 1
	s_cmp_ge_u32 s18, s14
	s_cselect_b32 s14, s19, s15
	s_add_co_i32 s2, s2, -1
	s_wait_alu 0xfffe
	s_xor_b32 s14, s14, s16
	s_wait_alu 0xfffe
	s_sub_co_i32 s38, s14, s16
	s_delay_alu instid0(SALU_CYCLE_1) | instskip(NEXT) | instid1(SALU_CYCLE_1)
	s_mul_i32 s12, s38, s12
	s_sub_co_i32 s12, s17, s12
	s_delay_alu instid0(SALU_CYCLE_1) | instskip(NEXT) | instid1(SALU_CYCLE_1)
	s_mul_i32 s12, s13, s12
	s_add_co_i32 s29, s12, s29
	s_cmp_gt_u32 s2, 2
	s_cbranch_scc1 .LBB3_6
.LBB3_7:
	s_clause 0x1
	s_load_b32 s12, s[0:1], 0x6c
	s_load_b32 s2, s[0:1], 0x290
	s_mov_b32 s31, 0
	s_wait_kmcnt 0x0
	s_cmp_lt_i32 s2, 2
	s_cbranch_scc1 .LBB3_10
; %bb.8:
	s_add_co_i32 s30, s2, -1
	s_add_nc_u64 s[8:9], s[0:1], 0x1c0
	s_lshl_b64 s[14:15], s[30:31], 2
	s_add_co_i32 s2, s2, 1
	s_wait_alu 0xfffe
	s_add_nc_u64 s[8:9], s[8:9], s[14:15]
	s_delay_alu instid0(SALU_CYCLE_1)
	s_add_nc_u64 s[8:9], s[8:9], 8
.LBB3_9:                                ; =>This Inner Loop Header: Depth=1
	s_clause 0x1
	s_load_b32 s13, s[8:9], 0x0
	s_load_b32 s14, s[8:9], 0x64
	s_abs_i32 s19, s33
	s_mov_b32 s18, s33
	s_add_nc_u64 s[8:9], s[8:9], -4
	s_wait_kmcnt 0x0
	s_abs_i32 s15, s13
	s_wait_alu 0xfffe
	s_cvt_f32_u32 s16, s15
	s_sub_co_i32 s17, 0, s15
	s_wait_alu 0xfffe
	s_delay_alu instid0(SALU_CYCLE_1) | instskip(NEXT) | instid1(TRANS32_DEP_1)
	v_rcp_iflag_f32_e32 v1, s16
	v_readfirstlane_b32 s16, v1
	s_mul_f32 s16, s16, 0x4f7ffffe
	s_wait_alu 0xfffe
	s_delay_alu instid0(SALU_CYCLE_2) | instskip(SKIP_1) | instid1(SALU_CYCLE_2)
	s_cvt_u32_f32 s16, s16
	s_wait_alu 0xfffe
	s_mul_i32 s17, s17, s16
	s_wait_alu 0xfffe
	s_mul_hi_u32 s17, s16, s17
	s_wait_alu 0xfffe
	s_add_co_i32 s16, s16, s17
	s_xor_b32 s17, s33, s13
	s_wait_alu 0xfffe
	s_mul_hi_u32 s16, s19, s16
	s_ashr_i32 s17, s17, 31
	s_wait_alu 0xfffe
	s_mul_i32 s20, s16, s15
	s_delay_alu instid0(SALU_CYCLE_1)
	s_sub_co_i32 s19, s19, s20
	s_add_co_i32 s20, s16, 1
	s_sub_co_i32 s21, s19, s15
	s_cmp_ge_u32 s19, s15
	s_cselect_b32 s16, s20, s16
	s_cselect_b32 s19, s21, s19
	s_wait_alu 0xfffe
	s_add_co_i32 s20, s16, 1
	s_cmp_ge_u32 s19, s15
	s_cselect_b32 s15, s20, s16
	s_add_co_i32 s2, s2, -1
	s_wait_alu 0xfffe
	s_xor_b32 s15, s15, s17
	s_wait_alu 0xfffe
	s_sub_co_i32 s33, s15, s17
	s_delay_alu instid0(SALU_CYCLE_1) | instskip(NEXT) | instid1(SALU_CYCLE_1)
	s_mul_i32 s13, s33, s13
	s_sub_co_i32 s13, s18, s13
	s_delay_alu instid0(SALU_CYCLE_1) | instskip(NEXT) | instid1(SALU_CYCLE_1)
	s_mul_i32 s13, s14, s13
	s_add_co_i32 s31, s13, s31
	s_cmp_gt_u32 s2, 2
	s_cbranch_scc1 .LBB3_9
.LBB3_10:
	s_clause 0x1
	s_load_b32 s30, s[6:7], 0x6c
	s_load_b64 s[6:7], s[0:1], 0x0
	v_cmp_eq_u32_e64 s2, 0, v0
	s_mov_b32 s43, 0
	s_and_saveexec_b32 s8, s2
; %bb.11:
	v_dual_mov_b32 v1, 0 :: v_dual_mov_b32 v2, s36
	s_delay_alu instid0(VALU_DEP_1)
	v_mov_b32_e32 v3, v1
	ds_store_b96 v1, v[1:3] offset:4096
; %bb.12:
	s_or_b32 exec_lo, exec_lo, s8
	s_wait_dscnt 0x0
	s_barrier_signal -1
	s_barrier_wait -1
	global_inv scope:SCOPE_SE
	s_load_b32 s13, s[10:11], 0xc
	s_clause 0x2
	s_load_b32 s52, s[0:1], 0x22c
	s_load_b64 s[34:35], s[0:1], 0xe8
	s_load_b64 s[40:41], s[0:1], 0x1c0
	v_mbcnt_lo_u32_b32 v12, -1, 0
	v_cmp_gt_u32_e32 vcc_lo, 32, v0
	s_mul_i32 s5, s12, s5
	v_mul_lo_u32 v11, s39, v0
	s_add_co_i32 s8, s5, s3
	v_cmp_gt_i32_e64 s1, 4, v12
	s_ashr_i32 s9, s8, 31
	v_lshrrev_b32_e32 v3, 1, v0
	s_wait_kmcnt 0x0
	s_add_nc_u64 s[44:45], s[6:7], s[8:9]
	v_dual_mov_b32 v14, 0 :: v_dual_lshlrev_b32 v13, 2, v0
	s_and_b32 s54, vcc_lo, s1
	v_add_co_u32 v5, s6, s44, v11
	s_delay_alu instid0(VALU_DEP_1)
	v_add_co_ci_u32_e64 v6, null, s45, 0, s6
	s_and_b32 s53, s13, 0xffff
	s_bfe_u32 s5, s13, 0xb0005
	s_lshl_b32 s55, s53, 2
	s_add_co_i32 s56, s53, -1
	s_cvt_f32_u32 s1, s55
	s_add_co_i32 s65, s56, s36
	s_cmp_gt_i32 s36, 0xc00
	v_cmp_gt_u32_e64 s0, 2, v0
	v_rcp_iflag_f32_e32 v1, s1
	s_cselect_b32 s58, -1, 0
	s_cmp_gt_u32 s53, 31
	v_cmp_gt_u32_e64 s1, s36, v0
	s_cselect_b32 s59, -1, 0
	s_cmp_lt_u32 ttmp9, s4
	v_cmp_gt_i32_e64 s3, s36, v0
	s_cselect_b32 s42, 12, 18
	s_add_co_i32 s4, s5, -1
	s_bfe_u32 s60, s53, 0x30005
	v_readfirstlane_b32 s12, v1
	s_and_b32 s4, s4, 0xffff
	v_lshlrev_b64_e64 v[1:2], v12, -1
	s_cmp_gt_u32 s4, 6
	v_dual_mov_b32 v23, 0 :: v_dual_lshlrev_b32 v20, 2, v11
	s_mul_f32 s4, s12, 0x4f7ffffe
	s_cselect_b32 s61, -1, 0
	s_and_b32 s62, s5, 0x7f8
	s_cvt_f32_u32 s12, s53
	s_cmp_lg_u32 s60, 0
	s_cvt_u32_f32 s5, s4
	s_cselect_b32 s63, -1, 0
	s_sub_co_i32 s4, 0, s55
	v_rcp_iflag_f32_e32 v4, s12
	s_mul_i32 s13, s4, s5
	v_not_b32_e32 v15, v1
	s_wait_alu 0xfffe
	s_mul_hi_u32 s13, s5, s13
	v_cmp_eq_u32_e64 s4, 0, v12
	s_wait_alu 0xfffe
	s_add_co_i32 s46, s5, s13
	v_lshl_or_b32 v22, v12, 2, 0xc00
	s_mul_hi_u32 s5, s36, s46
	v_mov_b32_e32 v26, s37
	s_mul_i32 s5, s5, s55
	v_readfirstlane_b32 s6, v4
	s_sub_co_i32 s5, s36, s5
	v_mov_b32_e32 v24, 0
	s_sub_co_i32 s7, s5, s55
	s_cmp_ge_u32 s5, s55
	s_mul_f32 s6, s6, 0x4f7ffffe
	s_wait_alu 0xfffe
	s_cselect_b32 s5, s7, s5
	s_movk_i32 s7, 0x1f0
	s_sub_co_i32 s8, s5, s55
	s_cmp_ge_u32 s5, s55
	s_cvt_u32_f32 s6, s6
	s_cselect_b32 s9, s8, s5
	s_sub_co_i32 s5, 0, s53
	s_sub_co_i32 s64, s36, s9
	s_wait_alu 0xfffe
	s_mul_i32 s5, s5, s6
	v_dual_mov_b32 v25, 0 :: v_dual_add_nc_u32 v16, s64, v0
	s_mul_hi_u32 s5, s6, s5
	s_abs_i32 s8, s65
	s_add_co_i32 s48, s6, s5
	s_delay_alu instid0(VALU_DEP_1)
	v_mul_lo_u32 v1, v16, s39
	s_mul_hi_u32 s5, s8, s48
	v_and_or_b32 v17, v3, s7, 0xc00
	s_mul_i32 s5, s5, s53
	s_ashr_i32 s7, s65, 31
	s_sub_co_i32 s5, s8, s5
	v_or_b32_e32 v3, 3, v13
	s_sub_co_i32 s6, s5, s53
	s_cmp_ge_u32 s5, s53
	v_ashrrev_i32_e32 v2, 31, v1
	s_wait_alu 0xfffe
	s_cselect_b32 s8, s6, s5
	v_add_co_u32 v7, vcc_lo, s44, v1
	v_add3_u32 v1, s53, s36, v0
	s_sub_co_i32 s12, s8, s53
	s_cmp_ge_u32 s8, s53
	v_add_co_ci_u32_e64 v8, null, s45, v2, vcc_lo
	s_wait_alu 0xfffe
	s_cselect_b32 s8, s12, s8
	v_or_b32_e32 v2, 2, v13
	v_subrev_nc_u32_e32 v1, s9, v1
	s_xor_b32 s8, s8, s7
	s_mov_b32 s12, s39
	s_wait_alu 0xfffe
	s_sub_co_i32 s8, s7, s8
	v_mad_co_u64_u32 v[9:10], null, s39, v13, s[12:13]
	v_mul_lo_u32 v18, s39, v2
	v_mul_lo_u32 v19, s39, v3
	;; [unrolled: 1-line block ×3, first 2 shown]
	s_wait_alu 0xfffe
	s_add_co_i32 s65, s65, s8
	v_cmp_gt_i32_e64 s5, s64, v13
	v_cmp_gt_u32_e64 s6, s36, v16
	v_cmp_gt_i32_e64 s7, s36, v16
	s_wait_alu 0xfffe
	v_cmp_gt_i32_e64 s8, s65, v0
	v_mov_b32_e32 v10, 0
	s_mul_i32 s57, s39, s53
	s_mov_b32 s73, 6
	s_mov_b32 s47, s43
	;; [unrolled: 1-line block ×3, first 2 shown]
	s_lshl_b32 s37, s57, 2
	s_add_nc_u64 s[50:51], s[10:11], s[42:43]
	s_mov_b32 s66, 0
                                        ; implicit-def: $sgpr70
                                        ; implicit-def: $sgpr72
                                        ; implicit-def: $sgpr67
                                        ; implicit-def: $sgpr69
                                        ; implicit-def: $sgpr71
                                        ; implicit-def: $sgpr68
	s_branch .LBB3_16
.LBB3_13:                               ;   in Loop: Header=BB3_16 Depth=1
	s_wait_alu 0xfffe
	s_or_b32 exec_lo, exec_lo, s13
	s_delay_alu instid0(SALU_CYCLE_1)
	s_and_b32 s10, s10, exec_lo
	s_and_not1_b32 s15, s15, exec_lo
	s_and_not1_b32 s14, s14, exec_lo
	s_or_not1_b32 s12, s12, exec_lo
.LBB3_14:                               ;   in Loop: Header=BB3_16 Depth=1
	s_wait_alu 0xfffe
	s_or_b32 exec_lo, exec_lo, s9
	s_delay_alu instid0(SALU_CYCLE_1)
	s_and_not1_b32 s9, s68, exec_lo
	s_and_b32 s10, s10, exec_lo
	s_and_not1_b32 s13, s69, exec_lo
	s_wait_alu 0xfffe
	s_or_b32 s68, s9, s10
	s_and_not1_b32 s9, s71, exec_lo
	s_and_b32 s10, s15, exec_lo
	s_and_b32 s14, s14, exec_lo
	s_wait_alu 0xfffe
	s_or_b32 s71, s9, s10
	s_or_b32 s69, s13, s14
	s_or_not1_b32 s13, s12, exec_lo
.LBB3_15:                               ;   in Loop: Header=BB3_16 Depth=1
	s_wait_alu 0xfffe
	s_or_b32 exec_lo, exec_lo, s11
	s_delay_alu instid0(SALU_CYCLE_1)
	s_and_b32 s9, exec_lo, s13
	v_mov_b32_e32 v26, v2
	s_wait_alu 0xfffe
	s_or_b32 s66, s9, s66
	s_and_not1_b32 s9, s67, exec_lo
	s_and_b32 s10, s68, exec_lo
	s_and_not1_b32 s11, s72, exec_lo
	s_wait_alu 0xfffe
	s_or_b32 s67, s9, s10
	s_and_b32 s9, s71, exec_lo
	s_and_not1_b32 s10, s70, exec_lo
	s_and_b32 s12, s69, exec_lo
	s_wait_alu 0xfffe
	s_or_b32 s72, s11, s9
	s_or_b32 s70, s10, s12
	s_mov_b32 s73, s21
	s_and_not1_b32 exec_lo, exec_lo, s66
	s_cbranch_execz .LBB3_238
.LBB3_16:                               ; =>This Loop Header: Depth=1
                                        ;     Child Loop BB3_21 Depth 2
                                        ;     Child Loop BB3_36 Depth 2
	;; [unrolled: 1-line block ×16, first 2 shown]
	ds_load_b64 v[1:2], v14 offset:4096
	s_wait_dscnt 0x0
	v_readfirstlane_b32 s42, v1
	s_cmp_gt_i32 s42, 0
	s_cbranch_scc1 .LBB3_43
; %bb.17:                               ;   in Loop: Header=BB3_16 Depth=1
	s_and_b32 vcc_lo, exec_lo, s58
	s_wait_alu 0xfffe
	s_cbranch_vccz .LBB3_29
; %bb.18:                               ;   in Loop: Header=BB3_16 Depth=1
	v_cmp_gt_i32_e32 vcc_lo, 0xc01, v2
	s_mov_b32 s10, 0
	s_mov_b32 s9, 0
	s_cbranch_vccz .LBB3_30
; %bb.19:                               ;   in Loop: Header=BB3_16 Depth=1
	global_load_u8 v2, v[5:6], off
	s_load_u16 s11, s[50:51], 0x0
	v_mov_b32_e32 v3, v0
	s_mov_b32 s12, 0
	s_wait_kmcnt 0x0
	v_add_nc_u32_e32 v1, s11, v0
	s_mul_i32 s13, s39, s11
	s_delay_alu instid0(VALU_DEP_1)
	v_mul_lo_u32 v1, s39, v1
	s_branch .LBB3_21
.LBB3_20:                               ;   in Loop: Header=BB3_21 Depth=2
	s_wait_alu 0xfffe
	s_or_b32 exec_lo, exec_lo, s9
	v_cmp_le_i32_e32 vcc_lo, s36, v3
	v_dual_mov_b32 v2, v4 :: v_dual_add_nc_u32 v1, s13, v1
	s_or_b32 s12, vcc_lo, s12
	s_wait_alu 0xfffe
	s_and_not1_b32 exec_lo, exec_lo, s12
	s_cbranch_execz .LBB3_75
.LBB3_21:                               ;   Parent Loop BB3_16 Depth=1
                                        ; =>  This Inner Loop Header: Depth=2
	v_dual_mov_b32 v4, 0 :: v_dual_add_nc_u32 v3, s11, v3
	s_wait_dscnt 0x0
	v_mov_b32_e32 v27, 0
	s_mov_b32 s9, exec_lo
	s_delay_alu instid0(VALU_DEP_2)
	v_cmpx_gt_u32_e64 s36, v3
	s_cbranch_execz .LBB3_23
; %bb.22:                               ;   in Loop: Header=BB3_21 Depth=2
	global_load_u8 v4, v1, s[44:45]
.LBB3_23:                               ;   in Loop: Header=BB3_21 Depth=2
	s_wait_alu 0xfffe
	s_or_b32 exec_lo, exec_lo, s9
	s_wait_loadcnt 0x0
	v_and_b32_e32 v28, v2, v24
	s_delay_alu instid0(VALU_DEP_1) | instskip(NEXT) | instid1(VALU_DEP_1)
	v_and_b32_e32 v28, 0xff, v28
	v_cmp_eq_u32_e32 vcc_lo, v28, v10
	s_cmp_lg_u32 vcc_lo, 0
	s_cselect_b32 s9, -1, 0
	s_wait_alu 0xfffe
	s_and_b32 s9, s4, s9
	s_wait_alu 0xfffe
	s_and_saveexec_b32 s14, s9
	s_cbranch_execz .LBB3_27
; %bb.24:                               ;   in Loop: Header=BB3_21 Depth=2
	s_mov_b32 s17, exec_lo
	s_bcnt1_i32_b32 s15, vcc_lo
	s_wait_alu 0xfffe
	v_mbcnt_lo_u32_b32 v27, s17, 0
	s_mov_b32 s16, exec_lo
                                        ; implicit-def: $vgpr28
	s_delay_alu instid0(VALU_DEP_1)
	v_cmpx_eq_u32_e32 0, v27
; %bb.25:                               ;   in Loop: Header=BB3_21 Depth=2
	s_bcnt1_i32_b32 s9, s17
	s_wait_alu 0xfffe
	s_mul_i32 s9, s15, s9
	s_wait_alu 0xfffe
	v_mov_b32_e32 v28, s9
	ds_add_rtn_u32 v28, v14, v28 offset:4104
; %bb.26:                               ;   in Loop: Header=BB3_21 Depth=2
	s_or_b32 exec_lo, exec_lo, s16
	s_wait_dscnt 0x0
	v_readfirstlane_b32 s9, v28
	s_wait_alu 0xf1ff
	s_delay_alu instid0(VALU_DEP_1)
	v_mad_u32_u24 v27, s15, v27, s9
.LBB3_27:                               ;   in Loop: Header=BB3_21 Depth=2
	s_wait_alu 0xfffe
	s_or_b32 exec_lo, exec_lo, s14
	ds_bpermute_b32 v27, v14, v27
	s_and_saveexec_b32 s9, vcc_lo
	s_cbranch_execz .LBB3_20
; %bb.28:                               ;   in Loop: Header=BB3_21 Depth=2
	v_and_b32_e32 v28, vcc_lo, v15
	s_wait_dscnt 0x0
	s_delay_alu instid0(VALU_DEP_1)
	v_bcnt_u32_b32 v27, v28, v27
	ds_store_b8 v27, v2
	s_branch .LBB3_20
.LBB3_29:                               ;   in Loop: Header=BB3_16 Depth=1
	s_mov_b32 s10, -1
	s_mov_b32 s9, 0
.LBB3_30:                               ;   in Loop: Header=BB3_16 Depth=1
	s_wait_alu 0xfffe
	s_and_b32 vcc_lo, exec_lo, s10
	s_wait_alu 0xfffe
	s_cbranch_vccz .LBB3_41
.LBB3_31:                               ;   in Loop: Header=BB3_16 Depth=1
	v_mov_b32_e32 v1, 0
	s_and_saveexec_b32 s9, s1
	s_cbranch_execz .LBB3_33
; %bb.32:                               ;   in Loop: Header=BB3_16 Depth=1
	global_load_u8 v1, v[5:6], off
.LBB3_33:                               ;   in Loop: Header=BB3_16 Depth=1
	s_wait_alu 0xfffe
	s_or_b32 exec_lo, exec_lo, s9
	s_and_saveexec_b32 s9, s3
	s_cbranch_execz .LBB3_38
; %bb.34:                               ;   in Loop: Header=BB3_16 Depth=1
	s_load_u16 s10, s[50:51], 0x0
	s_mov_b32 s12, 0
	s_wait_kmcnt 0x0
	v_dual_mov_b32 v3, v0 :: v_dual_add_nc_u32 v2, s10, v0
	s_mul_i32 s11, s39, s10
	s_delay_alu instid0(VALU_DEP_1)
	v_mul_lo_u32 v2, s39, v2
	s_branch .LBB3_36
.LBB3_35:                               ;   in Loop: Header=BB3_36 Depth=2
	s_wait_alu 0xfffe
	s_or_b32 exec_lo, exec_lo, s13
	v_cmp_le_i32_e32 vcc_lo, s36, v4
	s_wait_loadcnt 0x0
	ds_store_b8 v3, v1
	v_dual_mov_b32 v1, v27 :: v_dual_add_nc_u32 v2, s11, v2
	v_mov_b32_e32 v3, v4
	s_or_b32 s12, vcc_lo, s12
	s_wait_alu 0xfffe
	s_and_not1_b32 exec_lo, exec_lo, s12
	s_cbranch_execz .LBB3_38
.LBB3_36:                               ;   Parent Loop BB3_16 Depth=1
                                        ; =>  This Inner Loop Header: Depth=2
	s_delay_alu instid0(VALU_DEP_2) | instskip(SKIP_1) | instid1(VALU_DEP_1)
	v_dual_mov_b32 v27, 0 :: v_dual_add_nc_u32 v4, s10, v3
	s_mov_b32 s13, exec_lo
	v_cmpx_gt_u32_e64 s36, v4
	s_cbranch_execz .LBB3_35
; %bb.37:                               ;   in Loop: Header=BB3_36 Depth=2
	global_load_u8 v27, v2, s[44:45]
	s_branch .LBB3_35
.LBB3_38:                               ;   in Loop: Header=BB3_16 Depth=1
	s_wait_alu 0xfffe
	s_or_b32 exec_lo, exec_lo, s9
	s_wait_loadcnt_dscnt 0x0
	s_barrier_signal -1
	s_barrier_wait -1
	global_inv scope:SCOPE_SE
	s_and_saveexec_b32 s9, s2
; %bb.39:                               ;   in Loop: Header=BB3_16 Depth=1
	v_mov_b32_e32 v1, s36
	ds_store_b32 v14, v1 offset:4096
; %bb.40:                               ;   in Loop: Header=BB3_16 Depth=1
	s_wait_alu 0xfffe
	s_or_b32 exec_lo, exec_lo, s9
	s_mov_b32 s9, -1
	s_wait_loadcnt_dscnt 0x0
	s_barrier_signal -1
	s_barrier_wait -1
.LBB3_41:                               ;   in Loop: Header=BB3_16 Depth=1
	s_wait_alu 0xfffe
	s_and_b32 vcc_lo, exec_lo, s9
	s_wait_alu 0xfffe
	s_cbranch_vccz .LBB3_43
; %bb.42:                               ;   in Loop: Header=BB3_16 Depth=1
	s_wait_loadcnt 0x0
	global_inv scope:SCOPE_SE
	ds_load_b32 v1, v14 offset:4096
	s_wait_dscnt 0x0
	v_readfirstlane_b32 s42, v1
.LBB3_43:                               ;   in Loop: Header=BB3_16 Depth=1
	s_delay_alu instid0(VALU_DEP_1)
	s_cmp_lt_i32 s42, 1
	s_mov_b32 s9, -1
                                        ; implicit-def: $vgpr4
	s_cbranch_scc1 .LBB3_53
; %bb.44:                               ;   in Loop: Header=BB3_16 Depth=1
	s_wait_alu 0xfffe
	s_and_b32 vcc_lo, exec_lo, s9
	s_wait_alu 0xfffe
	s_cbranch_vccnz .LBB3_66
.LBB3_45:                               ;   in Loop: Header=BB3_16 Depth=1
	v_lshlrev_b32_e32 v27, 7, v23
	s_and_saveexec_b32 s9, s4
.LBB3_46:                               ;   in Loop: Header=BB3_16 Depth=1
	s_delay_alu instid0(VALU_DEP_1)
	v_lshl_add_u32 v28, v27, 2, v17
	ds_store_b128 v28, v[1:4]
.LBB3_47:                               ;   in Loop: Header=BB3_16 Depth=1
	s_wait_alu 0xfffe
	s_or_b32 exec_lo, exec_lo, s9
	s_wait_loadcnt_dscnt 0x0
	s_barrier_signal -1
	s_barrier_wait -1
	global_inv scope:SCOPE_SE
	s_and_saveexec_b32 s9, s54
	s_cbranch_execz .LBB3_82
; %bb.48:                               ;   in Loop: Header=BB3_16 Depth=1
	v_mov_b32_e32 v1, 0
	s_and_not1_b32 vcc_lo, exec_lo, s59
	s_wait_alu 0xfffe
	s_cbranch_vccnz .LBB3_81
; %bb.49:                               ;   in Loop: Header=BB3_16 Depth=1
	s_and_not1_b32 vcc_lo, exec_lo, s61
	s_wait_alu 0xfffe
	s_cbranch_vccnz .LBB3_78
; %bb.50:                               ;   in Loop: Header=BB3_16 Depth=1
	v_lshl_add_u32 v2, v23, 9, v22
	v_mov_b32_e32 v1, 0
	s_mov_b32 s10, 0
.LBB3_51:                               ;   Parent Loop BB3_16 Depth=1
                                        ; =>  This Inner Loop Header: Depth=2
	ds_load_2addr_b32 v[3:4], v2 offset1:4
	ds_load_2addr_b32 v[28:29], v2 offset0:8 offset1:12
	ds_load_2addr_b32 v[30:31], v2 offset0:16 offset1:20
	;; [unrolled: 1-line block ×3, first 2 shown]
	v_add_nc_u32_e32 v2, 0x80, v2
	s_wait_alu 0xfffe
	s_add_co_i32 s10, s10, 8
	s_wait_alu 0xfffe
	s_cmp_eq_u32 s62, s10
	s_wait_dscnt 0x3
	v_add3_u32 v1, v3, v1, v4
	s_wait_dscnt 0x2
	s_delay_alu instid0(VALU_DEP_1) | instskip(SKIP_1) | instid1(VALU_DEP_1)
	v_add3_u32 v1, v28, v1, v29
	s_wait_dscnt 0x1
	v_add3_u32 v1, v30, v1, v31
	s_wait_dscnt 0x0
	s_delay_alu instid0(VALU_DEP_1)
	v_add3_u32 v1, v32, v1, v33
	s_cbranch_scc0 .LBB3_51
; %bb.52:                               ;   in Loop: Header=BB3_16 Depth=1
	s_mov_b32 s10, s62
	s_and_not1_b32 vcc_lo, exec_lo, s63
	s_wait_alu 0xfffe
	s_cbranch_vccz .LBB3_79
	s_branch .LBB3_81
.LBB3_53:                               ;   in Loop: Header=BB3_16 Depth=1
	v_dual_mov_b32 v1, 0 :: v_dual_mov_b32 v2, 0
	v_dual_mov_b32 v3, 0 :: v_dual_mov_b32 v4, 0
	s_and_saveexec_b32 s74, s5
	s_cbranch_execnz .LBB3_56
; %bb.54:                               ;   in Loop: Header=BB3_16 Depth=1
	s_wait_alu 0xfffe
	s_or_b32 exec_lo, exec_lo, s74
	v_mov_b32_e32 v30, 0
	s_and_saveexec_b32 s9, s6
	s_cbranch_execnz .LBB3_59
.LBB3_55:                               ;   in Loop: Header=BB3_16 Depth=1
	s_wait_alu 0xfffe
	s_or_b32 exec_lo, exec_lo, s9
	s_and_saveexec_b32 s13, s7
	s_cbranch_execnz .LBB3_60
	s_branch .LBB3_65
.LBB3_56:                               ;   in Loop: Header=BB3_16 Depth=1
	v_mov_b32_e32 v27, v13
	s_mov_b32 s75, 0
	s_mov_b32 s76, 0
	;; [unrolled: 1-line block ×6, first 2 shown]
.LBB3_57:                               ;   Parent Loop BB3_16 Depth=1
                                        ; =>  This Inner Loop Header: Depth=2
	s_wait_alu 0xfffe
	v_add_nc_u32_e32 v2, s76, v20
	v_add_nc_u32_e32 v1, s76, v9
	;; [unrolled: 1-line block ×5, first 2 shown]
	v_ashrrev_i32_e32 v29, 31, v2
	v_ashrrev_i32_e32 v32, 31, v1
	;; [unrolled: 1-line block ×4, first 2 shown]
	v_add_co_u32 v30, s11, s44, v2
	v_add_co_u32 v1, vcc_lo, s44, v1
	v_add_co_u32 v3, s9, s44, v3
	s_wait_alu 0xf1ff
	v_add_co_ci_u32_e64 v31, null, s45, v29, s11
	v_add_co_u32 v28, s10, s44, v4
	s_wait_alu 0xfffd
	v_add_co_ci_u32_e64 v2, null, s45, v32, vcc_lo
	v_add_co_ci_u32_e64 v4, null, s45, v33, s9
	s_wait_alu 0xf1ff
	v_add_co_ci_u32_e64 v29, null, s45, v34, s10
	s_clause 0x3
	global_load_u8 v30, v[30:31], off
	global_load_u8 v1, v[1:2], off
	;; [unrolled: 1-line block ×4, first 2 shown]
	v_cmp_le_i32_e32 vcc_lo, s64, v27
	s_add_co_i32 s76, s76, s37
	s_wait_loadcnt 0x3
	v_and_b32_e32 v4, v24, v30
	v_bfe_u32 v30, v30, s73, 2
	s_wait_loadcnt 0x2
	v_and_b32_e32 v28, v24, v1
	v_bfe_u32 v1, v1, s73, 2
	s_wait_loadcnt 0x1
	v_and_b32_e32 v29, v24, v2
	v_bfe_u32 v2, v2, s73, 2
	v_cmp_eq_u32_e64 s9, v4, v10
	v_cmp_eq_u32_e64 s13, 0, v30
	s_wait_loadcnt 0x0
	v_and_b32_e32 v31, v24, v3
	v_bfe_u32 v3, v3, s73, 2
	v_cmp_eq_u32_e64 s10, v28, v10
	v_cmp_eq_u32_e64 s14, 0, v1
	;; [unrolled: 1-line block ×4, first 2 shown]
	s_and_b32 s13, s9, s13
	v_cmp_eq_u32_e64 s12, v31, v10
	v_cmp_eq_u32_e64 s16, 0, v3
	;; [unrolled: 1-line block ×5, first 2 shown]
	s_wait_alu 0xfffe
	v_cndmask_b32_e64 v1, 0, 1, s13
	s_and_b32 s13, s10, s14
	v_cmp_eq_u32_e64 s17, 1, v30
	v_cmp_eq_u32_e64 s19, 1, v2
	;; [unrolled: 1-line block ×4, first 2 shown]
	s_wait_alu 0xfffe
	v_cndmask_b32_e64 v2, 0, 1, s13
	s_and_b32 s13, s11, s15
	v_cmp_eq_u32_e64 s20, 1, v3
	v_cmp_eq_u32_e64 s24, 2, v3
	;; [unrolled: 1-line block ×3, first 2 shown]
	s_wait_alu 0xfffe
	v_cndmask_b32_e64 v3, 0, 1, s13
	s_and_b32 s13, s12, s16
	v_cmp_eq_u32_e64 s21, 2, v30
	s_wait_alu 0xfffe
	v_cndmask_b32_e64 v4, 0, 1, s13
	s_and_b32 s13, s9, s17
	v_cmp_eq_u32_e64 s25, 3, v30
	s_wait_alu 0xfffe
	v_cndmask_b32_e64 v28, 0, 1, s13
	s_and_b32 s13, s10, s18
	s_wait_alu 0xfffe
	v_cndmask_b32_e64 v29, 0, 1, s13
	s_and_b32 s13, s11, s19
	;; [unrolled: 3-line block ×3, first 2 shown]
	v_cmp_ne_u32_e64 s14, 0, v29
	s_wait_alu 0xfffe
	v_cndmask_b32_e64 v31, 0, 1, s13
	s_and_b32 s13, s9, s21
	s_and_b32 s9, s9, s25
	s_wait_alu 0xfffe
	v_cndmask_b32_e64 v32, 0, 1, s13
	s_and_b32 s13, s10, s22
	v_cndmask_b32_e64 v36, 0, 1, s9
	s_and_b32 s9, s10, s26
	s_wait_alu 0xfffe
	v_cndmask_b32_e64 v33, 0, 1, s13
	s_and_b32 s13, s11, s23
	v_cndmask_b32_e64 v37, 0, 1, s9
	;; [unrolled: 5-line block ×3, first 2 shown]
	s_and_b32 s9, s12, s28
	s_wait_alu 0xfffe
	v_cndmask_b32_e64 v35, 0, 1, s13
	v_cndmask_b32_e64 v39, 0, 1, s9
	v_cmp_ne_u32_e64 s9, 0, v1
	v_cmp_ne_u32_e64 s13, 0, v28
	;; [unrolled: 1-line block ×11, first 2 shown]
	s_bcnt1_i32_b32 s9, s9
	s_bcnt1_i32_b32 s13, s13
	;; [unrolled: 1-line block ×4, first 2 shown]
	v_cmp_ne_u32_e64 s12, 0, v4
	v_cmp_ne_u32_e64 s16, 0, v31
	;; [unrolled: 1-line block ×4, first 2 shown]
	s_bcnt1_i32_b32 s10, s10
	s_bcnt1_i32_b32 s14, s14
	s_bcnt1_i32_b32 s18, s18
	s_bcnt1_i32_b32 s22, s22
	s_wait_alu 0xfffe
	s_add_co_i32 s9, s9, s80
	s_add_co_i32 s13, s13, s79
	s_add_co_i32 s17, s17, s78
	s_add_co_i32 s21, s21, s77
	s_bcnt1_i32_b32 s11, s11
	s_bcnt1_i32_b32 s15, s15
	s_bcnt1_i32_b32 s19, s19
	s_bcnt1_i32_b32 s23, s23
	s_wait_alu 0xfffe
	s_add_co_i32 s9, s9, s10
	s_add_co_i32 s10, s13, s14
	s_add_co_i32 s13, s17, s18
	s_add_co_i32 s14, s21, s22
	;; [unrolled: 9-line block ×3, first 2 shown]
	s_wait_alu 0xfffe
	s_add_co_i32 s80, s9, s12
	s_add_co_i32 s79, s10, s16
	;; [unrolled: 1-line block ×4, first 2 shown]
	s_wait_alu 0xfffe
	v_dual_mov_b32 v1, s80 :: v_dual_mov_b32 v2, s79
	v_dual_mov_b32 v3, s78 :: v_dual_mov_b32 v4, s77
	s_or_b32 s75, vcc_lo, s75
	s_wait_alu 0xfffe
	s_and_not1_b32 exec_lo, exec_lo, s75
	s_cbranch_execnz .LBB3_57
; %bb.58:                               ;   in Loop: Header=BB3_16 Depth=1
	s_or_b32 exec_lo, exec_lo, s75
	s_delay_alu instid0(SALU_CYCLE_1)
	s_or_b32 exec_lo, exec_lo, s74
	v_mov_b32_e32 v30, 0
	s_and_saveexec_b32 s9, s6
	s_cbranch_execz .LBB3_55
.LBB3_59:                               ;   in Loop: Header=BB3_16 Depth=1
	global_load_u8 v30, v[7:8], off
	s_wait_alu 0xfffe
	s_or_b32 exec_lo, exec_lo, s9
	s_and_saveexec_b32 s13, s7
	s_cbranch_execz .LBB3_65
.LBB3_60:                               ;   in Loop: Header=BB3_16 Depth=1
	v_dual_mov_b32 v27, v21 :: v_dual_mov_b32 v28, v16
	s_mov_b32 s14, 0
	s_branch .LBB3_62
.LBB3_61:                               ;   in Loop: Header=BB3_62 Depth=2
	s_wait_alu 0xfffe
	s_or_b32 exec_lo, exec_lo, s9
	s_wait_loadcnt 0x0
	v_and_b32_e32 v30, 0xff, v30
	v_add_nc_u32_e32 v27, s57, v27
	s_delay_alu instid0(VALU_DEP_2) | instskip(SKIP_1) | instid1(VALU_DEP_2)
	v_and_b32_e32 v31, v24, v30
	v_bfe_u32 v30, v30, s73, 2
	v_cmp_eq_u32_e32 vcc_lo, v31, v10
	s_delay_alu instid0(VALU_DEP_2)
	v_cmp_eq_u32_e64 s9, 0, v30
	v_cmp_eq_u32_e64 s10, 1, v30
	;; [unrolled: 1-line block ×4, first 2 shown]
	s_and_b32 s9, vcc_lo, s9
	s_wait_alu 0xfffe
	v_cndmask_b32_e64 v30, 0, 1, s9
	s_and_b32 s9, vcc_lo, s10
	s_wait_alu 0xfffe
	v_cndmask_b32_e64 v31, 0, 1, s9
	;; [unrolled: 3-line block ×3, first 2 shown]
	s_and_b32 s9, vcc_lo, s12
	v_cmp_ne_u32_e32 vcc_lo, 0, v30
	s_wait_alu 0xfffe
	v_cndmask_b32_e64 v33, 0, 1, s9
	v_cmp_ne_u32_e64 s9, 0, v31
	v_cmp_ne_u32_e64 s10, 0, v32
	v_cmp_le_i32_e64 s12, s36, v28
	s_bcnt1_i32_b32 s15, vcc_lo
	v_cmp_ne_u32_e64 s11, 0, v33
	s_bcnt1_i32_b32 s9, s9
	s_bcnt1_i32_b32 s10, s10
	s_wait_alu 0xfffe
	v_add_nc_u32_e32 v1, s15, v1
	v_add_nc_u32_e32 v2, s9, v2
	s_bcnt1_i32_b32 s11, s11
	v_add_nc_u32_e32 v3, s10, v3
	s_wait_alu 0xfffe
	v_add_nc_u32_e32 v4, s11, v4
	v_mov_b32_e32 v30, v29
	s_or_b32 s14, s12, s14
	s_wait_alu 0xfffe
	s_and_not1_b32 exec_lo, exec_lo, s14
	s_cbranch_execz .LBB3_64
.LBB3_62:                               ;   Parent Loop BB3_16 Depth=1
                                        ; =>  This Inner Loop Header: Depth=2
	s_delay_alu instid0(VALU_DEP_1) | instskip(SKIP_1) | instid1(VALU_DEP_1)
	v_dual_mov_b32 v29, 0 :: v_dual_add_nc_u32 v28, s53, v28
	s_mov_b32 s9, exec_lo
	v_cmpx_gt_u32_e64 s36, v28
	s_cbranch_execz .LBB3_61
; %bb.63:                               ;   in Loop: Header=BB3_62 Depth=2
	v_ashrrev_i32_e32 v29, 31, v27
	v_add_co_u32 v31, vcc_lo, s44, v27
	s_wait_alu 0xfffd
	s_delay_alu instid0(VALU_DEP_2)
	v_add_co_ci_u32_e64 v32, null, s45, v29, vcc_lo
	global_load_u8 v29, v[31:32], off
	s_branch .LBB3_61
.LBB3_64:                               ;   in Loop: Header=BB3_16 Depth=1
	s_or_b32 exec_lo, exec_lo, s14
.LBB3_65:                               ;   in Loop: Header=BB3_16 Depth=1
	s_wait_alu 0xfffe
	s_or_b32 exec_lo, exec_lo, s13
	s_branch .LBB3_45
.LBB3_66:                               ;   in Loop: Header=BB3_16 Depth=1
	s_mul_u64 s[10:11], s[42:43], s[46:47]
	v_dual_mov_b32 v1, 0 :: v_dual_mov_b32 v2, 0
	s_wait_alu 0xfffe
	s_mul_i32 s9, s11, s55
	v_dual_mov_b32 v3, 0 :: v_dual_mov_b32 v4, 0
	s_wait_alu 0xfffe
	s_sub_co_i32 s9, s42, s9
	s_mov_b32 s75, exec_lo
	s_wait_alu 0xfffe
	s_sub_co_i32 s10, s9, s55
	s_cmp_ge_u32 s9, s55
	s_wait_alu 0xfffe
	s_cselect_b32 s9, s10, s9
	s_wait_alu 0xfffe
	s_sub_co_i32 s10, s9, s55
	s_cmp_ge_u32 s9, s55
	s_wait_alu 0xfffe
	s_cselect_b32 s9, s10, s9
	s_wait_alu 0xfffe
	s_sub_co_i32 s74, s42, s9
	s_wait_alu 0xfffe
	v_cmpx_gt_u32_e64 s74, v13
	s_cbranch_execz .LBB3_70
; %bb.67:                               ;   in Loop: Header=BB3_16 Depth=1
	v_mov_b32_e32 v27, v13
	s_mov_b32 s76, 0
	s_mov_b32 s77, 0
	;; [unrolled: 1-line block ×5, first 2 shown]
.LBB3_68:                               ;   Parent Loop BB3_16 Depth=1
                                        ; =>  This Inner Loop Header: Depth=2
	ds_load_b32 v1, v27
	s_wait_dscnt 0x0
	v_and_b32_e32 v2, 0xff, v1
	v_bfe_u32 v3, v1, 8, 8
	v_bfe_u32 v4, v1, 16, 8
	v_lshrrev_b32_e32 v1, 24, v1
	s_delay_alu instid0(VALU_DEP_4)
	v_and_b32_e32 v28, v24, v2
	v_bfe_u32 v2, v2, s73, 2
	v_and_b32_e32 v29, v24, v3
	v_bfe_u32 v3, v3, s73, 2
	s_wait_loadcnt 0x0
	v_and_b32_e32 v30, v24, v4
	v_bfe_u32 v4, v4, s73, 2
	v_cmp_eq_u32_e64 s9, v28, v10
	v_cmp_eq_u32_e64 s13, 0, v2
	v_and_b32_e32 v31, v24, v1
	v_bfe_u32 v1, v1, s73, 2
	v_cmp_eq_u32_e64 s10, v29, v10
	v_cmp_eq_u32_e64 s14, 0, v3
	;; [unrolled: 1-line block ×4, first 2 shown]
	s_and_b32 s13, s9, s13
	v_cmp_eq_u32_e64 s12, v31, v10
	v_cmp_eq_u32_e64 s16, 0, v1
	;; [unrolled: 1-line block ×5, first 2 shown]
	s_wait_alu 0xfffe
	v_cndmask_b32_e64 v1, 0, 1, s13
	s_and_b32 s13, s10, s14
	v_cmp_eq_u32_e64 s17, 1, v2
	v_cmp_eq_u32_e64 s21, 2, v2
	v_cmp_eq_u32_e64 s25, 3, v2
	s_wait_alu 0xfffe
	v_cndmask_b32_e64 v2, 0, 1, s13
	s_and_b32 s13, s11, s15
	v_cmp_eq_u32_e64 s18, 1, v3
	v_cmp_eq_u32_e64 s22, 2, v3
	v_cmp_eq_u32_e64 s26, 3, v3
	;; [unrolled: 6-line block ×3, first 2 shown]
	s_wait_alu 0xfffe
	v_cndmask_b32_e64 v4, 0, 1, s13
	s_and_b32 s13, s9, s17
	s_wait_alu 0xfffe
	v_cndmask_b32_e64 v28, 0, 1, s13
	s_and_b32 s13, s10, s18
	;; [unrolled: 3-line block ×4, first 2 shown]
	v_cmp_ne_u32_e64 s14, 0, v29
	s_wait_alu 0xfffe
	v_cndmask_b32_e64 v31, 0, 1, s13
	s_and_b32 s13, s9, s21
	s_and_b32 s9, s9, s25
	s_wait_alu 0xfffe
	v_cndmask_b32_e64 v32, 0, 1, s13
	s_and_b32 s13, s10, s22
	v_cndmask_b32_e64 v36, 0, 1, s9
	s_and_b32 s9, s10, s26
	s_wait_alu 0xfffe
	v_cndmask_b32_e64 v33, 0, 1, s13
	s_and_b32 s13, s11, s23
	v_cndmask_b32_e64 v37, 0, 1, s9
	s_and_b32 s9, s11, s27
	s_wait_alu 0xfffe
	v_cndmask_b32_e64 v34, 0, 1, s13
	s_and_b32 s13, s12, s24
	v_cndmask_b32_e64 v38, 0, 1, s9
	s_and_b32 s9, s12, s28
	s_wait_alu 0xfffe
	v_cndmask_b32_e64 v35, 0, 1, s13
	v_cndmask_b32_e64 v39, 0, 1, s9
	v_cmp_ne_u32_e64 s9, 0, v1
	v_cmp_ne_u32_e64 s13, 0, v28
	;; [unrolled: 1-line block ×6, first 2 shown]
	s_bcnt1_i32_b32 s9, s9
	s_bcnt1_i32_b32 s13, s13
	v_cmp_ne_u32_e64 s16, 0, v31
	v_cmp_ne_u32_e64 s18, 0, v33
	;; [unrolled: 1-line block ×3, first 2 shown]
	s_bcnt1_i32_b32 s10, s10
	s_bcnt1_i32_b32 s14, s14
	s_wait_alu 0xfffe
	s_add_co_i32 s9, s9, s80
	s_add_co_i32 s13, s13, s79
	v_cmp_ne_u32_e64 s11, 0, v3
	v_cmp_ne_u32_e64 s19, 0, v34
	;; [unrolled: 1-line block ×3, first 2 shown]
	s_bcnt1_i32_b32 s15, s15
	s_wait_alu 0xfffe
	s_add_co_i32 s9, s9, s10
	s_add_co_i32 s10, s13, s14
	s_bcnt1_i32_b32 s17, s17
	s_bcnt1_i32_b32 s21, s21
	v_cmp_ne_u32_e64 s12, 0, v4
	v_cmp_ne_u32_e64 s20, 0, v35
	;; [unrolled: 1-line block ×3, first 2 shown]
	s_bcnt1_i32_b32 s16, s16
	s_wait_alu 0xfffe
	s_add_co_i32 s10, s10, s15
	s_bcnt1_i32_b32 s18, s18
	s_bcnt1_i32_b32 s22, s22
	s_add_co_i32 s17, s17, s78
	s_add_co_i32 s21, s21, s77
	s_wait_alu 0xfffe
	s_add_co_i32 s79, s10, s16
	s_wait_alu 0xfffe
	v_dual_mov_b32 v2, s79 :: v_dual_add_nc_u32 v27, s55, v27
	s_bcnt1_i32_b32 s11, s11
	s_bcnt1_i32_b32 s19, s19
	;; [unrolled: 1-line block ×3, first 2 shown]
	s_add_co_i32 s13, s17, s18
	s_add_co_i32 s14, s21, s22
	s_bcnt1_i32_b32 s12, s12
	s_bcnt1_i32_b32 s20, s20
	s_bcnt1_i32_b32 s24, s24
	s_wait_alu 0xfffe
	s_add_co_i32 s9, s9, s11
	s_add_co_i32 s11, s13, s19
	;; [unrolled: 1-line block ×3, first 2 shown]
	v_cmp_le_i32_e32 vcc_lo, s74, v27
	s_wait_alu 0xfffe
	s_add_co_i32 s80, s9, s12
	s_add_co_i32 s78, s11, s20
	;; [unrolled: 1-line block ×3, first 2 shown]
	s_wait_alu 0xfffe
	v_mov_b32_e32 v1, s80
	v_dual_mov_b32 v3, s78 :: v_dual_mov_b32 v4, s77
	s_or_b32 s76, vcc_lo, s76
	s_wait_alu 0xfffe
	s_and_not1_b32 exec_lo, exec_lo, s76
	s_cbranch_execnz .LBB3_68
; %bb.69:                               ;   in Loop: Header=BB3_16 Depth=1
	s_or_b32 exec_lo, exec_lo, s76
.LBB3_70:                               ;   in Loop: Header=BB3_16 Depth=1
	s_delay_alu instid0(SALU_CYCLE_1) | instskip(SKIP_2) | instid1(VALU_DEP_1)
	s_or_b32 exec_lo, exec_lo, s75
	v_add_nc_u32_e32 v27, s74, v0
	s_mov_b32 s14, exec_lo
	v_cmpx_gt_i32_e64 s42, v27
	s_cbranch_execz .LBB3_74
; %bb.71:                               ;   in Loop: Header=BB3_16 Depth=1
	s_mov_b32 s15, 0
.LBB3_72:                               ;   Parent Loop BB3_16 Depth=1
                                        ; =>  This Inner Loop Header: Depth=2
	ds_load_u8 v28, v27
	v_add_nc_u32_e32 v27, s53, v27
	s_delay_alu instid0(VALU_DEP_1) | instskip(SKIP_3) | instid1(VALU_DEP_2)
	v_cmp_le_i32_e32 vcc_lo, s42, v27
	s_wait_dscnt 0x0
	v_and_b32_e32 v29, v24, v28
	v_bfe_u32 v28, v28, s73, 2
	v_cmp_eq_u32_e64 s9, v29, v10
	s_delay_alu instid0(VALU_DEP_2)
	v_cmp_eq_u32_e64 s10, 0, v28
	v_cmp_eq_u32_e64 s11, 1, v28
	;; [unrolled: 1-line block ×4, first 2 shown]
	s_and_b32 s10, s9, s10
	s_wait_alu 0xfffe
	v_cndmask_b32_e64 v28, 0, 1, s10
	s_and_b32 s10, s9, s11
	s_wait_alu 0xfffe
	v_cndmask_b32_e64 v29, 0, 1, s10
	s_and_b32 s10, s9, s12
	s_and_b32 s9, s9, s13
	s_wait_loadcnt 0x0
	s_wait_alu 0xfffe
	v_cndmask_b32_e64 v30, 0, 1, s10
	v_cndmask_b32_e64 v31, 0, 1, s9
	v_cmp_ne_u32_e64 s9, 0, v28
	v_cmp_ne_u32_e64 s10, 0, v29
	s_delay_alu instid0(VALU_DEP_4) | instskip(NEXT) | instid1(VALU_DEP_4)
	v_cmp_ne_u32_e64 s11, 0, v30
	v_cmp_ne_u32_e64 s12, 0, v31
	s_bcnt1_i32_b32 s9, s9
	s_bcnt1_i32_b32 s10, s10
	s_wait_alu 0xfffe
	v_add_nc_u32_e32 v1, s9, v1
	s_bcnt1_i32_b32 s11, s11
	s_bcnt1_i32_b32 s12, s12
	v_add_nc_u32_e32 v2, s10, v2
	s_wait_alu 0xfffe
	v_add_nc_u32_e32 v3, s11, v3
	v_add_nc_u32_e32 v4, s12, v4
	s_or_b32 s15, vcc_lo, s15
	s_wait_alu 0xfffe
	s_and_not1_b32 exec_lo, exec_lo, s15
	s_cbranch_execnz .LBB3_72
; %bb.73:                               ;   in Loop: Header=BB3_16 Depth=1
	s_or_b32 exec_lo, exec_lo, s15
.LBB3_74:                               ;   in Loop: Header=BB3_16 Depth=1
	s_wait_alu 0xfffe
	s_or_b32 exec_lo, exec_lo, s14
	v_lshlrev_b32_e32 v27, 7, v23
	s_and_saveexec_b32 s9, s4
	s_cbranch_execnz .LBB3_46
	s_branch .LBB3_47
.LBB3_75:                               ;   in Loop: Header=BB3_16 Depth=1
	s_or_b32 exec_lo, exec_lo, s12
	s_wait_dscnt 0x0
	s_barrier_signal -1
	s_barrier_wait -1
	global_inv scope:SCOPE_SE
	s_and_saveexec_b32 s9, s2
	s_cbranch_execz .LBB3_77
; %bb.76:                               ;   in Loop: Header=BB3_16 Depth=1
	ds_load_b32 v1, v14 offset:4104
	s_wait_dscnt 0x0
	ds_store_b32 v14, v1 offset:4096
.LBB3_77:                               ;   in Loop: Header=BB3_16 Depth=1
	s_wait_alu 0xfffe
	s_or_b32 exec_lo, exec_lo, s9
	s_wait_loadcnt_dscnt 0x0
	s_barrier_signal -1
	s_mov_b32 s9, -1
	s_barrier_wait -1
	s_and_b32 vcc_lo, exec_lo, s10
	s_wait_alu 0xfffe
	s_cbranch_vccnz .LBB3_31
	s_branch .LBB3_41
.LBB3_78:                               ;   in Loop: Header=BB3_16 Depth=1
	v_mov_b32_e32 v1, 0
	s_mov_b32 s10, 0
	s_and_not1_b32 vcc_lo, exec_lo, s63
	s_wait_alu 0xfffe
	s_cbranch_vccnz .LBB3_81
.LBB3_79:                               ;   in Loop: Header=BB3_16 Depth=1
	v_lshlrev_b32_e32 v2, 9, v23
	s_lshl_b32 s10, s10, 4
	s_wait_alu 0xfffe
	s_delay_alu instid0(VALU_DEP_1)
	v_add3_u32 v2, v2, s10, v22
	s_mov_b32 s10, s60
.LBB3_80:                               ;   Parent Loop BB3_16 Depth=1
                                        ; =>  This Inner Loop Header: Depth=2
	ds_load_b32 v3, v2
	v_add_nc_u32_e32 v2, 16, v2
	s_wait_alu 0xfffe
	s_add_co_i32 s10, s10, -1
	s_wait_alu 0xfffe
	s_cmp_lg_u32 s10, 0
	s_wait_dscnt 0x0
	v_add_nc_u32_e32 v1, v3, v1
	s_cbranch_scc1 .LBB3_80
.LBB3_81:                               ;   in Loop: Header=BB3_16 Depth=1
	v_add_lshl_u32 v2, v27, v12, 2
	ds_store_b32 v2, v1 offset:3072
.LBB3_82:                               ;   in Loop: Header=BB3_16 Depth=1
	s_wait_alu 0xfffe
	s_or_b32 exec_lo, exec_lo, s9
	v_lshlrev_b32_e32 v1, 2, v27
	s_wait_loadcnt_dscnt 0x0
	s_barrier_signal -1
	s_barrier_wait -1
	global_inv scope:SCOPE_SE
	ds_load_b128 v[1:4], v1 offset:3072
	s_lshl_b32 s10, 3, s73
	v_cmp_eq_u32_e32 vcc_lo, 1, v26
	s_wait_alu 0xfffe
	s_not_b32 s17, s10
	s_mov_b32 s13, -1
	s_mov_b32 s15, -1
                                        ; implicit-def: $sgpr20
                                        ; implicit-def: $sgpr18
	s_wait_dscnt 0x0
	v_readfirstlane_b32 s12, v1
	v_readfirstlane_b32 s19, v2
	v_readfirstlane_b32 s16, v3
	v_readfirstlane_b32 s9, v4
	s_cmp_eq_u32 s12, 1
	s_cselect_b32 s11, -1, 0
	s_wait_alu 0xfffe
	s_and_b32 s14, s11, vcc_lo
	s_wait_alu 0xfffe
	s_and_saveexec_b32 s11, s14
	s_cbranch_execz .LBB3_108
; %bb.83:                               ;   in Loop: Header=BB3_16 Depth=1
	ds_load_b32 v1, v14 offset:4096
	s_wait_loadcnt_dscnt 0x0
	s_barrier_signal -1
	s_barrier_wait -1
	global_inv scope:SCOPE_SE
	v_readfirstlane_b32 s15, v1
	s_and_saveexec_b32 s18, s0
; %bb.84:                               ;   in Loop: Header=BB3_16 Depth=1
	ds_store_b8 v0, v14 offset:3072
; %bb.85:                               ;   in Loop: Header=BB3_16 Depth=1
	s_wait_alu 0xfffe
	s_or_b32 exec_lo, exec_lo, s18
	v_and_b32_e32 v10, s17, v10
	v_or_b32_e32 v24, s10, v24
	s_mov_b32 s18, -1
	s_mov_b32 s20, 0
	s_cmp_lt_i32 s15, 1
	s_mov_b32 s21, 0
	s_mov_b32 s22, -1
	s_wait_loadcnt_dscnt 0x0
	s_barrier_signal -1
	s_barrier_wait -1
	global_inv scope:SCOPE_SE
                                        ; implicit-def: $vgpr25
	s_cbranch_scc0 .LBB3_96
; %bb.86:                               ;   in Loop: Header=BB3_16 Depth=1
	s_mov_b32 s22, 0
                                        ; implicit-def: $vgpr25
	s_and_saveexec_b32 s23, s8
	s_cbranch_execz .LBB3_95
; %bb.87:                               ;   in Loop: Header=BB3_16 Depth=1
	v_dual_mov_b32 v1, v11 :: v_dual_mov_b32 v2, v0
                                        ; implicit-def: $sgpr24
	s_branch .LBB3_90
.LBB3_88:                               ;   in Loop: Header=BB3_90 Depth=2
	s_wait_alu 0xfffe
	s_or_b32 exec_lo, exec_lo, s25
	s_wait_loadcnt_dscnt 0x0
	s_barrier_signal -1
	s_barrier_wait -1
	global_inv scope:SCOPE_SE
	ds_load_u16 v3, v14 offset:3072
	s_mov_b32 s25, -1
	s_mov_b32 s26, -1
	s_wait_loadcnt_dscnt 0x0
	s_barrier_signal -1
	s_barrier_wait -1
	global_inv scope:SCOPE_SE
	v_and_b32_e32 v4, 0xff, v3
	s_delay_alu instid0(VALU_DEP_1)
	v_cmp_ne_u32_e32 vcc_lo, 0, v4
	s_cbranch_vccz .LBB3_93
.LBB3_89:                               ;   in Loop: Header=BB3_90 Depth=2
	s_wait_alu 0xfffe
	s_and_b32 s25, exec_lo, s25
	s_wait_alu 0xfffe
	s_or_b32 s21, s25, s21
	s_and_not1_b32 s24, s24, exec_lo
	s_and_b32 s25, s26, exec_lo
	s_wait_alu 0xfffe
	s_or_b32 s24, s24, s25
	s_and_not1_b32 exec_lo, exec_lo, s21
	s_cbranch_execz .LBB3_94
.LBB3_90:                               ;   Parent Loop BB3_16 Depth=1
                                        ; =>  This Inner Loop Header: Depth=2
	s_mov_b32 s25, exec_lo
	s_delay_alu instid0(VALU_DEP_1)
	v_cmpx_gt_i32_e64 s36, v2
	s_cbranch_execz .LBB3_88
; %bb.91:                               ;   in Loop: Header=BB3_90 Depth=2
	v_ashrrev_i32_e32 v4, 31, v1
	v_add_co_u32 v3, vcc_lo, s44, v1
	s_wait_alu 0xfffd
	s_delay_alu instid0(VALU_DEP_2) | instskip(SKIP_3) | instid1(VALU_DEP_1)
	v_add_co_ci_u32_e64 v4, null, s45, v4, vcc_lo
	global_load_u8 v3, v[3:4], off
	s_wait_loadcnt 0x0
	v_and_b32_e32 v4, v3, v24
	v_and_b32_e32 v4, 0xff, v4
	s_delay_alu instid0(VALU_DEP_1)
	v_cmp_eq_u32_e32 vcc_lo, v4, v10
	s_and_b32 exec_lo, exec_lo, vcc_lo
	s_cbranch_execz .LBB3_88
; %bb.92:                               ;   in Loop: Header=BB3_90 Depth=2
	v_lshlrev_b16 v3, 8, v3
	s_delay_alu instid0(VALU_DEP_1)
	v_or_b32_e32 v3, 1, v3
	ds_store_b16 v14, v3 offset:3072
	s_branch .LBB3_88
.LBB3_93:                               ;   in Loop: Header=BB3_90 Depth=2
	v_add_nc_u32_e32 v2, s53, v2
	v_add_nc_u32_e32 v1, s57, v1
	s_mov_b32 s26, 0
	s_delay_alu instid0(VALU_DEP_2)
	v_cmp_le_i32_e32 vcc_lo, s65, v2
	s_or_not1_b32 s25, vcc_lo, exec_lo
	s_branch .LBB3_89
.LBB3_94:                               ;   in Loop: Header=BB3_16 Depth=1
	s_or_b32 exec_lo, exec_lo, s21
	v_and_b32_e32 v1, 0xffff, v3
	s_wait_alu 0xfffe
	s_and_b32 s21, s24, exec_lo
	s_delay_alu instid0(VALU_DEP_1)
	v_lshrrev_b32_e32 v25, 8, v1
.LBB3_95:                               ;   in Loop: Header=BB3_16 Depth=1
	s_wait_alu 0xfffe
	s_or_b32 exec_lo, exec_lo, s23
.LBB3_96:                               ;   in Loop: Header=BB3_16 Depth=1
	s_wait_alu 0xfffe
	s_and_b32 vcc_lo, exec_lo, s22
	s_wait_alu 0xfffe
	s_cbranch_vccz .LBB3_107
; %bb.97:                               ;   in Loop: Header=BB3_16 Depth=1
	s_add_co_i32 s20, s15, s56
                                        ; implicit-def: $vgpr25
	s_wait_alu 0xfffe
	s_abs_i32 s42, s20
	s_wait_alu 0xfffe
	s_mul_u64 s[22:23], s[42:43], s[48:49]
	s_ashr_i32 s22, s20, 31
	s_wait_alu 0xfffe
	s_mul_i32 s18, s23, s53
	s_wait_alu 0xfffe
	s_sub_co_i32 s18, s42, s18
	s_wait_alu 0xfffe
	s_sub_co_i32 s23, s18, s53
	s_cmp_ge_u32 s18, s53
	s_wait_alu 0xfffe
	s_cselect_b32 s18, s23, s18
	s_wait_alu 0xfffe
	s_sub_co_i32 s23, s18, s53
	s_cmp_ge_u32 s18, s53
	s_wait_alu 0xfffe
	s_cselect_b32 s18, s23, s18
	s_wait_alu 0xfffe
	s_xor_b32 s18, s18, s22
	s_wait_alu 0xfffe
	s_sub_co_i32 s18, s22, s18
	s_wait_alu 0xfffe
	s_add_co_i32 s20, s20, s18
	s_mov_b32 s18, exec_lo
	s_wait_alu 0xfffe
	v_cmpx_gt_i32_e64 s20, v0
	s_cbranch_execz .LBB3_106
; %bb.98:                               ;   in Loop: Header=BB3_16 Depth=1
	v_mov_b32_e32 v1, v0
	s_mov_b32 s23, 0
                                        ; implicit-def: $sgpr22
	s_branch .LBB3_101
.LBB3_99:                               ;   in Loop: Header=BB3_101 Depth=2
	s_wait_alu 0xfffe
	s_or_b32 exec_lo, exec_lo, s24
	s_wait_loadcnt_dscnt 0x0
	s_barrier_signal -1
	s_barrier_wait -1
	global_inv scope:SCOPE_SE
	ds_load_u16 v2, v14 offset:3072
	s_mov_b32 s25, -1
	s_mov_b32 s24, -1
	s_wait_loadcnt_dscnt 0x0
	s_barrier_signal -1
	s_barrier_wait -1
	global_inv scope:SCOPE_SE
	v_and_b32_e32 v3, 0xff, v2
	s_delay_alu instid0(VALU_DEP_1)
	v_cmp_ne_u32_e32 vcc_lo, 0, v3
	s_cbranch_vccz .LBB3_104
.LBB3_100:                              ;   in Loop: Header=BB3_101 Depth=2
	s_wait_alu 0xfffe
	s_and_b32 s25, exec_lo, s25
	s_wait_alu 0xfffe
	s_or_b32 s23, s25, s23
	s_and_not1_b32 s22, s22, exec_lo
	s_and_b32 s24, s24, exec_lo
	s_wait_alu 0xfffe
	s_or_b32 s22, s22, s24
	s_and_not1_b32 exec_lo, exec_lo, s23
	s_cbranch_execz .LBB3_105
.LBB3_101:                              ;   Parent Loop BB3_16 Depth=1
                                        ; =>  This Inner Loop Header: Depth=2
	s_mov_b32 s24, exec_lo
	s_delay_alu instid0(VALU_DEP_1)
	v_cmpx_gt_i32_e64 s15, v1
	s_cbranch_execz .LBB3_99
; %bb.102:                              ;   in Loop: Header=BB3_101 Depth=2
	ds_load_u8 v2, v1
	s_wait_dscnt 0x0
	v_and_b32_e32 v3, v2, v24
	s_delay_alu instid0(VALU_DEP_1) | instskip(NEXT) | instid1(VALU_DEP_1)
	v_and_b32_e32 v3, 0xff, v3
	v_cmp_eq_u32_e32 vcc_lo, v3, v10
	s_and_b32 exec_lo, exec_lo, vcc_lo
	s_cbranch_execz .LBB3_99
; %bb.103:                              ;   in Loop: Header=BB3_101 Depth=2
	v_lshlrev_b16 v2, 8, v2
	s_delay_alu instid0(VALU_DEP_1)
	v_or_b32_e32 v2, 1, v2
	ds_store_b16 v14, v2 offset:3072
	s_branch .LBB3_99
.LBB3_104:                              ;   in Loop: Header=BB3_101 Depth=2
	v_add_nc_u32_e32 v1, s53, v1
	s_mov_b32 s24, 0
	s_delay_alu instid0(VALU_DEP_1)
	v_cmp_le_i32_e32 vcc_lo, s20, v1
	s_or_not1_b32 s25, vcc_lo, exec_lo
	s_branch .LBB3_100
.LBB3_105:                              ;   in Loop: Header=BB3_16 Depth=1
	s_or_b32 exec_lo, exec_lo, s23
	v_and_b32_e32 v1, 0xffff, v2
	s_and_not1_b32 s15, s21, exec_lo
	s_wait_alu 0xfffe
	s_and_b32 s20, s22, exec_lo
	s_wait_alu 0xfffe
	s_or_b32 s21, s15, s20
	v_lshrrev_b32_e32 v25, 8, v1
.LBB3_106:                              ;   in Loop: Header=BB3_16 Depth=1
	s_or_b32 exec_lo, exec_lo, s18
	s_mov_b32 s18, 0
	s_mov_b32 s20, -1
.LBB3_107:                              ;   in Loop: Header=BB3_16 Depth=1
	s_wait_alu 0xfffe
	s_or_not1_b32 s15, s21, exec_lo
.LBB3_108:                              ;   in Loop: Header=BB3_16 Depth=1
	s_wait_alu 0xfffe
	s_or_b32 exec_lo, exec_lo, s11
	v_readfirstlane_b32 s21, v0
	s_and_not1_b32 s11, s71, exec_lo
	s_and_b32 s20, s20, exec_lo
	s_and_not1_b32 s22, s69, exec_lo
	s_and_b32 s18, s18, exec_lo
	s_and_not1_b32 s68, s68, exec_lo
	s_wait_alu 0xfffe
	s_or_b32 s71, s11, s20
	s_or_b32 s69, s22, s18
                                        ; implicit-def: $vgpr2
	s_and_saveexec_b32 s11, s15
	s_cbranch_execz .LBB3_15
; %bb.109:                              ;   in Loop: Header=BB3_16 Depth=1
	v_dual_mov_b32 v2, 1 :: v_dual_mov_b32 v1, 1
	s_xor_b32 s14, s14, -1
	s_mov_b32 s20, 0
	s_wait_alu 0xfffe
	s_and_saveexec_b32 s13, s14
	s_cbranch_execz .LBB3_118
; %bb.110:                              ;   in Loop: Header=BB3_16 Depth=1
	s_mov_b32 s14, exec_lo
	v_cmpx_ge_i32_e64 s12, v26
	s_wait_alu 0xfffe
	s_xor_b32 s14, exec_lo, s14
	s_cbranch_execz .LBB3_115
; %bb.111:                              ;   in Loop: Header=BB3_16 Depth=1
	ds_load_b32 v1, v14 offset:4096
	v_and_b32_e32 v10, s17, v10
	v_or_b32_e32 v24, s10, v24
	s_wait_dscnt 0x0
	v_cmp_ne_u32_e32 vcc_lo, 0, v1
	s_cbranch_vccnz .LBB3_115
; %bb.112:                              ;   in Loop: Header=BB3_16 Depth=1
	s_and_saveexec_b32 s15, s2
; %bb.113:                              ;   in Loop: Header=BB3_16 Depth=1
	v_mov_b32_e32 v1, s12
	ds_store_b32 v14, v1 offset:4100
; %bb.114:                              ;   in Loop: Header=BB3_16 Depth=1
	s_wait_alu 0xfffe
	s_or_b32 exec_lo, exec_lo, s15
	s_wait_loadcnt_dscnt 0x0
	s_barrier_signal -1
	s_barrier_wait -1
	global_inv scope:SCOPE_SE
.LBB3_115:                              ;   in Loop: Header=BB3_16 Depth=1
	s_wait_alu 0xfffe
	s_or_saveexec_b32 s14, s14
	v_mov_b32_e32 v1, 8
	s_mov_b32 s15, 0
	s_wait_alu 0xfffe
	s_xor_b32 exec_lo, exec_lo, s14
; %bb.116:                              ;   in Loop: Header=BB3_16 Depth=1
	v_subrev_nc_u32_e32 v26, s12, v26
	v_mov_b32_e32 v1, 0
	s_mov_b32 s15, exec_lo
; %bb.117:                              ;   in Loop: Header=BB3_16 Depth=1
	s_or_b32 exec_lo, exec_lo, s14
	s_delay_alu instid0(VALU_DEP_2)
	v_mov_b32_e32 v2, v26
	s_wait_alu 0xfffe
	s_and_b32 s20, s15, exec_lo
.LBB3_118:                              ;   in Loop: Header=BB3_16 Depth=1
	s_wait_alu 0xfffe
	s_or_b32 exec_lo, exec_lo, s13
	s_mov_b32 s12, -1
	s_mov_b32 s18, -1
                                        ; implicit-def: $sgpr14
                                        ; implicit-def: $sgpr15
	s_and_saveexec_b32 s13, s20
	s_wait_alu 0xfffe
	s_xor_b32 s13, exec_lo, s13
	s_cbranch_execz .LBB3_235
; %bb.119:                              ;   in Loop: Header=BB3_16 Depth=1
	v_cmp_eq_u32_e32 vcc_lo, 1, v2
	s_cmp_eq_u32 s19, 1
	s_mov_b32 s21, -1
	s_cselect_b32 s14, -1, 0
                                        ; implicit-def: $sgpr15
	s_wait_alu 0xfffe
	s_and_b32 s20, s14, vcc_lo
                                        ; implicit-def: $sgpr14
	s_wait_alu 0xfffe
	s_and_saveexec_b32 s18, s20
	s_cbranch_execz .LBB3_145
; %bb.120:                              ;   in Loop: Header=BB3_16 Depth=1
	ds_load_b32 v3, v14 offset:4096
	s_wait_loadcnt_dscnt 0x0
	s_barrier_signal -1
	s_barrier_wait -1
	global_inv scope:SCOPE_SE
	v_readfirstlane_b32 s21, v3
	s_and_saveexec_b32 s14, s0
; %bb.121:                              ;   in Loop: Header=BB3_16 Depth=1
	ds_store_b8 v0, v14 offset:3072
; %bb.122:                              ;   in Loop: Header=BB3_16 Depth=1
	s_wait_alu 0xfffe
	s_or_b32 exec_lo, exec_lo, s14
	s_lshl_b32 s14, 1, s73
	v_or_b32_e32 v24, s10, v24
	s_wait_alu 0xfffe
	v_and_or_b32 v10, v10, s17, s14
	s_mov_b32 s14, -1
	s_mov_b32 s15, 0
	s_cmp_gt_i32 s21, 0
	s_mov_b32 s22, 0
	s_mov_b32 s23, -1
	s_wait_loadcnt_dscnt 0x0
	s_barrier_signal -1
	s_barrier_wait -1
	global_inv scope:SCOPE_SE
                                        ; implicit-def: $vgpr25
	s_cbranch_scc1 .LBB3_133
; %bb.123:                              ;   in Loop: Header=BB3_16 Depth=1
	s_mov_b32 s23, 0
                                        ; implicit-def: $vgpr25
	s_and_saveexec_b32 s24, s8
	s_cbranch_execz .LBB3_132
; %bb.124:                              ;   in Loop: Header=BB3_16 Depth=1
	v_dual_mov_b32 v3, v11 :: v_dual_mov_b32 v4, v0
                                        ; implicit-def: $sgpr25
	s_branch .LBB3_127
.LBB3_125:                              ;   in Loop: Header=BB3_127 Depth=2
	s_wait_alu 0xfffe
	s_or_b32 exec_lo, exec_lo, s26
	s_wait_loadcnt_dscnt 0x0
	s_barrier_signal -1
	s_barrier_wait -1
	global_inv scope:SCOPE_SE
	ds_load_u16 v25, v14 offset:3072
	s_mov_b32 s26, -1
	s_mov_b32 s27, -1
	s_wait_loadcnt_dscnt 0x0
	s_barrier_signal -1
	s_barrier_wait -1
	global_inv scope:SCOPE_SE
	v_and_b32_e32 v26, 0xff, v25
	s_delay_alu instid0(VALU_DEP_1)
	v_cmp_ne_u32_e32 vcc_lo, 0, v26
	s_cbranch_vccz .LBB3_130
.LBB3_126:                              ;   in Loop: Header=BB3_127 Depth=2
	s_wait_alu 0xfffe
	s_and_b32 s26, exec_lo, s26
	s_wait_alu 0xfffe
	s_or_b32 s22, s26, s22
	s_and_not1_b32 s25, s25, exec_lo
	s_and_b32 s26, s27, exec_lo
	s_wait_alu 0xfffe
	s_or_b32 s25, s25, s26
	s_and_not1_b32 exec_lo, exec_lo, s22
	s_cbranch_execz .LBB3_131
.LBB3_127:                              ;   Parent Loop BB3_16 Depth=1
                                        ; =>  This Inner Loop Header: Depth=2
	s_mov_b32 s26, exec_lo
	s_delay_alu instid0(VALU_DEP_1)
	v_cmpx_gt_i32_e64 s36, v4
	s_cbranch_execz .LBB3_125
; %bb.128:                              ;   in Loop: Header=BB3_127 Depth=2
	v_ashrrev_i32_e32 v26, 31, v3
	v_add_co_u32 v25, vcc_lo, s44, v3
	s_wait_alu 0xfffd
	s_delay_alu instid0(VALU_DEP_2) | instskip(SKIP_3) | instid1(VALU_DEP_1)
	v_add_co_ci_u32_e64 v26, null, s45, v26, vcc_lo
	global_load_u8 v25, v[25:26], off
	s_wait_loadcnt 0x0
	v_and_b32_e32 v26, v25, v24
	v_and_b32_e32 v26, 0xff, v26
	s_delay_alu instid0(VALU_DEP_1)
	v_cmp_eq_u32_e32 vcc_lo, v26, v10
	s_and_b32 exec_lo, exec_lo, vcc_lo
	s_cbranch_execz .LBB3_125
; %bb.129:                              ;   in Loop: Header=BB3_127 Depth=2
	v_lshlrev_b16 v25, 8, v25
	s_delay_alu instid0(VALU_DEP_1)
	v_or_b32_e32 v25, 1, v25
	ds_store_b16 v14, v25 offset:3072
	s_branch .LBB3_125
.LBB3_130:                              ;   in Loop: Header=BB3_127 Depth=2
	v_add_nc_u32_e32 v4, s53, v4
	v_add_nc_u32_e32 v3, s57, v3
	s_mov_b32 s27, 0
	s_delay_alu instid0(VALU_DEP_2)
	v_cmp_le_i32_e32 vcc_lo, s65, v4
	s_or_not1_b32 s26, vcc_lo, exec_lo
	s_branch .LBB3_126
.LBB3_131:                              ;   in Loop: Header=BB3_16 Depth=1
	s_or_b32 exec_lo, exec_lo, s22
	v_and_b32_e32 v3, 0xffff, v25
	s_wait_alu 0xfffe
	s_and_b32 s22, s25, exec_lo
	s_delay_alu instid0(VALU_DEP_1)
	v_lshrrev_b32_e32 v25, 8, v3
.LBB3_132:                              ;   in Loop: Header=BB3_16 Depth=1
	s_wait_alu 0xfffe
	s_or_b32 exec_lo, exec_lo, s24
.LBB3_133:                              ;   in Loop: Header=BB3_16 Depth=1
	s_wait_alu 0xfffe
	s_and_b32 vcc_lo, exec_lo, s23
	s_wait_alu 0xfffe
	s_cbranch_vccz .LBB3_144
; %bb.134:                              ;   in Loop: Header=BB3_16 Depth=1
	s_add_co_i32 s23, s21, s56
                                        ; implicit-def: $vgpr25
	s_wait_alu 0xfffe
	s_abs_i32 s42, s23
	s_wait_alu 0xfffe
	s_mul_u64 s[14:15], s[42:43], s[48:49]
	s_wait_alu 0xfffe
	s_mul_i32 s14, s15, s53
	s_ashr_i32 s15, s23, 31
	s_wait_alu 0xfffe
	s_sub_co_i32 s14, s42, s14
	s_wait_alu 0xfffe
	s_sub_co_i32 s24, s14, s53
	s_cmp_ge_u32 s14, s53
	s_wait_alu 0xfffe
	s_cselect_b32 s14, s24, s14
	s_wait_alu 0xfffe
	s_sub_co_i32 s24, s14, s53
	s_cmp_ge_u32 s14, s53
	s_wait_alu 0xfffe
	s_cselect_b32 s14, s24, s14
	s_wait_alu 0xfffe
	s_xor_b32 s14, s14, s15
	s_wait_alu 0xfffe
	s_sub_co_i32 s14, s15, s14
	s_wait_alu 0xfffe
	s_add_co_i32 s15, s23, s14
	s_mov_b32 s14, exec_lo
	s_wait_alu 0xfffe
	v_cmpx_gt_i32_e64 s15, v0
	s_cbranch_execz .LBB3_143
; %bb.135:                              ;   in Loop: Header=BB3_16 Depth=1
	v_mov_b32_e32 v3, v0
	s_mov_b32 s23, 0
                                        ; implicit-def: $sgpr24
	s_branch .LBB3_138
.LBB3_136:                              ;   in Loop: Header=BB3_138 Depth=2
	s_wait_alu 0xfffe
	s_or_b32 exec_lo, exec_lo, s25
	s_wait_loadcnt_dscnt 0x0
	s_barrier_signal -1
	s_barrier_wait -1
	global_inv scope:SCOPE_SE
	ds_load_u16 v4, v14 offset:3072
	s_mov_b32 s26, -1
	s_mov_b32 s25, -1
	s_wait_loadcnt_dscnt 0x0
	s_barrier_signal -1
	s_barrier_wait -1
	global_inv scope:SCOPE_SE
	v_and_b32_e32 v25, 0xff, v4
	s_delay_alu instid0(VALU_DEP_1)
	v_cmp_eq_u32_e32 vcc_lo, 0, v25
	s_cbranch_vccnz .LBB3_141
.LBB3_137:                              ;   in Loop: Header=BB3_138 Depth=2
	s_wait_alu 0xfffe
	s_and_b32 s26, exec_lo, s26
	s_wait_alu 0xfffe
	s_or_b32 s23, s26, s23
	s_and_not1_b32 s24, s24, exec_lo
	s_and_b32 s25, s25, exec_lo
	s_wait_alu 0xfffe
	s_or_b32 s24, s24, s25
	s_and_not1_b32 exec_lo, exec_lo, s23
	s_cbranch_execz .LBB3_142
.LBB3_138:                              ;   Parent Loop BB3_16 Depth=1
                                        ; =>  This Inner Loop Header: Depth=2
	s_mov_b32 s25, exec_lo
	s_delay_alu instid0(VALU_DEP_1)
	v_cmpx_gt_i32_e64 s21, v3
	s_cbranch_execz .LBB3_136
; %bb.139:                              ;   in Loop: Header=BB3_138 Depth=2
	ds_load_u8 v4, v3
	s_wait_dscnt 0x0
	v_and_b32_e32 v25, v4, v24
	s_delay_alu instid0(VALU_DEP_1) | instskip(NEXT) | instid1(VALU_DEP_1)
	v_and_b32_e32 v25, 0xff, v25
	v_cmp_eq_u32_e32 vcc_lo, v25, v10
	s_and_b32 exec_lo, exec_lo, vcc_lo
	s_cbranch_execz .LBB3_136
; %bb.140:                              ;   in Loop: Header=BB3_138 Depth=2
	v_lshlrev_b16 v4, 8, v4
	s_delay_alu instid0(VALU_DEP_1)
	v_or_b32_e32 v4, 1, v4
	ds_store_b16 v14, v4 offset:3072
	s_branch .LBB3_136
.LBB3_141:                              ;   in Loop: Header=BB3_138 Depth=2
	v_add_nc_u32_e32 v3, s53, v3
	s_mov_b32 s25, 0
	s_delay_alu instid0(VALU_DEP_1)
	v_cmp_le_i32_e32 vcc_lo, s15, v3
	s_or_not1_b32 s26, vcc_lo, exec_lo
	s_branch .LBB3_137
.LBB3_142:                              ;   in Loop: Header=BB3_16 Depth=1
	s_or_b32 exec_lo, exec_lo, s23
	v_and_b32_e32 v3, 0xffff, v4
	s_and_not1_b32 s15, s22, exec_lo
	s_wait_alu 0xfffe
	s_and_b32 s21, s24, exec_lo
	s_wait_alu 0xfffe
	s_or_b32 s22, s15, s21
	v_lshrrev_b32_e32 v25, 8, v3
.LBB3_143:                              ;   in Loop: Header=BB3_16 Depth=1
	s_or_b32 exec_lo, exec_lo, s14
	s_mov_b32 s14, 0
	s_mov_b32 s15, -1
.LBB3_144:                              ;   in Loop: Header=BB3_16 Depth=1
	s_wait_alu 0xfffe
	s_or_not1_b32 s21, s22, exec_lo
.LBB3_145:                              ;   in Loop: Header=BB3_16 Depth=1
	s_wait_alu 0xfffe
	s_or_b32 exec_lo, exec_lo, s18
	s_mov_b32 s22, 0
	s_and_saveexec_b32 s18, s21
	s_cbranch_execz .LBB3_234
; %bb.146:                              ;   in Loop: Header=BB3_16 Depth=1
	v_mov_b32_e32 v3, 1
	v_mov_b32_e32 v1, 1
	s_xor_b32 s21, s20, -1
	s_mov_b32 s23, 0
	s_wait_alu 0xfffe
	s_and_saveexec_b32 s20, s21
	s_cbranch_execz .LBB3_155
; %bb.147:                              ;   in Loop: Header=BB3_16 Depth=1
	s_mov_b32 s21, exec_lo
	v_cmpx_ge_i32_e64 s19, v2
	s_wait_alu 0xfffe
	s_xor_b32 s21, exec_lo, s21
	s_cbranch_execz .LBB3_152
; %bb.148:                              ;   in Loop: Header=BB3_16 Depth=1
	ds_load_b32 v1, v14 offset:4096
	s_lshl_b32 s22, 1, s73
	v_or_b32_e32 v24, s10, v24
	s_wait_alu 0xfffe
	v_and_or_b32 v10, v10, s17, s22
	s_wait_dscnt 0x0
	v_cmp_ne_u32_e32 vcc_lo, 0, v1
	s_cbranch_vccnz .LBB3_152
; %bb.149:                              ;   in Loop: Header=BB3_16 Depth=1
	s_and_saveexec_b32 s22, s2
; %bb.150:                              ;   in Loop: Header=BB3_16 Depth=1
	v_mov_b32_e32 v1, s19
	ds_store_b32 v14, v1 offset:4100
; %bb.151:                              ;   in Loop: Header=BB3_16 Depth=1
	s_wait_alu 0xfffe
	s_or_b32 exec_lo, exec_lo, s22
	s_wait_loadcnt_dscnt 0x0
	s_barrier_signal -1
	s_barrier_wait -1
	global_inv scope:SCOPE_SE
.LBB3_152:                              ;   in Loop: Header=BB3_16 Depth=1
	s_wait_alu 0xfffe
	s_or_saveexec_b32 s21, s21
	v_mov_b32_e32 v1, 8
	s_mov_b32 s22, 0
	s_wait_alu 0xfffe
	s_xor_b32 exec_lo, exec_lo, s21
; %bb.153:                              ;   in Loop: Header=BB3_16 Depth=1
	v_subrev_nc_u32_e32 v2, s19, v2
	v_mov_b32_e32 v1, 0
	s_mov_b32 s22, exec_lo
; %bb.154:                              ;   in Loop: Header=BB3_16 Depth=1
	s_or_b32 exec_lo, exec_lo, s21
	s_delay_alu instid0(VALU_DEP_2)
	v_mov_b32_e32 v3, v2
	s_wait_alu 0xfffe
	s_and_b32 s23, s22, exec_lo
.LBB3_155:                              ;   in Loop: Header=BB3_16 Depth=1
	s_wait_alu 0xfffe
	s_or_b32 exec_lo, exec_lo, s20
	s_mov_b32 s22, -1
                                        ; implicit-def: $sgpr20
                                        ; implicit-def: $sgpr21
	s_and_saveexec_b32 s19, s23
	s_cbranch_execz .LBB3_233
; %bb.156:                              ;   in Loop: Header=BB3_16 Depth=1
	v_cmp_eq_u32_e32 vcc_lo, 1, v3
	s_cmp_eq_u32 s16, 1
	s_mov_b32 s24, -1
	s_cselect_b32 s20, -1, 0
                                        ; implicit-def: $sgpr21
	s_wait_alu 0xfffe
	s_and_b32 s23, s20, vcc_lo
                                        ; implicit-def: $sgpr20
	s_wait_alu 0xfffe
	s_and_saveexec_b32 s22, s23
	s_cbranch_execz .LBB3_182
; %bb.157:                              ;   in Loop: Header=BB3_16 Depth=1
	ds_load_b32 v2, v14 offset:4096
	s_wait_loadcnt_dscnt 0x0
	s_barrier_signal -1
	s_barrier_wait -1
	global_inv scope:SCOPE_SE
	v_readfirstlane_b32 s24, v2
	s_and_saveexec_b32 s20, s0
; %bb.158:                              ;   in Loop: Header=BB3_16 Depth=1
	ds_store_b8 v0, v14 offset:3072
; %bb.159:                              ;   in Loop: Header=BB3_16 Depth=1
	s_wait_alu 0xfffe
	s_or_b32 exec_lo, exec_lo, s20
	s_lshl_b32 s20, 2, s73
	v_or_b32_e32 v24, s10, v24
	s_wait_alu 0xfffe
	v_and_or_b32 v10, v10, s17, s20
	s_mov_b32 s20, -1
	s_mov_b32 s21, 0
	s_cmp_gt_i32 s24, 0
	s_mov_b32 s25, 0
	s_mov_b32 s26, -1
	s_wait_loadcnt_dscnt 0x0
	s_barrier_signal -1
	s_barrier_wait -1
	global_inv scope:SCOPE_SE
                                        ; implicit-def: $vgpr25
	s_cbranch_scc1 .LBB3_170
; %bb.160:                              ;   in Loop: Header=BB3_16 Depth=1
	s_mov_b32 s26, 0
                                        ; implicit-def: $vgpr25
	s_and_saveexec_b32 s27, s8
	s_cbranch_execz .LBB3_169
; %bb.161:                              ;   in Loop: Header=BB3_16 Depth=1
	v_mov_b32_e32 v2, v11
	v_mov_b32_e32 v4, v0
                                        ; implicit-def: $sgpr28
	s_branch .LBB3_164
.LBB3_162:                              ;   in Loop: Header=BB3_164 Depth=2
	s_wait_alu 0xfffe
	s_or_b32 exec_lo, exec_lo, s42
	s_wait_loadcnt_dscnt 0x0
	s_barrier_signal -1
	s_barrier_wait -1
	global_inv scope:SCOPE_SE
	ds_load_u16 v25, v14 offset:3072
	s_mov_b32 s42, -1
	s_mov_b32 s74, -1
	s_wait_loadcnt_dscnt 0x0
	s_barrier_signal -1
	s_barrier_wait -1
	global_inv scope:SCOPE_SE
	v_and_b32_e32 v26, 0xff, v25
	s_delay_alu instid0(VALU_DEP_1)
	v_cmp_ne_u32_e32 vcc_lo, 0, v26
	s_cbranch_vccz .LBB3_167
.LBB3_163:                              ;   in Loop: Header=BB3_164 Depth=2
	s_wait_alu 0xfffe
	s_and_b32 s42, exec_lo, s42
	s_wait_alu 0xfffe
	s_or_b32 s25, s42, s25
	s_and_not1_b32 s28, s28, exec_lo
	s_and_b32 s42, s74, exec_lo
	s_wait_alu 0xfffe
	s_or_b32 s28, s28, s42
	s_and_not1_b32 exec_lo, exec_lo, s25
	s_cbranch_execz .LBB3_168
.LBB3_164:                              ;   Parent Loop BB3_16 Depth=1
                                        ; =>  This Inner Loop Header: Depth=2
	s_mov_b32 s42, exec_lo
	s_delay_alu instid0(VALU_DEP_1)
	v_cmpx_gt_i32_e64 s36, v4
	s_cbranch_execz .LBB3_162
; %bb.165:                              ;   in Loop: Header=BB3_164 Depth=2
	v_ashrrev_i32_e32 v26, 31, v2
	v_add_co_u32 v25, vcc_lo, s44, v2
	s_wait_alu 0xfffd
	s_delay_alu instid0(VALU_DEP_2) | instskip(SKIP_3) | instid1(VALU_DEP_1)
	v_add_co_ci_u32_e64 v26, null, s45, v26, vcc_lo
	global_load_u8 v25, v[25:26], off
	s_wait_loadcnt 0x0
	v_and_b32_e32 v26, v25, v24
	v_and_b32_e32 v26, 0xff, v26
	s_delay_alu instid0(VALU_DEP_1)
	v_cmp_eq_u32_e32 vcc_lo, v26, v10
	s_and_b32 exec_lo, exec_lo, vcc_lo
	s_cbranch_execz .LBB3_162
; %bb.166:                              ;   in Loop: Header=BB3_164 Depth=2
	v_lshlrev_b16 v25, 8, v25
	s_delay_alu instid0(VALU_DEP_1)
	v_or_b32_e32 v25, 1, v25
	ds_store_b16 v14, v25 offset:3072
	s_branch .LBB3_162
.LBB3_167:                              ;   in Loop: Header=BB3_164 Depth=2
	v_add_nc_u32_e32 v4, s53, v4
	v_add_nc_u32_e32 v2, s57, v2
	s_mov_b32 s74, 0
	s_delay_alu instid0(VALU_DEP_2)
	v_cmp_le_i32_e32 vcc_lo, s65, v4
	s_or_not1_b32 s42, vcc_lo, exec_lo
	s_branch .LBB3_163
.LBB3_168:                              ;   in Loop: Header=BB3_16 Depth=1
	s_or_b32 exec_lo, exec_lo, s25
	v_and_b32_e32 v2, 0xffff, v25
	s_and_b32 s25, s28, exec_lo
	s_delay_alu instid0(VALU_DEP_1)
	v_lshrrev_b32_e32 v25, 8, v2
.LBB3_169:                              ;   in Loop: Header=BB3_16 Depth=1
	s_wait_alu 0xfffe
	s_or_b32 exec_lo, exec_lo, s27
.LBB3_170:                              ;   in Loop: Header=BB3_16 Depth=1
	s_wait_alu 0xfffe
	s_and_b32 vcc_lo, exec_lo, s26
	s_wait_alu 0xfffe
	s_cbranch_vccz .LBB3_181
; %bb.171:                              ;   in Loop: Header=BB3_16 Depth=1
	s_add_co_i32 s26, s24, s56
                                        ; implicit-def: $vgpr25
	s_wait_alu 0xfffe
	s_abs_i32 s42, s26
	s_wait_alu 0xfffe
	s_mul_u64 s[20:21], s[42:43], s[48:49]
	s_wait_alu 0xfffe
	s_mul_i32 s20, s21, s53
	s_ashr_i32 s21, s26, 31
	s_wait_alu 0xfffe
	s_sub_co_i32 s20, s42, s20
	s_wait_alu 0xfffe
	s_sub_co_i32 s27, s20, s53
	s_cmp_ge_u32 s20, s53
	s_wait_alu 0xfffe
	s_cselect_b32 s20, s27, s20
	s_wait_alu 0xfffe
	s_sub_co_i32 s27, s20, s53
	s_cmp_ge_u32 s20, s53
	s_wait_alu 0xfffe
	s_cselect_b32 s20, s27, s20
	s_wait_alu 0xfffe
	s_xor_b32 s20, s20, s21
	s_wait_alu 0xfffe
	s_sub_co_i32 s20, s21, s20
	s_wait_alu 0xfffe
	s_add_co_i32 s21, s26, s20
	s_mov_b32 s20, exec_lo
	s_wait_alu 0xfffe
	v_cmpx_gt_i32_e64 s21, v0
	s_cbranch_execz .LBB3_180
; %bb.172:                              ;   in Loop: Header=BB3_16 Depth=1
	v_mov_b32_e32 v2, v0
	s_mov_b32 s26, 0
                                        ; implicit-def: $sgpr27
	s_branch .LBB3_175
.LBB3_173:                              ;   in Loop: Header=BB3_175 Depth=2
	s_or_b32 exec_lo, exec_lo, s28
	s_wait_loadcnt_dscnt 0x0
	s_barrier_signal -1
	s_barrier_wait -1
	global_inv scope:SCOPE_SE
	ds_load_u16 v4, v14 offset:3072
	s_mov_b32 s42, -1
	s_mov_b32 s28, -1
	s_wait_loadcnt_dscnt 0x0
	s_barrier_signal -1
	s_barrier_wait -1
	global_inv scope:SCOPE_SE
	v_and_b32_e32 v25, 0xff, v4
	s_delay_alu instid0(VALU_DEP_1)
	v_cmp_eq_u32_e32 vcc_lo, 0, v25
	s_cbranch_vccnz .LBB3_178
.LBB3_174:                              ;   in Loop: Header=BB3_175 Depth=2
	s_wait_alu 0xfffe
	s_and_b32 s42, exec_lo, s42
	s_wait_alu 0xfffe
	s_or_b32 s26, s42, s26
	s_and_not1_b32 s27, s27, exec_lo
	s_and_b32 s28, s28, exec_lo
	s_wait_alu 0xfffe
	s_or_b32 s27, s27, s28
	s_and_not1_b32 exec_lo, exec_lo, s26
	s_cbranch_execz .LBB3_179
.LBB3_175:                              ;   Parent Loop BB3_16 Depth=1
                                        ; =>  This Inner Loop Header: Depth=2
	s_mov_b32 s28, exec_lo
	s_delay_alu instid0(VALU_DEP_1)
	v_cmpx_gt_i32_e64 s24, v2
	s_cbranch_execz .LBB3_173
; %bb.176:                              ;   in Loop: Header=BB3_175 Depth=2
	ds_load_u8 v4, v2
	s_wait_dscnt 0x0
	v_and_b32_e32 v25, v4, v24
	s_delay_alu instid0(VALU_DEP_1) | instskip(NEXT) | instid1(VALU_DEP_1)
	v_and_b32_e32 v25, 0xff, v25
	v_cmp_eq_u32_e32 vcc_lo, v25, v10
	s_and_b32 exec_lo, exec_lo, vcc_lo
	s_cbranch_execz .LBB3_173
; %bb.177:                              ;   in Loop: Header=BB3_175 Depth=2
	v_lshlrev_b16 v4, 8, v4
	s_delay_alu instid0(VALU_DEP_1)
	v_or_b32_e32 v4, 1, v4
	ds_store_b16 v14, v4 offset:3072
	s_branch .LBB3_173
.LBB3_178:                              ;   in Loop: Header=BB3_175 Depth=2
	v_add_nc_u32_e32 v2, s53, v2
	s_mov_b32 s28, 0
	s_delay_alu instid0(VALU_DEP_1)
	v_cmp_le_i32_e32 vcc_lo, s21, v2
	s_or_not1_b32 s42, vcc_lo, exec_lo
	s_branch .LBB3_174
.LBB3_179:                              ;   in Loop: Header=BB3_16 Depth=1
	s_or_b32 exec_lo, exec_lo, s26
	v_and_b32_e32 v2, 0xffff, v4
	s_and_not1_b32 s21, s25, exec_lo
	s_wait_alu 0xfffe
	s_and_b32 s24, s27, exec_lo
	s_wait_alu 0xfffe
	s_or_b32 s25, s21, s24
	v_lshrrev_b32_e32 v25, 8, v2
.LBB3_180:                              ;   in Loop: Header=BB3_16 Depth=1
	s_or_b32 exec_lo, exec_lo, s20
	s_mov_b32 s20, 0
	s_mov_b32 s21, -1
.LBB3_181:                              ;   in Loop: Header=BB3_16 Depth=1
	s_wait_alu 0xfffe
	s_or_not1_b32 s24, s25, exec_lo
.LBB3_182:                              ;   in Loop: Header=BB3_16 Depth=1
	s_wait_alu 0xfffe
	s_or_b32 exec_lo, exec_lo, s22
	s_mov_b32 s25, 0
	s_and_saveexec_b32 s22, s24
	s_cbranch_execz .LBB3_232
; %bb.183:                              ;   in Loop: Header=BB3_16 Depth=1
	v_dual_mov_b32 v2, 1 :: v_dual_mov_b32 v1, 1
	s_xor_b32 s24, s23, -1
	s_wait_alu 0xfffe
	s_and_saveexec_b32 s23, s24
	s_cbranch_execz .LBB3_192
; %bb.184:                              ;   in Loop: Header=BB3_16 Depth=1
	s_mov_b32 s24, exec_lo
	v_cmpx_ge_i32_e64 s16, v3
	s_wait_alu 0xfffe
	s_xor_b32 s24, exec_lo, s24
	s_cbranch_execz .LBB3_189
; %bb.185:                              ;   in Loop: Header=BB3_16 Depth=1
	ds_load_b32 v1, v14 offset:4096
	s_lshl_b32 s25, 2, s73
	v_or_b32_e32 v24, s10, v24
	s_wait_alu 0xfffe
	v_and_or_b32 v10, v10, s17, s25
	s_wait_dscnt 0x0
	v_cmp_ne_u32_e32 vcc_lo, 0, v1
	s_cbranch_vccnz .LBB3_189
; %bb.186:                              ;   in Loop: Header=BB3_16 Depth=1
	s_and_saveexec_b32 s17, s2
; %bb.187:                              ;   in Loop: Header=BB3_16 Depth=1
	v_mov_b32_e32 v1, s16
	ds_store_b32 v14, v1 offset:4100
; %bb.188:                              ;   in Loop: Header=BB3_16 Depth=1
	s_wait_alu 0xfffe
	s_or_b32 exec_lo, exec_lo, s17
	s_wait_loadcnt_dscnt 0x0
	s_barrier_signal -1
	s_barrier_wait -1
	global_inv scope:SCOPE_SE
.LBB3_189:                              ;   in Loop: Header=BB3_16 Depth=1
	s_wait_alu 0xfffe
	s_or_saveexec_b32 s17, s24
	v_mov_b32_e32 v1, 8
	s_mov_b32 s24, 0
	s_wait_alu 0xfffe
	s_xor_b32 exec_lo, exec_lo, s17
; %bb.190:                              ;   in Loop: Header=BB3_16 Depth=1
	v_subrev_nc_u32_e32 v3, s16, v3
	v_mov_b32_e32 v1, 0
	s_mov_b32 s24, exec_lo
; %bb.191:                              ;   in Loop: Header=BB3_16 Depth=1
	s_or_b32 exec_lo, exec_lo, s17
	s_delay_alu instid0(VALU_DEP_2)
	v_mov_b32_e32 v2, v3
	s_wait_alu 0xfffe
	s_and_b32 s25, s24, exec_lo
.LBB3_192:                              ;   in Loop: Header=BB3_16 Depth=1
	s_wait_alu 0xfffe
	s_or_b32 exec_lo, exec_lo, s23
	s_mov_b32 s17, -1
                                        ; implicit-def: $sgpr24
                                        ; implicit-def: $sgpr23
	s_and_saveexec_b32 s16, s25
	s_cbranch_execz .LBB3_231
; %bb.193:                              ;   in Loop: Header=BB3_16 Depth=1
	v_cmp_eq_u32_e32 vcc_lo, 1, v2
	s_cmp_eq_u32 s9, 1
	s_mov_b32 s26, -1
	s_cselect_b32 s17, -1, 0
                                        ; implicit-def: $sgpr24
                                        ; implicit-def: $sgpr23
	s_wait_alu 0xfffe
	s_and_b32 s17, s17, vcc_lo
	s_wait_alu 0xfffe
	s_and_saveexec_b32 s25, s17
	s_cbranch_execz .LBB3_219
; %bb.194:                              ;   in Loop: Header=BB3_16 Depth=1
	ds_load_b32 v3, v14 offset:4096
	s_wait_loadcnt_dscnt 0x0
	s_barrier_signal -1
	s_barrier_wait -1
	global_inv scope:SCOPE_SE
	v_readfirstlane_b32 s26, v3
	s_and_saveexec_b32 s23, s0
; %bb.195:                              ;   in Loop: Header=BB3_16 Depth=1
	ds_store_b8 v0, v14 offset:3072
; %bb.196:                              ;   in Loop: Header=BB3_16 Depth=1
	s_wait_alu 0xfffe
	s_or_b32 exec_lo, exec_lo, s23
	v_or_b32_e32 v10, s10, v10
	v_or_b32_e32 v24, s10, v24
	s_mov_b32 s23, -1
	s_mov_b32 s24, 0
	s_cmp_gt_i32 s26, 0
	s_mov_b32 s27, 0
	s_mov_b32 s28, -1
	s_wait_loadcnt_dscnt 0x0
	s_barrier_signal -1
	s_barrier_wait -1
	global_inv scope:SCOPE_SE
                                        ; implicit-def: $vgpr25
	s_cbranch_scc1 .LBB3_207
; %bb.197:                              ;   in Loop: Header=BB3_16 Depth=1
	s_mov_b32 s28, 0
                                        ; implicit-def: $vgpr25
	s_and_saveexec_b32 s42, s8
	s_cbranch_execz .LBB3_206
; %bb.198:                              ;   in Loop: Header=BB3_16 Depth=1
	v_dual_mov_b32 v3, v11 :: v_dual_mov_b32 v4, v0
                                        ; implicit-def: $sgpr74
	s_branch .LBB3_201
.LBB3_199:                              ;   in Loop: Header=BB3_201 Depth=2
	s_wait_alu 0xfffe
	s_or_b32 exec_lo, exec_lo, s75
	s_wait_loadcnt_dscnt 0x0
	s_barrier_signal -1
	s_barrier_wait -1
	global_inv scope:SCOPE_SE
	ds_load_u16 v25, v14 offset:3072
	s_mov_b32 s75, -1
	s_mov_b32 s76, -1
	s_wait_loadcnt_dscnt 0x0
	s_barrier_signal -1
	s_barrier_wait -1
	global_inv scope:SCOPE_SE
	v_and_b32_e32 v26, 0xff, v25
	s_delay_alu instid0(VALU_DEP_1)
	v_cmp_ne_u32_e32 vcc_lo, 0, v26
	s_cbranch_vccz .LBB3_204
.LBB3_200:                              ;   in Loop: Header=BB3_201 Depth=2
	s_wait_alu 0xfffe
	s_and_b32 s75, exec_lo, s75
	s_wait_alu 0xfffe
	s_or_b32 s27, s75, s27
	s_and_not1_b32 s74, s74, exec_lo
	s_and_b32 s75, s76, exec_lo
	s_wait_alu 0xfffe
	s_or_b32 s74, s74, s75
	s_and_not1_b32 exec_lo, exec_lo, s27
	s_cbranch_execz .LBB3_205
.LBB3_201:                              ;   Parent Loop BB3_16 Depth=1
                                        ; =>  This Inner Loop Header: Depth=2
	s_mov_b32 s75, exec_lo
	s_delay_alu instid0(VALU_DEP_1)
	v_cmpx_gt_i32_e64 s36, v4
	s_cbranch_execz .LBB3_199
; %bb.202:                              ;   in Loop: Header=BB3_201 Depth=2
	v_ashrrev_i32_e32 v26, 31, v3
	v_add_co_u32 v25, vcc_lo, s44, v3
	s_wait_alu 0xfffd
	s_delay_alu instid0(VALU_DEP_2) | instskip(SKIP_3) | instid1(VALU_DEP_1)
	v_add_co_ci_u32_e64 v26, null, s45, v26, vcc_lo
	global_load_u8 v25, v[25:26], off
	s_wait_loadcnt 0x0
	v_and_b32_e32 v26, v25, v24
	v_and_b32_e32 v26, 0xff, v26
	s_delay_alu instid0(VALU_DEP_1)
	v_cmp_eq_u32_e32 vcc_lo, v26, v10
	s_and_b32 exec_lo, exec_lo, vcc_lo
	s_cbranch_execz .LBB3_199
; %bb.203:                              ;   in Loop: Header=BB3_201 Depth=2
	v_lshlrev_b16 v25, 8, v25
	s_delay_alu instid0(VALU_DEP_1)
	v_or_b32_e32 v25, 1, v25
	ds_store_b16 v14, v25 offset:3072
	s_branch .LBB3_199
.LBB3_204:                              ;   in Loop: Header=BB3_201 Depth=2
	v_add_nc_u32_e32 v4, s53, v4
	v_add_nc_u32_e32 v3, s57, v3
	s_mov_b32 s76, 0
	s_delay_alu instid0(VALU_DEP_2)
	v_cmp_le_i32_e32 vcc_lo, s65, v4
	s_or_not1_b32 s75, vcc_lo, exec_lo
	s_branch .LBB3_200
.LBB3_205:                              ;   in Loop: Header=BB3_16 Depth=1
	s_or_b32 exec_lo, exec_lo, s27
	v_and_b32_e32 v3, 0xffff, v25
	s_wait_alu 0xfffe
	s_and_b32 s27, s74, exec_lo
	s_delay_alu instid0(VALU_DEP_1)
	v_lshrrev_b32_e32 v25, 8, v3
.LBB3_206:                              ;   in Loop: Header=BB3_16 Depth=1
	s_wait_alu 0xfffe
	s_or_b32 exec_lo, exec_lo, s42
.LBB3_207:                              ;   in Loop: Header=BB3_16 Depth=1
	s_delay_alu instid0(SALU_CYCLE_1)
	s_and_b32 vcc_lo, exec_lo, s28
	s_wait_alu 0xfffe
	s_cbranch_vccz .LBB3_218
; %bb.208:                              ;   in Loop: Header=BB3_16 Depth=1
	s_add_co_i32 s24, s26, s56
                                        ; implicit-def: $vgpr25
	s_wait_alu 0xfffe
	s_abs_i32 s42, s24
	s_ashr_i32 s28, s24, 31
	s_wait_alu 0xfffe
	s_mul_u64 s[74:75], s[42:43], s[48:49]
	s_wait_alu 0xfffe
	s_mul_i32 s23, s75, s53
	s_wait_alu 0xfffe
	s_sub_co_i32 s23, s42, s23
	s_wait_alu 0xfffe
	s_sub_co_i32 s42, s23, s53
	s_cmp_ge_u32 s23, s53
	s_wait_alu 0xfffe
	s_cselect_b32 s23, s42, s23
	s_wait_alu 0xfffe
	s_sub_co_i32 s42, s23, s53
	s_cmp_ge_u32 s23, s53
	s_wait_alu 0xfffe
	s_cselect_b32 s23, s42, s23
	s_wait_alu 0xfffe
	s_xor_b32 s23, s23, s28
	s_wait_alu 0xfffe
	s_sub_co_i32 s23, s28, s23
	s_wait_alu 0xfffe
	s_add_co_i32 s24, s24, s23
	s_mov_b32 s23, exec_lo
	s_wait_alu 0xfffe
	v_cmpx_gt_i32_e64 s24, v0
	s_cbranch_execz .LBB3_217
; %bb.209:                              ;   in Loop: Header=BB3_16 Depth=1
	v_mov_b32_e32 v3, v0
	s_mov_b32 s28, 0
                                        ; implicit-def: $sgpr42
	s_branch .LBB3_212
.LBB3_210:                              ;   in Loop: Header=BB3_212 Depth=2
	s_wait_alu 0xfffe
	s_or_b32 exec_lo, exec_lo, s74
	s_wait_loadcnt_dscnt 0x0
	s_barrier_signal -1
	s_barrier_wait -1
	global_inv scope:SCOPE_SE
	ds_load_u16 v4, v14 offset:3072
	s_mov_b32 s75, -1
	s_mov_b32 s74, -1
	s_wait_loadcnt_dscnt 0x0
	s_barrier_signal -1
	s_barrier_wait -1
	global_inv scope:SCOPE_SE
	v_and_b32_e32 v25, 0xff, v4
	s_delay_alu instid0(VALU_DEP_1)
	v_cmp_eq_u32_e32 vcc_lo, 0, v25
	s_cbranch_vccnz .LBB3_215
.LBB3_211:                              ;   in Loop: Header=BB3_212 Depth=2
	s_wait_alu 0xfffe
	s_and_b32 s75, exec_lo, s75
	s_wait_alu 0xfffe
	s_or_b32 s28, s75, s28
	s_and_not1_b32 s42, s42, exec_lo
	s_and_b32 s74, s74, exec_lo
	s_wait_alu 0xfffe
	s_or_b32 s42, s42, s74
	s_and_not1_b32 exec_lo, exec_lo, s28
	s_cbranch_execz .LBB3_216
.LBB3_212:                              ;   Parent Loop BB3_16 Depth=1
                                        ; =>  This Inner Loop Header: Depth=2
	s_mov_b32 s74, exec_lo
	s_delay_alu instid0(VALU_DEP_1)
	v_cmpx_gt_i32_e64 s26, v3
	s_cbranch_execz .LBB3_210
; %bb.213:                              ;   in Loop: Header=BB3_212 Depth=2
	ds_load_u8 v4, v3
	s_wait_dscnt 0x0
	v_and_b32_e32 v25, v4, v24
	s_delay_alu instid0(VALU_DEP_1) | instskip(NEXT) | instid1(VALU_DEP_1)
	v_and_b32_e32 v25, 0xff, v25
	v_cmp_eq_u32_e32 vcc_lo, v25, v10
	s_and_b32 exec_lo, exec_lo, vcc_lo
	s_cbranch_execz .LBB3_210
; %bb.214:                              ;   in Loop: Header=BB3_212 Depth=2
	v_lshlrev_b16 v4, 8, v4
	s_delay_alu instid0(VALU_DEP_1)
	v_or_b32_e32 v4, 1, v4
	ds_store_b16 v14, v4 offset:3072
	s_branch .LBB3_210
.LBB3_215:                              ;   in Loop: Header=BB3_212 Depth=2
	v_add_nc_u32_e32 v3, s53, v3
	s_mov_b32 s74, 0
	s_delay_alu instid0(VALU_DEP_1)
	v_cmp_le_i32_e32 vcc_lo, s24, v3
	s_or_not1_b32 s75, vcc_lo, exec_lo
	s_branch .LBB3_211
.LBB3_216:                              ;   in Loop: Header=BB3_16 Depth=1
	s_or_b32 exec_lo, exec_lo, s28
	v_and_b32_e32 v3, 0xffff, v4
	s_and_not1_b32 s24, s27, exec_lo
	s_wait_alu 0xfffe
	s_and_b32 s26, s42, exec_lo
	s_wait_alu 0xfffe
	s_or_b32 s27, s24, s26
	v_lshrrev_b32_e32 v25, 8, v3
.LBB3_217:                              ;   in Loop: Header=BB3_16 Depth=1
	s_or_b32 exec_lo, exec_lo, s23
	s_mov_b32 s23, 0
	s_mov_b32 s24, -1
.LBB3_218:                              ;   in Loop: Header=BB3_16 Depth=1
	s_wait_alu 0xfffe
	s_or_not1_b32 s26, s27, exec_lo
.LBB3_219:                              ;   in Loop: Header=BB3_16 Depth=1
	s_wait_alu 0xfffe
	s_or_b32 exec_lo, exec_lo, s25
	s_mov_b32 s27, 0
	s_and_saveexec_b32 s25, s26
	s_cbranch_execz .LBB3_230
; %bb.220:                              ;   in Loop: Header=BB3_16 Depth=1
	v_mov_b32_e32 v1, 1
	v_mov_b32_e32 v3, 1
	s_xor_b32 s26, s17, -1
	s_wait_alu 0xfffe
	s_and_saveexec_b32 s17, s26
	s_cbranch_execz .LBB3_229
; %bb.221:                              ;   in Loop: Header=BB3_16 Depth=1
	s_mov_b32 s26, exec_lo
	v_cmpx_ge_i32_e64 s9, v2
	s_wait_alu 0xfffe
	s_xor_b32 s26, exec_lo, s26
	s_cbranch_execz .LBB3_226
; %bb.222:                              ;   in Loop: Header=BB3_16 Depth=1
	ds_load_b32 v1, v14 offset:4096
	v_or_b32_e32 v10, s10, v10
	v_or_b32_e32 v24, s10, v24
	s_wait_dscnt 0x0
	v_cmp_ne_u32_e32 vcc_lo, 0, v1
	s_cbranch_vccnz .LBB3_226
; %bb.223:                              ;   in Loop: Header=BB3_16 Depth=1
	s_and_saveexec_b32 s10, s2
; %bb.224:                              ;   in Loop: Header=BB3_16 Depth=1
	v_mov_b32_e32 v1, s9
	ds_store_b32 v14, v1 offset:4100
; %bb.225:                              ;   in Loop: Header=BB3_16 Depth=1
	s_wait_alu 0xfffe
	s_or_b32 exec_lo, exec_lo, s10
	s_wait_loadcnt_dscnt 0x0
	s_barrier_signal -1
	s_barrier_wait -1
	global_inv scope:SCOPE_SE
.LBB3_226:                              ;   in Loop: Header=BB3_16 Depth=1
	s_wait_alu 0xfffe
	s_and_not1_saveexec_b32 s10, s26
; %bb.227:                              ;   in Loop: Header=BB3_16 Depth=1
	v_subrev_nc_u32_e32 v2, s9, v2
; %bb.228:                              ;   in Loop: Header=BB3_16 Depth=1
	s_wait_alu 0xfffe
	s_or_b32 exec_lo, exec_lo, s10
	v_mov_b32_e32 v1, 8
	s_delay_alu instid0(VALU_DEP_2)
	v_mov_b32_e32 v3, v2
.LBB3_229:                              ;   in Loop: Header=BB3_16 Depth=1
	s_wait_alu 0xfffe
	s_or_b32 exec_lo, exec_lo, s17
	s_delay_alu instid0(VALU_DEP_1)
	v_mov_b32_e32 v2, v3
	s_mov_b32 s27, exec_lo
.LBB3_230:                              ;   in Loop: Header=BB3_16 Depth=1
	s_wait_alu 0xfffe
	s_or_b32 exec_lo, exec_lo, s25
	s_delay_alu instid0(SALU_CYCLE_1)
	s_or_not1_b32 s17, s27, exec_lo
.LBB3_231:                              ;   in Loop: Header=BB3_16 Depth=1
	s_wait_alu 0xfffe
	s_or_b32 exec_lo, exec_lo, s16
	v_mov_b32_e32 v3, v2
	s_and_not1_b32 s9, s21, exec_lo
	s_and_b32 s10, s24, exec_lo
	s_and_not1_b32 s16, s20, exec_lo
	s_and_b32 s20, s23, exec_lo
	s_wait_alu 0xfffe
	s_or_b32 s21, s9, s10
	s_or_b32 s20, s16, s20
	s_and_b32 s25, s17, exec_lo
.LBB3_232:                              ;   in Loop: Header=BB3_16 Depth=1
	s_wait_alu 0xfffe
	s_or_b32 exec_lo, exec_lo, s22
	s_delay_alu instid0(SALU_CYCLE_1)
	s_or_not1_b32 s22, s25, exec_lo
.LBB3_233:                              ;   in Loop: Header=BB3_16 Depth=1
	s_wait_alu 0xfffe
	s_or_b32 exec_lo, exec_lo, s19
	v_mov_b32_e32 v2, v3
	s_and_not1_b32 s9, s15, exec_lo
	s_and_b32 s10, s21, exec_lo
	s_and_not1_b32 s14, s14, exec_lo
	s_and_b32 s16, s20, exec_lo
	s_wait_alu 0xfffe
	s_or_b32 s15, s9, s10
	s_or_b32 s14, s14, s16
	s_and_b32 s22, s22, exec_lo
.LBB3_234:                              ;   in Loop: Header=BB3_16 Depth=1
	s_wait_alu 0xfffe
	s_or_b32 exec_lo, exec_lo, s18
	s_delay_alu instid0(SALU_CYCLE_1)
	s_or_not1_b32 s18, s22, exec_lo
.LBB3_235:                              ;   in Loop: Header=BB3_16 Depth=1
	s_wait_alu 0xfffe
	s_or_b32 exec_lo, exec_lo, s13
	s_mov_b32 s10, 0
                                        ; implicit-def: $sgpr21
	s_and_saveexec_b32 s9, s18
	s_wait_alu 0xfffe
	s_xor_b32 s9, exec_lo, s9
	s_cbranch_execz .LBB3_14
; %bb.236:                              ;   in Loop: Header=BB3_16 Depth=1
	v_and_b32_e32 v1, 7, v1
	s_mov_b32 s12, -1
	s_mov_b32 s10, -1
	s_mov_b32 s13, exec_lo
                                        ; implicit-def: $sgpr21
	s_delay_alu instid0(VALU_DEP_1)
	v_cmpx_eq_u32_e32 0, v1
	s_cbranch_execz .LBB3_13
; %bb.237:                              ;   in Loop: Header=BB3_16 Depth=1
	s_add_co_i32 s21, s73, -2
	s_cmp_eq_u32 s73, 0
	v_xor_b32_e32 v23, 1, v23
	s_cselect_b32 s12, -1, 0
	s_xor_b32 s10, exec_lo, -1
	s_wait_alu 0xfffe
	s_or_not1_b32 s12, s12, exec_lo
	s_branch .LBB3_13
.LBB3_238:
	s_or_b32 exec_lo, exec_lo, s66
	s_wait_alu 0xfffe
	s_xor_b32 s4, s72, -1
	s_xor_b32 s0, s70, -1
	;; [unrolled: 1-line block ×3, first 2 shown]
	s_mov_b32 s1, 0
	s_wait_alu 0xfffe
	s_and_saveexec_b32 s5, s0
	s_delay_alu instid0(SALU_CYCLE_1)
	s_xor_b32 s0, exec_lo, s5
	s_cbranch_execnz .LBB3_243
; %bb.239:
	s_wait_alu 0xfffe
	s_and_not1_saveexec_b32 s0, s0
	s_cbranch_execnz .LBB3_263
.LBB3_240:
	s_wait_alu 0xfffe
	s_or_b32 exec_lo, exec_lo, s0
	s_and_saveexec_b32 s0, s1
.LBB3_241:
	; divergent unreachable
.LBB3_242:
	s_endpgm
.LBB3_243:
	s_and_saveexec_b32 s1, s4
	s_wait_alu 0xfffe
	s_xor_b32 s1, exec_lo, s1
	s_cbranch_execz .LBB3_261
; %bb.244:
	s_and_saveexec_b32 s4, s3
	s_delay_alu instid0(SALU_CYCLE_1)
	s_xor_b32 s3, exec_lo, s4
; %bb.245:
	v_mov_b32_e32 v25, v10
; %bb.246:
	s_or_b32 exec_lo, exec_lo, s3
	s_and_saveexec_b32 s3, s2
; %bb.247:
	v_dual_mov_b32 v1, 0 :: v_dual_mov_b32 v2, s36
	ds_store_b32 v1, v2 offset:4108
; %bb.248:
	s_or_b32 exec_lo, exec_lo, s3
	v_mov_b32_e32 v1, 0
	s_wait_loadcnt_dscnt 0x0
	s_barrier_signal -1
	s_barrier_wait -1
	global_inv scope:SCOPE_SE
	ds_load_b32 v1, v1 offset:4108
	s_mov_b32 s3, exec_lo
	s_wait_dscnt 0x0
	v_min_i32_e32 v1, s36, v1
	s_delay_alu instid0(VALU_DEP_1)
	v_cmpx_lt_i32_e64 v0, v1
	s_cbranch_execz .LBB3_258
; %bb.249:
	v_and_b32_e32 v3, 0xff, v25
	s_mov_b32 s4, 0
                                        ; implicit-def: $sgpr5
                                        ; implicit-def: $sgpr7
                                        ; implicit-def: $sgpr6
	s_branch .LBB3_251
.LBB3_250:                              ;   in Loop: Header=BB3_251 Depth=1
	s_wait_alu 0xfffe
	s_or_b32 exec_lo, exec_lo, s8
	s_delay_alu instid0(SALU_CYCLE_1)
	s_and_b32 s8, exec_lo, s7
	s_wait_alu 0xfffe
	s_or_b32 s4, s8, s4
	s_and_not1_b32 s5, s5, exec_lo
	s_and_b32 s8, s6, exec_lo
	s_wait_alu 0xfffe
	s_or_b32 s5, s5, s8
	s_and_not1_b32 exec_lo, exec_lo, s4
	s_cbranch_execz .LBB3_253
.LBB3_251:                              ; =>This Inner Loop Header: Depth=1
	v_ashrrev_i32_e32 v2, 31, v11
	v_add_co_u32 v4, vcc_lo, s44, v11
	s_or_b32 s6, s6, exec_lo
	s_or_b32 s7, s7, exec_lo
	s_wait_alu 0xfffd
	v_add_co_ci_u32_e64 v5, null, s45, v2, vcc_lo
	v_mov_b32_e32 v2, v0
	s_mov_b32 s8, exec_lo
                                        ; implicit-def: $vgpr0
	global_load_u8 v4, v[4:5], off
	s_wait_loadcnt 0x0
	v_cmpx_ne_u16_e64 v4, v3
	s_cbranch_execz .LBB3_250
; %bb.252:                              ;   in Loop: Header=BB3_251 Depth=1
	v_add_nc_u32_e32 v0, s53, v2
	v_add_nc_u32_e32 v11, s57, v11
	s_wait_alu 0xfffe
	s_and_not1_b32 s7, s7, exec_lo
	s_and_not1_b32 s6, s6, exec_lo
	v_cmp_ge_i32_e32 vcc_lo, v0, v1
	s_and_b32 s9, vcc_lo, exec_lo
	s_wait_alu 0xfffe
	s_or_b32 s7, s7, s9
	s_branch .LBB3_250
.LBB3_253:
	s_or_b32 exec_lo, exec_lo, s4
	s_and_saveexec_b32 s4, s5
	s_delay_alu instid0(SALU_CYCLE_1)
	s_xor_b32 s4, exec_lo, s4
	s_cbranch_execz .LBB3_258
; %bb.254:
	s_mov_b32 s5, exec_lo
	s_brev_b32 s4, -2
.LBB3_255:                              ; =>This Inner Loop Header: Depth=1
	s_ctz_i32_b32 s6, s5
	s_wait_alu 0xfffe
	v_readlane_b32 s7, v2, s6
	s_lshl_b32 s6, 1, s6
	s_wait_alu 0xfffe
	s_and_not1_b32 s5, s5, s6
	s_min_i32 s4, s4, s7
	s_cmp_lg_u32 s5, 0
	s_cbranch_scc1 .LBB3_255
; %bb.256:
	v_mbcnt_lo_u32_b32 v0, exec_lo, 0
	s_mov_b32 s5, exec_lo
	s_delay_alu instid0(VALU_DEP_1)
	v_cmpx_eq_u32_e32 0, v0
	s_xor_b32 s5, exec_lo, s5
; %bb.257:
	v_dual_mov_b32 v0, 0 :: v_dual_mov_b32 v1, s4
	ds_min_i32 v0, v1 offset:4108
.LBB3_258:
	s_or_b32 exec_lo, exec_lo, s3
	s_wait_loadcnt_dscnt 0x0
	s_barrier_signal -1
	s_barrier_wait -1
	global_inv scope:SCOPE_SE
	s_and_saveexec_b32 s3, s2
	s_cbranch_execz .LBB3_260
; %bb.259:
	v_mov_b32_e32 v2, 0
	s_mul_i32 s2, s52, s33
	s_mul_i32 s5, s30, s38
	s_add_co_i32 s4, s2, s31
	s_wait_alu 0xfffe
	s_add_co_i32 s6, s5, s29
	ds_load_b32 v0, v2 offset:4108
	s_ashr_i32 s5, s4, 31
	s_wait_alu 0xfffe
	s_ashr_i32 s7, s6, 31
	s_lshl_b64 s[4:5], s[4:5], 3
	s_wait_alu 0xfffe
	s_add_nc_u64 s[6:7], s[34:35], s[6:7]
	s_add_nc_u64 s[4:5], s[40:41], s[4:5]
	s_wait_dscnt 0x0
	v_ashrrev_i32_e32 v1, 31, v0
	s_clause 0x1
	global_store_b64 v2, v[0:1], s[4:5]
	global_store_b8 v2, v25, s[6:7]
.LBB3_260:
	s_or_b32 exec_lo, exec_lo, s3
.LBB3_261:
	s_wait_alu 0xfffe
	s_or_saveexec_b32 s1, s1
	s_mov_b32 s2, 0
	s_wait_alu 0xfffe
	s_xor_b32 exec_lo, exec_lo, s1
	s_cbranch_execnz .LBB3_264
.LBB3_262:
	s_or_b32 exec_lo, exec_lo, s1
	s_delay_alu instid0(SALU_CYCLE_1)
	s_and_b32 s1, s2, exec_lo
	s_and_not1_saveexec_b32 s0, s0
	s_cbranch_execz .LBB3_240
.LBB3_263:
	s_wait_alu 0xfffe
	s_or_b32 s1, s1, exec_lo
	s_trap 2
	s_or_b32 exec_lo, exec_lo, s0
	s_wait_alu 0xfffe
	s_and_saveexec_b32 s0, s1
	s_cbranch_execnz .LBB3_241
	s_branch .LBB3_242
.LBB3_264:
	s_mov_b32 s2, exec_lo
	s_trap 2
	s_branch .LBB3_262
	.section	.rodata,"a",@progbits
	.p2align	6, 0x0
	.amdhsa_kernel _ZN2at6native12_GLOBAL__N_114gatherKthValueIhiLin1EEEvNS_4cuda6detail10TensorInfoIKT_T0_EES8_S8_S8_S8_NS5_IS6_S8_EENS5_IlS8_EE
		.amdhsa_group_segment_fixed_size 4112
		.amdhsa_private_segment_fixed_size 0
		.amdhsa_kernarg_size 920
		.amdhsa_user_sgpr_count 2
		.amdhsa_user_sgpr_dispatch_ptr 0
		.amdhsa_user_sgpr_queue_ptr 0
		.amdhsa_user_sgpr_kernarg_segment_ptr 1
		.amdhsa_user_sgpr_dispatch_id 0
		.amdhsa_user_sgpr_private_segment_size 0
		.amdhsa_wavefront_size32 1
		.amdhsa_uses_dynamic_stack 0
		.amdhsa_enable_private_segment 0
		.amdhsa_system_sgpr_workgroup_id_x 1
		.amdhsa_system_sgpr_workgroup_id_y 1
		.amdhsa_system_sgpr_workgroup_id_z 1
		.amdhsa_system_sgpr_workgroup_info 0
		.amdhsa_system_vgpr_workitem_id 0
		.amdhsa_next_free_vgpr 40
		.amdhsa_next_free_sgpr 81
		.amdhsa_reserve_vcc 1
		.amdhsa_float_round_mode_32 0
		.amdhsa_float_round_mode_16_64 0
		.amdhsa_float_denorm_mode_32 3
		.amdhsa_float_denorm_mode_16_64 3
		.amdhsa_fp16_overflow 0
		.amdhsa_workgroup_processor_mode 1
		.amdhsa_memory_ordered 1
		.amdhsa_forward_progress 1
		.amdhsa_inst_pref_size 90
		.amdhsa_round_robin_scheduling 0
		.amdhsa_exception_fp_ieee_invalid_op 0
		.amdhsa_exception_fp_denorm_src 0
		.amdhsa_exception_fp_ieee_div_zero 0
		.amdhsa_exception_fp_ieee_overflow 0
		.amdhsa_exception_fp_ieee_underflow 0
		.amdhsa_exception_fp_ieee_inexact 0
		.amdhsa_exception_int_div_zero 0
	.end_amdhsa_kernel
	.section	.text._ZN2at6native12_GLOBAL__N_114gatherKthValueIhiLin1EEEvNS_4cuda6detail10TensorInfoIKT_T0_EES8_S8_S8_S8_NS5_IS6_S8_EENS5_IlS8_EE,"axG",@progbits,_ZN2at6native12_GLOBAL__N_114gatherKthValueIhiLin1EEEvNS_4cuda6detail10TensorInfoIKT_T0_EES8_S8_S8_S8_NS5_IS6_S8_EENS5_IlS8_EE,comdat
.Lfunc_end3:
	.size	_ZN2at6native12_GLOBAL__N_114gatherKthValueIhiLin1EEEvNS_4cuda6detail10TensorInfoIKT_T0_EES8_S8_S8_S8_NS5_IS6_S8_EENS5_IlS8_EE, .Lfunc_end3-_ZN2at6native12_GLOBAL__N_114gatherKthValueIhiLin1EEEvNS_4cuda6detail10TensorInfoIKT_T0_EES8_S8_S8_S8_NS5_IS6_S8_EENS5_IlS8_EE
                                        ; -- End function
	.set _ZN2at6native12_GLOBAL__N_114gatherKthValueIhiLin1EEEvNS_4cuda6detail10TensorInfoIKT_T0_EES8_S8_S8_S8_NS5_IS6_S8_EENS5_IlS8_EE.num_vgpr, 40
	.set _ZN2at6native12_GLOBAL__N_114gatherKthValueIhiLin1EEEvNS_4cuda6detail10TensorInfoIKT_T0_EES8_S8_S8_S8_NS5_IS6_S8_EENS5_IlS8_EE.num_agpr, 0
	.set _ZN2at6native12_GLOBAL__N_114gatherKthValueIhiLin1EEEvNS_4cuda6detail10TensorInfoIKT_T0_EES8_S8_S8_S8_NS5_IS6_S8_EENS5_IlS8_EE.numbered_sgpr, 81
	.set _ZN2at6native12_GLOBAL__N_114gatherKthValueIhiLin1EEEvNS_4cuda6detail10TensorInfoIKT_T0_EES8_S8_S8_S8_NS5_IS6_S8_EENS5_IlS8_EE.num_named_barrier, 0
	.set _ZN2at6native12_GLOBAL__N_114gatherKthValueIhiLin1EEEvNS_4cuda6detail10TensorInfoIKT_T0_EES8_S8_S8_S8_NS5_IS6_S8_EENS5_IlS8_EE.private_seg_size, 0
	.set _ZN2at6native12_GLOBAL__N_114gatherKthValueIhiLin1EEEvNS_4cuda6detail10TensorInfoIKT_T0_EES8_S8_S8_S8_NS5_IS6_S8_EENS5_IlS8_EE.uses_vcc, 1
	.set _ZN2at6native12_GLOBAL__N_114gatherKthValueIhiLin1EEEvNS_4cuda6detail10TensorInfoIKT_T0_EES8_S8_S8_S8_NS5_IS6_S8_EENS5_IlS8_EE.uses_flat_scratch, 0
	.set _ZN2at6native12_GLOBAL__N_114gatherKthValueIhiLin1EEEvNS_4cuda6detail10TensorInfoIKT_T0_EES8_S8_S8_S8_NS5_IS6_S8_EENS5_IlS8_EE.has_dyn_sized_stack, 0
	.set _ZN2at6native12_GLOBAL__N_114gatherKthValueIhiLin1EEEvNS_4cuda6detail10TensorInfoIKT_T0_EES8_S8_S8_S8_NS5_IS6_S8_EENS5_IlS8_EE.has_recursion, 0
	.set _ZN2at6native12_GLOBAL__N_114gatherKthValueIhiLin1EEEvNS_4cuda6detail10TensorInfoIKT_T0_EES8_S8_S8_S8_NS5_IS6_S8_EENS5_IlS8_EE.has_indirect_call, 0
	.section	.AMDGPU.csdata,"",@progbits
; Kernel info:
; codeLenInByte = 11496
; TotalNumSgprs: 83
; NumVgprs: 40
; ScratchSize: 0
; MemoryBound: 0
; FloatMode: 240
; IeeeMode: 1
; LDSByteSize: 4112 bytes/workgroup (compile time only)
; SGPRBlocks: 0
; VGPRBlocks: 4
; NumSGPRsForWavesPerEU: 83
; NumVGPRsForWavesPerEU: 40
; Occupancy: 16
; WaveLimiterHint : 1
; COMPUTE_PGM_RSRC2:SCRATCH_EN: 0
; COMPUTE_PGM_RSRC2:USER_SGPR: 2
; COMPUTE_PGM_RSRC2:TRAP_HANDLER: 0
; COMPUTE_PGM_RSRC2:TGID_X_EN: 1
; COMPUTE_PGM_RSRC2:TGID_Y_EN: 1
; COMPUTE_PGM_RSRC2:TGID_Z_EN: 1
; COMPUTE_PGM_RSRC2:TIDIG_COMP_CNT: 0
	.section	.text._ZN2at6native12_GLOBAL__N_114gatherKthValueIhlLi1EEEvNS_4cuda6detail10TensorInfoIKT_T0_EES8_S8_S8_S8_NS5_IS6_S8_EENS5_IlS8_EE,"axG",@progbits,_ZN2at6native12_GLOBAL__N_114gatherKthValueIhlLi1EEEvNS_4cuda6detail10TensorInfoIKT_T0_EES8_S8_S8_S8_NS5_IS6_S8_EENS5_IlS8_EE,comdat
	.globl	_ZN2at6native12_GLOBAL__N_114gatherKthValueIhlLi1EEEvNS_4cuda6detail10TensorInfoIKT_T0_EES8_S8_S8_S8_NS5_IS6_S8_EENS5_IlS8_EE ; -- Begin function _ZN2at6native12_GLOBAL__N_114gatherKthValueIhlLi1EEEvNS_4cuda6detail10TensorInfoIKT_T0_EES8_S8_S8_S8_NS5_IS6_S8_EENS5_IlS8_EE
	.p2align	8
	.type	_ZN2at6native12_GLOBAL__N_114gatherKthValueIhlLi1EEEvNS_4cuda6detail10TensorInfoIKT_T0_EES8_S8_S8_S8_NS5_IS6_S8_EENS5_IlS8_EE,@function
_ZN2at6native12_GLOBAL__N_114gatherKthValueIhlLi1EEEvNS_4cuda6detail10TensorInfoIKT_T0_EES8_S8_S8_S8_NS5_IS6_S8_EENS5_IlS8_EE: ; @_ZN2at6native12_GLOBAL__N_114gatherKthValueIhlLi1EEEvNS_4cuda6detail10TensorInfoIKT_T0_EES8_S8_S8_S8_NS5_IS6_S8_EENS5_IlS8_EE
; %bb.0:
	s_clause 0x1
	s_load_b64 s[4:5], s[0:1], 0x500
	s_load_b256 s[36:43], s[0:1], 0x1a0
	s_lshr_b32 s2, ttmp7, 16
	s_and_b32 s3, ttmp7, 0xffff
	s_mov_b32 s27, 0
	s_wait_kmcnt 0x0
	s_mul_i32 s2, s5, s2
	s_delay_alu instid0(SALU_CYCLE_1) | instskip(NEXT) | instid1(SALU_CYCLE_1)
	s_add_co_i32 s2, s2, s3
	s_mul_i32 s2, s2, s4
	s_delay_alu instid0(SALU_CYCLE_1) | instskip(NEXT) | instid1(SALU_CYCLE_1)
	s_add_co_i32 s26, s2, ttmp9
	v_cmp_le_i64_e64 s2, s[40:41], s[26:27]
	s_and_b32 vcc_lo, exec_lo, s2
	s_cbranch_vccnz .LBB4_273
; %bb.1:
	s_clause 0x1
	s_load_b64 s[10:11], s[0:1], 0xd0
	s_load_b64 s[8:9], s[0:1], 0x0
	v_cmp_eq_u32_e64 s2, 0, v0
	s_add_nc_u64 s[6:7], s[0:1], 0x500
	s_and_saveexec_b32 s3, s2
	s_cbranch_execz .LBB4_3
; %bb.2:
	v_dual_mov_b32 v1, 0 :: v_dual_mov_b32 v4, s37
	s_delay_alu instid0(VALU_DEP_1)
	v_dual_mov_b32 v3, s36 :: v_dual_mov_b32 v2, v1
	ds_store_b32 v1, v1 offset:5136
	ds_store_b128 v1, v[1:4] offset:5120
.LBB4_3:
	s_or_b32 exec_lo, exec_lo, s3
	v_mad_co_u64_u32 v[4:5], null, s42, v0, 0
	v_mbcnt_lo_u32_b32 v32, -1, 0
	s_clause 0x3
	s_load_b64 s[40:41], s[0:1], 0x430
	s_load_b64 s[28:29], s[0:1], 0x360
	;; [unrolled: 1-line block ×4, first 2 shown]
	v_cmp_gt_u32_e32 vcc_lo, 32, v0
	s_wait_kmcnt 0x0
	s_mul_u64 s[10:11], s[10:11], s[26:27]
	s_wait_dscnt 0x0
	v_cmp_gt_i32_e64 s0, 4, v32
	v_mov_b32_e32 v1, v5
	s_add_nc_u64 s[48:49], s[8:9], s[10:11]
	v_lshlrev_b64_e64 v[6:7], v32, -1
	s_barrier_signal -1
	s_and_b32 s33, vcc_lo, s0
	v_mad_co_u64_u32 v[2:3], null, s43, v0, v[1:2]
	v_dual_mov_b32 v3, 0 :: v_dual_lshlrev_b32 v14, 2, v0
	v_add_co_u32 v12, vcc_lo, s48, v4
	v_not_b32_e32 v33, v6
	v_not_b32_e32 v6, v0
	s_delay_alu instid0(VALU_DEP_4)
	v_or_b32_e32 v8, 3, v14
	v_add_co_ci_u32_e64 v13, null, s49, v2, vcc_lo
	s_barrier_wait -1
	global_inv scope:SCOPE_SE
	v_mad_co_u64_u32 v[19:20], null, s42, v8, 0
	v_dual_mov_b32 v5, v2 :: v_dual_add_nc_u32 v2, 2, v0
	s_load_b32 s5, s[6:7], 0xc
	v_or_b32_e32 v10, 2, v14
	v_mad_co_u64_u32 v[23:24], null, s42, v14, s[42:43]
	s_delay_alu instid0(VALU_DEP_3) | instskip(SKIP_1) | instid1(VALU_DEP_3)
	v_cmp_gt_i64_e32 vcc_lo, s[36:37], v[2:3]
	s_mov_b32 s51, 0
	v_mad_co_u64_u32 v[21:22], null, s42, v10, 0
	v_mov_b32_e32 v15, v3
	v_mul_lo_u32 v40, 0, s42
	s_wait_alu 0xfffd
	v_cndmask_b32_e64 v2, v2, s36, vcc_lo
	v_cndmask_b32_e64 v7, 0, s37, vcc_lo
	v_cmp_lt_i64_e64 s80, 0xc00, s[36:37]
	s_mov_b32 s45, s51
	v_cmp_eq_u32_e64 s1, 0, v32
	v_add_co_u32 v6, vcc_lo, v2, v6
	v_mov_b32_e32 v1, v3
	s_wait_alu 0xfffd
	v_add_co_ci_u32_e64 v7, null, -1, v7, vcc_lo
	s_delay_alu instid0(VALU_DEP_3)
	v_and_b32_e32 v16, -4, v6
	s_wait_kmcnt 0x0
	s_and_b32 s44, s5, 0xffff
	s_bfe_u32 s8, s5, 0xb0005
	s_cmp_gt_u32 s44, 31
	s_movk_i32 s5, 0x3e0
	v_add_co_u32 v18, vcc_lo, v16, v0
	s_wait_alu 0xfffd
	v_add_co_ci_u32_e64 v2, null, 0, v7, vcc_lo
	v_mov_b32_e32 v2, v20
	s_cselect_b32 s81, -1, 0
	v_and_or_b32 v34, v0, s5, 0xc00
	s_cmp_lt_u32 ttmp9, s4
	v_cmp_lt_u64_e64 s4, 3, v[6:7]
	v_mad_co_u64_u32 v[8:9], null, s43, v8, v[2:3]
	v_mov_b32_e32 v17, v7
	s_cselect_b32 s50, 12, 18
	s_add_co_i32 s9, s8, -1
	s_bfe_u32 s90, s44, 0x30005
	s_and_b32 s9, s9, 0xffff
	v_cmp_ne_u64_e64 s5, v[6:7], v[16:17]
	v_dual_mov_b32 v6, v22 :: v_dual_mov_b32 v7, v24
	s_cmp_gt_u32 s9, 6
	v_cmp_gt_i64_e64 s0, s[36:37], v[0:1]
	s_cselect_b32 s91, -1, 0
	s_and_b32 s92, s8, 0x7f8
	v_mad_co_u64_u32 v[9:10], null, s43, v10, v[6:7]
	v_mad_co_u64_u32 v[6:7], null, s43, v14, v[7:8]
	v_add_co_u32 v37, s8, s36, v0
	v_lshlrev_b64_e32 v[24:25], 2, v[4:5]
	s_delay_alu instid0(VALU_DEP_4)
	v_dual_mov_b32 v26, s38 :: v_dual_mov_b32 v35, v9
	v_cmp_gt_u32_e64 s3, 2, v0
	v_mov_b32_e32 v22, v8
	v_mov_b32_e32 v36, v6
	v_add_co_ci_u32_e64 v38, null, s37, 0, s8
	v_lshl_or_b32 v39, v32, 3, 0xc00
	v_dual_mov_b32 v27, s39 :: v_dual_mov_b32 v42, 0
	v_dual_mov_b32 v20, 0 :: v_dual_mov_b32 v41, 0
	s_add_nc_u64 s[52:53], s[44:45], -1
	s_cmp_lg_u32 s90, 0
	s_add_nc_u64 s[54:55], s[52:53], s[36:37]
	s_mov_b32 s82, s42
	s_mov_b32 s83, s43
	;; [unrolled: 1-line block ×9, first 2 shown]
	s_cselect_b32 s93, -1, 0
	s_lshl_b64 s[56:57], s[42:43], 2
	s_mul_u64 s[46:47], s[42:43], s[44:45]
	s_add_nc_u64 s[38:39], s[6:7], s[50:51]
	s_mov_b32 s95, 0
	s_mov_b32 s96, 0
                                        ; implicit-def: $sgpr100
                                        ; implicit-def: $sgpr102
                                        ; implicit-def: $sgpr97
                                        ; implicit-def: $sgpr99
                                        ; implicit-def: $sgpr101
                                        ; implicit-def: $sgpr98
	s_branch .LBB4_7
.LBB4_4:                                ;   in Loop: Header=BB4_7 Depth=1
	s_wait_alu 0xfffe
	s_or_b32 exec_lo, exec_lo, s9
	s_delay_alu instid0(SALU_CYCLE_1)
	s_and_b32 s7, s7, exec_lo
	s_and_not1_b32 s22, s22, exec_lo
	s_and_not1_b32 s21, s21, exec_lo
	s_or_not1_b32 s18, s8, exec_lo
.LBB4_5:                                ;   in Loop: Header=BB4_7 Depth=1
	s_wait_alu 0xfffe
	s_or_b32 exec_lo, exec_lo, s6
	s_delay_alu instid0(SALU_CYCLE_1)
	s_and_not1_b32 s6, s98, exec_lo
	s_and_b32 s7, s7, exec_lo
	s_and_not1_b32 s8, s99, exec_lo
	s_wait_alu 0xfffe
	s_or_b32 s98, s6, s7
	s_and_not1_b32 s6, s101, exec_lo
	s_and_b32 s7, s22, exec_lo
	s_and_b32 s9, s21, exec_lo
	s_wait_alu 0xfffe
	s_or_b32 s101, s6, s7
	s_or_b32 s99, s8, s9
	s_or_not1_b32 s18, s18, exec_lo
.LBB4_6:                                ;   in Loop: Header=BB4_7 Depth=1
	s_wait_alu 0xfffe
	s_or_b32 exec_lo, exec_lo, s17
	s_delay_alu instid0(SALU_CYCLE_1)
	s_and_b32 s6, exec_lo, s18
	v_dual_mov_b32 v27, v9 :: v_dual_mov_b32 v26, v8
	s_wait_alu 0xfffe
	s_or_b32 s95, s6, s95
	s_and_not1_b32 s6, s97, exec_lo
	s_and_b32 s7, s98, exec_lo
	s_and_not1_b32 s8, s102, exec_lo
	s_wait_alu 0xfffe
	s_or_b32 s97, s6, s7
	s_and_b32 s6, s101, exec_lo
	s_and_not1_b32 s7, s100, exec_lo
	s_and_b32 s9, s99, exec_lo
	s_wait_alu 0xfffe
	s_or_b32 s102, s8, s6
	s_or_b32 s100, s7, s9
	s_and_not1_b32 exec_lo, exec_lo, s95
	s_cbranch_execz .LBB4_269
.LBB4_7:                                ; =>This Loop Header: Depth=1
                                        ;     Child Loop BB4_12 Depth 2
                                        ;     Child Loop BB4_26 Depth 2
	;; [unrolled: 1-line block ×17, first 2 shown]
	ds_load_b128 v[4:7], v3 offset:5120
	s_wait_dscnt 0x0
	v_readfirstlane_b32 s59, v5
	v_readfirstlane_b32 s58, v4
	s_wait_alu 0xf1ff
	s_delay_alu instid0(VALU_DEP_1)
	v_cmp_gt_i64_e64 s6, s[58:59], 0
	s_and_b32 vcc_lo, exec_lo, s6
	s_wait_alu 0xfffe
	s_cbranch_vccnz .LBB4_39
; %bb.8:                                ;   in Loop: Header=BB4_7 Depth=1
	s_and_b32 vcc_lo, exec_lo, s80
	s_wait_alu 0xfffe
	s_cbranch_vccz .LBB4_20
; %bb.9:                                ;   in Loop: Header=BB4_7 Depth=1
	v_cmp_gt_i64_e32 vcc_lo, 0xc01, v[6:7]
	s_mov_b32 s8, 0
	s_mov_b32 s6, 0
	s_cbranch_vccz .LBB4_21
; %bb.10:                               ;   in Loop: Header=BB4_7 Depth=1
	global_load_u16 v2, v3, s[38:39]
	global_load_u8 v8, v[12:13], off
	s_mov_b32 s9, 0
	s_wait_loadcnt 0x1
	v_and_b32_e32 v2, 0xffff, v2
	s_delay_alu instid0(VALU_DEP_1) | instskip(SKIP_3) | instid1(VALU_DEP_3)
	v_add_co_u32 v4, s6, v0, v2
	s_wait_alu 0xf1fe
	v_add_co_ci_u32_e64 v5, null, 0, 0, s6
	v_mul_lo_u32 v6, v2, s43
	v_mul_lo_u32 v10, s43, v4
	v_mul_hi_u32 v11, v2, s42
	s_delay_alu instid0(VALU_DEP_4) | instskip(SKIP_2) | instid1(VALU_DEP_2)
	v_mul_lo_u32 v7, s42, v5
	v_mad_co_u64_u32 v[4:5], null, s42, v4, s[48:49]
	v_add_nc_u32_e32 v6, v6, v40
	v_add3_u32 v5, v10, v5, v7
	s_delay_alu instid0(VALU_DEP_2)
	v_dual_mov_b32 v7, v1 :: v_dual_add_nc_u32 v10, v6, v11
	v_mul_lo_u32 v9, v2, s42
	v_mov_b32_e32 v6, v0
	s_branch .LBB4_12
.LBB4_11:                               ;   in Loop: Header=BB4_12 Depth=2
	s_wait_alu 0xfffe
	s_or_b32 exec_lo, exec_lo, s7
	v_add_co_u32 v4, vcc_lo, v4, v9
	s_wait_alu 0xfffd
	v_add_co_ci_u32_e64 v5, null, v5, v10, vcc_lo
	v_mov_b32_e32 v8, v11
	s_and_not1_b32 exec_lo, exec_lo, s9
	s_cbranch_execz .LBB4_73
.LBB4_12:                               ;   Parent Loop BB4_7 Depth=1
                                        ; =>  This Inner Loop Header: Depth=2
	s_delay_alu instid0(VALU_DEP_1)
	v_add_co_u32 v6, vcc_lo, v6, v2
	s_wait_alu 0xfffd
	v_add_co_ci_u32_e64 v7, null, 0, v7, vcc_lo
	s_wait_dscnt 0x0
	v_dual_mov_b32 v28, 0 :: v_dual_mov_b32 v11, 0
	s_mov_b32 s7, exec_lo
	s_delay_alu instid0(VALU_DEP_2)
	v_cmp_le_i64_e32 vcc_lo, s[36:37], v[6:7]
	v_cmpx_gt_i64_e64 s[36:37], v[6:7]
	s_cbranch_execz .LBB4_14
; %bb.13:                               ;   in Loop: Header=BB4_12 Depth=2
	global_load_u8 v11, v[4:5], off
.LBB4_14:                               ;   in Loop: Header=BB4_12 Depth=2
	s_wait_alu 0xfffe
	s_or_b32 exec_lo, exec_lo, s7
	s_wait_loadcnt 0x0
	v_and_b32_e32 v29, v8, v41
	s_delay_alu instid0(VALU_DEP_1) | instskip(NEXT) | instid1(VALU_DEP_1)
	v_and_b32_e32 v29, 0xff, v29
	v_cmp_eq_u32_e64 s6, v29, v20
	s_cmp_lg_u32 s6, 0
	s_cselect_b32 s7, -1, 0
	s_wait_alu 0xfffe
	s_and_b32 s7, s1, s7
	s_wait_alu 0xfffe
	s_and_saveexec_b32 s10, s7
	s_cbranch_execz .LBB4_18
; %bb.15:                               ;   in Loop: Header=BB4_12 Depth=2
	s_mov_b32 s13, exec_lo
	s_bcnt1_i32_b32 s11, s6
	s_wait_alu 0xfffe
	v_mbcnt_lo_u32_b32 v28, s13, 0
	s_mov_b32 s12, exec_lo
                                        ; implicit-def: $vgpr29
	s_delay_alu instid0(VALU_DEP_1)
	v_cmpx_eq_u32_e32 0, v28
; %bb.16:                               ;   in Loop: Header=BB4_12 Depth=2
	s_bcnt1_i32_b32 s7, s13
	s_wait_alu 0xfffe
	s_mul_i32 s7, s11, s7
	s_wait_alu 0xfffe
	v_mov_b32_e32 v29, s7
	ds_add_rtn_u32 v29, v3, v29 offset:5136
; %bb.17:                               ;   in Loop: Header=BB4_12 Depth=2
	s_or_b32 exec_lo, exec_lo, s12
	s_wait_dscnt 0x0
	v_readfirstlane_b32 s7, v29
	s_wait_alu 0xf1ff
	s_delay_alu instid0(VALU_DEP_1)
	v_mad_u32_u24 v28, s11, v28, s7
.LBB4_18:                               ;   in Loop: Header=BB4_12 Depth=2
	s_wait_alu 0xfffe
	s_or_b32 exec_lo, exec_lo, s10
	ds_bpermute_b32 v28, v3, v28
	s_and_b32 s7, exec_lo, vcc_lo
	s_wait_alu 0xfffe
	s_or_b32 s9, s7, s9
	s_and_saveexec_b32 s7, s6
	s_cbranch_execz .LBB4_11
; %bb.19:                               ;   in Loop: Header=BB4_12 Depth=2
	v_and_b32_e32 v29, s6, v33
	s_wait_dscnt 0x0
	s_delay_alu instid0(VALU_DEP_1)
	v_bcnt_u32_b32 v28, v29, v28
	ds_store_b8 v28, v8
	s_branch .LBB4_11
.LBB4_20:                               ;   in Loop: Header=BB4_7 Depth=1
	s_mov_b32 s8, -1
	s_mov_b32 s6, 0
.LBB4_21:                               ;   in Loop: Header=BB4_7 Depth=1
	s_wait_alu 0xfffe
	s_and_b32 vcc_lo, exec_lo, s8
	s_wait_alu 0xfffe
	s_cbranch_vccz .LBB4_37
.LBB4_22:                               ;   in Loop: Header=BB4_7 Depth=1
	s_and_saveexec_b32 s12, s0
	s_cbranch_execz .LBB4_34
; %bb.23:                               ;   in Loop: Header=BB4_7 Depth=1
	global_load_u16 v4, v3, s[38:39]
	global_load_u8 v30, v[12:13], off
	v_mov_b32_e32 v8, v0
	s_mov_b32 s13, exec_lo
	s_wait_loadcnt 0x1
	v_and_b32_e32 v2, 0xffff, v4
	v_readfirstlane_b32 s6, v4
	s_delay_alu instid0(VALU_DEP_2) | instskip(NEXT) | instid1(VALU_DEP_1)
	v_add_nc_u32_e32 v2, v2, v0
	v_cmpx_gt_i64_e64 s[36:37], v[2:3]
	s_cbranch_execz .LBB4_33
; %bb.24:                               ;   in Loop: Header=BB4_7 Depth=1
	s_and_b32 s50, s6, 0xffff
	v_dual_mov_b32 v7, v1 :: v_dual_mov_b32 v6, v0
	s_wait_alu 0xfffe
	s_cmp_eq_u32 s50, 1
	v_dual_mov_b32 v5, v3 :: v_dual_mov_b32 v4, v2
	s_cselect_b32 s6, -1, 0
                                        ; implicit-def: $vgpr8_vgpr9
	s_wait_alu 0xfffe
	s_and_b32 s7, s4, s6
	s_mov_b32 s6, -1
	s_wait_alu 0xfffe
	s_and_saveexec_b32 s8, s7
	s_cbranch_execz .LBB4_28
; %bb.25:                               ;   in Loop: Header=BB4_7 Depth=1
	v_add_co_u32 v8, s6, v2, 3
	s_wait_alu 0xf1ff
	v_add_co_ci_u32_e64 v9, null, 0, 0, s6
	v_add_co_u32 v6, s6, v2, 2
	s_wait_alu 0xf1ff
	v_add_co_ci_u32_e64 v7, null, 0, 0, s6
	v_add_co_u32 v4, s6, v2, 1
	s_wait_alu 0xf1ff
	v_add_co_ci_u32_e64 v5, null, 0, 0, s6
	v_mov_b32_e32 v11, v9
	v_dual_mov_b32 v29, v17 :: v_dual_mov_b32 v10, v8
	s_wait_loadcnt 0x0
	v_dual_mov_b32 v28, v16 :: v_dual_lshlrev_b32 v43, 24, v30
	v_mov_b32_e32 v9, v7
	v_dual_mov_b32 v31, v0 :: v_dual_mov_b32 v8, v6
	v_mov_b32_e32 v7, v5
	v_mov_b32_e32 v6, v4
	;; [unrolled: 1-line block ×4, first 2 shown]
	s_mov_b32 s9, 0
.LBB4_26:                               ;   Parent Loop BB4_7 Depth=1
                                        ; =>  This Inner Loop Header: Depth=2
	v_mul_lo_u32 v53, v7, s84
	v_mul_lo_u32 v54, v6, s85
	v_mad_co_u64_u32 v[46:47], null, v6, s84, 0
	v_mul_lo_u32 v30, v9, s86
	v_mul_lo_u32 v52, v8, s87
	v_mad_co_u64_u32 v[44:45], null, v8, s86, 0
	;; [unrolled: 3-line block ×3, first 2 shown]
	v_mad_co_u64_u32 v[50:51], null, v10, s88, s[48:49]
	v_mul_lo_u32 v57, v10, s89
	v_mul_lo_u32 v58, v11, s88
	v_add3_u32 v53, v47, v54, v53
	v_add3_u32 v30, v45, v52, v30
	;; [unrolled: 1-line block ×3, first 2 shown]
	v_add_co_u32 v52, s7, s48, v46
	v_add_co_u32 v47, s6, s48, v44
	v_add3_u32 v51, v58, v51, v57
	v_add_co_u32 v45, vcc_lo, s48, v48
	s_wait_alu 0xf1ff
	v_add_co_ci_u32_e64 v53, null, s49, v53, s7
	v_add_co_ci_u32_e64 v48, null, s49, v30, s6
	s_wait_alu 0xfffd
	v_add_co_ci_u32_e64 v46, null, s49, v49, vcc_lo
	s_clause 0x3
	global_load_u8 v30, v[50:51], off
	global_load_u8 v44, v[52:53], off
	;; [unrolled: 1-line block ×4, first 2 shown]
	v_add_co_u32 v10, vcc_lo, v10, 4
	s_wait_alu 0xfffd
	v_add_co_ci_u32_e64 v11, null, 0, v11, vcc_lo
	v_add_co_u32 v8, vcc_lo, v8, 4
	s_wait_alu 0xfffd
	v_add_co_ci_u32_e64 v9, null, 0, v9, vcc_lo
	;; [unrolled: 3-line block ×3, first 2 shown]
	v_add_co_u32 v28, vcc_lo, v28, -4
	s_wait_alu 0xfffd
	v_add_co_ci_u32_e64 v29, null, -1, v29, vcc_lo
	v_add_co_u32 v4, vcc_lo, v4, 4
	s_wait_alu 0xfffd
	v_add_co_ci_u32_e64 v5, null, 0, v5, vcc_lo
	s_delay_alu instid0(VALU_DEP_3)
	v_cmp_eq_u64_e64 s6, 0, v[28:29]
	s_wait_alu 0xfffe
	s_or_b32 s9, s6, s9
	s_wait_loadcnt 0x0
	v_perm_b32 v46, v45, v44, 0xc0c0004
	v_perm_b32 v44, v44, v47, 0xc0c0004
	;; [unrolled: 1-line block ×4, first 2 shown]
	s_delay_alu instid0(VALU_DEP_2) | instskip(NEXT) | instid1(VALU_DEP_2)
	v_lshl_or_b32 v43, v44, 16, v43
	v_lshl_or_b32 v44, v45, 16, v46
	ds_store_b32 v31, v43
	v_add_nc_u32_e32 v31, 4, v31
	v_mov_b32_e32 v43, v44
	s_wait_alu 0xfffe
	s_and_not1_b32 exec_lo, exec_lo, s9
	s_cbranch_execnz .LBB4_26
; %bb.27:                               ;   in Loop: Header=BB4_7 Depth=1
	s_or_b32 exec_lo, exec_lo, s9
	v_add_co_u32 v4, vcc_lo, v2, v16
	s_wait_alu 0xfffd
	v_add_co_ci_u32_e64 v5, null, 0, v17, vcc_lo
	v_dual_mov_b32 v6, v18 :: v_dual_mov_b32 v7, v19
	s_delay_alu instid0(VALU_DEP_3)
	v_add_co_u32 v8, vcc_lo, v4, -1
	s_or_not1_b32 s6, s5, exec_lo
	s_wait_alu 0xfffd
	v_add_co_ci_u32_e64 v2, null, -1, v5, vcc_lo
.LBB4_28:                               ;   in Loop: Header=BB4_7 Depth=1
	s_wait_alu 0xfffe
	s_or_b32 exec_lo, exec_lo, s8
	s_and_saveexec_b32 s7, s6
	s_cbranch_execz .LBB4_32
; %bb.29:                               ;   in Loop: Header=BB4_7 Depth=1
	v_mad_co_u64_u32 v[9:10], null, s42, v4, s[48:49]
	v_mul_lo_u32 v2, s42, v5
	v_mul_lo_u32 v7, s43, v4
	s_sub_nc_u64 s[8:9], 0, s[50:51]
	s_mul_u64 s[10:11], s[42:43], s[50:51]
	s_mov_b32 s14, 0
	s_delay_alu instid0(VALU_DEP_1)
	v_add3_u32 v10, v7, v10, v2
.LBB4_30:                               ;   Parent Loop BB4_7 Depth=1
                                        ; =>  This Inner Loop Header: Depth=2
	global_load_u8 v2, v[9:10], off
	v_dual_mov_b32 v8, v5 :: v_dual_mov_b32 v7, v4
	s_wait_alu 0xfffe
	v_add_co_u32 v9, vcc_lo, v9, s10
	s_wait_alu 0xfffd
	v_add_co_ci_u32_e64 v10, null, s11, v10, vcc_lo
	v_add_co_u32 v4, s6, v7, s50
	s_wait_alu 0xf1ff
	v_add_co_ci_u32_e64 v5, null, 0, v8, s6
	s_wait_loadcnt 0x1
	ds_store_b8 v6, v30
	v_mov_b32_e32 v6, v7
	v_mov_b32_e32 v7, v8
	v_cmp_le_i64_e32 vcc_lo, s[36:37], v[4:5]
	v_add_co_u32 v8, s6, s8, v4
	s_wait_alu 0xf1ff
	v_add_co_ci_u32_e64 v7, null, s9, v5, s6
	s_or_b32 s14, vcc_lo, s14
	s_wait_loadcnt 0x0
	v_mov_b32_e32 v30, v2
	s_wait_alu 0xfffe
	s_and_not1_b32 exec_lo, exec_lo, s14
	s_cbranch_execnz .LBB4_30
; %bb.31:                               ;   in Loop: Header=BB4_7 Depth=1
	s_or_b32 exec_lo, exec_lo, s14
	v_mov_b32_e32 v30, v2
.LBB4_32:                               ;   in Loop: Header=BB4_7 Depth=1
	s_wait_alu 0xfffe
	s_or_b32 exec_lo, exec_lo, s7
.LBB4_33:                               ;   in Loop: Header=BB4_7 Depth=1
	s_wait_alu 0xfffe
	s_or_b32 exec_lo, exec_lo, s13
	s_wait_loadcnt 0x0
	ds_store_b8 v8, v30
.LBB4_34:                               ;   in Loop: Header=BB4_7 Depth=1
	s_wait_alu 0xfffe
	s_or_b32 exec_lo, exec_lo, s12
	s_wait_loadcnt_dscnt 0x0
	s_barrier_signal -1
	s_barrier_wait -1
	global_inv scope:SCOPE_SE
	s_and_saveexec_b32 s6, s2
; %bb.35:                               ;   in Loop: Header=BB4_7 Depth=1
	v_dual_mov_b32 v4, s36 :: v_dual_mov_b32 v5, s37
	ds_store_b64 v3, v[4:5] offset:5120
; %bb.36:                               ;   in Loop: Header=BB4_7 Depth=1
	s_wait_alu 0xfffe
	s_or_b32 exec_lo, exec_lo, s6
	s_mov_b32 s6, -1
	s_wait_loadcnt_dscnt 0x0
	s_barrier_signal -1
	s_barrier_wait -1
.LBB4_37:                               ;   in Loop: Header=BB4_7 Depth=1
	s_wait_alu 0xfffe
	s_and_b32 vcc_lo, exec_lo, s6
	s_wait_alu 0xfffe
	s_cbranch_vccz .LBB4_39
; %bb.38:                               ;   in Loop: Header=BB4_7 Depth=1
	s_wait_loadcnt 0x0
	global_inv scope:SCOPE_SE
	ds_load_b64 v[4:5], v3 offset:5120
	s_wait_dscnt 0x0
	v_readfirstlane_b32 s58, v4
.LBB4_39:                               ;   in Loop: Header=BB4_7 Depth=1
	s_delay_alu instid0(VALU_DEP_1)
	s_cmp_lt_i32 s58, 1
	s_mov_b32 s6, -1
                                        ; implicit-def: $vgpr10_vgpr11
                                        ; implicit-def: $vgpr6_vgpr7
	s_cbranch_scc1 .LBB4_49
; %bb.40:                               ;   in Loop: Header=BB4_7 Depth=1
	s_wait_alu 0xfffe
	s_and_b32 vcc_lo, exec_lo, s6
	s_wait_alu 0xfffe
	s_cbranch_vccnz .LBB4_63
.LBB4_41:                               ;   in Loop: Header=BB4_7 Depth=1
	s_lshl_b32 s6, s96, 7
	s_and_saveexec_b32 s7, s1
	s_cbranch_execz .LBB4_43
.LBB4_42:                               ;   in Loop: Header=BB4_7 Depth=1
	s_wait_alu 0xfffe
	v_lshl_add_u32 v2, s6, 3, v34
	ds_store_b128 v2, v[4:7]
	ds_store_b128 v2, v[8:11] offset:16
.LBB4_43:                               ;   in Loop: Header=BB4_7 Depth=1
	s_wait_alu 0xfffe
	s_or_b32 exec_lo, exec_lo, s7
	s_wait_loadcnt_dscnt 0x0
	s_barrier_signal -1
	s_barrier_wait -1
	global_inv scope:SCOPE_SE
	s_and_saveexec_b32 s7, s33
	s_cbranch_execz .LBB4_80
; %bb.44:                               ;   in Loop: Header=BB4_7 Depth=1
	v_mov_b32_e32 v4, 0
	v_mov_b32_e32 v5, 0
	s_and_not1_b32 vcc_lo, exec_lo, s81
	s_wait_alu 0xfffe
	s_cbranch_vccnz .LBB4_79
; %bb.45:                               ;   in Loop: Header=BB4_7 Depth=1
	v_mov_b32_e32 v4, 0
	v_mov_b32_e32 v5, 0
	s_and_not1_b32 vcc_lo, exec_lo, s91
	s_wait_alu 0xfffe
	s_cbranch_vccnz .LBB4_76
; %bb.46:                               ;   in Loop: Header=BB4_7 Depth=1
	v_lshl_add_u32 v2, s96, 10, v39
	s_mov_b32 s8, 0
.LBB4_47:                               ;   Parent Loop BB4_7 Depth=1
                                        ; =>  This Inner Loop Header: Depth=2
	ds_load_2addr_b64 v[6:9], v2 offset1:4
	ds_load_2addr_b64 v[28:31], v2 offset0:8 offset1:12
	ds_load_2addr_b64 v[43:46], v2 offset0:16 offset1:20
	s_wait_alu 0xfffe
	s_add_co_i32 s8, s8, 8
	s_wait_alu 0xfffe
	s_cmp_eq_u32 s92, s8
	s_wait_dscnt 0x2
	v_add_co_u32 v4, vcc_lo, v6, v4
	s_wait_alu 0xfffd
	v_add_co_ci_u32_e64 v5, null, v7, v5, vcc_lo
	s_delay_alu instid0(VALU_DEP_2) | instskip(SKIP_1) | instid1(VALU_DEP_2)
	v_add_co_u32 v8, vcc_lo, v8, v4
	s_wait_alu 0xfffd
	v_add_co_ci_u32_e64 v9, null, v9, v5, vcc_lo
	ds_load_2addr_b64 v[4:7], v2 offset0:24 offset1:28
	s_wait_dscnt 0x2
	v_add_co_u32 v8, vcc_lo, v28, v8
	s_wait_alu 0xfffd
	v_add_co_ci_u32_e64 v9, null, v29, v9, vcc_lo
	v_add_nc_u32_e32 v2, 0x100, v2
	s_delay_alu instid0(VALU_DEP_3) | instskip(SKIP_1) | instid1(VALU_DEP_3)
	v_add_co_u32 v8, vcc_lo, v30, v8
	s_wait_alu 0xfffd
	v_add_co_ci_u32_e64 v9, null, v31, v9, vcc_lo
	s_wait_dscnt 0x1
	s_delay_alu instid0(VALU_DEP_2) | instskip(SKIP_1) | instid1(VALU_DEP_2)
	v_add_co_u32 v8, vcc_lo, v43, v8
	s_wait_alu 0xfffd
	v_add_co_ci_u32_e64 v9, null, v44, v9, vcc_lo
	s_delay_alu instid0(VALU_DEP_2) | instskip(SKIP_1) | instid1(VALU_DEP_2)
	v_add_co_u32 v8, vcc_lo, v45, v8
	s_wait_alu 0xfffd
	v_add_co_ci_u32_e64 v9, null, v46, v9, vcc_lo
	s_wait_dscnt 0x0
	s_delay_alu instid0(VALU_DEP_2) | instskip(SKIP_1) | instid1(VALU_DEP_2)
	v_add_co_u32 v4, vcc_lo, v4, v8
	s_wait_alu 0xfffd
	v_add_co_ci_u32_e64 v5, null, v5, v9, vcc_lo
	s_delay_alu instid0(VALU_DEP_2) | instskip(SKIP_1) | instid1(VALU_DEP_2)
	v_add_co_u32 v4, vcc_lo, v6, v4
	s_wait_alu 0xfffd
	v_add_co_ci_u32_e64 v5, null, v7, v5, vcc_lo
	s_cbranch_scc0 .LBB4_47
; %bb.48:                               ;   in Loop: Header=BB4_7 Depth=1
	s_mov_b32 s8, s92
	s_and_not1_b32 vcc_lo, exec_lo, s93
	s_wait_alu 0xfffe
	s_cbranch_vccz .LBB4_77
	s_branch .LBB4_79
.LBB4_49:                               ;   in Loop: Header=BB4_7 Depth=1
	global_load_u16 v2, v3, s[38:39]
	s_mov_b32 s7, s37
	s_wait_loadcnt 0x0
	v_readfirstlane_b32 s6, v2
	s_wait_alu 0xfffe
	s_and_b32 s60, s6, 0xffff
	s_mov_b32 s6, s51
	s_wait_alu 0xfffe
	s_lshl_b32 s62, s60, 2
	s_cmp_lg_u64 s[6:7], 0
	s_cbranch_scc0 .LBB4_72
; %bb.50:                               ;   in Loop: Header=BB4_7 Depth=1
	s_mov_b32 s63, s51
	s_wait_alu 0xfffe
	s_add_nc_u64 s[6:7], s[62:63], 0
	s_wait_alu 0xfffe
	s_xor_b64 s[6:7], s[6:7], 0
	s_wait_alu 0xfffe
	s_cvt_f32_u32 s8, s6
	s_cvt_f32_u32 s9, s7
	s_sub_nc_u64 s[10:11], 0, s[6:7]
	s_wait_alu 0xfffe
	s_delay_alu instid0(SALU_CYCLE_1) | instskip(SKIP_1) | instid1(SALU_CYCLE_2)
	s_fmamk_f32 s8, s9, 0x4f800000, s8
	s_wait_alu 0xfffe
	v_s_rcp_f32 s8, s8
	s_delay_alu instid0(TRANS32_DEP_1) | instskip(SKIP_1) | instid1(SALU_CYCLE_2)
	s_mul_f32 s8, s8, 0x5f7ffffc
	s_wait_alu 0xfffe
	s_mul_f32 s9, s8, 0x2f800000
	s_wait_alu 0xfffe
	s_delay_alu instid0(SALU_CYCLE_2) | instskip(SKIP_1) | instid1(SALU_CYCLE_2)
	s_trunc_f32 s9, s9
	s_wait_alu 0xfffe
	s_fmamk_f32 s8, s9, 0xcf800000, s8
	s_cvt_u32_f32 s9, s9
	s_wait_alu 0xfffe
	s_delay_alu instid0(SALU_CYCLE_1) | instskip(SKIP_1) | instid1(SALU_CYCLE_2)
	s_cvt_u32_f32 s8, s8
	s_wait_alu 0xfffe
	s_mul_u64 s[12:13], s[10:11], s[8:9]
	s_wait_alu 0xfffe
	s_mul_hi_u32 s15, s8, s13
	s_mul_i32 s14, s8, s13
	s_mul_hi_u32 s50, s8, s12
	s_mul_i32 s17, s9, s12
	s_wait_alu 0xfffe
	s_add_nc_u64 s[14:15], s[50:51], s[14:15]
	s_mul_hi_u32 s16, s9, s12
	s_mul_hi_u32 s18, s9, s13
	s_mul_i32 s12, s9, s13
	s_wait_alu 0xfffe
	s_add_co_u32 s13, s14, s17
	s_add_co_ci_u32 s50, s15, s16
	s_add_co_ci_u32 s13, s18, 0
	s_wait_alu 0xfffe
	s_add_nc_u64 s[12:13], s[50:51], s[12:13]
	s_wait_alu 0xfffe
	s_add_co_u32 s8, s8, s12
	s_cselect_b32 s12, -1, 0
	s_wait_alu 0xfffe
	s_cmp_lg_u32 s12, 0
	s_add_co_ci_u32 s9, s9, s13
	s_wait_alu 0xfffe
	s_mul_u64 s[10:11], s[10:11], s[8:9]
	s_wait_alu 0xfffe
	s_mul_hi_u32 s13, s8, s11
	s_mul_i32 s12, s8, s11
	s_mul_hi_u32 s50, s8, s10
	s_mul_i32 s15, s9, s10
	s_wait_alu 0xfffe
	s_add_nc_u64 s[12:13], s[50:51], s[12:13]
	s_mul_hi_u32 s14, s9, s10
	s_mul_hi_u32 s16, s9, s11
	s_mul_i32 s10, s9, s11
	s_wait_alu 0xfffe
	s_add_co_u32 s11, s12, s15
	s_add_co_ci_u32 s50, s13, s14
	s_add_co_ci_u32 s11, s16, 0
	s_wait_alu 0xfffe
	s_add_nc_u64 s[10:11], s[50:51], s[10:11]
	s_wait_alu 0xfffe
	s_add_co_u32 s14, s8, s10
	s_cselect_b32 s8, -1, 0
	s_wait_alu 0xfffe
	s_cmp_lg_u32 s8, 0
	s_add_co_ci_u32 s15, s9, s11
	s_ashr_i32 s8, s37, 31
	s_wait_alu 0xfffe
	s_mov_b32 s9, s8
	s_wait_alu 0xfffe
	s_add_nc_u64 s[10:11], s[36:37], s[8:9]
	s_wait_alu 0xfffe
	s_xor_b64 s[10:11], s[10:11], s[8:9]
	s_wait_alu 0xfffe
	s_mul_hi_u32 s13, s10, s15
	s_mul_i32 s12, s10, s15
	s_mul_hi_u32 s50, s10, s14
	s_mul_i32 s18, s11, s14
	s_wait_alu 0xfffe
	s_add_nc_u64 s[12:13], s[50:51], s[12:13]
	s_mul_hi_u32 s17, s11, s14
	s_mul_hi_u32 s16, s11, s15
	s_wait_alu 0xfffe
	s_add_co_u32 s12, s12, s18
	s_add_co_ci_u32 s50, s13, s17
	s_mul_i32 s14, s11, s15
	s_add_co_ci_u32 s15, s16, 0
	s_wait_alu 0xfffe
	s_add_nc_u64 s[12:13], s[50:51], s[14:15]
	s_wait_alu 0xfffe
	s_mul_u64 s[12:13], s[6:7], s[12:13]
	s_wait_alu 0xfffe
	s_sub_co_u32 s10, s10, s12
	s_cselect_b32 s12, -1, 0
	s_sub_co_i32 s14, s11, s13
	s_wait_alu 0xfffe
	s_cmp_lg_u32 s12, 0
	s_sub_co_ci_u32 s14, s14, s7
	s_sub_co_u32 s15, s10, s6
	s_cselect_b32 s16, -1, 0
	s_wait_alu 0xfffe
	s_cmp_lg_u32 s16, 0
	s_sub_co_ci_u32 s17, s14, 0
	s_wait_alu 0xfffe
	s_cmp_ge_u32 s17, s7
	s_cselect_b32 s18, -1, 0
	s_cmp_ge_u32 s15, s6
	s_cselect_b32 s19, -1, 0
	s_cmp_eq_u32 s17, s7
	s_cselect_b32 s18, s19, s18
	s_cmp_lg_u32 s16, 0
	s_sub_co_ci_u32 s14, s14, s7
	s_sub_co_u32 s16, s15, s6
	s_cselect_b32 s19, -1, 0
	s_delay_alu instid0(SALU_CYCLE_1)
	s_cmp_lg_u32 s19, 0
	s_wait_alu 0xfffe
	s_sub_co_ci_u32 s14, s14, 0
	s_cmp_lg_u32 s18, 0
	s_cselect_b32 s15, s16, s15
	s_wait_alu 0xfffe
	s_cselect_b32 s14, s14, s17
	s_cmp_lg_u32 s12, 0
	s_sub_co_ci_u32 s11, s11, s13
	s_wait_alu 0xfffe
	s_cmp_ge_u32 s11, s7
	s_cselect_b32 s12, -1, 0
	s_cmp_ge_u32 s10, s6
	s_cselect_b32 s6, -1, 0
	s_cmp_eq_u32 s11, s7
	s_wait_alu 0xfffe
	s_cselect_b32 s6, s6, s12
	s_wait_alu 0xfffe
	s_cmp_lg_u32 s6, 0
	s_cselect_b32 s7, s14, s11
	s_cselect_b32 s6, s15, s10
	s_wait_alu 0xfffe
	s_xor_b64 s[6:7], s[6:7], s[8:9]
	s_wait_alu 0xfffe
	s_sub_nc_u64 s[64:65], s[6:7], s[8:9]
	s_cbranch_execnz .LBB4_52
.LBB4_51:                               ;   in Loop: Header=BB4_7 Depth=1
	s_wait_alu 0xfffe
	v_cvt_f32_u32_e32 v2, s62
	s_sub_co_i32 s7, 0, s62
	s_delay_alu instid0(VALU_DEP_1) | instskip(NEXT) | instid1(TRANS32_DEP_1)
	v_rcp_iflag_f32_e32 v2, v2
	v_mul_f32_e32 v2, 0x4f7ffffe, v2
	s_delay_alu instid0(VALU_DEP_1) | instskip(NEXT) | instid1(VALU_DEP_1)
	v_cvt_u32_f32_e32 v2, v2
	v_readfirstlane_b32 s6, v2
	s_wait_alu 0xfffe
	s_mul_i32 s7, s7, s6
	s_wait_alu 0xfffe
	s_mul_hi_u32 s7, s6, s7
	s_wait_alu 0xfffe
	s_add_co_i32 s6, s6, s7
	s_wait_alu 0xfffe
	s_mul_hi_u32 s6, s36, s6
	s_wait_alu 0xfffe
	s_mul_i32 s6, s6, s62
	s_wait_alu 0xfffe
	s_sub_co_i32 s6, s36, s6
	s_wait_alu 0xfffe
	s_sub_co_i32 s7, s6, s62
	s_cmp_ge_u32 s6, s62
	s_wait_alu 0xfffe
	s_cselect_b32 s6, s7, s6
	s_wait_alu 0xfffe
	s_sub_co_i32 s7, s6, s62
	s_cmp_ge_u32 s6, s62
	s_wait_alu 0xfffe
	s_cselect_b32 s50, s7, s6
	s_wait_alu 0xfffe
	s_mov_b64 s[64:65], s[50:51]
.LBB4_52:                               ;   in Loop: Header=BB4_7 Depth=1
	v_mov_b32_e32 v4, 0
	v_dual_mov_b32 v8, 0 :: v_dual_mov_b32 v5, 0
	v_dual_mov_b32 v6, 0 :: v_dual_mov_b32 v9, 0
	;; [unrolled: 1-line block ×3, first 2 shown]
	v_mov_b32_e32 v11, 0
	s_wait_alu 0xfffe
	s_sub_nc_u64 s[66:67], s[36:37], s[64:65]
	s_mov_b32 s61, s51
	s_mov_b32 s59, exec_lo
	s_wait_alu 0xfffe
	v_cmpx_gt_i64_e64 s[66:67], v[14:15]
	s_cbranch_execz .LBB4_56
; %bb.53:                               ;   in Loop: Header=BB4_7 Depth=1
	v_dual_mov_b32 v29, v15 :: v_dual_mov_b32 v28, v14
	s_mul_u64 s[68:69], s[56:57], s[60:61]
	s_mov_b64 s[70:71], 0
	s_mov_b32 s63, 0
	s_mov_b64 s[72:73], s[48:49]
	s_mov_b64 s[74:75], 0
	;; [unrolled: 1-line block ×4, first 2 shown]
.LBB4_54:                               ;   Parent Loop BB4_7 Depth=1
                                        ; =>  This Inner Loop Header: Depth=2
	s_wait_alu 0xfffe
	v_add_co_u32 v4, vcc_lo, s72, v24
	s_wait_alu 0xfffd
	v_add_co_ci_u32_e64 v5, null, s73, v25, vcc_lo
	v_add_co_u32 v6, vcc_lo, s72, v23
	s_wait_alu 0xfffd
	v_add_co_ci_u32_e64 v7, null, s73, v36, vcc_lo
	;; [unrolled: 3-line block ×4, first 2 shown]
	s_clause 0x3
	global_load_u8 v2, v[4:5], off
	global_load_u8 v4, v[6:7], off
	;; [unrolled: 1-line block ×4, first 2 shown]
	v_add_co_u32 v28, vcc_lo, v28, s62
	s_wait_alu 0xfffd
	v_add_co_ci_u32_e64 v29, null, 0, v29, vcc_lo
	s_add_nc_u64 s[72:73], s[72:73], s[68:69]
	v_cmp_le_i64_e32 vcc_lo, s[66:67], v[28:29]
	s_wait_loadcnt 0x3
	v_and_b32_e32 v7, v41, v2
	v_bfe_u32 v2, v2, s94, 2
	s_wait_loadcnt 0x2
	v_and_b32_e32 v8, v41, v4
	v_bfe_u32 v4, v4, s94, 2
	;; [unrolled: 3-line block ×3, first 2 shown]
	v_cmp_eq_u32_e64 s6, v7, v20
	v_cmp_eq_u32_e64 s10, 0, v2
	s_wait_loadcnt 0x0
	v_and_b32_e32 v10, v41, v6
	v_bfe_u32 v6, v6, s94, 2
	v_cmp_eq_u32_e64 s7, v8, v20
	v_cmp_eq_u32_e64 s11, 0, v4
	;; [unrolled: 1-line block ×4, first 2 shown]
	s_and_b32 s10, s6, s10
	v_cmp_eq_u32_e64 s9, v10, v20
	v_cmp_eq_u32_e64 s13, 0, v6
	;; [unrolled: 1-line block ×5, first 2 shown]
	s_wait_alu 0xfffe
	v_cndmask_b32_e64 v2, 0, 1, s10
	s_and_b32 s10, s7, s11
	v_cmp_eq_u32_e64 s15, 1, v4
	v_cmp_eq_u32_e64 s19, 2, v4
	v_cmp_eq_u32_e64 s23, 3, v4
	s_wait_alu 0xfffe
	v_cndmask_b32_e64 v4, 0, 1, s10
	s_and_b32 s10, s8, s12
	v_cmp_eq_u32_e64 s16, 1, v5
	v_cmp_eq_u32_e64 s20, 2, v5
	v_cmp_eq_u32_e64 s24, 3, v5
	;; [unrolled: 6-line block ×3, first 2 shown]
	s_wait_alu 0xfffe
	v_cndmask_b32_e64 v6, 0, 1, s10
	s_and_b32 s10, s6, s14
	s_wait_alu 0xfffe
	v_cndmask_b32_e64 v7, 0, 1, s10
	s_and_b32 s10, s7, s15
	;; [unrolled: 3-line block ×4, first 2 shown]
	v_cmp_ne_u32_e64 s11, 0, v8
	s_wait_alu 0xfffe
	v_cndmask_b32_e64 v10, 0, 1, s10
	s_and_b32 s10, s6, s18
	s_and_b32 s6, s6, s22
	s_wait_alu 0xfffe
	v_cndmask_b32_e64 v11, 0, 1, s10
	v_cndmask_b32_e64 v44, 0, 1, s6
	s_and_b32 s6, s7, s23
	s_and_b32 s10, s7, s19
	s_wait_alu 0xfffe
	v_cndmask_b32_e64 v45, 0, 1, s6
	s_and_b32 s6, s8, s24
	v_cndmask_b32_e64 v30, 0, 1, s10
	s_and_b32 s10, s8, s20
	s_wait_alu 0xfffe
	v_cndmask_b32_e64 v46, 0, 1, s6
	s_and_b32 s6, s9, s25
	v_cndmask_b32_e64 v31, 0, 1, s10
	s_and_b32 s10, s9, s21
	s_wait_alu 0xfffe
	v_cndmask_b32_e64 v47, 0, 1, s6
	v_cmp_ne_u32_e64 s6, 0, v2
	v_cmp_ne_u32_e64 s7, 0, v4
	v_cndmask_b32_e64 v43, 0, 1, s10
	v_cmp_ne_u32_e64 s8, 0, v5
	v_cmp_ne_u32_e64 s10, 0, v7
	;; [unrolled: 1-line block ×6, first 2 shown]
	s_bcnt1_i32_b32 s6, s6
	s_bcnt1_i32_b32 s7, s7
	v_cmp_ne_u32_e64 s13, 0, v10
	v_cmp_ne_u32_e64 s16, 0, v31
	v_cmp_ne_u32_e64 s18, 0, v44
	v_cmp_ne_u32_e64 s19, 0, v45
	s_bcnt1_i32_b32 s8, s8
	s_bcnt1_i32_b32 s10, s10
	;; [unrolled: 1-line block ×3, first 2 shown]
	s_wait_alu 0xfffe
	s_add_co_i32 s6, s7, s6
	v_cmp_ne_u32_e64 s17, 0, v43
	v_cmp_ne_u32_e64 s20, 0, v46
	s_bcnt1_i32_b32 s9, s9
	s_bcnt1_i32_b32 s12, s12
	;; [unrolled: 1-line block ×4, first 2 shown]
	s_add_co_i32 s7, s11, s10
	s_wait_alu 0xfffe
	s_add_co_i32 s6, s6, s8
	v_cmp_ne_u32_e64 s21, 0, v47
	s_bcnt1_i32_b32 s13, s13
	s_bcnt1_i32_b32 s16, s16
	;; [unrolled: 1-line block ×4, first 2 shown]
	s_add_co_i32 s10, s15, s14
	s_add_co_i32 s7, s7, s12
	s_wait_alu 0xfffe
	s_add_co_i32 s50, s6, s9
	s_bcnt1_i32_b32 s17, s17
	s_bcnt1_i32_b32 s20, s20
	s_add_co_i32 s11, s19, s18
	s_add_co_i32 s8, s10, s16
	s_wait_alu 0xfffe
	s_add_nc_u64 s[78:79], s[78:79], s[50:51]
	s_add_co_i32 s50, s7, s13
	s_bcnt1_i32_b32 s21, s21
	s_add_co_i32 s10, s11, s20
	s_wait_alu 0xfffe
	s_add_nc_u64 s[76:77], s[76:77], s[50:51]
	s_add_co_i32 s50, s8, s17
	v_mov_b32_e32 v4, s78
	s_wait_alu 0xfffe
	s_add_nc_u64 s[74:75], s[74:75], s[50:51]
	s_add_co_i32 s50, s10, s21
	v_mov_b32_e32 v6, s76
	s_wait_alu 0xfffe
	s_add_nc_u64 s[70:71], s[70:71], s[50:51]
	v_mov_b32_e32 v5, s79
	v_dual_mov_b32 v7, s77 :: v_dual_mov_b32 v8, s74
	s_wait_alu 0xfffe
	v_dual_mov_b32 v9, s75 :: v_dual_mov_b32 v10, s70
	v_mov_b32_e32 v11, s71
	s_or_b32 s63, vcc_lo, s63
	s_wait_alu 0xfffe
	s_and_not1_b32 exec_lo, exec_lo, s63
	s_cbranch_execnz .LBB4_54
; %bb.55:                               ;   in Loop: Header=BB4_7 Depth=1
	s_or_b32 exec_lo, exec_lo, s63
.LBB4_56:                               ;   in Loop: Header=BB4_7 Depth=1
	s_wait_alu 0xfffe
	s_or_b32 exec_lo, exec_lo, s59
	v_add_co_u32 v28, s6, s66, v0
	s_wait_alu 0xf1ff
	v_add_co_ci_u32_e64 v29, null, s67, 0, s6
	s_mov_b32 s9, exec_lo
	v_cmpx_gt_i64_e64 s[36:37], v[28:29]
	s_cbranch_execz .LBB4_62
; %bb.57:                               ;   in Loop: Header=BB4_7 Depth=1
	v_mad_co_u64_u32 v[30:31], null, v28, s42, s[48:49]
	v_mul_lo_u32 v2, v28, s43
	v_mul_lo_u32 v43, v29, s42
	s_mul_u64 s[10:11], s[42:43], s[60:61]
	s_mov_b32 s12, 0
	s_delay_alu instid0(VALU_DEP_1)
	v_add3_u32 v31, v43, v31, v2
	v_add_co_u32 v2, vcc_lo, v37, s60
	global_load_u8 v43, v[30:31], off
	s_wait_alu 0xfffd
	v_add_co_ci_u32_e64 v30, null, 0, v38, vcc_lo
	v_sub_co_u32 v2, vcc_lo, v2, s64
	s_wait_alu 0xfffd
	s_delay_alu instid0(VALU_DEP_2) | instskip(NEXT) | instid1(VALU_DEP_2)
	v_subrev_co_ci_u32_e64 v30, null, s65, v30, vcc_lo
	v_mul_lo_u32 v45, s43, v2
	s_delay_alu instid0(VALU_DEP_2) | instskip(SKIP_1) | instid1(VALU_DEP_1)
	v_mul_lo_u32 v44, s42, v30
	v_mad_co_u64_u32 v[30:31], null, s42, v2, s[48:49]
	v_add3_u32 v31, v45, v31, v44
	s_branch .LBB4_59
.LBB4_58:                               ;   in Loop: Header=BB4_59 Depth=2
	s_wait_alu 0xfffe
	s_or_b32 exec_lo, exec_lo, s7
	s_wait_loadcnt 0x0
	v_and_b32_e32 v43, 0xff, v43
	s_and_b32 s8, exec_lo, vcc_lo
	s_wait_alu 0xfffe
	s_or_b32 s12, s8, s12
	s_delay_alu instid0(VALU_DEP_1) | instskip(SKIP_1) | instid1(VALU_DEP_2)
	v_and_b32_e32 v44, v41, v43
	v_bfe_u32 v43, v43, s94, 2
	v_cmp_eq_u32_e64 s6, v44, v20
	s_delay_alu instid0(VALU_DEP_2)
	v_cmp_eq_u32_e64 s7, 0, v43
	v_cmp_eq_u32_e32 vcc_lo, 1, v43
	v_cmp_eq_u32_e64 s8, 2, v43
	s_and_b32 s7, s6, s7
	s_wait_alu 0xfffe
	v_cndmask_b32_e64 v44, 0, 1, s7
	s_and_b32 s7, s6, vcc_lo
	v_cmp_eq_u32_e32 vcc_lo, 3, v43
	s_wait_alu 0xfffe
	v_cndmask_b32_e64 v45, 0, 1, s7
	s_and_b32 s7, s6, s8
	s_wait_alu 0xfffe
	v_cndmask_b32_e64 v43, 0, 1, s7
	v_cmp_ne_u32_e64 s7, 0, v44
	v_cmp_ne_u32_e64 s8, 0, v45
	s_and_b32 s6, s6, vcc_lo
	s_wait_alu 0xfffe
	v_cndmask_b32_e64 v44, 0, 1, s6
	s_bcnt1_i32_b32 s6, s7
	v_cmp_ne_u32_e32 vcc_lo, 0, v43
	s_bcnt1_i32_b32 s7, s8
	s_wait_alu 0xfffe
	v_add_co_u32 v4, s6, v4, s6
	s_wait_alu 0xf1ff
	v_add_co_ci_u32_e64 v5, null, 0, v5, s6
	v_add_co_u32 v6, s6, v6, s7
	s_wait_alu 0xf1ff
	v_add_co_ci_u32_e64 v7, null, 0, v7, s6
	s_bcnt1_i32_b32 s6, vcc_lo
	v_cmp_ne_u32_e32 vcc_lo, 0, v44
	s_wait_alu 0xfffe
	v_add_co_u32 v8, s6, v8, s6
	s_wait_alu 0xf1ff
	v_add_co_ci_u32_e64 v9, null, 0, v9, s6
	s_bcnt1_i32_b32 s6, vcc_lo
	v_mov_b32_e32 v43, v2
	s_wait_alu 0xfffe
	v_add_co_u32 v10, vcc_lo, v10, s6
	s_wait_alu 0xfffd
	v_add_co_ci_u32_e64 v11, null, 0, v11, vcc_lo
	v_add_co_u32 v30, vcc_lo, v30, s10
	s_wait_alu 0xfffd
	v_add_co_ci_u32_e64 v31, null, s11, v31, vcc_lo
	s_and_not1_b32 exec_lo, exec_lo, s12
	s_cbranch_execz .LBB4_61
.LBB4_59:                               ;   Parent Loop BB4_7 Depth=1
                                        ; =>  This Inner Loop Header: Depth=2
	v_add_co_u32 v28, vcc_lo, v28, s60
	s_wait_alu 0xfffd
	v_add_co_ci_u32_e64 v29, null, 0, v29, vcc_lo
	v_mov_b32_e32 v2, 0
	s_mov_b32 s7, exec_lo
	s_delay_alu instid0(VALU_DEP_2)
	v_cmp_le_i64_e32 vcc_lo, s[36:37], v[28:29]
	v_cmpx_gt_i64_e64 s[36:37], v[28:29]
	s_cbranch_execz .LBB4_58
; %bb.60:                               ;   in Loop: Header=BB4_59 Depth=2
	global_load_u8 v2, v[30:31], off
	s_branch .LBB4_58
.LBB4_61:                               ;   in Loop: Header=BB4_7 Depth=1
	s_or_b32 exec_lo, exec_lo, s12
.LBB4_62:                               ;   in Loop: Header=BB4_7 Depth=1
	s_wait_alu 0xfffe
	s_or_b32 exec_lo, exec_lo, s9
	s_branch .LBB4_41
.LBB4_63:                               ;   in Loop: Header=BB4_7 Depth=1
	global_load_u16 v2, v3, s[38:39]
	v_mov_b32_e32 v6, 0
	v_mov_b32_e32 v8, 0
	v_dual_mov_b32 v10, 0 :: v_dual_mov_b32 v9, 0
	v_mov_b32_e32 v11, 0
	s_mov_b32 s70, exec_lo
	v_mov_b32_e32 v7, 0
	s_wait_loadcnt 0x0
	v_readfirstlane_b32 s6, v2
	v_and_b32_e32 v2, 0xffff, v2
	s_and_b32 s59, 0xffff, s6
	s_wait_alu 0xfffe
	s_lshl_b32 s69, s59, 2
	s_wait_alu 0xfffe
	s_cvt_f32_u32 s6, s69
	s_sub_co_i32 s7, 0, s69
	s_wait_alu 0xfffe
	s_delay_alu instid0(SALU_CYCLE_1) | instskip(NEXT) | instid1(TRANS32_DEP_1)
	v_rcp_iflag_f32_e32 v4, s6
	v_readfirstlane_b32 s6, v4
	s_mul_f32 s6, s6, 0x4f7ffffe
	s_wait_alu 0xfffe
	s_delay_alu instid0(SALU_CYCLE_2) | instskip(SKIP_1) | instid1(SALU_CYCLE_2)
	s_cvt_u32_f32 s6, s6
	s_wait_alu 0xfffe
	s_mul_i32 s7, s7, s6
	s_wait_alu 0xfffe
	s_mul_hi_u32 s7, s6, s7
	s_wait_alu 0xfffe
	s_add_co_i32 s6, s6, s7
	s_wait_alu 0xfffe
	s_mul_hi_u32 s6, s58, s6
	s_wait_alu 0xfffe
	s_mul_i32 s7, s6, s69
	s_add_co_i32 s8, s6, 1
	s_wait_alu 0xfffe
	s_sub_co_i32 s7, s58, s7
	s_wait_alu 0xfffe
	s_sub_co_i32 s9, s7, s69
	s_cmp_ge_u32 s7, s69
	s_cselect_b32 s6, s8, s6
	s_wait_alu 0xfffe
	s_cselect_b32 s7, s9, s7
	s_add_co_i32 s8, s6, 1
	s_wait_alu 0xfffe
	s_cmp_ge_u32 s7, s69
	s_cselect_b32 s68, s8, s6
	s_wait_alu 0xfffe
	v_mul_hi_u32 v5, s68, v2
	v_mul_lo_u32 v4, s68, v2
	s_delay_alu instid0(VALU_DEP_1) | instskip(SKIP_2) | instid1(VALU_DEP_3)
	v_lshlrev_b64_e32 v[28:29], 2, v[4:5]
	v_mov_b32_e32 v4, 0
	v_mov_b32_e32 v5, 0
	v_cmpx_gt_u64_e64 v[28:29], v[14:15]
	s_cbranch_execz .LBB4_67
; %bb.64:                               ;   in Loop: Header=BB4_7 Depth=1
	v_mov_b32_e32 v31, v15
	v_dual_mov_b32 v43, v14 :: v_dual_mov_b32 v30, v14
	s_mov_b64 s[60:61], 0
	s_mov_b32 s71, 0
	s_mov_b64 s[62:63], 0
	s_mov_b64 s[64:65], 0
	;; [unrolled: 1-line block ×3, first 2 shown]
.LBB4_65:                               ;   Parent Loop BB4_7 Depth=1
                                        ; =>  This Inner Loop Header: Depth=2
	ds_load_b32 v4, v43
	v_add_co_u32 v30, vcc_lo, v30, s69
	s_wait_alu 0xfffd
	v_add_co_ci_u32_e64 v31, null, 0, v31, vcc_lo
	s_delay_alu instid0(VALU_DEP_1)
	v_cmp_ge_u64_e32 vcc_lo, v[30:31], v[28:29]
	s_wait_dscnt 0x0
	v_and_b32_e32 v5, 0xff, v4
	v_bfe_u32 v6, v4, 8, 8
	v_bfe_u32 v7, v4, 16, 8
	v_lshrrev_b32_e32 v4, 24, v4
	s_delay_alu instid0(VALU_DEP_4)
	v_and_b32_e32 v8, v41, v5
	v_bfe_u32 v5, v5, s94, 2
	v_and_b32_e32 v9, v41, v6
	v_bfe_u32 v6, v6, s94, 2
	;; [unrolled: 2-line block ×3, first 2 shown]
	v_cmp_eq_u32_e64 s6, v8, v20
	v_cmp_eq_u32_e64 s10, 0, v5
	v_and_b32_e32 v11, v41, v4
	v_bfe_u32 v4, v4, s94, 2
	v_cmp_eq_u32_e64 s7, v9, v20
	v_cmp_eq_u32_e64 s11, 0, v6
	;; [unrolled: 1-line block ×4, first 2 shown]
	s_and_b32 s10, s6, s10
	v_cmp_eq_u32_e64 s9, v11, v20
	v_cmp_eq_u32_e64 s13, 0, v4
	;; [unrolled: 1-line block ×5, first 2 shown]
	s_wait_alu 0xfffe
	v_cndmask_b32_e64 v4, 0, 1, s10
	s_and_b32 s10, s7, s11
	v_cmp_eq_u32_e64 s14, 1, v5
	v_cmp_eq_u32_e64 s18, 2, v5
	v_cmp_eq_u32_e64 s22, 3, v5
	s_wait_alu 0xfffe
	v_cndmask_b32_e64 v5, 0, 1, s10
	s_and_b32 s10, s8, s12
	v_cmp_eq_u32_e64 s15, 1, v6
	v_cmp_eq_u32_e64 s19, 2, v6
	v_cmp_eq_u32_e64 s23, 3, v6
	;; [unrolled: 6-line block ×3, first 2 shown]
	s_wait_alu 0xfffe
	v_cndmask_b32_e64 v7, 0, 1, s10
	s_and_b32 s10, s6, s14
	s_wait_alu 0xfffe
	v_cndmask_b32_e64 v8, 0, 1, s10
	s_and_b32 s10, s7, s15
	;; [unrolled: 3-line block ×4, first 2 shown]
	v_cmp_ne_u32_e64 s11, 0, v9
	s_wait_alu 0xfffe
	v_cndmask_b32_e64 v11, 0, 1, s10
	s_and_b32 s10, s6, s18
	s_and_b32 s6, s6, s22
	s_wait_alu 0xfffe
	v_cndmask_b32_e64 v44, 0, 1, s10
	v_cndmask_b32_e64 v48, 0, 1, s6
	s_and_b32 s6, s7, s23
	s_and_b32 s10, s7, s19
	s_wait_alu 0xfffe
	v_cndmask_b32_e64 v49, 0, 1, s6
	s_and_b32 s6, s8, s24
	v_cndmask_b32_e64 v45, 0, 1, s10
	s_and_b32 s10, s8, s20
	s_wait_alu 0xfffe
	v_cndmask_b32_e64 v50, 0, 1, s6
	s_and_b32 s6, s9, s25
	v_cndmask_b32_e64 v46, 0, 1, s10
	s_and_b32 s10, s9, s21
	s_wait_alu 0xfffe
	v_cndmask_b32_e64 v51, 0, 1, s6
	v_cmp_ne_u32_e64 s6, 0, v4
	v_cmp_ne_u32_e64 s7, 0, v5
	v_cndmask_b32_e64 v47, 0, 1, s10
	v_cmp_ne_u32_e64 s8, 0, v6
	v_cmp_ne_u32_e64 s10, 0, v8
	;; [unrolled: 1-line block ×6, first 2 shown]
	s_bcnt1_i32_b32 s6, s6
	s_bcnt1_i32_b32 s7, s7
	v_cmp_ne_u32_e64 s13, 0, v11
	v_cmp_ne_u32_e64 s16, 0, v46
	;; [unrolled: 1-line block ×4, first 2 shown]
	s_bcnt1_i32_b32 s8, s8
	s_bcnt1_i32_b32 s10, s10
	;; [unrolled: 1-line block ×3, first 2 shown]
	s_wait_alu 0xfffe
	s_add_co_i32 s6, s7, s6
	v_cmp_ne_u32_e64 s17, 0, v47
	v_cmp_ne_u32_e64 s20, 0, v50
	s_bcnt1_i32_b32 s9, s9
	s_bcnt1_i32_b32 s12, s12
	;; [unrolled: 1-line block ×4, first 2 shown]
	s_add_co_i32 s7, s11, s10
	s_wait_alu 0xfffe
	s_add_co_i32 s6, s6, s8
	v_cmp_ne_u32_e64 s21, 0, v51
	s_bcnt1_i32_b32 s13, s13
	s_bcnt1_i32_b32 s16, s16
	;; [unrolled: 1-line block ×4, first 2 shown]
	s_add_co_i32 s10, s15, s14
	s_add_co_i32 s7, s7, s12
	s_wait_alu 0xfffe
	s_add_co_i32 s50, s6, s9
	s_bcnt1_i32_b32 s17, s17
	s_bcnt1_i32_b32 s20, s20
	s_add_co_i32 s11, s19, s18
	s_add_co_i32 s8, s10, s16
	s_wait_alu 0xfffe
	s_add_nc_u64 s[66:67], s[66:67], s[50:51]
	s_add_co_i32 s50, s7, s13
	s_bcnt1_i32_b32 s21, s21
	s_add_co_i32 s10, s11, s20
	s_wait_alu 0xfffe
	s_add_nc_u64 s[64:65], s[64:65], s[50:51]
	s_add_co_i32 s50, s8, s17
	v_dual_mov_b32 v4, s66 :: v_dual_add_nc_u32 v43, s69, v43
	s_wait_alu 0xfffe
	s_add_nc_u64 s[62:63], s[62:63], s[50:51]
	s_add_co_i32 s50, s10, s21
	v_mov_b32_e32 v6, s64
	s_wait_alu 0xfffe
	s_add_nc_u64 s[60:61], s[60:61], s[50:51]
	v_mov_b32_e32 v8, s62
	s_wait_alu 0xfffe
	v_dual_mov_b32 v10, s60 :: v_dual_mov_b32 v5, s67
	v_mov_b32_e32 v7, s65
	v_mov_b32_e32 v9, s63
	;; [unrolled: 1-line block ×3, first 2 shown]
	s_or_b32 s71, vcc_lo, s71
	s_wait_alu 0xfffe
	s_and_not1_b32 exec_lo, exec_lo, s71
	s_cbranch_execnz .LBB4_65
; %bb.66:                               ;   in Loop: Header=BB4_7 Depth=1
	s_or_b32 exec_lo, exec_lo, s71
.LBB4_67:                               ;   in Loop: Header=BB4_7 Depth=1
	s_delay_alu instid0(SALU_CYCLE_1)
	s_or_b32 exec_lo, exec_lo, s70
	v_add_co_u32 v28, vcc_lo, v28, v0
	s_wait_alu 0xfffd
	v_add_co_ci_u32_e64 v29, null, 0, v29, vcc_lo
	s_and_b32 s50, s58, 0x7fffffff
	s_mov_b32 s11, exec_lo
	s_wait_alu 0xfffe
	v_cmpx_gt_u64_e64 s[50:51], v[28:29]
	s_cbranch_execz .LBB4_71
; %bb.68:                               ;   in Loop: Header=BB4_7 Depth=1
	s_mul_i32 s68, s68, s59
	s_mov_b32 s12, 0
	s_wait_alu 0xfffe
	v_lshl_add_u32 v30, s68, 2, v0
.LBB4_69:                               ;   Parent Loop BB4_7 Depth=1
                                        ; =>  This Inner Loop Header: Depth=2
	ds_load_u8 v31, v30
	v_add_co_u32 v28, vcc_lo, v28, v2
	s_wait_alu 0xfffd
	v_add_co_ci_u32_e64 v29, null, 0, v29, vcc_lo
	v_add_nc_u32_e32 v30, s59, v30
	s_delay_alu instid0(VALU_DEP_2) | instskip(SKIP_3) | instid1(VALU_DEP_2)
	v_cmp_le_u64_e32 vcc_lo, s[50:51], v[28:29]
	s_wait_dscnt 0x0
	v_and_b32_e32 v43, v41, v31
	v_bfe_u32 v31, v31, s94, 2
	v_cmp_eq_u32_e64 s6, v43, v20
	s_delay_alu instid0(VALU_DEP_2)
	v_cmp_eq_u32_e64 s7, 0, v31
	v_cmp_eq_u32_e64 s8, 1, v31
	;; [unrolled: 1-line block ×4, first 2 shown]
	s_and_b32 s7, s6, s7
	s_wait_alu 0xfffe
	v_cndmask_b32_e64 v31, 0, 1, s7
	s_and_b32 s7, s6, s8
	s_wait_alu 0xfffe
	v_cndmask_b32_e64 v43, 0, 1, s7
	s_and_b32 s7, s6, s9
	s_and_b32 s6, s6, s10
	s_wait_alu 0xfffe
	v_cndmask_b32_e64 v44, 0, 1, s7
	v_cndmask_b32_e64 v45, 0, 1, s6
	v_cmp_ne_u32_e64 s6, 0, v31
	v_cmp_ne_u32_e64 s7, 0, v43
	s_delay_alu instid0(VALU_DEP_4) | instskip(NEXT) | instid1(VALU_DEP_4)
	v_cmp_ne_u32_e64 s8, 0, v44
	v_cmp_ne_u32_e64 s9, 0, v45
	s_bcnt1_i32_b32 s6, s6
	s_bcnt1_i32_b32 s7, s7
	s_wait_alu 0xfffe
	v_add_co_u32 v4, s6, v4, s6
	s_bcnt1_i32_b32 s8, s8
	v_add_co_ci_u32_e64 v5, null, 0, v5, s6
	v_add_co_u32 v6, s6, v6, s7
	s_bcnt1_i32_b32 s9, s9
	v_add_co_ci_u32_e64 v7, null, 0, v7, s6
	s_wait_alu 0xfffe
	v_add_co_u32 v8, s6, v8, s8
	s_wait_alu 0xf1ff
	v_add_co_ci_u32_e64 v9, null, 0, v9, s6
	v_add_co_u32 v10, s6, v10, s9
	s_wait_alu 0xf1ff
	v_add_co_ci_u32_e64 v11, null, 0, v11, s6
	s_or_b32 s12, vcc_lo, s12
	s_wait_alu 0xfffe
	s_and_not1_b32 exec_lo, exec_lo, s12
	s_cbranch_execnz .LBB4_69
; %bb.70:                               ;   in Loop: Header=BB4_7 Depth=1
	s_or_b32 exec_lo, exec_lo, s12
.LBB4_71:                               ;   in Loop: Header=BB4_7 Depth=1
	s_delay_alu instid0(SALU_CYCLE_1)
	s_or_b32 exec_lo, exec_lo, s11
	s_lshl_b32 s6, s96, 7
	s_and_saveexec_b32 s7, s1
	s_cbranch_execnz .LBB4_42
	s_branch .LBB4_43
.LBB4_72:                               ;   in Loop: Header=BB4_7 Depth=1
                                        ; implicit-def: $sgpr64_sgpr65
	s_branch .LBB4_51
.LBB4_73:                               ;   in Loop: Header=BB4_7 Depth=1
	s_or_b32 exec_lo, exec_lo, s9
	s_wait_dscnt 0x0
	s_barrier_signal -1
	s_barrier_wait -1
	global_inv scope:SCOPE_SE
	s_and_saveexec_b32 s6, s2
	s_cbranch_execz .LBB4_75
; %bb.74:                               ;   in Loop: Header=BB4_7 Depth=1
	ds_load_b32 v4, v3 offset:5136
	s_wait_dscnt 0x0
	v_ashrrev_i32_e32 v5, 31, v4
	ds_store_b64 v3, v[4:5] offset:5120
.LBB4_75:                               ;   in Loop: Header=BB4_7 Depth=1
	s_wait_alu 0xfffe
	s_or_b32 exec_lo, exec_lo, s6
	s_wait_loadcnt_dscnt 0x0
	s_barrier_signal -1
	s_mov_b32 s6, -1
	s_barrier_wait -1
	s_and_b32 vcc_lo, exec_lo, s8
	s_wait_alu 0xfffe
	s_cbranch_vccnz .LBB4_22
	s_branch .LBB4_37
.LBB4_76:                               ;   in Loop: Header=BB4_7 Depth=1
	s_mov_b32 s8, 0
	s_and_not1_b32 vcc_lo, exec_lo, s93
	s_wait_alu 0xfffe
	s_cbranch_vccnz .LBB4_79
.LBB4_77:                               ;   in Loop: Header=BB4_7 Depth=1
	s_lshl_b32 s9, s96, 10
	s_lshl_b32 s8, s8, 5
	s_wait_alu 0xfffe
	v_add3_u32 v2, s9, s8, v39
	s_mov_b32 s8, s90
.LBB4_78:                               ;   Parent Loop BB4_7 Depth=1
                                        ; =>  This Inner Loop Header: Depth=2
	ds_load_b64 v[6:7], v2
	v_add_nc_u32_e32 v2, 32, v2
	s_wait_alu 0xfffe
	s_add_co_i32 s8, s8, -1
	s_wait_alu 0xfffe
	s_cmp_lg_u32 s8, 0
	s_wait_dscnt 0x0
	v_add_co_u32 v4, vcc_lo, v6, v4
	s_wait_alu 0xfffd
	v_add_co_ci_u32_e64 v5, null, v7, v5, vcc_lo
	s_cbranch_scc1 .LBB4_78
.LBB4_79:                               ;   in Loop: Header=BB4_7 Depth=1
	v_add_lshl_u32 v2, s6, v32, 3
	ds_store_b64 v2, v[4:5] offset:3072
.LBB4_80:                               ;   in Loop: Header=BB4_7 Depth=1
	s_wait_alu 0xfffe
	s_or_b32 exec_lo, exec_lo, s7
	s_lshl_b32 s6, s6, 3
	s_wait_loadcnt_dscnt 0x0
	s_wait_alu 0xfffe
	v_mov_b32_e32 v2, s6
	s_barrier_signal -1
	s_barrier_wait -1
	global_inv scope:SCOPE_SE
	v_cmp_eq_u64_e32 vcc_lo, 1, v[26:27]
	ds_load_b128 v[4:7], v2 offset:3072
	ds_load_b128 v[8:11], v2 offset:3088
	s_lshl_b32 s16, 3, s94
	s_mov_b32 s18, -1
	s_wait_alu 0xfffe
	s_not_b32 s20, s16
                                        ; implicit-def: $sgpr22
                                        ; implicit-def: $sgpr21
	s_wait_dscnt 0x1
	v_cmp_eq_u64_e64 s6, 1, v[4:5]
	s_wait_dscnt 0x0
	v_readfirstlane_b32 s10, v8
	v_readfirstlane_b32 s11, v9
	;; [unrolled: 1-line block ×4, first 2 shown]
	s_and_b32 s19, s6, vcc_lo
	s_mov_b32 s6, -1
	s_and_saveexec_b32 s17, s19
	s_cbranch_execz .LBB4_112
; %bb.81:                               ;   in Loop: Header=BB4_7 Depth=1
	ds_load_b64 v[8:9], v3 offset:5120
	s_wait_loadcnt_dscnt 0x0
	s_barrier_signal -1
	s_barrier_wait -1
	global_inv scope:SCOPE_SE
	v_readfirstlane_b32 s12, v8
	v_readfirstlane_b32 s13, v9
	s_and_saveexec_b32 s6, s3
; %bb.82:                               ;   in Loop: Header=BB4_7 Depth=1
	ds_store_b8 v0, v3 offset:3072
; %bb.83:                               ;   in Loop: Header=BB4_7 Depth=1
	s_wait_alu 0xfffe
	s_or_b32 exec_lo, exec_lo, s6
	v_cmp_lt_i64_e64 s6, s[12:13], 1
	v_and_b32_e32 v20, s20, v20
	v_or_b32_e32 v41, s16, v41
	s_mov_b32 s21, -1
	s_mov_b32 s22, 0
	s_mov_b32 s23, 0
	s_and_b32 vcc_lo, exec_lo, s6
	s_mov_b32 s7, -1
	s_wait_loadcnt_dscnt 0x0
	s_barrier_signal -1
	s_barrier_wait -1
	global_inv scope:SCOPE_SE
                                        ; implicit-def: $vgpr42
	s_wait_alu 0xfffe
	s_cbranch_vccz .LBB4_97
; %bb.84:                               ;   in Loop: Header=BB4_7 Depth=1
	s_mov_b32 s6, s51
	s_mov_b32 s7, s55
	s_wait_alu 0xfffe
	s_cmp_lg_u64 s[6:7], 0
	s_cbranch_scc0 .LBB4_138
; %bb.85:                               ;   in Loop: Header=BB4_7 Depth=1
	s_add_nc_u64 s[6:7], s[44:45], 0
	s_wait_alu 0xfffe
	s_xor_b64 s[6:7], s[6:7], 0
	s_wait_alu 0xfffe
	s_cvt_f32_u32 s14, s6
	s_cvt_f32_u32 s15, s7
	s_sub_nc_u64 s[24:25], 0, s[6:7]
	s_wait_alu 0xfffe
	s_delay_alu instid0(SALU_CYCLE_1) | instskip(SKIP_1) | instid1(SALU_CYCLE_2)
	s_fmamk_f32 s14, s15, 0x4f800000, s14
	s_wait_alu 0xfffe
	v_s_rcp_f32 s14, s14
	s_delay_alu instid0(TRANS32_DEP_1) | instskip(SKIP_1) | instid1(SALU_CYCLE_2)
	s_mul_f32 s14, s14, 0x5f7ffffc
	s_wait_alu 0xfffe
	s_mul_f32 s15, s14, 0x2f800000
	s_wait_alu 0xfffe
	s_delay_alu instid0(SALU_CYCLE_2) | instskip(SKIP_1) | instid1(SALU_CYCLE_2)
	s_trunc_f32 s15, s15
	s_wait_alu 0xfffe
	s_fmamk_f32 s14, s15, 0xcf800000, s14
	s_cvt_u32_f32 s15, s15
	s_wait_alu 0xfffe
	s_delay_alu instid0(SALU_CYCLE_1) | instskip(SKIP_1) | instid1(SALU_CYCLE_2)
	s_cvt_u32_f32 s14, s14
	s_wait_alu 0xfffe
	s_mul_u64 s[58:59], s[24:25], s[14:15]
	s_wait_alu 0xfffe
	s_mul_hi_u32 s61, s14, s59
	s_mul_i32 s60, s14, s59
	s_mul_hi_u32 s50, s14, s58
	s_mul_i32 s62, s15, s58
	s_wait_alu 0xfffe
	s_add_nc_u64 s[60:61], s[50:51], s[60:61]
	s_mul_hi_u32 s23, s15, s58
	s_mul_hi_u32 s63, s15, s59
	s_wait_alu 0xfffe
	s_add_co_u32 s50, s60, s62
	s_add_co_ci_u32 s50, s61, s23
	s_mul_i32 s58, s15, s59
	s_add_co_ci_u32 s59, s63, 0
	s_wait_alu 0xfffe
	s_add_nc_u64 s[58:59], s[50:51], s[58:59]
	s_wait_alu 0xfffe
	s_add_co_u32 s14, s14, s58
	s_cselect_b32 s23, -1, 0
	s_delay_alu instid0(SALU_CYCLE_1)
	s_cmp_lg_u32 s23, 0
	s_add_co_ci_u32 s15, s15, s59
	s_wait_alu 0xfffe
	s_mul_u64 s[24:25], s[24:25], s[14:15]
	s_wait_alu 0xfffe
	s_mul_hi_u32 s59, s14, s25
	s_mul_i32 s58, s14, s25
	s_mul_hi_u32 s50, s14, s24
	s_mul_i32 s60, s15, s24
	s_wait_alu 0xfffe
	s_add_nc_u64 s[58:59], s[50:51], s[58:59]
	s_mul_hi_u32 s23, s15, s24
	s_mul_hi_u32 s61, s15, s25
	s_mul_i32 s24, s15, s25
	s_wait_alu 0xfffe
	s_add_co_u32 s25, s58, s60
	s_add_co_ci_u32 s50, s59, s23
	s_add_co_ci_u32 s25, s61, 0
	s_wait_alu 0xfffe
	s_add_nc_u64 s[24:25], s[50:51], s[24:25]
	s_wait_alu 0xfffe
	s_add_co_u32 s23, s14, s24
	s_cselect_b32 s14, -1, 0
	s_wait_alu 0xfffe
	s_cmp_lg_u32 s14, 0
	s_add_co_ci_u32 s60, s15, s25
	s_ashr_i32 s14, s55, 31
	s_wait_alu 0xfffe
	s_mov_b32 s15, s14
	s_wait_alu 0xfffe
	s_add_nc_u64 s[24:25], s[54:55], s[14:15]
	s_wait_alu 0xfffe
	s_xor_b64 s[24:25], s[24:25], s[14:15]
	s_wait_alu 0xfffe
	s_mul_hi_u32 s59, s24, s60
	s_mul_i32 s58, s24, s60
	s_mul_hi_u32 s50, s24, s23
	s_mul_hi_u32 s62, s25, s23
	s_mul_i32 s23, s25, s23
	s_wait_alu 0xfffe
	s_add_nc_u64 s[58:59], s[50:51], s[58:59]
	s_mul_hi_u32 s61, s25, s60
	s_wait_alu 0xfffe
	s_add_co_u32 s23, s58, s23
	s_add_co_ci_u32 s50, s59, s62
	s_mul_i32 s60, s25, s60
	s_add_co_ci_u32 s61, s61, 0
	s_wait_alu 0xfffe
	s_add_nc_u64 s[58:59], s[50:51], s[60:61]
	s_wait_alu 0xfffe
	s_mul_u64 s[58:59], s[6:7], s[58:59]
	s_wait_alu 0xfffe
	s_sub_co_u32 s23, s24, s58
	s_cselect_b32 s24, -1, 0
	s_sub_co_i32 s50, s25, s59
	s_wait_alu 0xfffe
	s_cmp_lg_u32 s24, 0
	s_sub_co_ci_u32 s50, s50, s7
	s_sub_co_u32 s58, s23, s6
	s_cselect_b32 s60, -1, 0
	s_wait_alu 0xfffe
	s_cmp_lg_u32 s60, 0
	s_sub_co_ci_u32 s61, s50, 0
	s_wait_alu 0xfffe
	s_cmp_ge_u32 s61, s7
	s_cselect_b32 s62, -1, 0
	s_cmp_ge_u32 s58, s6
	s_cselect_b32 s63, -1, 0
	s_cmp_eq_u32 s61, s7
	s_wait_alu 0xfffe
	s_cselect_b32 s62, s63, s62
	s_cmp_lg_u32 s60, 0
	s_sub_co_ci_u32 s50, s50, s7
	s_sub_co_u32 s60, s58, s6
	s_cselect_b32 s63, -1, 0
	s_wait_alu 0xfffe
	s_cmp_lg_u32 s63, 0
	s_sub_co_ci_u32 s50, s50, 0
	s_cmp_lg_u32 s62, 0
	s_cselect_b32 s58, s60, s58
	s_wait_alu 0xfffe
	s_cselect_b32 s50, s50, s61
	s_cmp_lg_u32 s24, 0
	s_sub_co_ci_u32 s24, s25, s59
	s_wait_alu 0xfffe
	s_cmp_ge_u32 s24, s7
	s_cselect_b32 s25, -1, 0
	s_cmp_ge_u32 s23, s6
	s_cselect_b32 s6, -1, 0
	s_cmp_eq_u32 s24, s7
	s_wait_alu 0xfffe
	s_cselect_b32 s6, s6, s25
	s_wait_alu 0xfffe
	s_cmp_lg_u32 s6, 0
	s_cselect_b32 s7, s50, s24
	s_cselect_b32 s6, s58, s23
	s_wait_alu 0xfffe
	s_xor_b64 s[6:7], s[6:7], s[14:15]
	s_wait_alu 0xfffe
	s_sub_nc_u64 s[6:7], s[6:7], s[14:15]
	s_cbranch_execnz .LBB4_87
.LBB4_86:                               ;   in Loop: Header=BB4_7 Depth=1
	v_cvt_f32_u32_e32 v2, s44
	s_sub_co_i32 s7, 0, s44
	s_delay_alu instid0(VALU_DEP_1) | instskip(NEXT) | instid1(TRANS32_DEP_1)
	v_rcp_iflag_f32_e32 v2, v2
	v_mul_f32_e32 v2, 0x4f7ffffe, v2
	s_delay_alu instid0(VALU_DEP_1) | instskip(NEXT) | instid1(VALU_DEP_1)
	v_cvt_u32_f32_e32 v2, v2
	v_readfirstlane_b32 s6, v2
	s_wait_alu 0xfffe
	s_mul_i32 s7, s7, s6
	s_wait_alu 0xfffe
	s_mul_hi_u32 s7, s6, s7
	s_wait_alu 0xfffe
	s_add_co_i32 s6, s6, s7
	s_wait_alu 0xfffe
	s_mul_hi_u32 s6, s54, s6
	s_wait_alu 0xfffe
	s_mul_i32 s6, s6, s44
	s_wait_alu 0xfffe
	s_sub_co_i32 s6, s54, s6
	s_wait_alu 0xfffe
	s_sub_co_i32 s7, s6, s44
	s_cmp_ge_u32 s6, s44
	s_wait_alu 0xfffe
	s_cselect_b32 s6, s7, s6
	s_wait_alu 0xfffe
	s_sub_co_i32 s7, s6, s44
	s_cmp_ge_u32 s6, s44
	s_wait_alu 0xfffe
	s_cselect_b32 s50, s7, s6
	s_wait_alu 0xfffe
	s_mov_b64 s[6:7], s[50:51]
.LBB4_87:                               ;   in Loop: Header=BB4_7 Depth=1
	s_wait_alu 0xfffe
	s_sub_nc_u64 s[14:15], s[54:55], s[6:7]
	s_mov_b32 s7, 0
	s_mov_b32 s23, 0
	s_mov_b32 s24, exec_lo
                                        ; implicit-def: $vgpr42
	s_wait_alu 0xfffe
	v_cmpx_gt_i64_e64 s[14:15], v[0:1]
	s_cbranch_execz .LBB4_96
; %bb.88:                               ;   in Loop: Header=BB4_7 Depth=1
	v_dual_mov_b32 v8, v12 :: v_dual_mov_b32 v9, v13
	v_dual_mov_b32 v11, v1 :: v_dual_mov_b32 v10, v0
                                        ; implicit-def: $sgpr25
	s_branch .LBB4_91
.LBB4_89:                               ;   in Loop: Header=BB4_91 Depth=2
	s_wait_alu 0xfffe
	s_or_b32 exec_lo, exec_lo, s6
	s_wait_loadcnt_dscnt 0x0
	s_barrier_signal -1
	s_barrier_wait -1
	global_inv scope:SCOPE_SE
	ds_load_u16 v2, v3 offset:3072
	s_mov_b32 s6, -1
	s_mov_b32 s50, -1
	s_wait_loadcnt_dscnt 0x0
	s_barrier_signal -1
	s_barrier_wait -1
	global_inv scope:SCOPE_SE
	v_and_b32_e32 v28, 0xff, v2
	s_delay_alu instid0(VALU_DEP_1)
	v_cmp_ne_u32_e32 vcc_lo, 0, v28
	s_cbranch_vccz .LBB4_94
.LBB4_90:                               ;   in Loop: Header=BB4_91 Depth=2
	s_wait_alu 0xfffe
	s_and_b32 s6, exec_lo, s6
	s_wait_alu 0xfffe
	s_or_b32 s23, s6, s23
	s_and_not1_b32 s6, s25, exec_lo
	s_and_b32 s25, s50, exec_lo
	s_wait_alu 0xfffe
	s_or_b32 s25, s6, s25
	s_and_not1_b32 exec_lo, exec_lo, s23
	s_cbranch_execz .LBB4_95
.LBB4_91:                               ;   Parent Loop BB4_7 Depth=1
                                        ; =>  This Inner Loop Header: Depth=2
	s_mov_b32 s6, exec_lo
	s_delay_alu instid0(VALU_DEP_1)
	v_cmpx_gt_i64_e64 s[36:37], v[10:11]
	s_cbranch_execz .LBB4_89
; %bb.92:                               ;   in Loop: Header=BB4_91 Depth=2
	global_load_u8 v2, v[8:9], off
	s_wait_loadcnt 0x0
	v_and_b32_e32 v28, v2, v41
	s_delay_alu instid0(VALU_DEP_1) | instskip(NEXT) | instid1(VALU_DEP_1)
	v_and_b32_e32 v28, 0xff, v28
	v_cmp_eq_u32_e32 vcc_lo, v28, v20
	s_and_b32 exec_lo, exec_lo, vcc_lo
	s_cbranch_execz .LBB4_89
; %bb.93:                               ;   in Loop: Header=BB4_91 Depth=2
	v_lshlrev_b16 v2, 8, v2
	s_delay_alu instid0(VALU_DEP_1)
	v_or_b32_e32 v2, 1, v2
	ds_store_b16 v3, v2 offset:3072
	s_branch .LBB4_89
.LBB4_94:                               ;   in Loop: Header=BB4_91 Depth=2
	v_add_co_u32 v10, vcc_lo, v10, s44
	s_wait_alu 0xfffd
	v_add_co_ci_u32_e64 v11, null, 0, v11, vcc_lo
	v_add_co_u32 v8, s6, v8, s46
	s_wait_alu 0xf1fe
	v_add_co_ci_u32_e64 v9, null, s47, v9, s6
	s_delay_alu instid0(VALU_DEP_3)
	v_cmp_le_i64_e32 vcc_lo, s[14:15], v[10:11]
	s_mov_b32 s50, 0
	s_or_not1_b32 s6, vcc_lo, exec_lo
	s_branch .LBB4_90
.LBB4_95:                               ;   in Loop: Header=BB4_7 Depth=1
	s_or_b32 exec_lo, exec_lo, s23
	v_and_b32_e32 v2, 0xffff, v2
	s_wait_alu 0xfffe
	s_and_b32 s23, s25, exec_lo
	s_delay_alu instid0(VALU_DEP_1)
	v_lshrrev_b32_e32 v42, 8, v2
.LBB4_96:                               ;   in Loop: Header=BB4_7 Depth=1
	s_or_b32 exec_lo, exec_lo, s24
.LBB4_97:                               ;   in Loop: Header=BB4_7 Depth=1
	s_delay_alu instid0(SALU_CYCLE_1)
	s_and_b32 vcc_lo, exec_lo, s7
	s_wait_alu 0xfffe
	s_cbranch_vccz .LBB4_111
; %bb.98:                               ;   in Loop: Header=BB4_7 Depth=1
	s_add_nc_u64 s[6:7], s[12:13], s[52:53]
	s_mov_b32 s14, s51
	s_wait_alu 0xfffe
	s_mov_b32 s15, s7
	s_wait_alu 0xfffe
	s_cmp_lg_u64 s[14:15], 0
	s_cbranch_scc0 .LBB4_139
; %bb.99:                               ;   in Loop: Header=BB4_7 Depth=1
	s_add_nc_u64 s[14:15], s[44:45], 0
	s_wait_alu 0xfffe
	s_xor_b64 s[14:15], s[14:15], 0
	s_wait_alu 0xfffe
	s_cvt_f32_u32 s21, s14
	s_cvt_f32_u32 s22, s15
	s_sub_nc_u64 s[58:59], 0, s[14:15]
	s_wait_alu 0xfffe
	s_delay_alu instid0(SALU_CYCLE_1) | instskip(SKIP_1) | instid1(SALU_CYCLE_2)
	s_fmamk_f32 s21, s22, 0x4f800000, s21
	s_wait_alu 0xfffe
	v_s_rcp_f32 s21, s21
	s_delay_alu instid0(TRANS32_DEP_1) | instskip(SKIP_1) | instid1(SALU_CYCLE_2)
	s_mul_f32 s21, s21, 0x5f7ffffc
	s_wait_alu 0xfffe
	s_mul_f32 s22, s21, 0x2f800000
	s_delay_alu instid0(SALU_CYCLE_3) | instskip(NEXT) | instid1(SALU_CYCLE_3)
	s_trunc_f32 s22, s22
	s_fmamk_f32 s21, s22, 0xcf800000, s21
	s_cvt_u32_f32 s25, s22
	s_wait_alu 0xfffe
	s_delay_alu instid0(SALU_CYCLE_1) | instskip(SKIP_1) | instid1(SALU_CYCLE_2)
	s_cvt_u32_f32 s24, s21
	s_wait_alu 0xfffe
	s_mul_u64 s[60:61], s[58:59], s[24:25]
	s_wait_alu 0xfffe
	s_mul_hi_u32 s63, s24, s61
	s_mul_i32 s62, s24, s61
	s_mul_hi_u32 s50, s24, s60
	s_mul_i32 s22, s25, s60
	s_wait_alu 0xfffe
	s_add_nc_u64 s[62:63], s[50:51], s[62:63]
	s_mul_hi_u32 s21, s25, s60
	s_mul_hi_u32 s64, s25, s61
	s_wait_alu 0xfffe
	s_add_co_u32 s22, s62, s22
	s_add_co_ci_u32 s50, s63, s21
	s_mul_i32 s60, s25, s61
	s_add_co_ci_u32 s61, s64, 0
	s_wait_alu 0xfffe
	s_add_nc_u64 s[60:61], s[50:51], s[60:61]
	s_wait_alu 0xfffe
	s_add_co_u32 s24, s24, s60
	s_cselect_b32 s21, -1, 0
	s_wait_alu 0xfffe
	s_cmp_lg_u32 s21, 0
	s_add_co_ci_u32 s25, s25, s61
	s_wait_alu 0xfffe
	s_mul_u64 s[58:59], s[58:59], s[24:25]
	s_wait_alu 0xfffe
	s_mul_hi_u32 s61, s24, s59
	s_mul_i32 s60, s24, s59
	s_mul_hi_u32 s50, s24, s58
	s_mul_i32 s22, s25, s58
	s_wait_alu 0xfffe
	s_add_nc_u64 s[60:61], s[50:51], s[60:61]
	s_mul_hi_u32 s21, s25, s58
	s_mul_hi_u32 s62, s25, s59
	s_wait_alu 0xfffe
	s_add_co_u32 s22, s60, s22
	s_add_co_ci_u32 s50, s61, s21
	s_mul_i32 s58, s25, s59
	s_add_co_ci_u32 s59, s62, 0
	s_wait_alu 0xfffe
	s_add_nc_u64 s[58:59], s[50:51], s[58:59]
	s_wait_alu 0xfffe
	s_add_co_u32 s21, s24, s58
	s_cselect_b32 s22, -1, 0
	s_delay_alu instid0(SALU_CYCLE_1)
	s_cmp_lg_u32 s22, 0
	s_add_co_ci_u32 s22, s25, s59
	s_ashr_i32 s24, s7, 31
	s_wait_alu 0xfffe
	s_mov_b32 s25, s24
	s_wait_alu 0xfffe
	s_add_nc_u64 s[58:59], s[6:7], s[24:25]
	s_wait_alu 0xfffe
	s_xor_b64 s[58:59], s[58:59], s[24:25]
	s_wait_alu 0xfffe
	s_mul_hi_u32 s61, s58, s22
	s_mul_i32 s60, s58, s22
	s_mul_hi_u32 s50, s58, s21
	s_mul_hi_u32 s64, s59, s21
	s_mul_i32 s21, s59, s21
	s_wait_alu 0xfffe
	s_add_nc_u64 s[60:61], s[50:51], s[60:61]
	s_mul_hi_u32 s63, s59, s22
	s_wait_alu 0xfffe
	s_add_co_u32 s21, s60, s21
	s_add_co_ci_u32 s50, s61, s64
	s_mul_i32 s62, s59, s22
	s_add_co_ci_u32 s63, s63, 0
	s_wait_alu 0xfffe
	s_add_nc_u64 s[60:61], s[50:51], s[62:63]
	s_wait_alu 0xfffe
	s_mul_u64 s[60:61], s[14:15], s[60:61]
	s_wait_alu 0xfffe
	s_sub_co_u32 s21, s58, s60
	s_cselect_b32 s22, -1, 0
	s_sub_co_i32 s50, s59, s61
	s_cmp_lg_u32 s22, 0
	s_wait_alu 0xfffe
	s_sub_co_ci_u32 s50, s50, s15
	s_sub_co_u32 s58, s21, s14
	s_cselect_b32 s60, -1, 0
	s_wait_alu 0xfffe
	s_cmp_lg_u32 s60, 0
	s_sub_co_ci_u32 s62, s50, 0
	s_wait_alu 0xfffe
	s_cmp_ge_u32 s62, s15
	s_cselect_b32 s63, -1, 0
	s_cmp_ge_u32 s58, s14
	s_cselect_b32 s64, -1, 0
	s_cmp_eq_u32 s62, s15
	s_wait_alu 0xfffe
	s_cselect_b32 s63, s64, s63
	s_cmp_lg_u32 s60, 0
	s_sub_co_ci_u32 s50, s50, s15
	s_sub_co_u32 s60, s58, s14
	s_cselect_b32 s64, -1, 0
	s_wait_alu 0xfffe
	s_cmp_lg_u32 s64, 0
	s_sub_co_ci_u32 s50, s50, 0
	s_cmp_lg_u32 s63, 0
	s_cselect_b32 s58, s60, s58
	s_wait_alu 0xfffe
	s_cselect_b32 s50, s50, s62
	s_cmp_lg_u32 s22, 0
	s_sub_co_ci_u32 s22, s59, s61
	s_delay_alu instid0(SALU_CYCLE_1)
	s_cmp_ge_u32 s22, s15
	s_cselect_b32 s59, -1, 0
	s_cmp_ge_u32 s21, s14
	s_cselect_b32 s14, -1, 0
	s_cmp_eq_u32 s22, s15
	s_wait_alu 0xfffe
	s_cselect_b32 s14, s14, s59
	s_wait_alu 0xfffe
	s_cmp_lg_u32 s14, 0
	s_cselect_b32 s15, s50, s22
	s_cselect_b32 s14, s58, s21
	s_wait_alu 0xfffe
	s_xor_b64 s[14:15], s[14:15], s[24:25]
	s_wait_alu 0xfffe
	s_sub_nc_u64 s[14:15], s[14:15], s[24:25]
	s_cbranch_execnz .LBB4_101
.LBB4_100:                              ;   in Loop: Header=BB4_7 Depth=1
	v_cvt_f32_u32_e32 v2, s44
	s_sub_co_i32 s15, 0, s44
	s_delay_alu instid0(VALU_DEP_1) | instskip(NEXT) | instid1(TRANS32_DEP_1)
	v_rcp_iflag_f32_e32 v2, v2
	v_mul_f32_e32 v2, 0x4f7ffffe, v2
	s_delay_alu instid0(VALU_DEP_1) | instskip(NEXT) | instid1(VALU_DEP_1)
	v_cvt_u32_f32_e32 v2, v2
	v_readfirstlane_b32 s14, v2
	s_wait_alu 0xfffe
	s_mul_i32 s15, s15, s14
	s_wait_alu 0xfffe
	s_mul_hi_u32 s15, s14, s15
	s_wait_alu 0xfffe
	s_add_co_i32 s14, s14, s15
	s_wait_alu 0xfffe
	s_mul_hi_u32 s14, s6, s14
	s_wait_alu 0xfffe
	s_mul_i32 s14, s14, s44
	s_wait_alu 0xfffe
	s_sub_co_i32 s14, s6, s14
	s_wait_alu 0xfffe
	s_sub_co_i32 s15, s14, s44
	s_cmp_ge_u32 s14, s44
	s_wait_alu 0xfffe
	s_cselect_b32 s14, s15, s14
	s_wait_alu 0xfffe
	s_sub_co_i32 s15, s14, s44
	s_cmp_ge_u32 s14, s44
	s_wait_alu 0xfffe
	s_cselect_b32 s50, s15, s14
	s_wait_alu 0xfffe
	s_mov_b64 s[14:15], s[50:51]
.LBB4_101:                              ;   in Loop: Header=BB4_7 Depth=1
	s_wait_alu 0xfffe
	s_sub_nc_u64 s[6:7], s[6:7], s[14:15]
	s_mov_b32 s14, exec_lo
                                        ; implicit-def: $vgpr42
	s_wait_alu 0xfffe
	v_cmpx_gt_i64_e64 s[6:7], v[0:1]
	s_cbranch_execz .LBB4_110
; %bb.102:                              ;   in Loop: Header=BB4_7 Depth=1
	v_dual_mov_b32 v2, v0 :: v_dual_mov_b32 v9, v1
	v_mov_b32_e32 v8, v0
	s_mov_b32 s21, 0
                                        ; implicit-def: $sgpr15
	s_branch .LBB4_105
.LBB4_103:                              ;   in Loop: Header=BB4_105 Depth=2
	s_or_b32 exec_lo, exec_lo, s22
	s_wait_loadcnt_dscnt 0x0
	s_barrier_signal -1
	s_barrier_wait -1
	global_inv scope:SCOPE_SE
	ds_load_u16 v10, v3 offset:3072
	s_mov_b32 s22, -1
	s_mov_b32 s24, -1
	s_wait_loadcnt_dscnt 0x0
	s_barrier_signal -1
	s_barrier_wait -1
	global_inv scope:SCOPE_SE
	v_and_b32_e32 v11, 0xff, v10
	s_delay_alu instid0(VALU_DEP_1)
	v_cmp_ne_u32_e32 vcc_lo, 0, v11
	s_cbranch_vccz .LBB4_108
.LBB4_104:                              ;   in Loop: Header=BB4_105 Depth=2
	s_and_b32 s22, exec_lo, s22
	s_wait_alu 0xfffe
	s_or_b32 s21, s22, s21
	s_and_not1_b32 s15, s15, exec_lo
	s_and_b32 s22, s24, exec_lo
	s_wait_alu 0xfffe
	s_or_b32 s15, s15, s22
	s_and_not1_b32 exec_lo, exec_lo, s21
	s_cbranch_execz .LBB4_109
.LBB4_105:                              ;   Parent Loop BB4_7 Depth=1
                                        ; =>  This Inner Loop Header: Depth=2
	s_mov_b32 s22, exec_lo
	s_delay_alu instid0(VALU_DEP_1)
	v_cmpx_gt_u64_e64 s[12:13], v[8:9]
	s_cbranch_execz .LBB4_103
; %bb.106:                              ;   in Loop: Header=BB4_105 Depth=2
	ds_load_u8 v10, v2
	s_wait_dscnt 0x0
	v_and_b32_e32 v11, v10, v41
	s_delay_alu instid0(VALU_DEP_1) | instskip(NEXT) | instid1(VALU_DEP_1)
	v_and_b32_e32 v11, 0xff, v11
	v_cmp_eq_u32_e32 vcc_lo, v11, v20
	s_and_b32 exec_lo, exec_lo, vcc_lo
	s_cbranch_execz .LBB4_103
; %bb.107:                              ;   in Loop: Header=BB4_105 Depth=2
	v_lshlrev_b16 v10, 8, v10
	s_delay_alu instid0(VALU_DEP_1)
	v_or_b32_e32 v10, 1, v10
	ds_store_b16 v3, v10 offset:3072
	s_branch .LBB4_103
.LBB4_108:                              ;   in Loop: Header=BB4_105 Depth=2
	v_add_co_u32 v8, vcc_lo, v8, s44
	s_wait_alu 0xfffd
	v_add_co_ci_u32_e64 v9, null, 0, v9, vcc_lo
	v_add_nc_u32_e32 v2, s44, v2
	s_mov_b32 s24, 0
	s_delay_alu instid0(VALU_DEP_2)
	v_cmp_le_i64_e32 vcc_lo, s[6:7], v[8:9]
	s_or_not1_b32 s22, vcc_lo, exec_lo
	s_branch .LBB4_104
.LBB4_109:                              ;   in Loop: Header=BB4_7 Depth=1
	s_or_b32 exec_lo, exec_lo, s21
	v_and_b32_e32 v2, 0xffff, v10
	s_and_not1_b32 s6, s23, exec_lo
	s_wait_alu 0xfffe
	s_and_b32 s7, s15, exec_lo
	s_wait_alu 0xfffe
	s_or_b32 s23, s6, s7
	v_lshrrev_b32_e32 v42, 8, v2
.LBB4_110:                              ;   in Loop: Header=BB4_7 Depth=1
	s_or_b32 exec_lo, exec_lo, s14
	s_mov_b32 s21, 0
	s_mov_b32 s22, -1
.LBB4_111:                              ;   in Loop: Header=BB4_7 Depth=1
	s_or_not1_b32 s6, s23, exec_lo
.LBB4_112:                              ;   in Loop: Header=BB4_7 Depth=1
	s_wait_alu 0xfffe
	s_or_b32 exec_lo, exec_lo, s17
	s_delay_alu instid0(SALU_CYCLE_1)
	s_and_not1_b32 s7, s101, exec_lo
	s_and_b32 s12, s22, exec_lo
	s_and_not1_b32 s13, s99, exec_lo
	s_and_b32 s14, s21, exec_lo
	s_and_not1_b32 s98, s98, exec_lo
	s_wait_alu 0xfffe
	s_or_b32 s101, s7, s12
	s_or_b32 s99, s13, s14
                                        ; implicit-def: $vgpr8_vgpr9
	s_and_saveexec_b32 s17, s6
	s_cbranch_execz .LBB4_6
; %bb.113:                              ;   in Loop: Header=BB4_7 Depth=1
	v_mov_b32_e32 v8, 1
	v_dual_mov_b32 v9, 0 :: v_dual_mov_b32 v2, 1
	s_xor_b32 s12, s19, -1
	s_mov_b32 s7, 0
	s_wait_alu 0xfffe
	s_and_saveexec_b32 s6, s12
	s_cbranch_execz .LBB4_122
; %bb.114:                              ;   in Loop: Header=BB4_7 Depth=1
	s_mov_b32 s7, exec_lo
	v_cmpx_le_i64_e64 v[26:27], v[4:5]
	s_wait_alu 0xfffe
	s_xor_b32 s7, exec_lo, s7
	s_cbranch_execz .LBB4_119
; %bb.115:                              ;   in Loop: Header=BB4_7 Depth=1
	ds_load_b64 v[8:9], v3 offset:5120
	v_and_b32_e32 v20, s20, v20
	v_or_b32_e32 v41, s16, v41
	s_wait_dscnt 0x0
	v_cmp_ne_u64_e32 vcc_lo, 0, v[8:9]
	s_cbranch_vccnz .LBB4_119
; %bb.116:                              ;   in Loop: Header=BB4_7 Depth=1
	s_and_saveexec_b32 s12, s2
; %bb.117:                              ;   in Loop: Header=BB4_7 Depth=1
	ds_store_b64 v3, v[4:5] offset:5128
; %bb.118:                              ;   in Loop: Header=BB4_7 Depth=1
	s_wait_alu 0xfffe
	s_or_b32 exec_lo, exec_lo, s12
	s_wait_loadcnt_dscnt 0x0
	s_barrier_signal -1
	s_barrier_wait -1
	global_inv scope:SCOPE_SE
.LBB4_119:                              ;   in Loop: Header=BB4_7 Depth=1
	s_wait_alu 0xfffe
	s_or_saveexec_b32 s7, s7
	v_mov_b32_e32 v2, 8
	s_mov_b32 s12, 0
	s_wait_alu 0xfffe
	s_xor_b32 exec_lo, exec_lo, s7
; %bb.120:                              ;   in Loop: Header=BB4_7 Depth=1
	v_sub_co_u32 v26, vcc_lo, v26, v4
	s_wait_alu 0xfffd
	v_sub_co_ci_u32_e64 v27, null, v27, v5, vcc_lo
	v_mov_b32_e32 v2, 0
	s_mov_b32 s12, exec_lo
; %bb.121:                              ;   in Loop: Header=BB4_7 Depth=1
	s_or_b32 exec_lo, exec_lo, s7
	s_delay_alu instid0(VALU_DEP_2)
	v_dual_mov_b32 v8, v26 :: v_dual_mov_b32 v9, v27
	s_wait_alu 0xfffe
	s_and_b32 s7, s12, exec_lo
.LBB4_122:                              ;   in Loop: Header=BB4_7 Depth=1
	s_wait_alu 0xfffe
	s_or_b32 exec_lo, exec_lo, s6
	s_mov_b32 s18, -1
	s_mov_b32 s6, -1
                                        ; implicit-def: $sgpr21
                                        ; implicit-def: $sgpr22
	s_and_saveexec_b32 s12, s7
	s_wait_alu 0xfffe
	s_xor_b32 s19, exec_lo, s12
	s_cbranch_execz .LBB4_264
; %bb.123:                              ;   in Loop: Header=BB4_7 Depth=1
	v_cmp_eq_u64_e32 vcc_lo, 1, v[6:7]
	v_cmp_eq_u64_e64 s6, 1, v[8:9]
                                        ; implicit-def: $sgpr22
                                        ; implicit-def: $sgpr21
	s_and_b32 s24, vcc_lo, s6
	s_mov_b32 s6, -1
	s_wait_alu 0xfffe
	s_and_saveexec_b32 s23, s24
	s_cbranch_execz .LBB4_157
; %bb.124:                              ;   in Loop: Header=BB4_7 Depth=1
	ds_load_b64 v[4:5], v3 offset:5120
	s_wait_loadcnt_dscnt 0x0
	s_barrier_signal -1
	s_barrier_wait -1
	global_inv scope:SCOPE_SE
	v_readfirstlane_b32 s12, v4
	v_readfirstlane_b32 s13, v5
	s_and_saveexec_b32 s6, s3
; %bb.125:                              ;   in Loop: Header=BB4_7 Depth=1
	ds_store_b8 v0, v3 offset:3072
; %bb.126:                              ;   in Loop: Header=BB4_7 Depth=1
	s_wait_alu 0xfffe
	s_or_b32 exec_lo, exec_lo, s6
	s_lshl_b32 s6, 1, s94
	v_or_b32_e32 v41, s16, v41
	s_wait_alu 0xfffe
	v_and_or_b32 v20, v20, s20, s6
	v_cmp_gt_i64_e64 s6, s[12:13], 0
	s_mov_b32 s21, -1
	s_mov_b32 s22, 0
	s_mov_b32 s25, 0
	s_mov_b32 s7, -1
	s_wait_loadcnt_dscnt 0x0
	s_and_b32 vcc_lo, exec_lo, s6
	s_barrier_signal -1
	s_barrier_wait -1
	global_inv scope:SCOPE_SE
                                        ; implicit-def: $vgpr42
	s_wait_alu 0xfffe
	s_cbranch_vccnz .LBB4_142
; %bb.127:                              ;   in Loop: Header=BB4_7 Depth=1
	s_mov_b32 s6, s51
	s_mov_b32 s7, s55
	s_wait_alu 0xfffe
	s_cmp_lg_u64 s[6:7], 0
	s_cbranch_scc0 .LBB4_184
; %bb.128:                              ;   in Loop: Header=BB4_7 Depth=1
	s_add_nc_u64 s[6:7], s[44:45], 0
	s_wait_alu 0xfffe
	s_xor_b64 s[6:7], s[6:7], 0
	s_wait_alu 0xfffe
	s_cvt_f32_u32 s14, s6
	s_cvt_f32_u32 s15, s7
	s_sub_nc_u64 s[58:59], 0, s[6:7]
	s_wait_alu 0xfffe
	s_delay_alu instid0(SALU_CYCLE_1) | instskip(SKIP_1) | instid1(SALU_CYCLE_2)
	s_fmamk_f32 s14, s15, 0x4f800000, s14
	s_wait_alu 0xfffe
	v_s_rcp_f32 s14, s14
	s_delay_alu instid0(TRANS32_DEP_1) | instskip(SKIP_1) | instid1(SALU_CYCLE_2)
	s_mul_f32 s14, s14, 0x5f7ffffc
	s_wait_alu 0xfffe
	s_mul_f32 s15, s14, 0x2f800000
	s_wait_alu 0xfffe
	s_delay_alu instid0(SALU_CYCLE_2) | instskip(SKIP_1) | instid1(SALU_CYCLE_2)
	s_trunc_f32 s15, s15
	s_wait_alu 0xfffe
	s_fmamk_f32 s14, s15, 0xcf800000, s14
	s_cvt_u32_f32 s15, s15
	s_wait_alu 0xfffe
	s_delay_alu instid0(SALU_CYCLE_1) | instskip(SKIP_1) | instid1(SALU_CYCLE_2)
	s_cvt_u32_f32 s14, s14
	s_wait_alu 0xfffe
	s_mul_u64 s[60:61], s[58:59], s[14:15]
	s_wait_alu 0xfffe
	s_mul_hi_u32 s63, s14, s61
	s_mul_i32 s62, s14, s61
	s_mul_hi_u32 s50, s14, s60
	s_mul_i32 s64, s15, s60
	s_wait_alu 0xfffe
	s_add_nc_u64 s[62:63], s[50:51], s[62:63]
	s_mul_hi_u32 s25, s15, s60
	s_mul_hi_u32 s65, s15, s61
	s_wait_alu 0xfffe
	s_add_co_u32 s50, s62, s64
	s_add_co_ci_u32 s50, s63, s25
	s_mul_i32 s60, s15, s61
	s_add_co_ci_u32 s61, s65, 0
	s_wait_alu 0xfffe
	s_add_nc_u64 s[60:61], s[50:51], s[60:61]
	s_wait_alu 0xfffe
	s_add_co_u32 s14, s14, s60
	s_cselect_b32 s25, -1, 0
	s_wait_alu 0xfffe
	s_cmp_lg_u32 s25, 0
	s_add_co_ci_u32 s15, s15, s61
	s_wait_alu 0xfffe
	s_mul_u64 s[58:59], s[58:59], s[14:15]
	s_wait_alu 0xfffe
	s_mul_hi_u32 s61, s14, s59
	s_mul_i32 s60, s14, s59
	s_mul_hi_u32 s50, s14, s58
	s_mul_i32 s62, s15, s58
	s_wait_alu 0xfffe
	s_add_nc_u64 s[60:61], s[50:51], s[60:61]
	s_mul_hi_u32 s25, s15, s58
	s_mul_hi_u32 s63, s15, s59
	s_wait_alu 0xfffe
	s_add_co_u32 s50, s60, s62
	s_add_co_ci_u32 s50, s61, s25
	s_mul_i32 s58, s15, s59
	s_add_co_ci_u32 s59, s63, 0
	s_wait_alu 0xfffe
	s_add_nc_u64 s[58:59], s[50:51], s[58:59]
	s_wait_alu 0xfffe
	s_add_co_u32 s25, s14, s58
	s_cselect_b32 s14, -1, 0
	s_wait_alu 0xfffe
	s_cmp_lg_u32 s14, 0
	s_add_co_ci_u32 s62, s15, s59
	s_ashr_i32 s14, s55, 31
	s_wait_alu 0xfffe
	s_mov_b32 s15, s14
	s_wait_alu 0xfffe
	s_add_nc_u64 s[58:59], s[54:55], s[14:15]
	s_wait_alu 0xfffe
	s_xor_b64 s[58:59], s[58:59], s[14:15]
	s_wait_alu 0xfffe
	s_mul_hi_u32 s61, s58, s62
	s_mul_i32 s60, s58, s62
	s_mul_hi_u32 s50, s58, s25
	s_mul_hi_u32 s64, s59, s25
	s_mul_i32 s25, s59, s25
	s_wait_alu 0xfffe
	s_add_nc_u64 s[60:61], s[50:51], s[60:61]
	s_mul_hi_u32 s63, s59, s62
	s_wait_alu 0xfffe
	s_add_co_u32 s25, s60, s25
	s_add_co_ci_u32 s50, s61, s64
	s_mul_i32 s62, s59, s62
	s_add_co_ci_u32 s63, s63, 0
	s_wait_alu 0xfffe
	s_add_nc_u64 s[60:61], s[50:51], s[62:63]
	s_wait_alu 0xfffe
	s_mul_u64 s[60:61], s[6:7], s[60:61]
	s_wait_alu 0xfffe
	s_sub_co_u32 s25, s58, s60
	s_cselect_b32 s50, -1, 0
	s_sub_co_i32 s58, s59, s61
	s_wait_alu 0xfffe
	s_cmp_lg_u32 s50, 0
	s_sub_co_ci_u32 s58, s58, s7
	s_sub_co_u32 s60, s25, s6
	s_cselect_b32 s62, -1, 0
	s_wait_alu 0xfffe
	s_cmp_lg_u32 s62, 0
	s_sub_co_ci_u32 s63, s58, 0
	s_wait_alu 0xfffe
	s_cmp_ge_u32 s63, s7
	s_cselect_b32 s64, -1, 0
	s_cmp_ge_u32 s60, s6
	s_cselect_b32 s65, -1, 0
	s_cmp_eq_u32 s63, s7
	s_wait_alu 0xfffe
	s_cselect_b32 s64, s65, s64
	s_cmp_lg_u32 s62, 0
	s_sub_co_ci_u32 s58, s58, s7
	s_sub_co_u32 s62, s60, s6
	s_cselect_b32 s65, -1, 0
	s_wait_alu 0xfffe
	s_cmp_lg_u32 s65, 0
	s_sub_co_ci_u32 s58, s58, 0
	s_cmp_lg_u32 s64, 0
	s_cselect_b32 s60, s62, s60
	s_wait_alu 0xfffe
	s_cselect_b32 s58, s58, s63
	s_cmp_lg_u32 s50, 0
	s_sub_co_ci_u32 s50, s59, s61
	s_wait_alu 0xfffe
	s_cmp_ge_u32 s50, s7
	s_cselect_b32 s59, -1, 0
	s_cmp_ge_u32 s25, s6
	s_cselect_b32 s6, -1, 0
	s_cmp_eq_u32 s50, s7
	s_wait_alu 0xfffe
	s_cselect_b32 s6, s6, s59
	s_wait_alu 0xfffe
	s_cmp_lg_u32 s6, 0
	s_cselect_b32 s7, s58, s50
	s_cselect_b32 s6, s60, s25
	s_wait_alu 0xfffe
	s_xor_b64 s[6:7], s[6:7], s[14:15]
	s_wait_alu 0xfffe
	s_sub_nc_u64 s[6:7], s[6:7], s[14:15]
	s_cbranch_execnz .LBB4_130
.LBB4_129:                              ;   in Loop: Header=BB4_7 Depth=1
	v_cvt_f32_u32_e32 v4, s44
	s_sub_co_i32 s7, 0, s44
	s_delay_alu instid0(VALU_DEP_1) | instskip(NEXT) | instid1(TRANS32_DEP_1)
	v_rcp_iflag_f32_e32 v4, v4
	v_mul_f32_e32 v4, 0x4f7ffffe, v4
	s_delay_alu instid0(VALU_DEP_1) | instskip(NEXT) | instid1(VALU_DEP_1)
	v_cvt_u32_f32_e32 v4, v4
	v_readfirstlane_b32 s6, v4
	s_wait_alu 0xfffe
	s_mul_i32 s7, s7, s6
	s_wait_alu 0xfffe
	s_mul_hi_u32 s7, s6, s7
	s_wait_alu 0xfffe
	s_add_co_i32 s6, s6, s7
	s_wait_alu 0xfffe
	s_mul_hi_u32 s6, s54, s6
	s_wait_alu 0xfffe
	s_mul_i32 s6, s6, s44
	s_wait_alu 0xfffe
	s_sub_co_i32 s6, s54, s6
	s_wait_alu 0xfffe
	s_sub_co_i32 s7, s6, s44
	s_cmp_ge_u32 s6, s44
	s_wait_alu 0xfffe
	s_cselect_b32 s6, s7, s6
	s_wait_alu 0xfffe
	s_sub_co_i32 s7, s6, s44
	s_cmp_ge_u32 s6, s44
	s_wait_alu 0xfffe
	s_cselect_b32 s50, s7, s6
	s_wait_alu 0xfffe
	s_mov_b64 s[6:7], s[50:51]
.LBB4_130:                              ;   in Loop: Header=BB4_7 Depth=1
	s_wait_alu 0xfffe
	s_sub_nc_u64 s[14:15], s[54:55], s[6:7]
	s_mov_b32 s7, 0
	s_mov_b32 s25, 0
	s_mov_b32 s50, exec_lo
                                        ; implicit-def: $vgpr42
	s_wait_alu 0xfffe
	v_cmpx_gt_i64_e64 s[14:15], v[0:1]
	s_cbranch_execz .LBB4_141
; %bb.131:                              ;   in Loop: Header=BB4_7 Depth=1
	v_dual_mov_b32 v4, v12 :: v_dual_mov_b32 v5, v13
	v_dual_mov_b32 v11, v1 :: v_dual_mov_b32 v10, v0
                                        ; implicit-def: $sgpr58
	s_branch .LBB4_134
.LBB4_132:                              ;   in Loop: Header=BB4_134 Depth=2
	s_wait_alu 0xfffe
	s_or_b32 exec_lo, exec_lo, s6
	s_wait_loadcnt_dscnt 0x0
	s_barrier_signal -1
	s_barrier_wait -1
	global_inv scope:SCOPE_SE
	ds_load_u16 v26, v3 offset:3072
	s_mov_b32 s6, -1
	s_mov_b32 s59, -1
	s_wait_loadcnt_dscnt 0x0
	s_barrier_signal -1
	s_barrier_wait -1
	global_inv scope:SCOPE_SE
	v_and_b32_e32 v27, 0xff, v26
	s_delay_alu instid0(VALU_DEP_1)
	v_cmp_ne_u32_e32 vcc_lo, 0, v27
	s_cbranch_vccz .LBB4_137
.LBB4_133:                              ;   in Loop: Header=BB4_134 Depth=2
	s_wait_alu 0xfffe
	s_and_b32 s6, exec_lo, s6
	s_wait_alu 0xfffe
	s_or_b32 s25, s6, s25
	s_and_not1_b32 s6, s58, exec_lo
	s_and_b32 s58, s59, exec_lo
	s_wait_alu 0xfffe
	s_or_b32 s58, s6, s58
	s_and_not1_b32 exec_lo, exec_lo, s25
	s_cbranch_execz .LBB4_140
.LBB4_134:                              ;   Parent Loop BB4_7 Depth=1
                                        ; =>  This Inner Loop Header: Depth=2
	s_mov_b32 s6, exec_lo
	s_delay_alu instid0(VALU_DEP_1)
	v_cmpx_gt_i64_e64 s[36:37], v[10:11]
	s_cbranch_execz .LBB4_132
; %bb.135:                              ;   in Loop: Header=BB4_134 Depth=2
	global_load_u8 v26, v[4:5], off
	s_wait_loadcnt 0x0
	v_and_b32_e32 v27, v26, v41
	s_delay_alu instid0(VALU_DEP_1) | instskip(NEXT) | instid1(VALU_DEP_1)
	v_and_b32_e32 v27, 0xff, v27
	v_cmp_eq_u32_e32 vcc_lo, v27, v20
	s_and_b32 exec_lo, exec_lo, vcc_lo
	s_cbranch_execz .LBB4_132
; %bb.136:                              ;   in Loop: Header=BB4_134 Depth=2
	v_lshlrev_b16 v26, 8, v26
	s_delay_alu instid0(VALU_DEP_1)
	v_or_b32_e32 v26, 1, v26
	ds_store_b16 v3, v26 offset:3072
	s_branch .LBB4_132
.LBB4_137:                              ;   in Loop: Header=BB4_134 Depth=2
	v_add_co_u32 v10, vcc_lo, v10, s44
	s_wait_alu 0xfffd
	v_add_co_ci_u32_e64 v11, null, 0, v11, vcc_lo
	v_add_co_u32 v4, s6, v4, s46
	s_wait_alu 0xf1fe
	v_add_co_ci_u32_e64 v5, null, s47, v5, s6
	s_delay_alu instid0(VALU_DEP_3)
	v_cmp_le_i64_e32 vcc_lo, s[14:15], v[10:11]
	s_mov_b32 s59, 0
	s_or_not1_b32 s6, vcc_lo, exec_lo
	s_branch .LBB4_133
.LBB4_138:                              ;   in Loop: Header=BB4_7 Depth=1
                                        ; implicit-def: $sgpr6_sgpr7
	s_branch .LBB4_86
.LBB4_139:                              ;   in Loop: Header=BB4_7 Depth=1
                                        ; implicit-def: $sgpr14_sgpr15
	s_branch .LBB4_100
.LBB4_140:                              ;   in Loop: Header=BB4_7 Depth=1
	s_or_b32 exec_lo, exec_lo, s25
	v_and_b32_e32 v4, 0xffff, v26
	s_wait_alu 0xfffe
	s_and_b32 s25, s58, exec_lo
	s_delay_alu instid0(VALU_DEP_1)
	v_lshrrev_b32_e32 v42, 8, v4
.LBB4_141:                              ;   in Loop: Header=BB4_7 Depth=1
	s_or_b32 exec_lo, exec_lo, s50
.LBB4_142:                              ;   in Loop: Header=BB4_7 Depth=1
	s_delay_alu instid0(SALU_CYCLE_1)
	s_and_b32 vcc_lo, exec_lo, s7
	s_wait_alu 0xfffe
	s_cbranch_vccz .LBB4_156
; %bb.143:                              ;   in Loop: Header=BB4_7 Depth=1
	s_add_nc_u64 s[6:7], s[12:13], s[52:53]
	s_mov_b32 s14, s51
	s_wait_alu 0xfffe
	s_mov_b32 s15, s7
	s_wait_alu 0xfffe
	s_cmp_lg_u64 s[14:15], 0
	s_cbranch_scc0 .LBB4_185
; %bb.144:                              ;   in Loop: Header=BB4_7 Depth=1
	s_add_nc_u64 s[14:15], s[44:45], 0
	s_wait_alu 0xfffe
	s_xor_b64 s[14:15], s[14:15], 0
	s_wait_alu 0xfffe
	s_cvt_f32_u32 s21, s14
	s_cvt_f32_u32 s22, s15
	s_sub_nc_u64 s[60:61], 0, s[14:15]
	s_wait_alu 0xfffe
	s_delay_alu instid0(SALU_CYCLE_1) | instskip(SKIP_1) | instid1(SALU_CYCLE_2)
	s_fmamk_f32 s21, s22, 0x4f800000, s21
	s_wait_alu 0xfffe
	v_s_rcp_f32 s21, s21
	s_delay_alu instid0(TRANS32_DEP_1) | instskip(SKIP_1) | instid1(SALU_CYCLE_2)
	s_mul_f32 s21, s21, 0x5f7ffffc
	s_wait_alu 0xfffe
	s_mul_f32 s22, s21, 0x2f800000
	s_delay_alu instid0(SALU_CYCLE_3) | instskip(NEXT) | instid1(SALU_CYCLE_3)
	s_trunc_f32 s22, s22
	s_fmamk_f32 s21, s22, 0xcf800000, s21
	s_cvt_u32_f32 s59, s22
	s_wait_alu 0xfffe
	s_delay_alu instid0(SALU_CYCLE_1) | instskip(SKIP_1) | instid1(SALU_CYCLE_2)
	s_cvt_u32_f32 s58, s21
	s_wait_alu 0xfffe
	s_mul_u64 s[62:63], s[60:61], s[58:59]
	s_wait_alu 0xfffe
	s_mul_hi_u32 s65, s58, s63
	s_mul_i32 s64, s58, s63
	s_mul_hi_u32 s50, s58, s62
	s_mul_i32 s22, s59, s62
	s_wait_alu 0xfffe
	s_add_nc_u64 s[64:65], s[50:51], s[64:65]
	s_mul_hi_u32 s21, s59, s62
	s_mul_hi_u32 s66, s59, s63
	s_wait_alu 0xfffe
	s_add_co_u32 s22, s64, s22
	s_add_co_ci_u32 s50, s65, s21
	s_mul_i32 s62, s59, s63
	s_add_co_ci_u32 s63, s66, 0
	s_wait_alu 0xfffe
	s_add_nc_u64 s[62:63], s[50:51], s[62:63]
	s_wait_alu 0xfffe
	s_add_co_u32 s58, s58, s62
	s_cselect_b32 s21, -1, 0
	s_wait_alu 0xfffe
	s_cmp_lg_u32 s21, 0
	s_add_co_ci_u32 s59, s59, s63
	s_wait_alu 0xfffe
	s_mul_u64 s[60:61], s[60:61], s[58:59]
	s_wait_alu 0xfffe
	s_mul_hi_u32 s63, s58, s61
	s_mul_i32 s62, s58, s61
	s_mul_hi_u32 s50, s58, s60
	s_mul_i32 s22, s59, s60
	s_wait_alu 0xfffe
	s_add_nc_u64 s[62:63], s[50:51], s[62:63]
	s_mul_hi_u32 s21, s59, s60
	s_mul_hi_u32 s64, s59, s61
	s_wait_alu 0xfffe
	s_add_co_u32 s22, s62, s22
	s_add_co_ci_u32 s50, s63, s21
	s_mul_i32 s60, s59, s61
	s_add_co_ci_u32 s61, s64, 0
	s_wait_alu 0xfffe
	s_add_nc_u64 s[60:61], s[50:51], s[60:61]
	s_wait_alu 0xfffe
	s_add_co_u32 s21, s58, s60
	s_cselect_b32 s22, -1, 0
	s_delay_alu instid0(SALU_CYCLE_1)
	s_cmp_lg_u32 s22, 0
	s_add_co_ci_u32 s22, s59, s61
	s_ashr_i32 s58, s7, 31
	s_wait_alu 0xfffe
	s_mov_b32 s59, s58
	s_wait_alu 0xfffe
	s_add_nc_u64 s[60:61], s[6:7], s[58:59]
	s_wait_alu 0xfffe
	s_xor_b64 s[60:61], s[60:61], s[58:59]
	s_wait_alu 0xfffe
	s_mul_hi_u32 s63, s60, s22
	s_mul_i32 s62, s60, s22
	s_mul_hi_u32 s50, s60, s21
	s_mul_hi_u32 s66, s61, s21
	s_mul_i32 s21, s61, s21
	s_wait_alu 0xfffe
	s_add_nc_u64 s[62:63], s[50:51], s[62:63]
	s_mul_hi_u32 s65, s61, s22
	s_wait_alu 0xfffe
	s_add_co_u32 s21, s62, s21
	s_add_co_ci_u32 s50, s63, s66
	s_mul_i32 s64, s61, s22
	s_add_co_ci_u32 s65, s65, 0
	s_wait_alu 0xfffe
	s_add_nc_u64 s[62:63], s[50:51], s[64:65]
	s_wait_alu 0xfffe
	s_mul_u64 s[62:63], s[14:15], s[62:63]
	s_wait_alu 0xfffe
	s_sub_co_u32 s21, s60, s62
	s_cselect_b32 s22, -1, 0
	s_sub_co_i32 s50, s61, s63
	s_cmp_lg_u32 s22, 0
	s_wait_alu 0xfffe
	s_sub_co_ci_u32 s50, s50, s15
	s_sub_co_u32 s60, s21, s14
	s_cselect_b32 s62, -1, 0
	s_wait_alu 0xfffe
	s_cmp_lg_u32 s62, 0
	s_sub_co_ci_u32 s64, s50, 0
	s_wait_alu 0xfffe
	s_cmp_ge_u32 s64, s15
	s_cselect_b32 s65, -1, 0
	s_cmp_ge_u32 s60, s14
	s_cselect_b32 s66, -1, 0
	s_cmp_eq_u32 s64, s15
	s_wait_alu 0xfffe
	s_cselect_b32 s65, s66, s65
	s_cmp_lg_u32 s62, 0
	s_sub_co_ci_u32 s50, s50, s15
	s_sub_co_u32 s62, s60, s14
	s_cselect_b32 s66, -1, 0
	s_wait_alu 0xfffe
	s_cmp_lg_u32 s66, 0
	s_sub_co_ci_u32 s50, s50, 0
	s_cmp_lg_u32 s65, 0
	s_cselect_b32 s60, s62, s60
	s_wait_alu 0xfffe
	s_cselect_b32 s50, s50, s64
	s_cmp_lg_u32 s22, 0
	s_sub_co_ci_u32 s22, s61, s63
	s_delay_alu instid0(SALU_CYCLE_1)
	s_cmp_ge_u32 s22, s15
	s_cselect_b32 s61, -1, 0
	s_cmp_ge_u32 s21, s14
	s_cselect_b32 s14, -1, 0
	s_cmp_eq_u32 s22, s15
	s_wait_alu 0xfffe
	s_cselect_b32 s14, s14, s61
	s_wait_alu 0xfffe
	s_cmp_lg_u32 s14, 0
	s_cselect_b32 s15, s50, s22
	s_cselect_b32 s14, s60, s21
	s_wait_alu 0xfffe
	s_xor_b64 s[14:15], s[14:15], s[58:59]
	s_wait_alu 0xfffe
	s_sub_nc_u64 s[14:15], s[14:15], s[58:59]
	s_cbranch_execnz .LBB4_146
.LBB4_145:                              ;   in Loop: Header=BB4_7 Depth=1
	v_cvt_f32_u32_e32 v4, s44
	s_sub_co_i32 s15, 0, s44
	s_delay_alu instid0(VALU_DEP_1) | instskip(NEXT) | instid1(TRANS32_DEP_1)
	v_rcp_iflag_f32_e32 v4, v4
	v_mul_f32_e32 v4, 0x4f7ffffe, v4
	s_delay_alu instid0(VALU_DEP_1) | instskip(NEXT) | instid1(VALU_DEP_1)
	v_cvt_u32_f32_e32 v4, v4
	v_readfirstlane_b32 s14, v4
	s_wait_alu 0xfffe
	s_mul_i32 s15, s15, s14
	s_wait_alu 0xfffe
	s_mul_hi_u32 s15, s14, s15
	s_wait_alu 0xfffe
	s_add_co_i32 s14, s14, s15
	s_wait_alu 0xfffe
	s_mul_hi_u32 s14, s6, s14
	s_wait_alu 0xfffe
	s_mul_i32 s14, s14, s44
	s_wait_alu 0xfffe
	s_sub_co_i32 s14, s6, s14
	s_wait_alu 0xfffe
	s_sub_co_i32 s15, s14, s44
	s_cmp_ge_u32 s14, s44
	s_wait_alu 0xfffe
	s_cselect_b32 s14, s15, s14
	s_wait_alu 0xfffe
	s_sub_co_i32 s15, s14, s44
	s_cmp_ge_u32 s14, s44
	s_wait_alu 0xfffe
	s_cselect_b32 s50, s15, s14
	s_wait_alu 0xfffe
	s_mov_b64 s[14:15], s[50:51]
.LBB4_146:                              ;   in Loop: Header=BB4_7 Depth=1
	s_wait_alu 0xfffe
	s_sub_nc_u64 s[6:7], s[6:7], s[14:15]
	s_mov_b32 s14, exec_lo
                                        ; implicit-def: $vgpr42
	s_wait_alu 0xfffe
	v_cmpx_gt_i64_e64 s[6:7], v[0:1]
	s_cbranch_execz .LBB4_155
; %bb.147:                              ;   in Loop: Header=BB4_7 Depth=1
	v_dual_mov_b32 v10, v0 :: v_dual_mov_b32 v5, v1
	v_mov_b32_e32 v4, v0
	s_mov_b32 s15, 0
                                        ; implicit-def: $sgpr21
	s_branch .LBB4_150
.LBB4_148:                              ;   in Loop: Header=BB4_150 Depth=2
	s_or_b32 exec_lo, exec_lo, s22
	s_wait_loadcnt_dscnt 0x0
	s_barrier_signal -1
	s_barrier_wait -1
	global_inv scope:SCOPE_SE
	ds_load_u16 v11, v3 offset:3072
	s_mov_b32 s22, -1
	s_mov_b32 s50, -1
	s_wait_loadcnt_dscnt 0x0
	s_barrier_signal -1
	s_barrier_wait -1
	global_inv scope:SCOPE_SE
	v_and_b32_e32 v26, 0xff, v11
	s_delay_alu instid0(VALU_DEP_1)
	v_cmp_eq_u32_e32 vcc_lo, 0, v26
	s_cbranch_vccnz .LBB4_153
.LBB4_149:                              ;   in Loop: Header=BB4_150 Depth=2
	s_and_b32 s22, exec_lo, s22
	s_wait_alu 0xfffe
	s_or_b32 s15, s22, s15
	s_and_not1_b32 s21, s21, exec_lo
	s_and_b32 s22, s50, exec_lo
	s_wait_alu 0xfffe
	s_or_b32 s21, s21, s22
	s_and_not1_b32 exec_lo, exec_lo, s15
	s_cbranch_execz .LBB4_154
.LBB4_150:                              ;   Parent Loop BB4_7 Depth=1
                                        ; =>  This Inner Loop Header: Depth=2
	s_mov_b32 s22, exec_lo
	s_delay_alu instid0(VALU_DEP_1)
	v_cmpx_gt_u64_e64 s[12:13], v[4:5]
	s_cbranch_execz .LBB4_148
; %bb.151:                              ;   in Loop: Header=BB4_150 Depth=2
	ds_load_u8 v11, v10
	s_wait_dscnt 0x0
	v_and_b32_e32 v26, v11, v41
	s_delay_alu instid0(VALU_DEP_1) | instskip(NEXT) | instid1(VALU_DEP_1)
	v_and_b32_e32 v26, 0xff, v26
	v_cmp_eq_u32_e32 vcc_lo, v26, v20
	s_and_b32 exec_lo, exec_lo, vcc_lo
	s_cbranch_execz .LBB4_148
; %bb.152:                              ;   in Loop: Header=BB4_150 Depth=2
	v_lshlrev_b16 v11, 8, v11
	s_delay_alu instid0(VALU_DEP_1)
	v_or_b32_e32 v11, 1, v11
	ds_store_b16 v3, v11 offset:3072
	s_branch .LBB4_148
.LBB4_153:                              ;   in Loop: Header=BB4_150 Depth=2
	v_add_co_u32 v4, vcc_lo, v4, s44
	s_wait_alu 0xfffd
	v_add_co_ci_u32_e64 v5, null, 0, v5, vcc_lo
	v_add_nc_u32_e32 v10, s44, v10
	s_mov_b32 s50, 0
	s_delay_alu instid0(VALU_DEP_2)
	v_cmp_le_i64_e32 vcc_lo, s[6:7], v[4:5]
	s_or_not1_b32 s22, vcc_lo, exec_lo
	s_branch .LBB4_149
.LBB4_154:                              ;   in Loop: Header=BB4_7 Depth=1
	s_or_b32 exec_lo, exec_lo, s15
	v_and_b32_e32 v4, 0xffff, v11
	s_and_not1_b32 s6, s25, exec_lo
	s_wait_alu 0xfffe
	s_and_b32 s7, s21, exec_lo
	s_wait_alu 0xfffe
	s_or_b32 s25, s6, s7
	v_lshrrev_b32_e32 v42, 8, v4
.LBB4_155:                              ;   in Loop: Header=BB4_7 Depth=1
	s_or_b32 exec_lo, exec_lo, s14
	s_mov_b32 s21, 0
	s_mov_b32 s22, -1
.LBB4_156:                              ;   in Loop: Header=BB4_7 Depth=1
	s_wait_alu 0xfffe
	s_or_not1_b32 s6, s25, exec_lo
.LBB4_157:                              ;   in Loop: Header=BB4_7 Depth=1
	s_or_b32 exec_lo, exec_lo, s23
	s_mov_b32 s7, 0
	s_wait_alu 0xfffe
	s_and_saveexec_b32 s23, s6
	s_cbranch_execz .LBB4_263
; %bb.158:                              ;   in Loop: Header=BB4_7 Depth=1
	v_mov_b32_e32 v4, 1
	v_dual_mov_b32 v5, 0 :: v_dual_mov_b32 v2, 1
	s_xor_b32 s12, s24, -1
	s_wait_alu 0xfffe
	s_and_saveexec_b32 s6, s12
	s_cbranch_execz .LBB4_168
; %bb.159:                              ;   in Loop: Header=BB4_7 Depth=1
	s_mov_b32 s7, exec_lo
	v_cmpx_le_i64_e64 v[8:9], v[6:7]
	s_wait_alu 0xfffe
	s_xor_b32 s7, exec_lo, s7
	s_cbranch_execz .LBB4_165
; %bb.160:                              ;   in Loop: Header=BB4_7 Depth=1
	ds_load_b64 v[4:5], v3 offset:5120
	s_lshl_b32 s12, 1, s94
	v_or_b32_e32 v41, s16, v41
	s_wait_alu 0xfffe
	v_and_or_b32 v20, v20, s20, s12
	s_wait_dscnt 0x0
	v_cmp_ne_u64_e32 vcc_lo, 0, v[4:5]
	s_cbranch_vccnz .LBB4_164
; %bb.161:                              ;   in Loop: Header=BB4_7 Depth=1
	s_and_saveexec_b32 s12, s2
; %bb.162:                              ;   in Loop: Header=BB4_7 Depth=1
	ds_store_b64 v3, v[6:7] offset:5128
; %bb.163:                              ;   in Loop: Header=BB4_7 Depth=1
	s_wait_alu 0xfffe
	s_or_b32 exec_lo, exec_lo, s12
	s_wait_loadcnt_dscnt 0x0
	s_barrier_signal -1
	s_barrier_wait -1
	global_inv scope:SCOPE_SE
.LBB4_164:                              ;   in Loop: Header=BB4_7 Depth=1
                                        ; implicit-def: $vgpr4_vgpr5_vgpr6_vgpr7
.LBB4_165:                              ;   in Loop: Header=BB4_7 Depth=1
	s_wait_alu 0xfffe
	s_or_saveexec_b32 s7, s7
	v_mov_b32_e32 v2, 8
	s_mov_b32 s12, 0
	s_wait_alu 0xfffe
	s_xor_b32 exec_lo, exec_lo, s7
; %bb.166:                              ;   in Loop: Header=BB4_7 Depth=1
	v_sub_co_u32 v8, vcc_lo, v8, v6
	s_wait_alu 0xfffd
	v_sub_co_ci_u32_e64 v9, null, v9, v7, vcc_lo
	v_mov_b32_e32 v2, 0
	s_mov_b32 s12, exec_lo
; %bb.167:                              ;   in Loop: Header=BB4_7 Depth=1
	s_or_b32 exec_lo, exec_lo, s7
	s_delay_alu instid0(VALU_DEP_2)
	v_dual_mov_b32 v4, v8 :: v_dual_mov_b32 v5, v9
	s_wait_alu 0xfffe
	s_and_b32 s7, s12, exec_lo
.LBB4_168:                              ;   in Loop: Header=BB4_7 Depth=1
	s_wait_alu 0xfffe
	s_or_b32 exec_lo, exec_lo, s6
	s_mov_b32 s6, -1
                                        ; implicit-def: $sgpr25
                                        ; implicit-def: $sgpr58
	s_and_saveexec_b32 s24, s7
	s_cbranch_execz .LBB4_262
; %bb.169:                              ;   in Loop: Header=BB4_7 Depth=1
	v_cmp_eq_u64_e32 vcc_lo, 1, v[4:5]
	s_cmp_eq_u64 s[10:11], 1
                                        ; implicit-def: $sgpr58
                                        ; implicit-def: $sgpr25
	s_cselect_b32 s6, -1, 0
	s_wait_alu 0xfffe
	s_and_b32 s59, s6, vcc_lo
	s_mov_b32 s6, -1
	s_wait_alu 0xfffe
	s_and_saveexec_b32 s60, s59
	s_cbranch_execz .LBB4_203
; %bb.170:                              ;   in Loop: Header=BB4_7 Depth=1
	ds_load_b64 v[6:7], v3 offset:5120
	s_wait_loadcnt_dscnt 0x0
	s_barrier_signal -1
	s_barrier_wait -1
	global_inv scope:SCOPE_SE
	v_readfirstlane_b32 s12, v6
	v_readfirstlane_b32 s13, v7
	s_and_saveexec_b32 s6, s3
; %bb.171:                              ;   in Loop: Header=BB4_7 Depth=1
	ds_store_b8 v0, v3 offset:3072
; %bb.172:                              ;   in Loop: Header=BB4_7 Depth=1
	s_wait_alu 0xfffe
	s_or_b32 exec_lo, exec_lo, s6
	s_lshl_b32 s6, 2, s94
	v_or_b32_e32 v41, s16, v41
	s_wait_alu 0xfffe
	v_and_or_b32 v20, v20, s20, s6
	v_cmp_gt_i64_e64 s6, s[12:13], 0
	s_mov_b32 s25, -1
	s_mov_b32 s58, 0
	s_mov_b32 s61, 0
	s_mov_b32 s7, -1
	s_wait_loadcnt_dscnt 0x0
	s_and_b32 vcc_lo, exec_lo, s6
	s_barrier_signal -1
	s_barrier_wait -1
	global_inv scope:SCOPE_SE
                                        ; implicit-def: $vgpr42
	s_wait_alu 0xfffe
	s_cbranch_vccnz .LBB4_188
; %bb.173:                              ;   in Loop: Header=BB4_7 Depth=1
	s_mov_b32 s6, s51
	s_mov_b32 s7, s55
	s_wait_alu 0xfffe
	s_cmp_lg_u64 s[6:7], 0
	s_cbranch_scc0 .LBB4_229
; %bb.174:                              ;   in Loop: Header=BB4_7 Depth=1
	s_add_nc_u64 s[6:7], s[44:45], 0
	s_wait_alu 0xfffe
	s_xor_b64 s[6:7], s[6:7], 0
	s_wait_alu 0xfffe
	s_cvt_f32_u32 s14, s6
	s_cvt_f32_u32 s15, s7
	s_sub_nc_u64 s[62:63], 0, s[6:7]
	s_wait_alu 0xfffe
	s_delay_alu instid0(SALU_CYCLE_1) | instskip(SKIP_1) | instid1(SALU_CYCLE_2)
	s_fmamk_f32 s14, s15, 0x4f800000, s14
	s_wait_alu 0xfffe
	v_s_rcp_f32 s14, s14
	s_delay_alu instid0(TRANS32_DEP_1) | instskip(SKIP_1) | instid1(SALU_CYCLE_2)
	s_mul_f32 s14, s14, 0x5f7ffffc
	s_wait_alu 0xfffe
	s_mul_f32 s15, s14, 0x2f800000
	s_wait_alu 0xfffe
	s_delay_alu instid0(SALU_CYCLE_2) | instskip(SKIP_1) | instid1(SALU_CYCLE_2)
	s_trunc_f32 s15, s15
	s_wait_alu 0xfffe
	s_fmamk_f32 s14, s15, 0xcf800000, s14
	s_cvt_u32_f32 s15, s15
	s_wait_alu 0xfffe
	s_delay_alu instid0(SALU_CYCLE_1) | instskip(SKIP_1) | instid1(SALU_CYCLE_2)
	s_cvt_u32_f32 s14, s14
	s_wait_alu 0xfffe
	s_mul_u64 s[64:65], s[62:63], s[14:15]
	s_wait_alu 0xfffe
	s_mul_hi_u32 s67, s14, s65
	s_mul_i32 s66, s14, s65
	s_mul_hi_u32 s50, s14, s64
	s_mul_i32 s68, s15, s64
	s_wait_alu 0xfffe
	s_add_nc_u64 s[66:67], s[50:51], s[66:67]
	s_mul_hi_u32 s61, s15, s64
	s_mul_hi_u32 s69, s15, s65
	s_wait_alu 0xfffe
	s_add_co_u32 s50, s66, s68
	s_add_co_ci_u32 s50, s67, s61
	s_mul_i32 s64, s15, s65
	s_add_co_ci_u32 s65, s69, 0
	s_wait_alu 0xfffe
	s_add_nc_u64 s[64:65], s[50:51], s[64:65]
	s_wait_alu 0xfffe
	s_add_co_u32 s14, s14, s64
	s_cselect_b32 s50, -1, 0
	s_wait_alu 0xfffe
	s_cmp_lg_u32 s50, 0
	s_add_co_ci_u32 s15, s15, s65
	s_wait_alu 0xfffe
	s_mul_u64 s[62:63], s[62:63], s[14:15]
	s_wait_alu 0xfffe
	s_mul_hi_u32 s65, s14, s63
	s_mul_i32 s64, s14, s63
	s_mul_hi_u32 s50, s14, s62
	s_mul_i32 s66, s15, s62
	s_wait_alu 0xfffe
	s_add_nc_u64 s[64:65], s[50:51], s[64:65]
	s_mul_hi_u32 s61, s15, s62
	s_mul_hi_u32 s67, s15, s63
	s_wait_alu 0xfffe
	s_add_co_u32 s50, s64, s66
	s_add_co_ci_u32 s50, s65, s61
	s_mul_i32 s62, s15, s63
	s_add_co_ci_u32 s63, s67, 0
	s_wait_alu 0xfffe
	s_add_nc_u64 s[62:63], s[50:51], s[62:63]
	s_wait_alu 0xfffe
	s_add_co_u32 s61, s14, s62
	s_cselect_b32 s14, -1, 0
	s_wait_alu 0xfffe
	s_cmp_lg_u32 s14, 0
	s_add_co_ci_u32 s66, s15, s63
	s_ashr_i32 s14, s55, 31
	s_wait_alu 0xfffe
	s_mov_b32 s15, s14
	s_wait_alu 0xfffe
	s_add_nc_u64 s[62:63], s[54:55], s[14:15]
	s_wait_alu 0xfffe
	s_xor_b64 s[62:63], s[62:63], s[14:15]
	s_wait_alu 0xfffe
	s_mul_hi_u32 s65, s62, s66
	s_mul_i32 s64, s62, s66
	s_mul_hi_u32 s50, s62, s61
	s_mul_hi_u32 s68, s63, s61
	s_mul_i32 s61, s63, s61
	s_wait_alu 0xfffe
	s_add_nc_u64 s[64:65], s[50:51], s[64:65]
	s_mul_hi_u32 s67, s63, s66
	s_wait_alu 0xfffe
	s_add_co_u32 s50, s64, s61
	s_add_co_ci_u32 s50, s65, s68
	s_mul_i32 s66, s63, s66
	s_add_co_ci_u32 s67, s67, 0
	s_wait_alu 0xfffe
	s_add_nc_u64 s[64:65], s[50:51], s[66:67]
	s_wait_alu 0xfffe
	s_mul_u64 s[64:65], s[6:7], s[64:65]
	s_wait_alu 0xfffe
	s_sub_co_u32 s50, s62, s64
	s_cselect_b32 s61, -1, 0
	s_sub_co_i32 s62, s63, s65
	s_wait_alu 0xfffe
	s_cmp_lg_u32 s61, 0
	s_sub_co_ci_u32 s62, s62, s7
	s_sub_co_u32 s64, s50, s6
	s_cselect_b32 s66, -1, 0
	s_wait_alu 0xfffe
	s_cmp_lg_u32 s66, 0
	s_sub_co_ci_u32 s67, s62, 0
	s_wait_alu 0xfffe
	s_cmp_ge_u32 s67, s7
	s_cselect_b32 s68, -1, 0
	s_cmp_ge_u32 s64, s6
	s_cselect_b32 s69, -1, 0
	s_cmp_eq_u32 s67, s7
	s_wait_alu 0xfffe
	s_cselect_b32 s68, s69, s68
	s_cmp_lg_u32 s66, 0
	s_sub_co_ci_u32 s62, s62, s7
	s_sub_co_u32 s66, s64, s6
	s_cselect_b32 s69, -1, 0
	s_wait_alu 0xfffe
	s_cmp_lg_u32 s69, 0
	s_sub_co_ci_u32 s62, s62, 0
	s_cmp_lg_u32 s68, 0
	s_cselect_b32 s64, s66, s64
	s_wait_alu 0xfffe
	s_cselect_b32 s62, s62, s67
	s_cmp_lg_u32 s61, 0
	s_sub_co_ci_u32 s61, s63, s65
	s_wait_alu 0xfffe
	s_cmp_ge_u32 s61, s7
	s_cselect_b32 s63, -1, 0
	s_cmp_ge_u32 s50, s6
	s_cselect_b32 s6, -1, 0
	s_cmp_eq_u32 s61, s7
	s_wait_alu 0xfffe
	s_cselect_b32 s6, s6, s63
	s_wait_alu 0xfffe
	s_cmp_lg_u32 s6, 0
	s_cselect_b32 s7, s62, s61
	s_cselect_b32 s6, s64, s50
	s_wait_alu 0xfffe
	s_xor_b64 s[6:7], s[6:7], s[14:15]
	s_wait_alu 0xfffe
	s_sub_nc_u64 s[6:7], s[6:7], s[14:15]
	s_cbranch_execnz .LBB4_176
.LBB4_175:                              ;   in Loop: Header=BB4_7 Depth=1
	v_cvt_f32_u32_e32 v6, s44
	s_sub_co_i32 s7, 0, s44
	s_delay_alu instid0(VALU_DEP_1) | instskip(NEXT) | instid1(TRANS32_DEP_1)
	v_rcp_iflag_f32_e32 v6, v6
	v_mul_f32_e32 v6, 0x4f7ffffe, v6
	s_delay_alu instid0(VALU_DEP_1) | instskip(NEXT) | instid1(VALU_DEP_1)
	v_cvt_u32_f32_e32 v6, v6
	v_readfirstlane_b32 s6, v6
	s_wait_alu 0xfffe
	s_mul_i32 s7, s7, s6
	s_wait_alu 0xfffe
	s_mul_hi_u32 s7, s6, s7
	s_wait_alu 0xfffe
	s_add_co_i32 s6, s6, s7
	s_wait_alu 0xfffe
	s_mul_hi_u32 s6, s54, s6
	s_wait_alu 0xfffe
	s_mul_i32 s6, s6, s44
	s_wait_alu 0xfffe
	s_sub_co_i32 s6, s54, s6
	s_wait_alu 0xfffe
	s_sub_co_i32 s7, s6, s44
	s_cmp_ge_u32 s6, s44
	s_wait_alu 0xfffe
	s_cselect_b32 s6, s7, s6
	s_wait_alu 0xfffe
	s_sub_co_i32 s7, s6, s44
	s_cmp_ge_u32 s6, s44
	s_wait_alu 0xfffe
	s_cselect_b32 s50, s7, s6
	s_wait_alu 0xfffe
	s_mov_b64 s[6:7], s[50:51]
.LBB4_176:                              ;   in Loop: Header=BB4_7 Depth=1
	s_wait_alu 0xfffe
	s_sub_nc_u64 s[14:15], s[54:55], s[6:7]
	s_mov_b32 s7, 0
	s_mov_b32 s61, 0
	s_mov_b32 s50, exec_lo
                                        ; implicit-def: $vgpr42
	s_wait_alu 0xfffe
	v_cmpx_gt_i64_e64 s[14:15], v[0:1]
	s_cbranch_execz .LBB4_187
; %bb.177:                              ;   in Loop: Header=BB4_7 Depth=1
	v_dual_mov_b32 v6, v12 :: v_dual_mov_b32 v7, v13
	v_dual_mov_b32 v9, v1 :: v_dual_mov_b32 v8, v0
                                        ; implicit-def: $sgpr62
	s_branch .LBB4_180
.LBB4_178:                              ;   in Loop: Header=BB4_180 Depth=2
	s_wait_alu 0xfffe
	s_or_b32 exec_lo, exec_lo, s6
	s_wait_loadcnt_dscnt 0x0
	s_barrier_signal -1
	s_barrier_wait -1
	global_inv scope:SCOPE_SE
	ds_load_u16 v10, v3 offset:3072
	s_mov_b32 s6, -1
	s_mov_b32 s63, -1
	s_wait_loadcnt_dscnt 0x0
	s_barrier_signal -1
	s_barrier_wait -1
	global_inv scope:SCOPE_SE
	v_and_b32_e32 v11, 0xff, v10
	s_delay_alu instid0(VALU_DEP_1)
	v_cmp_ne_u32_e32 vcc_lo, 0, v11
	s_cbranch_vccz .LBB4_183
.LBB4_179:                              ;   in Loop: Header=BB4_180 Depth=2
	s_wait_alu 0xfffe
	s_and_b32 s6, exec_lo, s6
	s_wait_alu 0xfffe
	s_or_b32 s61, s6, s61
	s_and_not1_b32 s6, s62, exec_lo
	s_and_b32 s62, s63, exec_lo
	s_wait_alu 0xfffe
	s_or_b32 s62, s6, s62
	s_and_not1_b32 exec_lo, exec_lo, s61
	s_cbranch_execz .LBB4_186
.LBB4_180:                              ;   Parent Loop BB4_7 Depth=1
                                        ; =>  This Inner Loop Header: Depth=2
	s_mov_b32 s6, exec_lo
	s_delay_alu instid0(VALU_DEP_1)
	v_cmpx_gt_i64_e64 s[36:37], v[8:9]
	s_cbranch_execz .LBB4_178
; %bb.181:                              ;   in Loop: Header=BB4_180 Depth=2
	global_load_u8 v10, v[6:7], off
	s_wait_loadcnt 0x0
	v_and_b32_e32 v11, v10, v41
	s_delay_alu instid0(VALU_DEP_1) | instskip(NEXT) | instid1(VALU_DEP_1)
	v_and_b32_e32 v11, 0xff, v11
	v_cmp_eq_u32_e32 vcc_lo, v11, v20
	s_and_b32 exec_lo, exec_lo, vcc_lo
	s_cbranch_execz .LBB4_178
; %bb.182:                              ;   in Loop: Header=BB4_180 Depth=2
	v_lshlrev_b16 v10, 8, v10
	s_delay_alu instid0(VALU_DEP_1)
	v_or_b32_e32 v10, 1, v10
	ds_store_b16 v3, v10 offset:3072
	s_branch .LBB4_178
.LBB4_183:                              ;   in Loop: Header=BB4_180 Depth=2
	v_add_co_u32 v8, vcc_lo, v8, s44
	s_wait_alu 0xfffd
	v_add_co_ci_u32_e64 v9, null, 0, v9, vcc_lo
	v_add_co_u32 v6, s6, v6, s46
	s_wait_alu 0xf1fe
	v_add_co_ci_u32_e64 v7, null, s47, v7, s6
	s_delay_alu instid0(VALU_DEP_3)
	v_cmp_le_i64_e32 vcc_lo, s[14:15], v[8:9]
	s_mov_b32 s63, 0
	s_or_not1_b32 s6, vcc_lo, exec_lo
	s_branch .LBB4_179
.LBB4_184:                              ;   in Loop: Header=BB4_7 Depth=1
                                        ; implicit-def: $sgpr6_sgpr7
	s_branch .LBB4_129
.LBB4_185:                              ;   in Loop: Header=BB4_7 Depth=1
                                        ; implicit-def: $sgpr14_sgpr15
	s_branch .LBB4_145
.LBB4_186:                              ;   in Loop: Header=BB4_7 Depth=1
	s_or_b32 exec_lo, exec_lo, s61
	v_and_b32_e32 v6, 0xffff, v10
	s_wait_alu 0xfffe
	s_and_b32 s61, s62, exec_lo
	s_delay_alu instid0(VALU_DEP_1)
	v_lshrrev_b32_e32 v42, 8, v6
.LBB4_187:                              ;   in Loop: Header=BB4_7 Depth=1
	s_or_b32 exec_lo, exec_lo, s50
.LBB4_188:                              ;   in Loop: Header=BB4_7 Depth=1
	s_delay_alu instid0(SALU_CYCLE_1)
	s_and_b32 vcc_lo, exec_lo, s7
	s_wait_alu 0xfffe
	s_cbranch_vccz .LBB4_202
; %bb.189:                              ;   in Loop: Header=BB4_7 Depth=1
	s_add_nc_u64 s[6:7], s[12:13], s[52:53]
	s_mov_b32 s14, s51
	s_wait_alu 0xfffe
	s_mov_b32 s15, s7
	s_wait_alu 0xfffe
	s_cmp_lg_u64 s[14:15], 0
	s_cbranch_scc0 .LBB4_230
; %bb.190:                              ;   in Loop: Header=BB4_7 Depth=1
	s_add_nc_u64 s[14:15], s[44:45], 0
	s_wait_alu 0xfffe
	s_xor_b64 s[14:15], s[14:15], 0
	s_wait_alu 0xfffe
	s_cvt_f32_u32 s25, s14
	s_cvt_f32_u32 s50, s15
	s_sub_nc_u64 s[64:65], 0, s[14:15]
	s_wait_alu 0xfffe
	s_delay_alu instid0(SALU_CYCLE_1) | instskip(SKIP_1) | instid1(SALU_CYCLE_2)
	s_fmamk_f32 s25, s50, 0x4f800000, s25
	s_wait_alu 0xfffe
	v_s_rcp_f32 s25, s25
	s_delay_alu instid0(TRANS32_DEP_1) | instskip(SKIP_1) | instid1(SALU_CYCLE_2)
	s_mul_f32 s25, s25, 0x5f7ffffc
	s_wait_alu 0xfffe
	s_mul_f32 s50, s25, 0x2f800000
	s_wait_alu 0xfffe
	s_delay_alu instid0(SALU_CYCLE_2) | instskip(SKIP_1) | instid1(SALU_CYCLE_2)
	s_trunc_f32 s50, s50
	s_wait_alu 0xfffe
	s_fmamk_f32 s25, s50, 0xcf800000, s25
	s_cvt_u32_f32 s63, s50
	s_wait_alu 0xfffe
	s_delay_alu instid0(SALU_CYCLE_1) | instskip(SKIP_1) | instid1(SALU_CYCLE_2)
	s_cvt_u32_f32 s62, s25
	s_wait_alu 0xfffe
	s_mul_u64 s[66:67], s[64:65], s[62:63]
	s_wait_alu 0xfffe
	s_mul_hi_u32 s69, s62, s67
	s_mul_i32 s68, s62, s67
	s_mul_hi_u32 s50, s62, s66
	s_mul_i32 s58, s63, s66
	s_wait_alu 0xfffe
	s_add_nc_u64 s[68:69], s[50:51], s[68:69]
	s_mul_hi_u32 s25, s63, s66
	s_mul_hi_u32 s70, s63, s67
	s_wait_alu 0xfffe
	s_add_co_u32 s50, s68, s58
	s_add_co_ci_u32 s50, s69, s25
	s_mul_i32 s66, s63, s67
	s_add_co_ci_u32 s67, s70, 0
	s_wait_alu 0xfffe
	s_add_nc_u64 s[66:67], s[50:51], s[66:67]
	s_wait_alu 0xfffe
	s_add_co_u32 s62, s62, s66
	s_cselect_b32 s25, -1, 0
	s_wait_alu 0xfffe
	s_cmp_lg_u32 s25, 0
	s_add_co_ci_u32 s63, s63, s67
	s_wait_alu 0xfffe
	s_mul_u64 s[64:65], s[64:65], s[62:63]
	s_wait_alu 0xfffe
	s_mul_hi_u32 s67, s62, s65
	s_mul_i32 s66, s62, s65
	s_mul_hi_u32 s50, s62, s64
	s_mul_i32 s58, s63, s64
	s_wait_alu 0xfffe
	s_add_nc_u64 s[66:67], s[50:51], s[66:67]
	s_mul_hi_u32 s25, s63, s64
	s_mul_hi_u32 s68, s63, s65
	s_wait_alu 0xfffe
	s_add_co_u32 s50, s66, s58
	s_add_co_ci_u32 s50, s67, s25
	s_mul_i32 s64, s63, s65
	s_add_co_ci_u32 s65, s68, 0
	s_wait_alu 0xfffe
	s_add_nc_u64 s[64:65], s[50:51], s[64:65]
	s_wait_alu 0xfffe
	s_add_co_u32 s25, s62, s64
	s_cselect_b32 s50, -1, 0
	s_wait_alu 0xfffe
	s_cmp_lg_u32 s50, 0
	s_add_co_ci_u32 s58, s63, s65
	s_ashr_i32 s62, s7, 31
	s_wait_alu 0xfffe
	s_mov_b32 s63, s62
	s_wait_alu 0xfffe
	s_add_nc_u64 s[64:65], s[6:7], s[62:63]
	s_wait_alu 0xfffe
	s_xor_b64 s[64:65], s[64:65], s[62:63]
	s_wait_alu 0xfffe
	s_mul_hi_u32 s67, s64, s58
	s_mul_i32 s66, s64, s58
	s_mul_hi_u32 s50, s64, s25
	s_mul_hi_u32 s70, s65, s25
	s_mul_i32 s25, s65, s25
	s_wait_alu 0xfffe
	s_add_nc_u64 s[66:67], s[50:51], s[66:67]
	s_mul_hi_u32 s69, s65, s58
	s_wait_alu 0xfffe
	s_add_co_u32 s25, s66, s25
	s_add_co_ci_u32 s50, s67, s70
	s_mul_i32 s68, s65, s58
	s_add_co_ci_u32 s69, s69, 0
	s_wait_alu 0xfffe
	s_add_nc_u64 s[66:67], s[50:51], s[68:69]
	s_wait_alu 0xfffe
	s_mul_u64 s[66:67], s[14:15], s[66:67]
	s_wait_alu 0xfffe
	s_sub_co_u32 s25, s64, s66
	s_cselect_b32 s50, -1, 0
	s_sub_co_i32 s58, s65, s67
	s_wait_alu 0xfffe
	s_cmp_lg_u32 s50, 0
	s_sub_co_ci_u32 s58, s58, s15
	s_sub_co_u32 s64, s25, s14
	s_cselect_b32 s66, -1, 0
	s_wait_alu 0xfffe
	s_cmp_lg_u32 s66, 0
	s_sub_co_ci_u32 s68, s58, 0
	s_wait_alu 0xfffe
	s_cmp_ge_u32 s68, s15
	s_cselect_b32 s69, -1, 0
	s_cmp_ge_u32 s64, s14
	s_cselect_b32 s70, -1, 0
	s_cmp_eq_u32 s68, s15
	s_wait_alu 0xfffe
	s_cselect_b32 s69, s70, s69
	s_cmp_lg_u32 s66, 0
	s_sub_co_ci_u32 s58, s58, s15
	s_sub_co_u32 s66, s64, s14
	s_cselect_b32 s70, -1, 0
	s_wait_alu 0xfffe
	s_cmp_lg_u32 s70, 0
	s_sub_co_ci_u32 s58, s58, 0
	s_cmp_lg_u32 s69, 0
	s_cselect_b32 s64, s66, s64
	s_wait_alu 0xfffe
	s_cselect_b32 s58, s58, s68
	s_cmp_lg_u32 s50, 0
	s_sub_co_ci_u32 s50, s65, s67
	s_wait_alu 0xfffe
	s_cmp_ge_u32 s50, s15
	s_cselect_b32 s65, -1, 0
	s_cmp_ge_u32 s25, s14
	s_cselect_b32 s14, -1, 0
	s_cmp_eq_u32 s50, s15
	s_wait_alu 0xfffe
	s_cselect_b32 s14, s14, s65
	s_wait_alu 0xfffe
	s_cmp_lg_u32 s14, 0
	s_cselect_b32 s15, s58, s50
	s_cselect_b32 s14, s64, s25
	s_wait_alu 0xfffe
	s_xor_b64 s[14:15], s[14:15], s[62:63]
	s_wait_alu 0xfffe
	s_sub_nc_u64 s[14:15], s[14:15], s[62:63]
	s_cbranch_execnz .LBB4_192
.LBB4_191:                              ;   in Loop: Header=BB4_7 Depth=1
	v_cvt_f32_u32_e32 v6, s44
	s_sub_co_i32 s15, 0, s44
	s_delay_alu instid0(VALU_DEP_1) | instskip(NEXT) | instid1(TRANS32_DEP_1)
	v_rcp_iflag_f32_e32 v6, v6
	v_mul_f32_e32 v6, 0x4f7ffffe, v6
	s_delay_alu instid0(VALU_DEP_1) | instskip(NEXT) | instid1(VALU_DEP_1)
	v_cvt_u32_f32_e32 v6, v6
	v_readfirstlane_b32 s14, v6
	s_wait_alu 0xfffe
	s_mul_i32 s15, s15, s14
	s_wait_alu 0xfffe
	s_mul_hi_u32 s15, s14, s15
	s_wait_alu 0xfffe
	s_add_co_i32 s14, s14, s15
	s_wait_alu 0xfffe
	s_mul_hi_u32 s14, s6, s14
	s_wait_alu 0xfffe
	s_mul_i32 s14, s14, s44
	s_wait_alu 0xfffe
	s_sub_co_i32 s14, s6, s14
	s_wait_alu 0xfffe
	s_sub_co_i32 s15, s14, s44
	s_cmp_ge_u32 s14, s44
	s_wait_alu 0xfffe
	s_cselect_b32 s14, s15, s14
	s_wait_alu 0xfffe
	s_sub_co_i32 s15, s14, s44
	s_cmp_ge_u32 s14, s44
	s_wait_alu 0xfffe
	s_cselect_b32 s50, s15, s14
	s_wait_alu 0xfffe
	s_mov_b64 s[14:15], s[50:51]
.LBB4_192:                              ;   in Loop: Header=BB4_7 Depth=1
	s_wait_alu 0xfffe
	s_sub_nc_u64 s[6:7], s[6:7], s[14:15]
	s_mov_b32 s14, exec_lo
                                        ; implicit-def: $vgpr42
	s_wait_alu 0xfffe
	v_cmpx_gt_i64_e64 s[6:7], v[0:1]
	s_cbranch_execz .LBB4_201
; %bb.193:                              ;   in Loop: Header=BB4_7 Depth=1
	v_dual_mov_b32 v8, v0 :: v_dual_mov_b32 v7, v1
	v_mov_b32_e32 v6, v0
	s_mov_b32 s15, 0
                                        ; implicit-def: $sgpr25
	s_branch .LBB4_196
.LBB4_194:                              ;   in Loop: Header=BB4_196 Depth=2
	s_wait_alu 0xfffe
	s_or_b32 exec_lo, exec_lo, s50
	s_wait_loadcnt_dscnt 0x0
	s_barrier_signal -1
	s_barrier_wait -1
	global_inv scope:SCOPE_SE
	ds_load_u16 v9, v3 offset:3072
	s_mov_b32 s50, -1
	s_mov_b32 s58, -1
	s_wait_loadcnt_dscnt 0x0
	s_barrier_signal -1
	s_barrier_wait -1
	global_inv scope:SCOPE_SE
	v_and_b32_e32 v10, 0xff, v9
	s_delay_alu instid0(VALU_DEP_1)
	v_cmp_eq_u32_e32 vcc_lo, 0, v10
	s_cbranch_vccnz .LBB4_199
.LBB4_195:                              ;   in Loop: Header=BB4_196 Depth=2
	s_wait_alu 0xfffe
	s_and_b32 s50, exec_lo, s50
	s_wait_alu 0xfffe
	s_or_b32 s15, s50, s15
	s_and_not1_b32 s25, s25, exec_lo
	s_and_b32 s50, s58, exec_lo
	s_wait_alu 0xfffe
	s_or_b32 s25, s25, s50
	s_and_not1_b32 exec_lo, exec_lo, s15
	s_cbranch_execz .LBB4_200
.LBB4_196:                              ;   Parent Loop BB4_7 Depth=1
                                        ; =>  This Inner Loop Header: Depth=2
	s_mov_b32 s50, exec_lo
	s_delay_alu instid0(VALU_DEP_1)
	v_cmpx_gt_u64_e64 s[12:13], v[6:7]
	s_cbranch_execz .LBB4_194
; %bb.197:                              ;   in Loop: Header=BB4_196 Depth=2
	ds_load_u8 v9, v8
	s_wait_dscnt 0x0
	v_and_b32_e32 v10, v9, v41
	s_delay_alu instid0(VALU_DEP_1) | instskip(NEXT) | instid1(VALU_DEP_1)
	v_and_b32_e32 v10, 0xff, v10
	v_cmp_eq_u32_e32 vcc_lo, v10, v20
	s_and_b32 exec_lo, exec_lo, vcc_lo
	s_cbranch_execz .LBB4_194
; %bb.198:                              ;   in Loop: Header=BB4_196 Depth=2
	v_lshlrev_b16 v9, 8, v9
	s_delay_alu instid0(VALU_DEP_1)
	v_or_b32_e32 v9, 1, v9
	ds_store_b16 v3, v9 offset:3072
	s_branch .LBB4_194
.LBB4_199:                              ;   in Loop: Header=BB4_196 Depth=2
	v_add_co_u32 v6, vcc_lo, v6, s44
	s_wait_alu 0xfffd
	v_add_co_ci_u32_e64 v7, null, 0, v7, vcc_lo
	v_add_nc_u32_e32 v8, s44, v8
	s_mov_b32 s58, 0
	s_delay_alu instid0(VALU_DEP_2)
	v_cmp_le_i64_e32 vcc_lo, s[6:7], v[6:7]
	s_or_not1_b32 s50, vcc_lo, exec_lo
	s_branch .LBB4_195
.LBB4_200:                              ;   in Loop: Header=BB4_7 Depth=1
	s_or_b32 exec_lo, exec_lo, s15
	v_and_b32_e32 v6, 0xffff, v9
	s_and_not1_b32 s6, s61, exec_lo
	s_wait_alu 0xfffe
	s_and_b32 s7, s25, exec_lo
	s_wait_alu 0xfffe
	s_or_b32 s61, s6, s7
	v_lshrrev_b32_e32 v42, 8, v6
.LBB4_201:                              ;   in Loop: Header=BB4_7 Depth=1
	s_or_b32 exec_lo, exec_lo, s14
	s_mov_b32 s25, 0
	s_mov_b32 s58, -1
.LBB4_202:                              ;   in Loop: Header=BB4_7 Depth=1
	s_wait_alu 0xfffe
	s_or_not1_b32 s6, s61, exec_lo
.LBB4_203:                              ;   in Loop: Header=BB4_7 Depth=1
	s_wait_alu 0xfffe
	s_or_b32 exec_lo, exec_lo, s60
	s_mov_b32 s7, 0
	s_and_saveexec_b32 s14, s6
	s_cbranch_execz .LBB4_261
; %bb.204:                              ;   in Loop: Header=BB4_7 Depth=1
	v_mov_b32_e32 v6, 1
	v_dual_mov_b32 v7, 0 :: v_dual_mov_b32 v2, 1
	s_xor_b32 s12, s59, -1
	s_wait_alu 0xfffe
	s_and_saveexec_b32 s6, s12
	s_cbranch_execz .LBB4_213
; %bb.205:                              ;   in Loop: Header=BB4_7 Depth=1
	s_mov_b32 s7, exec_lo
	v_cmpx_ge_i64_e64 s[10:11], v[4:5]
	s_wait_alu 0xfffe
	s_xor_b32 s7, exec_lo, s7
	s_cbranch_execz .LBB4_210
; %bb.206:                              ;   in Loop: Header=BB4_7 Depth=1
	ds_load_b64 v[6:7], v3 offset:5120
	s_lshl_b32 s12, 2, s94
	v_or_b32_e32 v41, s16, v41
	s_wait_alu 0xfffe
	v_and_or_b32 v20, v20, s20, s12
	s_wait_dscnt 0x0
	v_cmp_ne_u64_e32 vcc_lo, 0, v[6:7]
	s_cbranch_vccnz .LBB4_210
; %bb.207:                              ;   in Loop: Header=BB4_7 Depth=1
	s_and_saveexec_b32 s12, s2
; %bb.208:                              ;   in Loop: Header=BB4_7 Depth=1
	v_dual_mov_b32 v6, s10 :: v_dual_mov_b32 v7, s11
	ds_store_b64 v3, v[6:7] offset:5128
; %bb.209:                              ;   in Loop: Header=BB4_7 Depth=1
	s_wait_alu 0xfffe
	s_or_b32 exec_lo, exec_lo, s12
	s_wait_loadcnt_dscnt 0x0
	s_barrier_signal -1
	s_barrier_wait -1
	global_inv scope:SCOPE_SE
.LBB4_210:                              ;   in Loop: Header=BB4_7 Depth=1
	s_wait_alu 0xfffe
	s_or_saveexec_b32 s7, s7
	v_mov_b32_e32 v2, 8
	s_mov_b32 s12, 0
	s_wait_alu 0xfffe
	s_xor_b32 exec_lo, exec_lo, s7
; %bb.211:                              ;   in Loop: Header=BB4_7 Depth=1
	v_sub_co_u32 v4, vcc_lo, v4, s10
	s_wait_alu 0xfffd
	v_subrev_co_ci_u32_e64 v5, null, s11, v5, vcc_lo
	v_mov_b32_e32 v2, 0
	s_mov_b32 s12, exec_lo
; %bb.212:                              ;   in Loop: Header=BB4_7 Depth=1
	s_or_b32 exec_lo, exec_lo, s7
	s_delay_alu instid0(VALU_DEP_2)
	v_dual_mov_b32 v7, v5 :: v_dual_mov_b32 v6, v4
	s_wait_alu 0xfffe
	s_and_b32 s7, s12, exec_lo
.LBB4_213:                              ;   in Loop: Header=BB4_7 Depth=1
	s_wait_alu 0xfffe
	s_or_b32 exec_lo, exec_lo, s6
	s_mov_b32 s6, -1
                                        ; implicit-def: $sgpr61
                                        ; implicit-def: $sgpr60
	s_and_saveexec_b32 s15, s7
	s_cbranch_execz .LBB4_260
; %bb.214:                              ;   in Loop: Header=BB4_7 Depth=1
	v_cmp_eq_u64_e32 vcc_lo, 1, v[6:7]
	s_cmp_eq_u64 s[8:9], 1
	s_mov_b32 s7, -1
	s_cselect_b32 s6, -1, 0
                                        ; implicit-def: $sgpr61
                                        ; implicit-def: $sgpr60
	s_wait_alu 0xfffe
	s_and_b32 s20, s6, vcc_lo
	s_wait_alu 0xfffe
	s_and_saveexec_b32 s59, s20
	s_cbranch_execz .LBB4_248
; %bb.215:                              ;   in Loop: Header=BB4_7 Depth=1
	ds_load_b64 v[4:5], v3 offset:5120
	s_wait_loadcnt_dscnt 0x0
	s_barrier_signal -1
	s_barrier_wait -1
	global_inv scope:SCOPE_SE
	v_readfirstlane_b32 s10, v4
	v_readfirstlane_b32 s11, v5
	s_and_saveexec_b32 s6, s3
; %bb.216:                              ;   in Loop: Header=BB4_7 Depth=1
	ds_store_b8 v0, v3 offset:3072
; %bb.217:                              ;   in Loop: Header=BB4_7 Depth=1
	s_wait_alu 0xfffe
	s_or_b32 exec_lo, exec_lo, s6
	v_cmp_gt_i64_e64 s6, s[10:11], 0
	v_or_b32_e32 v20, s16, v20
	v_or_b32_e32 v41, s16, v41
	s_mov_b32 s60, -1
	s_mov_b32 s61, 0
	s_mov_b32 s62, 0
	s_and_b32 vcc_lo, exec_lo, s6
	s_wait_loadcnt_dscnt 0x0
	s_barrier_signal -1
	s_barrier_wait -1
	global_inv scope:SCOPE_SE
                                        ; implicit-def: $vgpr42
	s_wait_alu 0xfffe
	s_cbranch_vccnz .LBB4_233
; %bb.218:                              ;   in Loop: Header=BB4_7 Depth=1
	s_mov_b32 s6, s51
	s_mov_b32 s7, s55
	s_wait_alu 0xfffe
	s_cmp_lg_u64 s[6:7], 0
	s_cbranch_scc0 .LBB4_267
; %bb.219:                              ;   in Loop: Header=BB4_7 Depth=1
	s_add_nc_u64 s[6:7], s[44:45], 0
	s_wait_alu 0xfffe
	s_xor_b64 s[6:7], s[6:7], 0
	s_wait_alu 0xfffe
	s_cvt_f32_u32 s12, s6
	s_cvt_f32_u32 s13, s7
	s_sub_nc_u64 s[62:63], 0, s[6:7]
	s_wait_alu 0xfffe
	s_delay_alu instid0(SALU_CYCLE_1) | instskip(SKIP_1) | instid1(SALU_CYCLE_2)
	s_fmamk_f32 s12, s13, 0x4f800000, s12
	s_wait_alu 0xfffe
	v_s_rcp_f32 s12, s12
	s_delay_alu instid0(TRANS32_DEP_1) | instskip(SKIP_1) | instid1(SALU_CYCLE_2)
	s_mul_f32 s12, s12, 0x5f7ffffc
	s_wait_alu 0xfffe
	s_mul_f32 s13, s12, 0x2f800000
	s_wait_alu 0xfffe
	s_delay_alu instid0(SALU_CYCLE_2) | instskip(SKIP_1) | instid1(SALU_CYCLE_2)
	s_trunc_f32 s13, s13
	s_wait_alu 0xfffe
	s_fmamk_f32 s12, s13, 0xcf800000, s12
	s_cvt_u32_f32 s13, s13
	s_wait_alu 0xfffe
	s_delay_alu instid0(SALU_CYCLE_1) | instskip(SKIP_1) | instid1(SALU_CYCLE_2)
	s_cvt_u32_f32 s12, s12
	s_wait_alu 0xfffe
	s_mul_u64 s[64:65], s[62:63], s[12:13]
	s_wait_alu 0xfffe
	s_mul_hi_u32 s67, s12, s65
	s_mul_i32 s66, s12, s65
	s_mul_hi_u32 s50, s12, s64
	s_mul_i32 s69, s13, s64
	s_wait_alu 0xfffe
	s_add_nc_u64 s[66:67], s[50:51], s[66:67]
	s_mul_hi_u32 s68, s13, s64
	s_mul_hi_u32 s70, s13, s65
	s_wait_alu 0xfffe
	s_add_co_u32 s50, s66, s69
	s_add_co_ci_u32 s50, s67, s68
	s_mul_i32 s64, s13, s65
	s_add_co_ci_u32 s65, s70, 0
	s_wait_alu 0xfffe
	s_add_nc_u64 s[64:65], s[50:51], s[64:65]
	s_wait_alu 0xfffe
	s_add_co_u32 s12, s12, s64
	s_cselect_b32 s50, -1, 0
	s_wait_alu 0xfffe
	s_cmp_lg_u32 s50, 0
	s_add_co_ci_u32 s13, s13, s65
	s_wait_alu 0xfffe
	s_mul_u64 s[62:63], s[62:63], s[12:13]
	s_wait_alu 0xfffe
	s_mul_hi_u32 s65, s12, s63
	s_mul_i32 s64, s12, s63
	s_mul_hi_u32 s50, s12, s62
	s_mul_i32 s67, s13, s62
	s_wait_alu 0xfffe
	s_add_nc_u64 s[64:65], s[50:51], s[64:65]
	s_mul_hi_u32 s66, s13, s62
	s_mul_hi_u32 s68, s13, s63
	s_wait_alu 0xfffe
	s_add_co_u32 s50, s64, s67
	s_add_co_ci_u32 s50, s65, s66
	s_mul_i32 s62, s13, s63
	s_add_co_ci_u32 s63, s68, 0
	s_wait_alu 0xfffe
	s_add_nc_u64 s[62:63], s[50:51], s[62:63]
	s_wait_alu 0xfffe
	s_add_co_u32 s66, s12, s62
	s_cselect_b32 s12, -1, 0
	s_wait_alu 0xfffe
	s_cmp_lg_u32 s12, 0
	s_add_co_ci_u32 s67, s13, s63
	s_ashr_i32 s12, s55, 31
	s_wait_alu 0xfffe
	s_mov_b32 s13, s12
	s_wait_alu 0xfffe
	s_add_nc_u64 s[62:63], s[54:55], s[12:13]
	s_wait_alu 0xfffe
	s_xor_b64 s[62:63], s[62:63], s[12:13]
	s_wait_alu 0xfffe
	s_mul_hi_u32 s65, s62, s67
	s_mul_i32 s64, s62, s67
	s_mul_hi_u32 s50, s62, s66
	s_mul_i32 s70, s63, s66
	s_wait_alu 0xfffe
	s_add_nc_u64 s[64:65], s[50:51], s[64:65]
	s_mul_hi_u32 s69, s63, s66
	s_mul_hi_u32 s68, s63, s67
	s_wait_alu 0xfffe
	s_add_co_u32 s50, s64, s70
	s_add_co_ci_u32 s50, s65, s69
	s_mul_i32 s66, s63, s67
	s_add_co_ci_u32 s67, s68, 0
	s_wait_alu 0xfffe
	s_add_nc_u64 s[64:65], s[50:51], s[66:67]
	s_wait_alu 0xfffe
	s_mul_u64 s[64:65], s[6:7], s[64:65]
	s_wait_alu 0xfffe
	s_sub_co_u32 s50, s62, s64
	s_cselect_b32 s62, -1, 0
	s_sub_co_i32 s64, s63, s65
	s_wait_alu 0xfffe
	s_cmp_lg_u32 s62, 0
	s_sub_co_ci_u32 s64, s64, s7
	s_sub_co_u32 s66, s50, s6
	s_cselect_b32 s67, -1, 0
	s_wait_alu 0xfffe
	s_cmp_lg_u32 s67, 0
	s_sub_co_ci_u32 s68, s64, 0
	s_wait_alu 0xfffe
	s_cmp_ge_u32 s68, s7
	s_cselect_b32 s69, -1, 0
	s_cmp_ge_u32 s66, s6
	s_cselect_b32 s70, -1, 0
	s_cmp_eq_u32 s68, s7
	s_wait_alu 0xfffe
	s_cselect_b32 s69, s70, s69
	s_cmp_lg_u32 s67, 0
	s_sub_co_ci_u32 s64, s64, s7
	s_sub_co_u32 s67, s66, s6
	s_cselect_b32 s70, -1, 0
	s_wait_alu 0xfffe
	s_cmp_lg_u32 s70, 0
	s_sub_co_ci_u32 s64, s64, 0
	s_cmp_lg_u32 s69, 0
	s_cselect_b32 s66, s67, s66
	s_wait_alu 0xfffe
	s_cselect_b32 s64, s64, s68
	s_cmp_lg_u32 s62, 0
	s_sub_co_ci_u32 s62, s63, s65
	s_wait_alu 0xfffe
	s_cmp_ge_u32 s62, s7
	s_cselect_b32 s63, -1, 0
	s_cmp_ge_u32 s50, s6
	s_cselect_b32 s6, -1, 0
	s_cmp_eq_u32 s62, s7
	s_wait_alu 0xfffe
	s_cselect_b32 s6, s6, s63
	s_wait_alu 0xfffe
	s_cmp_lg_u32 s6, 0
	s_cselect_b32 s7, s64, s62
	s_cselect_b32 s6, s66, s50
	s_wait_alu 0xfffe
	s_xor_b64 s[6:7], s[6:7], s[12:13]
	s_wait_alu 0xfffe
	s_sub_nc_u64 s[6:7], s[6:7], s[12:13]
	s_cbranch_execnz .LBB4_221
.LBB4_220:                              ;   in Loop: Header=BB4_7 Depth=1
	v_cvt_f32_u32_e32 v4, s44
	s_sub_co_i32 s7, 0, s44
	s_delay_alu instid0(VALU_DEP_1) | instskip(NEXT) | instid1(TRANS32_DEP_1)
	v_rcp_iflag_f32_e32 v4, v4
	v_mul_f32_e32 v4, 0x4f7ffffe, v4
	s_delay_alu instid0(VALU_DEP_1) | instskip(NEXT) | instid1(VALU_DEP_1)
	v_cvt_u32_f32_e32 v4, v4
	v_readfirstlane_b32 s6, v4
	s_wait_alu 0xfffe
	s_mul_i32 s7, s7, s6
	s_wait_alu 0xfffe
	s_mul_hi_u32 s7, s6, s7
	s_wait_alu 0xfffe
	s_add_co_i32 s6, s6, s7
	s_wait_alu 0xfffe
	s_mul_hi_u32 s6, s54, s6
	s_wait_alu 0xfffe
	s_mul_i32 s6, s6, s44
	s_wait_alu 0xfffe
	s_sub_co_i32 s6, s54, s6
	s_wait_alu 0xfffe
	s_sub_co_i32 s7, s6, s44
	s_cmp_ge_u32 s6, s44
	s_wait_alu 0xfffe
	s_cselect_b32 s6, s7, s6
	s_wait_alu 0xfffe
	s_sub_co_i32 s7, s6, s44
	s_cmp_ge_u32 s6, s44
	s_wait_alu 0xfffe
	s_cselect_b32 s50, s7, s6
	s_wait_alu 0xfffe
	s_mov_b64 s[6:7], s[50:51]
.LBB4_221:                              ;   in Loop: Header=BB4_7 Depth=1
	s_wait_alu 0xfffe
	s_sub_nc_u64 s[12:13], s[54:55], s[6:7]
	s_mov_b32 s7, 0
	s_mov_b32 s62, 0
	s_mov_b32 s50, exec_lo
                                        ; implicit-def: $vgpr42
	s_wait_alu 0xfffe
	v_cmpx_gt_i64_e64 s[12:13], v[0:1]
	s_cbranch_execz .LBB4_232
; %bb.222:                              ;   in Loop: Header=BB4_7 Depth=1
	v_dual_mov_b32 v4, v12 :: v_dual_mov_b32 v5, v13
	v_dual_mov_b32 v9, v1 :: v_dual_mov_b32 v8, v0
                                        ; implicit-def: $sgpr63
	s_branch .LBB4_225
.LBB4_223:                              ;   in Loop: Header=BB4_225 Depth=2
	s_wait_alu 0xfffe
	s_or_b32 exec_lo, exec_lo, s6
	s_wait_loadcnt_dscnt 0x0
	s_barrier_signal -1
	s_barrier_wait -1
	global_inv scope:SCOPE_SE
	ds_load_u16 v10, v3 offset:3072
	s_mov_b32 s6, -1
	s_mov_b32 s64, -1
	s_wait_loadcnt_dscnt 0x0
	s_barrier_signal -1
	s_barrier_wait -1
	global_inv scope:SCOPE_SE
	v_and_b32_e32 v11, 0xff, v10
	s_delay_alu instid0(VALU_DEP_1)
	v_cmp_ne_u32_e32 vcc_lo, 0, v11
	s_cbranch_vccz .LBB4_228
.LBB4_224:                              ;   in Loop: Header=BB4_225 Depth=2
	s_wait_alu 0xfffe
	s_and_b32 s6, exec_lo, s6
	s_wait_alu 0xfffe
	s_or_b32 s62, s6, s62
	s_and_not1_b32 s6, s63, exec_lo
	s_and_b32 s63, s64, exec_lo
	s_wait_alu 0xfffe
	s_or_b32 s63, s6, s63
	s_and_not1_b32 exec_lo, exec_lo, s62
	s_cbranch_execz .LBB4_231
.LBB4_225:                              ;   Parent Loop BB4_7 Depth=1
                                        ; =>  This Inner Loop Header: Depth=2
	s_mov_b32 s6, exec_lo
	s_delay_alu instid0(VALU_DEP_1)
	v_cmpx_gt_i64_e64 s[36:37], v[8:9]
	s_cbranch_execz .LBB4_223
; %bb.226:                              ;   in Loop: Header=BB4_225 Depth=2
	global_load_u8 v10, v[4:5], off
	s_wait_loadcnt 0x0
	v_and_b32_e32 v11, v10, v41
	s_delay_alu instid0(VALU_DEP_1) | instskip(NEXT) | instid1(VALU_DEP_1)
	v_and_b32_e32 v11, 0xff, v11
	v_cmp_eq_u32_e32 vcc_lo, v11, v20
	s_and_b32 exec_lo, exec_lo, vcc_lo
	s_cbranch_execz .LBB4_223
; %bb.227:                              ;   in Loop: Header=BB4_225 Depth=2
	v_lshlrev_b16 v10, 8, v10
	s_delay_alu instid0(VALU_DEP_1)
	v_or_b32_e32 v10, 1, v10
	ds_store_b16 v3, v10 offset:3072
	s_branch .LBB4_223
.LBB4_228:                              ;   in Loop: Header=BB4_225 Depth=2
	v_add_co_u32 v8, vcc_lo, v8, s44
	s_wait_alu 0xfffd
	v_add_co_ci_u32_e64 v9, null, 0, v9, vcc_lo
	v_add_co_u32 v4, s6, v4, s46
	s_wait_alu 0xf1fe
	v_add_co_ci_u32_e64 v5, null, s47, v5, s6
	s_delay_alu instid0(VALU_DEP_3)
	v_cmp_le_i64_e32 vcc_lo, s[12:13], v[8:9]
	s_mov_b32 s64, 0
	s_or_not1_b32 s6, vcc_lo, exec_lo
	s_branch .LBB4_224
.LBB4_229:                              ;   in Loop: Header=BB4_7 Depth=1
                                        ; implicit-def: $sgpr6_sgpr7
	s_branch .LBB4_175
.LBB4_230:                              ;   in Loop: Header=BB4_7 Depth=1
                                        ; implicit-def: $sgpr14_sgpr15
	s_branch .LBB4_191
.LBB4_231:                              ;   in Loop: Header=BB4_7 Depth=1
	s_or_b32 exec_lo, exec_lo, s62
	v_and_b32_e32 v4, 0xffff, v10
	s_wait_alu 0xfffe
	s_and_b32 s62, s63, exec_lo
	s_delay_alu instid0(VALU_DEP_1)
	v_lshrrev_b32_e32 v42, 8, v4
.LBB4_232:                              ;   in Loop: Header=BB4_7 Depth=1
	s_or_b32 exec_lo, exec_lo, s50
.LBB4_233:                              ;   in Loop: Header=BB4_7 Depth=1
	s_delay_alu instid0(SALU_CYCLE_1)
	s_and_b32 vcc_lo, exec_lo, s7
	s_wait_alu 0xfffe
	s_cbranch_vccz .LBB4_247
; %bb.234:                              ;   in Loop: Header=BB4_7 Depth=1
	s_add_nc_u64 s[6:7], s[10:11], s[52:53]
	s_mov_b32 s12, s51
	s_wait_alu 0xfffe
	s_mov_b32 s13, s7
	s_wait_alu 0xfffe
	s_cmp_lg_u64 s[12:13], 0
	s_cbranch_scc0 .LBB4_268
; %bb.235:                              ;   in Loop: Header=BB4_7 Depth=1
	s_add_nc_u64 s[12:13], s[44:45], 0
	s_wait_alu 0xfffe
	s_xor_b64 s[12:13], s[12:13], 0
	s_wait_alu 0xfffe
	s_cvt_f32_u32 s50, s12
	s_cvt_f32_u32 s60, s13
	s_sub_nc_u64 s[64:65], 0, s[12:13]
	s_wait_alu 0xfffe
	s_delay_alu instid0(SALU_CYCLE_1) | instskip(SKIP_1) | instid1(SALU_CYCLE_2)
	s_fmamk_f32 s50, s60, 0x4f800000, s50
	s_wait_alu 0xfffe
	v_s_rcp_f32 s50, s50
	s_delay_alu instid0(TRANS32_DEP_1) | instskip(SKIP_1) | instid1(SALU_CYCLE_2)
	s_mul_f32 s50, s50, 0x5f7ffffc
	s_wait_alu 0xfffe
	s_mul_f32 s60, s50, 0x2f800000
	s_wait_alu 0xfffe
	s_delay_alu instid0(SALU_CYCLE_2) | instskip(SKIP_1) | instid1(SALU_CYCLE_2)
	s_trunc_f32 s60, s60
	s_wait_alu 0xfffe
	s_fmamk_f32 s50, s60, 0xcf800000, s50
	s_cvt_u32_f32 s61, s60
	s_wait_alu 0xfffe
	s_delay_alu instid0(SALU_CYCLE_1) | instskip(SKIP_1) | instid1(SALU_CYCLE_2)
	s_cvt_u32_f32 s60, s50
	s_wait_alu 0xfffe
	s_mul_u64 s[66:67], s[64:65], s[60:61]
	s_wait_alu 0xfffe
	s_mul_hi_u32 s69, s60, s67
	s_mul_i32 s68, s60, s67
	s_mul_hi_u32 s50, s60, s66
	s_mul_i32 s70, s61, s66
	s_wait_alu 0xfffe
	s_add_nc_u64 s[68:69], s[50:51], s[68:69]
	s_mul_hi_u32 s63, s61, s66
	s_mul_hi_u32 s71, s61, s67
	s_wait_alu 0xfffe
	s_add_co_u32 s50, s68, s70
	s_add_co_ci_u32 s50, s69, s63
	s_mul_i32 s66, s61, s67
	s_add_co_ci_u32 s67, s71, 0
	s_wait_alu 0xfffe
	s_add_nc_u64 s[66:67], s[50:51], s[66:67]
	s_wait_alu 0xfffe
	s_add_co_u32 s60, s60, s66
	s_cselect_b32 s50, -1, 0
	s_wait_alu 0xfffe
	s_cmp_lg_u32 s50, 0
	s_add_co_ci_u32 s61, s61, s67
	s_wait_alu 0xfffe
	s_mul_u64 s[64:65], s[64:65], s[60:61]
	s_wait_alu 0xfffe
	s_mul_hi_u32 s67, s60, s65
	s_mul_i32 s66, s60, s65
	s_mul_hi_u32 s50, s60, s64
	s_mul_i32 s68, s61, s64
	s_wait_alu 0xfffe
	s_add_nc_u64 s[66:67], s[50:51], s[66:67]
	s_mul_hi_u32 s63, s61, s64
	s_mul_hi_u32 s69, s61, s65
	s_wait_alu 0xfffe
	s_add_co_u32 s50, s66, s68
	s_add_co_ci_u32 s50, s67, s63
	s_mul_i32 s64, s61, s65
	s_add_co_ci_u32 s65, s69, 0
	s_wait_alu 0xfffe
	s_add_nc_u64 s[64:65], s[50:51], s[64:65]
	s_wait_alu 0xfffe
	s_add_co_u32 s63, s60, s64
	s_cselect_b32 s50, -1, 0
	s_wait_alu 0xfffe
	s_cmp_lg_u32 s50, 0
	s_add_co_ci_u32 s68, s61, s65
	s_ashr_i32 s60, s7, 31
	s_wait_alu 0xfffe
	s_mov_b32 s61, s60
	s_wait_alu 0xfffe
	s_add_nc_u64 s[64:65], s[6:7], s[60:61]
	s_wait_alu 0xfffe
	s_xor_b64 s[64:65], s[64:65], s[60:61]
	s_wait_alu 0xfffe
	s_mul_hi_u32 s67, s64, s68
	s_mul_i32 s66, s64, s68
	s_mul_hi_u32 s50, s64, s63
	s_mul_hi_u32 s70, s65, s63
	s_mul_i32 s63, s65, s63
	s_wait_alu 0xfffe
	s_add_nc_u64 s[66:67], s[50:51], s[66:67]
	s_mul_hi_u32 s69, s65, s68
	s_wait_alu 0xfffe
	s_add_co_u32 s50, s66, s63
	s_add_co_ci_u32 s50, s67, s70
	s_mul_i32 s68, s65, s68
	s_add_co_ci_u32 s69, s69, 0
	s_wait_alu 0xfffe
	s_add_nc_u64 s[66:67], s[50:51], s[68:69]
	s_wait_alu 0xfffe
	s_mul_u64 s[66:67], s[12:13], s[66:67]
	s_wait_alu 0xfffe
	s_sub_co_u32 s50, s64, s66
	s_cselect_b32 s63, -1, 0
	s_sub_co_i32 s64, s65, s67
	s_wait_alu 0xfffe
	s_cmp_lg_u32 s63, 0
	s_sub_co_ci_u32 s64, s64, s13
	s_sub_co_u32 s66, s50, s12
	s_cselect_b32 s68, -1, 0
	s_wait_alu 0xfffe
	s_cmp_lg_u32 s68, 0
	s_sub_co_ci_u32 s69, s64, 0
	s_wait_alu 0xfffe
	s_cmp_ge_u32 s69, s13
	s_cselect_b32 s70, -1, 0
	s_cmp_ge_u32 s66, s12
	s_cselect_b32 s71, -1, 0
	s_cmp_eq_u32 s69, s13
	s_wait_alu 0xfffe
	s_cselect_b32 s70, s71, s70
	s_cmp_lg_u32 s68, 0
	s_sub_co_ci_u32 s64, s64, s13
	s_sub_co_u32 s68, s66, s12
	s_cselect_b32 s71, -1, 0
	s_wait_alu 0xfffe
	s_cmp_lg_u32 s71, 0
	s_sub_co_ci_u32 s64, s64, 0
	s_cmp_lg_u32 s70, 0
	s_cselect_b32 s66, s68, s66
	s_wait_alu 0xfffe
	s_cselect_b32 s64, s64, s69
	s_cmp_lg_u32 s63, 0
	s_sub_co_ci_u32 s63, s65, s67
	s_wait_alu 0xfffe
	s_cmp_ge_u32 s63, s13
	s_cselect_b32 s65, -1, 0
	s_cmp_ge_u32 s50, s12
	s_cselect_b32 s12, -1, 0
	s_cmp_eq_u32 s63, s13
	s_wait_alu 0xfffe
	s_cselect_b32 s12, s12, s65
	s_wait_alu 0xfffe
	s_cmp_lg_u32 s12, 0
	s_cselect_b32 s13, s64, s63
	s_cselect_b32 s12, s66, s50
	s_wait_alu 0xfffe
	s_xor_b64 s[12:13], s[12:13], s[60:61]
	s_wait_alu 0xfffe
	s_sub_nc_u64 s[12:13], s[12:13], s[60:61]
	s_cbranch_execnz .LBB4_237
.LBB4_236:                              ;   in Loop: Header=BB4_7 Depth=1
	v_cvt_f32_u32_e32 v4, s44
	s_sub_co_i32 s13, 0, s44
	s_delay_alu instid0(VALU_DEP_1) | instskip(NEXT) | instid1(TRANS32_DEP_1)
	v_rcp_iflag_f32_e32 v4, v4
	v_mul_f32_e32 v4, 0x4f7ffffe, v4
	s_delay_alu instid0(VALU_DEP_1) | instskip(NEXT) | instid1(VALU_DEP_1)
	v_cvt_u32_f32_e32 v4, v4
	v_readfirstlane_b32 s12, v4
	s_wait_alu 0xfffe
	s_mul_i32 s13, s13, s12
	s_wait_alu 0xfffe
	s_mul_hi_u32 s13, s12, s13
	s_wait_alu 0xfffe
	s_add_co_i32 s12, s12, s13
	s_wait_alu 0xfffe
	s_mul_hi_u32 s12, s6, s12
	s_wait_alu 0xfffe
	s_mul_i32 s12, s12, s44
	s_wait_alu 0xfffe
	s_sub_co_i32 s12, s6, s12
	s_wait_alu 0xfffe
	s_sub_co_i32 s13, s12, s44
	s_cmp_ge_u32 s12, s44
	s_wait_alu 0xfffe
	s_cselect_b32 s12, s13, s12
	s_wait_alu 0xfffe
	s_sub_co_i32 s13, s12, s44
	s_cmp_ge_u32 s12, s44
	s_wait_alu 0xfffe
	s_cselect_b32 s50, s13, s12
	s_wait_alu 0xfffe
	s_mov_b64 s[12:13], s[50:51]
.LBB4_237:                              ;   in Loop: Header=BB4_7 Depth=1
	s_wait_alu 0xfffe
	s_sub_nc_u64 s[6:7], s[6:7], s[12:13]
	s_mov_b32 s12, exec_lo
                                        ; implicit-def: $vgpr42
	s_wait_alu 0xfffe
	v_cmpx_gt_i64_e64 s[6:7], v[0:1]
	s_cbranch_execz .LBB4_246
; %bb.238:                              ;   in Loop: Header=BB4_7 Depth=1
	v_dual_mov_b32 v8, v0 :: v_dual_mov_b32 v5, v1
	v_mov_b32_e32 v4, v0
	s_mov_b32 s13, 0
                                        ; implicit-def: $sgpr50
	s_branch .LBB4_241
.LBB4_239:                              ;   in Loop: Header=BB4_241 Depth=2
	s_wait_alu 0xfffe
	s_or_b32 exec_lo, exec_lo, s60
	s_wait_loadcnt_dscnt 0x0
	s_barrier_signal -1
	s_barrier_wait -1
	global_inv scope:SCOPE_SE
	ds_load_u16 v9, v3 offset:3072
	s_mov_b32 s60, -1
	s_mov_b32 s61, -1
	s_wait_loadcnt_dscnt 0x0
	s_barrier_signal -1
	s_barrier_wait -1
	global_inv scope:SCOPE_SE
	v_and_b32_e32 v10, 0xff, v9
	s_delay_alu instid0(VALU_DEP_1)
	v_cmp_eq_u32_e32 vcc_lo, 0, v10
	s_cbranch_vccnz .LBB4_244
.LBB4_240:                              ;   in Loop: Header=BB4_241 Depth=2
	s_wait_alu 0xfffe
	s_and_b32 s60, exec_lo, s60
	s_wait_alu 0xfffe
	s_or_b32 s13, s60, s13
	s_and_not1_b32 s50, s50, exec_lo
	s_and_b32 s60, s61, exec_lo
	s_wait_alu 0xfffe
	s_or_b32 s50, s50, s60
	s_and_not1_b32 exec_lo, exec_lo, s13
	s_cbranch_execz .LBB4_245
.LBB4_241:                              ;   Parent Loop BB4_7 Depth=1
                                        ; =>  This Inner Loop Header: Depth=2
	s_mov_b32 s60, exec_lo
	s_delay_alu instid0(VALU_DEP_1)
	v_cmpx_gt_u64_e64 s[10:11], v[4:5]
	s_cbranch_execz .LBB4_239
; %bb.242:                              ;   in Loop: Header=BB4_241 Depth=2
	ds_load_u8 v9, v8
	s_wait_dscnt 0x0
	v_and_b32_e32 v10, v9, v41
	s_delay_alu instid0(VALU_DEP_1) | instskip(NEXT) | instid1(VALU_DEP_1)
	v_and_b32_e32 v10, 0xff, v10
	v_cmp_eq_u32_e32 vcc_lo, v10, v20
	s_and_b32 exec_lo, exec_lo, vcc_lo
	s_cbranch_execz .LBB4_239
; %bb.243:                              ;   in Loop: Header=BB4_241 Depth=2
	v_lshlrev_b16 v9, 8, v9
	s_delay_alu instid0(VALU_DEP_1)
	v_or_b32_e32 v9, 1, v9
	ds_store_b16 v3, v9 offset:3072
	s_branch .LBB4_239
.LBB4_244:                              ;   in Loop: Header=BB4_241 Depth=2
	v_add_co_u32 v4, vcc_lo, v4, s44
	s_wait_alu 0xfffd
	v_add_co_ci_u32_e64 v5, null, 0, v5, vcc_lo
	v_add_nc_u32_e32 v8, s44, v8
	s_mov_b32 s61, 0
	s_delay_alu instid0(VALU_DEP_2)
	v_cmp_le_i64_e32 vcc_lo, s[6:7], v[4:5]
	s_or_not1_b32 s60, vcc_lo, exec_lo
	s_branch .LBB4_240
.LBB4_245:                              ;   in Loop: Header=BB4_7 Depth=1
	s_or_b32 exec_lo, exec_lo, s13
	v_and_b32_e32 v4, 0xffff, v9
	s_and_not1_b32 s6, s62, exec_lo
	s_wait_alu 0xfffe
	s_and_b32 s7, s50, exec_lo
	s_wait_alu 0xfffe
	s_or_b32 s62, s6, s7
	v_lshrrev_b32_e32 v42, 8, v4
.LBB4_246:                              ;   in Loop: Header=BB4_7 Depth=1
	s_or_b32 exec_lo, exec_lo, s12
	s_mov_b32 s60, 0
	s_mov_b32 s61, -1
.LBB4_247:                              ;   in Loop: Header=BB4_7 Depth=1
	s_wait_alu 0xfffe
	s_or_not1_b32 s7, s62, exec_lo
.LBB4_248:                              ;   in Loop: Header=BB4_7 Depth=1
	s_wait_alu 0xfffe
	s_or_b32 exec_lo, exec_lo, s59
	s_mov_b32 s10, 0
	s_and_saveexec_b32 s6, s7
	s_cbranch_execz .LBB4_259
; %bb.249:                              ;   in Loop: Header=BB4_7 Depth=1
	v_mov_b32_e32 v4, 1
	v_dual_mov_b32 v5, 0 :: v_dual_mov_b32 v2, 1
	s_xor_b32 s10, s20, -1
	s_wait_alu 0xfffe
	s_and_saveexec_b32 s7, s10
	s_cbranch_execz .LBB4_258
; %bb.250:                              ;   in Loop: Header=BB4_7 Depth=1
	s_mov_b32 s10, exec_lo
	v_cmpx_ge_i64_e64 s[8:9], v[6:7]
	s_wait_alu 0xfffe
	s_xor_b32 s10, exec_lo, s10
	s_cbranch_execz .LBB4_255
; %bb.251:                              ;   in Loop: Header=BB4_7 Depth=1
	ds_load_b64 v[4:5], v3 offset:5120
	v_or_b32_e32 v20, s16, v20
	v_or_b32_e32 v41, s16, v41
	s_wait_dscnt 0x0
	v_cmp_ne_u64_e32 vcc_lo, 0, v[4:5]
	s_cbranch_vccnz .LBB4_255
; %bb.252:                              ;   in Loop: Header=BB4_7 Depth=1
	s_and_saveexec_b32 s11, s2
; %bb.253:                              ;   in Loop: Header=BB4_7 Depth=1
	v_dual_mov_b32 v4, s8 :: v_dual_mov_b32 v5, s9
	ds_store_b64 v3, v[4:5] offset:5128
; %bb.254:                              ;   in Loop: Header=BB4_7 Depth=1
	s_wait_alu 0xfffe
	s_or_b32 exec_lo, exec_lo, s11
	s_wait_loadcnt_dscnt 0x0
	s_barrier_signal -1
	s_barrier_wait -1
	global_inv scope:SCOPE_SE
.LBB4_255:                              ;   in Loop: Header=BB4_7 Depth=1
	s_wait_alu 0xfffe
	s_and_not1_saveexec_b32 s10, s10
; %bb.256:                              ;   in Loop: Header=BB4_7 Depth=1
	v_sub_co_u32 v6, vcc_lo, v6, s8
	s_wait_alu 0xfffd
	v_subrev_co_ci_u32_e64 v7, null, s9, v7, vcc_lo
; %bb.257:                              ;   in Loop: Header=BB4_7 Depth=1
	s_wait_alu 0xfffe
	s_or_b32 exec_lo, exec_lo, s10
	v_mov_b32_e32 v4, v6
	s_delay_alu instid0(VALU_DEP_2)
	v_dual_mov_b32 v2, 8 :: v_dual_mov_b32 v5, v7
.LBB4_258:                              ;   in Loop: Header=BB4_7 Depth=1
	s_wait_alu 0xfffe
	s_or_b32 exec_lo, exec_lo, s7
	s_delay_alu instid0(VALU_DEP_1)
	v_dual_mov_b32 v7, v5 :: v_dual_mov_b32 v6, v4
	s_mov_b32 s10, exec_lo
.LBB4_259:                              ;   in Loop: Header=BB4_7 Depth=1
	s_wait_alu 0xfffe
	s_or_b32 exec_lo, exec_lo, s6
	s_delay_alu instid0(SALU_CYCLE_1)
	s_or_not1_b32 s6, s10, exec_lo
.LBB4_260:                              ;   in Loop: Header=BB4_7 Depth=1
	s_wait_alu 0xfffe
	s_or_b32 exec_lo, exec_lo, s15
	v_dual_mov_b32 v4, v6 :: v_dual_mov_b32 v5, v7
	s_and_not1_b32 s7, s58, exec_lo
	s_and_b32 s8, s61, exec_lo
	s_and_not1_b32 s9, s25, exec_lo
	s_and_b32 s10, s60, exec_lo
	s_wait_alu 0xfffe
	s_or_b32 s58, s7, s8
	s_or_b32 s25, s9, s10
	s_and_b32 s7, s6, exec_lo
.LBB4_261:                              ;   in Loop: Header=BB4_7 Depth=1
	s_wait_alu 0xfffe
	s_or_b32 exec_lo, exec_lo, s14
	s_delay_alu instid0(SALU_CYCLE_1)
	s_or_not1_b32 s6, s7, exec_lo
.LBB4_262:                              ;   in Loop: Header=BB4_7 Depth=1
	s_wait_alu 0xfffe
	s_or_b32 exec_lo, exec_lo, s24
	v_dual_mov_b32 v9, v5 :: v_dual_mov_b32 v8, v4
	s_and_not1_b32 s7, s22, exec_lo
	s_and_b32 s8, s58, exec_lo
	s_and_not1_b32 s9, s21, exec_lo
	s_and_b32 s10, s25, exec_lo
	s_wait_alu 0xfffe
	s_or_b32 s22, s7, s8
	s_or_b32 s21, s9, s10
	s_and_b32 s7, s6, exec_lo
.LBB4_263:                              ;   in Loop: Header=BB4_7 Depth=1
	s_or_b32 exec_lo, exec_lo, s23
	s_wait_alu 0xfffe
	s_or_not1_b32 s6, s7, exec_lo
.LBB4_264:                              ;   in Loop: Header=BB4_7 Depth=1
	s_or_b32 exec_lo, exec_lo, s19
	s_mov_b32 s7, 0
	s_wait_alu 0xfffe
	s_and_saveexec_b32 s8, s6
	s_wait_alu 0xfffe
	s_xor_b32 s6, exec_lo, s8
	s_cbranch_execz .LBB4_5
; %bb.265:                              ;   in Loop: Header=BB4_7 Depth=1
	v_and_b32_e32 v2, 7, v2
	s_mov_b32 s8, -1
	s_mov_b32 s7, -1
	s_mov_b32 s9, exec_lo
	s_delay_alu instid0(VALU_DEP_1)
	v_cmpx_eq_u32_e32 0, v2
	s_cbranch_execz .LBB4_4
; %bb.266:                              ;   in Loop: Header=BB4_7 Depth=1
	s_xor_b32 s96, s96, 1
	s_add_co_i32 s10, s94, -2
	s_cmp_eq_u32 s94, 0
	s_wait_alu 0xfffe
	s_mov_b32 s94, s10
	s_cselect_b32 s8, -1, 0
	s_xor_b32 s7, exec_lo, -1
	s_wait_alu 0xfffe
	s_or_not1_b32 s8, s8, exec_lo
	s_branch .LBB4_4
.LBB4_267:                              ;   in Loop: Header=BB4_7 Depth=1
                                        ; implicit-def: $sgpr6_sgpr7
	s_branch .LBB4_220
.LBB4_268:                              ;   in Loop: Header=BB4_7 Depth=1
                                        ; implicit-def: $sgpr12_sgpr13
	s_branch .LBB4_236
.LBB4_269:
	s_or_b32 exec_lo, exec_lo, s95
	s_xor_b32 s5, s102, -1
	s_xor_b32 s1, s100, -1
	;; [unrolled: 1-line block ×3, first 2 shown]
	s_mov_b32 s3, 0
	s_and_saveexec_b32 s6, s1
	s_wait_alu 0xfffe
	s_xor_b32 s1, exec_lo, s6
	s_cbranch_execnz .LBB4_274
; %bb.270:
	s_and_not1_saveexec_b32 s0, s1
	s_cbranch_execnz .LBB4_296
.LBB4_271:
	s_wait_alu 0xfffe
	s_or_b32 exec_lo, exec_lo, s0
	s_and_saveexec_b32 s0, s3
.LBB4_272:
	; divergent unreachable
.LBB4_273:
	s_endpgm
.LBB4_274:
	s_and_saveexec_b32 s3, s5
	s_delay_alu instid0(SALU_CYCLE_1)
	s_xor_b32 s3, exec_lo, s3
	s_cbranch_execz .LBB4_294
; %bb.275:
	s_and_saveexec_b32 s5, s4
	s_wait_alu 0xfffe
	s_xor_b32 s4, exec_lo, s5
; %bb.276:
	v_mov_b32_e32 v42, v20
; %bb.277:
	s_wait_alu 0xfffe
	s_or_b32 exec_lo, exec_lo, s4
	s_and_saveexec_b32 s4, s2
; %bb.278:
	v_dual_mov_b32 v2, 0 :: v_dual_mov_b32 v3, s36
	ds_store_b32 v2, v3 offset:5140
; %bb.279:
	s_wait_alu 0xfffe
	s_or_b32 exec_lo, exec_lo, s4
	s_wait_loadcnt_dscnt 0x0
	s_barrier_signal -1
	s_barrier_wait -1
	global_inv scope:SCOPE_SE
	s_and_saveexec_b32 s4, s0
	s_cbranch_execz .LBB4_291
; %bb.280:
	v_mov_b32_e32 v2, 0
	v_and_b32_e32 v6, 0xff, v42
	s_mov_b32 s5, 0
                                        ; implicit-def: $sgpr6
                                        ; implicit-def: $sgpr7
                                        ; implicit-def: $sgpr8
	ds_load_b32 v4, v2 offset:5140
	s_wait_dscnt 0x0
	v_ashrrev_i32_e32 v5, 31, v4
	s_branch .LBB4_283
.LBB4_281:                              ;   in Loop: Header=BB4_283 Depth=1
	s_wait_alu 0xfffe
	s_or_b32 exec_lo, exec_lo, s11
	s_delay_alu instid0(SALU_CYCLE_1)
	s_and_not1_b32 s8, s8, exec_lo
	s_and_b32 s10, s10, exec_lo
	s_and_not1_b32 s7, s7, exec_lo
	s_and_b32 s0, s0, exec_lo
	s_wait_alu 0xfffe
	s_or_b32 s8, s8, s10
	s_or_b32 s7, s7, s0
.LBB4_282:                              ;   in Loop: Header=BB4_283 Depth=1
	s_wait_alu 0xfffe
	s_or_b32 exec_lo, exec_lo, s9
	s_delay_alu instid0(SALU_CYCLE_1)
	s_and_b32 s0, exec_lo, s7
	s_wait_alu 0xfffe
	s_or_b32 s5, s0, s5
	s_and_not1_b32 s0, s6, exec_lo
	s_and_b32 s6, s8, exec_lo
	s_wait_alu 0xfffe
	s_or_b32 s6, s0, s6
	s_and_not1_b32 exec_lo, exec_lo, s5
	s_cbranch_execz .LBB4_286
.LBB4_283:                              ; =>This Inner Loop Header: Depth=1
	v_dual_mov_b32 v3, v1 :: v_dual_mov_b32 v2, v0
	s_or_b32 s8, s8, exec_lo
	s_or_b32 s7, s7, exec_lo
	s_mov_b32 s9, exec_lo
                                        ; implicit-def: $vgpr0_vgpr1
	s_delay_alu instid0(VALU_DEP_1)
	v_cmpx_lt_i64_e64 v[2:3], v[4:5]
	s_cbranch_execz .LBB4_282
; %bb.284:                              ;   in Loop: Header=BB4_283 Depth=1
	global_load_u8 v0, v[12:13], off
	s_mov_b32 s0, -1
	s_mov_b32 s10, 0
	s_wait_loadcnt 0x0
	v_cmp_ne_u16_e32 vcc_lo, v0, v6
                                        ; implicit-def: $vgpr0_vgpr1
	s_and_saveexec_b32 s11, vcc_lo
	s_cbranch_execz .LBB4_281
; %bb.285:                              ;   in Loop: Header=BB4_283 Depth=1
	v_add_co_u32 v0, vcc_lo, v2, s44
	s_wait_alu 0xfffd
	v_add_co_ci_u32_e64 v1, null, 0, v3, vcc_lo
	v_add_co_u32 v12, s0, v12, s46
	s_wait_alu 0xf1fe
	v_add_co_ci_u32_e64 v13, null, s47, v13, s0
	s_delay_alu instid0(VALU_DEP_3)
	v_cmp_le_i64_e32 vcc_lo, s[36:37], v[0:1]
	s_mov_b32 s10, exec_lo
	s_or_not1_b32 s0, vcc_lo, exec_lo
	s_branch .LBB4_281
.LBB4_286:
	s_or_b32 exec_lo, exec_lo, s5
	s_wait_alu 0xfffe
	s_xor_b32 s0, s6, -1
	s_wait_alu 0xfffe
	s_and_saveexec_b32 s5, s0
	s_wait_alu 0xfffe
	s_xor_b32 s5, exec_lo, s5
	s_cbranch_execz .LBB4_291
; %bb.287:
	s_mov_b32 s5, exec_lo
	s_brev_b32 s0, -2
.LBB4_288:                              ; =>This Inner Loop Header: Depth=1
	s_wait_alu 0xfffe
	s_ctz_i32_b32 s6, s5
	s_wait_alu 0xfffe
	v_readlane_b32 s7, v2, s6
	s_lshl_b32 s6, 1, s6
	s_wait_alu 0xfffe
	s_and_not1_b32 s5, s5, s6
	s_min_i32 s0, s0, s7
	s_wait_alu 0xfffe
	s_cmp_lg_u32 s5, 0
	s_cbranch_scc1 .LBB4_288
; %bb.289:
	v_mbcnt_lo_u32_b32 v0, exec_lo, 0
	s_mov_b32 s5, exec_lo
	s_delay_alu instid0(VALU_DEP_1)
	v_cmpx_eq_u32_e32 0, v0
	s_wait_alu 0xfffe
	s_xor_b32 s5, exec_lo, s5
; %bb.290:
	v_dual_mov_b32 v0, 0 :: v_dual_mov_b32 v1, s0
	ds_min_i32 v0, v1 offset:5140
.LBB4_291:
	s_wait_alu 0xfffe
	s_or_b32 exec_lo, exec_lo, s4
	s_wait_loadcnt_dscnt 0x0
	s_barrier_signal -1
	s_barrier_wait -1
	global_inv scope:SCOPE_SE
	s_and_saveexec_b32 s0, s2
	s_cbranch_execz .LBB4_293
; %bb.292:
	v_mov_b32_e32 v2, 0
	s_mul_u64 s[4:5], s[40:41], s[26:27]
	s_mul_u64 s[6:7], s[34:35], s[26:27]
	s_wait_alu 0xfffe
	s_lshl_b64 s[4:5], s[4:5], 3
	s_add_nc_u64 s[6:7], s[30:31], s[6:7]
	ds_load_b32 v0, v2 offset:5140
	s_wait_alu 0xfffe
	s_add_nc_u64 s[4:5], s[28:29], s[4:5]
	s_wait_dscnt 0x0
	v_ashrrev_i32_e32 v1, 31, v0
	s_clause 0x1
	global_store_b64 v2, v[0:1], s[4:5]
	global_store_b8 v2, v42, s[6:7]
.LBB4_293:
	s_wait_alu 0xfffe
	s_or_b32 exec_lo, exec_lo, s0
.LBB4_294:
	s_or_saveexec_b32 s0, s3
	s_mov_b32 s2, 0
	s_wait_alu 0xfffe
	s_xor_b32 exec_lo, exec_lo, s0
	s_cbranch_execnz .LBB4_297
.LBB4_295:
	s_or_b32 exec_lo, exec_lo, s0
	s_delay_alu instid0(SALU_CYCLE_1)
	s_and_b32 s3, s2, exec_lo
	s_and_not1_saveexec_b32 s0, s1
	s_cbranch_execz .LBB4_271
.LBB4_296:
	s_or_b32 s3, s3, exec_lo
	s_trap 2
	s_wait_alu 0xfffe
	s_or_b32 exec_lo, exec_lo, s0
	s_and_saveexec_b32 s0, s3
	s_cbranch_execnz .LBB4_272
	s_branch .LBB4_273
.LBB4_297:
	s_mov_b32 s2, exec_lo
	s_trap 2
	s_branch .LBB4_295
	.section	.rodata,"a",@progbits
	.p2align	6, 0x0
	.amdhsa_kernel _ZN2at6native12_GLOBAL__N_114gatherKthValueIhlLi1EEEvNS_4cuda6detail10TensorInfoIKT_T0_EES8_S8_S8_S8_NS5_IS6_S8_EENS5_IlS8_EE
		.amdhsa_group_segment_fixed_size 5144
		.amdhsa_private_segment_fixed_size 0
		.amdhsa_kernarg_size 1536
		.amdhsa_user_sgpr_count 2
		.amdhsa_user_sgpr_dispatch_ptr 0
		.amdhsa_user_sgpr_queue_ptr 0
		.amdhsa_user_sgpr_kernarg_segment_ptr 1
		.amdhsa_user_sgpr_dispatch_id 0
		.amdhsa_user_sgpr_private_segment_size 0
		.amdhsa_wavefront_size32 1
		.amdhsa_uses_dynamic_stack 0
		.amdhsa_enable_private_segment 0
		.amdhsa_system_sgpr_workgroup_id_x 1
		.amdhsa_system_sgpr_workgroup_id_y 1
		.amdhsa_system_sgpr_workgroup_id_z 1
		.amdhsa_system_sgpr_workgroup_info 0
		.amdhsa_system_vgpr_workitem_id 0
		.amdhsa_next_free_vgpr 59
		.amdhsa_next_free_sgpr 103
		.amdhsa_reserve_vcc 1
		.amdhsa_float_round_mode_32 0
		.amdhsa_float_round_mode_16_64 0
		.amdhsa_float_denorm_mode_32 3
		.amdhsa_float_denorm_mode_16_64 3
		.amdhsa_fp16_overflow 0
		.amdhsa_workgroup_processor_mode 1
		.amdhsa_memory_ordered 1
		.amdhsa_forward_progress 1
		.amdhsa_inst_pref_size 151
		.amdhsa_round_robin_scheduling 0
		.amdhsa_exception_fp_ieee_invalid_op 0
		.amdhsa_exception_fp_denorm_src 0
		.amdhsa_exception_fp_ieee_div_zero 0
		.amdhsa_exception_fp_ieee_overflow 0
		.amdhsa_exception_fp_ieee_underflow 0
		.amdhsa_exception_fp_ieee_inexact 0
		.amdhsa_exception_int_div_zero 0
	.end_amdhsa_kernel
	.section	.text._ZN2at6native12_GLOBAL__N_114gatherKthValueIhlLi1EEEvNS_4cuda6detail10TensorInfoIKT_T0_EES8_S8_S8_S8_NS5_IS6_S8_EENS5_IlS8_EE,"axG",@progbits,_ZN2at6native12_GLOBAL__N_114gatherKthValueIhlLi1EEEvNS_4cuda6detail10TensorInfoIKT_T0_EES8_S8_S8_S8_NS5_IS6_S8_EENS5_IlS8_EE,comdat
.Lfunc_end4:
	.size	_ZN2at6native12_GLOBAL__N_114gatherKthValueIhlLi1EEEvNS_4cuda6detail10TensorInfoIKT_T0_EES8_S8_S8_S8_NS5_IS6_S8_EENS5_IlS8_EE, .Lfunc_end4-_ZN2at6native12_GLOBAL__N_114gatherKthValueIhlLi1EEEvNS_4cuda6detail10TensorInfoIKT_T0_EES8_S8_S8_S8_NS5_IS6_S8_EENS5_IlS8_EE
                                        ; -- End function
	.set _ZN2at6native12_GLOBAL__N_114gatherKthValueIhlLi1EEEvNS_4cuda6detail10TensorInfoIKT_T0_EES8_S8_S8_S8_NS5_IS6_S8_EENS5_IlS8_EE.num_vgpr, 59
	.set _ZN2at6native12_GLOBAL__N_114gatherKthValueIhlLi1EEEvNS_4cuda6detail10TensorInfoIKT_T0_EES8_S8_S8_S8_NS5_IS6_S8_EENS5_IlS8_EE.num_agpr, 0
	.set _ZN2at6native12_GLOBAL__N_114gatherKthValueIhlLi1EEEvNS_4cuda6detail10TensorInfoIKT_T0_EES8_S8_S8_S8_NS5_IS6_S8_EENS5_IlS8_EE.numbered_sgpr, 103
	.set _ZN2at6native12_GLOBAL__N_114gatherKthValueIhlLi1EEEvNS_4cuda6detail10TensorInfoIKT_T0_EES8_S8_S8_S8_NS5_IS6_S8_EENS5_IlS8_EE.num_named_barrier, 0
	.set _ZN2at6native12_GLOBAL__N_114gatherKthValueIhlLi1EEEvNS_4cuda6detail10TensorInfoIKT_T0_EES8_S8_S8_S8_NS5_IS6_S8_EENS5_IlS8_EE.private_seg_size, 0
	.set _ZN2at6native12_GLOBAL__N_114gatherKthValueIhlLi1EEEvNS_4cuda6detail10TensorInfoIKT_T0_EES8_S8_S8_S8_NS5_IS6_S8_EENS5_IlS8_EE.uses_vcc, 1
	.set _ZN2at6native12_GLOBAL__N_114gatherKthValueIhlLi1EEEvNS_4cuda6detail10TensorInfoIKT_T0_EES8_S8_S8_S8_NS5_IS6_S8_EENS5_IlS8_EE.uses_flat_scratch, 0
	.set _ZN2at6native12_GLOBAL__N_114gatherKthValueIhlLi1EEEvNS_4cuda6detail10TensorInfoIKT_T0_EES8_S8_S8_S8_NS5_IS6_S8_EENS5_IlS8_EE.has_dyn_sized_stack, 0
	.set _ZN2at6native12_GLOBAL__N_114gatherKthValueIhlLi1EEEvNS_4cuda6detail10TensorInfoIKT_T0_EES8_S8_S8_S8_NS5_IS6_S8_EENS5_IlS8_EE.has_recursion, 0
	.set _ZN2at6native12_GLOBAL__N_114gatherKthValueIhlLi1EEEvNS_4cuda6detail10TensorInfoIKT_T0_EES8_S8_S8_S8_NS5_IS6_S8_EENS5_IlS8_EE.has_indirect_call, 0
	.section	.AMDGPU.csdata,"",@progbits
; Kernel info:
; codeLenInByte = 19304
; TotalNumSgprs: 105
; NumVgprs: 59
; ScratchSize: 0
; MemoryBound: 0
; FloatMode: 240
; IeeeMode: 1
; LDSByteSize: 5144 bytes/workgroup (compile time only)
; SGPRBlocks: 0
; VGPRBlocks: 7
; NumSGPRsForWavesPerEU: 105
; NumVGPRsForWavesPerEU: 59
; Occupancy: 16
; WaveLimiterHint : 1
; COMPUTE_PGM_RSRC2:SCRATCH_EN: 0
; COMPUTE_PGM_RSRC2:USER_SGPR: 2
; COMPUTE_PGM_RSRC2:TRAP_HANDLER: 0
; COMPUTE_PGM_RSRC2:TGID_X_EN: 1
; COMPUTE_PGM_RSRC2:TGID_Y_EN: 1
; COMPUTE_PGM_RSRC2:TGID_Z_EN: 1
; COMPUTE_PGM_RSRC2:TIDIG_COMP_CNT: 0
	.section	.text._ZN2at6native12_GLOBAL__N_114gatherKthValueIhlLi2EEEvNS_4cuda6detail10TensorInfoIKT_T0_EES8_S8_S8_S8_NS5_IS6_S8_EENS5_IlS8_EE,"axG",@progbits,_ZN2at6native12_GLOBAL__N_114gatherKthValueIhlLi2EEEvNS_4cuda6detail10TensorInfoIKT_T0_EES8_S8_S8_S8_NS5_IS6_S8_EENS5_IlS8_EE,comdat
	.globl	_ZN2at6native12_GLOBAL__N_114gatherKthValueIhlLi2EEEvNS_4cuda6detail10TensorInfoIKT_T0_EES8_S8_S8_S8_NS5_IS6_S8_EENS5_IlS8_EE ; -- Begin function _ZN2at6native12_GLOBAL__N_114gatherKthValueIhlLi2EEEvNS_4cuda6detail10TensorInfoIKT_T0_EES8_S8_S8_S8_NS5_IS6_S8_EENS5_IlS8_EE
	.p2align	8
	.type	_ZN2at6native12_GLOBAL__N_114gatherKthValueIhlLi2EEEvNS_4cuda6detail10TensorInfoIKT_T0_EES8_S8_S8_S8_NS5_IS6_S8_EENS5_IlS8_EE,@function
_ZN2at6native12_GLOBAL__N_114gatherKthValueIhlLi2EEEvNS_4cuda6detail10TensorInfoIKT_T0_EES8_S8_S8_S8_NS5_IS6_S8_EENS5_IlS8_EE: ; @_ZN2at6native12_GLOBAL__N_114gatherKthValueIhlLi2EEEvNS_4cuda6detail10TensorInfoIKT_T0_EES8_S8_S8_S8_NS5_IS6_S8_EENS5_IlS8_EE
; %bb.0:
	s_clause 0x1
	s_load_b64 s[8:9], s[0:1], 0x500
	s_load_b256 s[36:43], s[0:1], 0x1a0
	s_lshr_b32 s2, ttmp7, 16
	s_and_b32 s3, ttmp7, 0xffff
	s_mov_b32 s27, 0
	s_wait_kmcnt 0x0
	s_mul_i32 s2, s9, s2
	s_delay_alu instid0(SALU_CYCLE_1) | instskip(NEXT) | instid1(SALU_CYCLE_1)
	s_add_co_i32 s2, s2, s3
	s_mul_i32 s2, s2, s8
	s_delay_alu instid0(SALU_CYCLE_1) | instskip(NEXT) | instid1(SALU_CYCLE_1)
	s_add_co_i32 s26, s2, ttmp9
	v_cmp_le_i64_e64 s2, s[40:41], s[26:27]
	s_and_b32 vcc_lo, exec_lo, s2
	s_cbranch_vccnz .LBB5_282
; %bb.1:
	s_clause 0x1
	s_load_b64 s[10:11], s[0:1], 0x10
	s_load_b64 s[34:35], s[0:1], 0x1d0
	s_mov_b32 s2, s27
	s_wait_kmcnt 0x0
	s_mov_b32 s3, s11
	s_delay_alu instid0(SALU_CYCLE_1)
	s_cmp_lg_u64 s[2:3], 0
	s_add_nc_u64 s[2:3], s[26:27], 0
	s_cbranch_scc0 .LBB5_295
; %bb.2:
	s_ashr_i32 s4, s11, 31
	s_mov_b32 s15, 0
	s_mov_b32 s5, s4
	s_delay_alu instid0(SALU_CYCLE_1) | instskip(NEXT) | instid1(SALU_CYCLE_1)
	s_add_nc_u64 s[6:7], s[10:11], s[4:5]
	s_xor_b64 s[6:7], s[6:7], s[4:5]
	s_delay_alu instid0(SALU_CYCLE_1) | instskip(SKIP_2) | instid1(SALU_CYCLE_2)
	s_cvt_f32_u32 s9, s6
	s_cvt_f32_u32 s12, s7
	s_sub_nc_u64 s[16:17], 0, s[6:7]
	s_fmamk_f32 s9, s12, 0x4f800000, s9
	s_delay_alu instid0(SALU_CYCLE_3) | instskip(NEXT) | instid1(TRANS32_DEP_1)
	v_s_rcp_f32 s9, s9
	s_mul_f32 s9, s9, 0x5f7ffffc
	s_wait_alu 0xfffe
	s_delay_alu instid0(SALU_CYCLE_2) | instskip(NEXT) | instid1(SALU_CYCLE_3)
	s_mul_f32 s12, s9, 0x2f800000
	s_trunc_f32 s12, s12
	s_delay_alu instid0(SALU_CYCLE_3) | instskip(SKIP_2) | instid1(SALU_CYCLE_1)
	s_fmamk_f32 s9, s12, 0xcf800000, s9
	s_cvt_u32_f32 s13, s12
	s_wait_alu 0xfffe
	s_cvt_u32_f32 s12, s9
	s_delay_alu instid0(SALU_CYCLE_3) | instskip(NEXT) | instid1(SALU_CYCLE_1)
	s_mul_u64 s[18:19], s[16:17], s[12:13]
	s_mul_hi_u32 s21, s12, s19
	s_mul_i32 s20, s12, s19
	s_mul_hi_u32 s14, s12, s18
	s_mul_i32 s22, s13, s18
	s_add_nc_u64 s[20:21], s[14:15], s[20:21]
	s_mul_hi_u32 s9, s13, s18
	s_mul_hi_u32 s23, s13, s19
	s_add_co_u32 s14, s20, s22
	s_wait_alu 0xfffe
	s_add_co_ci_u32 s14, s21, s9
	s_mul_i32 s18, s13, s19
	s_add_co_ci_u32 s19, s23, 0
	s_delay_alu instid0(SALU_CYCLE_1) | instskip(NEXT) | instid1(SALU_CYCLE_1)
	s_add_nc_u64 s[18:19], s[14:15], s[18:19]
	s_add_co_u32 s12, s12, s18
	s_cselect_b32 s9, -1, 0
	s_wait_alu 0xfffe
	s_cmp_lg_u32 s9, 0
	s_add_co_ci_u32 s13, s13, s19
	s_delay_alu instid0(SALU_CYCLE_1) | instskip(NEXT) | instid1(SALU_CYCLE_1)
	s_mul_u64 s[16:17], s[16:17], s[12:13]
	s_mul_hi_u32 s19, s12, s17
	s_mul_i32 s18, s12, s17
	s_mul_hi_u32 s14, s12, s16
	s_mul_i32 s20, s13, s16
	s_add_nc_u64 s[18:19], s[14:15], s[18:19]
	s_mul_hi_u32 s9, s13, s16
	s_mul_hi_u32 s21, s13, s17
	s_add_co_u32 s14, s18, s20
	s_wait_alu 0xfffe
	s_add_co_ci_u32 s14, s19, s9
	s_mul_i32 s16, s13, s17
	s_add_co_ci_u32 s17, s21, 0
	s_delay_alu instid0(SALU_CYCLE_1) | instskip(NEXT) | instid1(SALU_CYCLE_1)
	s_add_nc_u64 s[16:17], s[14:15], s[16:17]
	s_add_co_u32 s9, s12, s16
	s_cselect_b32 s12, -1, 0
	s_delay_alu instid0(SALU_CYCLE_1) | instskip(SKIP_2) | instid1(SALU_CYCLE_1)
	s_cmp_lg_u32 s12, 0
	s_add_co_ci_u32 s18, s13, s17
	s_xor_b64 s[12:13], s[2:3], 0
	s_mul_hi_u32 s17, s12, s18
	s_mul_i32 s16, s12, s18
	s_wait_alu 0xfffe
	s_mul_hi_u32 s14, s12, s9
	s_mul_hi_u32 s20, s13, s9
	s_mul_i32 s9, s13, s9
	s_add_nc_u64 s[16:17], s[14:15], s[16:17]
	s_mul_hi_u32 s19, s13, s18
	s_wait_alu 0xfffe
	s_add_co_u32 s9, s16, s9
	s_add_co_ci_u32 s14, s17, s20
	s_mul_i32 s18, s13, s18
	s_add_co_ci_u32 s19, s19, 0
	s_delay_alu instid0(SALU_CYCLE_1) | instskip(NEXT) | instid1(SALU_CYCLE_1)
	s_add_nc_u64 s[16:17], s[14:15], s[18:19]
	s_mul_u64 s[18:19], s[6:7], s[16:17]
	s_delay_alu instid0(SALU_CYCLE_1)
	s_sub_co_u32 s9, s12, s18
	s_cselect_b32 s12, -1, 0
	s_sub_co_i32 s14, s13, s19
	s_cmp_lg_u32 s12, 0
	s_sub_co_ci_u32 s14, s14, s7
	s_wait_alu 0xfffe
	s_sub_co_u32 s18, s9, s6
	s_cselect_b32 s20, -1, 0
	s_delay_alu instid0(SALU_CYCLE_1) | instskip(SKIP_2) | instid1(SALU_CYCLE_1)
	s_cmp_lg_u32 s20, 0
	s_add_nc_u64 s[20:21], s[16:17], 1
	s_sub_co_ci_u32 s14, s14, 0
	s_cmp_ge_u32 s14, s7
	s_cselect_b32 s22, -1, 0
	s_cmp_ge_u32 s18, s6
	s_cselect_b32 s18, -1, 0
	s_cmp_eq_u32 s14, s7
	s_cselect_b32 s14, s18, s22
	s_add_nc_u64 s[22:23], s[16:17], 2
	s_cmp_lg_u32 s14, 0
	s_cselect_b32 s14, s22, s20
	s_cselect_b32 s18, s23, s21
	s_cmp_lg_u32 s12, 0
	s_sub_co_ci_u32 s12, s13, s19
	s_delay_alu instid0(SALU_CYCLE_1)
	s_cmp_ge_u32 s12, s7
	s_cselect_b32 s13, -1, 0
	s_cmp_ge_u32 s9, s6
	s_cselect_b32 s6, -1, 0
	s_cmp_eq_u32 s12, s7
	s_cselect_b32 s6, s6, s13
	s_delay_alu instid0(SALU_CYCLE_1) | instskip(SKIP_3) | instid1(SALU_CYCLE_1)
	s_cmp_lg_u32 s6, 0
	s_cselect_b32 s7, s18, s17
	s_cselect_b32 s6, s14, s16
	s_xor_b64 s[4:5], 0, s[4:5]
	s_xor_b64 s[6:7], s[6:7], s[4:5]
	s_delay_alu instid0(SALU_CYCLE_1)
	s_sub_nc_u64 s[12:13], s[6:7], s[4:5]
	s_cbranch_execnz .LBB5_4
.LBB5_3:
	v_cvt_f32_u32_e32 v1, s10
	s_sub_co_i32 s5, 0, s10
	s_mov_b32 s13, 0
	s_delay_alu instid0(VALU_DEP_1) | instskip(NEXT) | instid1(TRANS32_DEP_1)
	v_rcp_iflag_f32_e32 v1, v1
	v_mul_f32_e32 v1, 0x4f7ffffe, v1
	s_delay_alu instid0(VALU_DEP_1) | instskip(NEXT) | instid1(VALU_DEP_1)
	v_cvt_u32_f32_e32 v1, v1
	v_readfirstlane_b32 s4, v1
	s_mul_i32 s5, s5, s4
	s_delay_alu instid0(SALU_CYCLE_1) | instskip(NEXT) | instid1(SALU_CYCLE_1)
	s_mul_hi_u32 s5, s4, s5
	s_add_co_i32 s4, s4, s5
	s_delay_alu instid0(SALU_CYCLE_1) | instskip(NEXT) | instid1(SALU_CYCLE_1)
	s_mul_hi_u32 s4, s26, s4
	s_mul_i32 s5, s4, s10
	s_add_co_i32 s6, s4, 1
	s_sub_co_i32 s5, s26, s5
	s_delay_alu instid0(SALU_CYCLE_1)
	s_sub_co_i32 s7, s5, s10
	s_cmp_ge_u32 s5, s10
	s_cselect_b32 s4, s6, s4
	s_cselect_b32 s5, s7, s5
	s_add_co_i32 s6, s4, 1
	s_cmp_ge_u32 s5, s10
	s_cselect_b32 s12, s6, s4
.LBB5_4:
	s_load_b64 s[40:41], s[0:1], 0x370
	s_mov_b32 s4, 0
	s_mov_b32 s5, s35
	s_delay_alu instid0(SALU_CYCLE_1)
	s_cmp_lg_u64 s[4:5], 0
	s_cbranch_scc0 .LBB5_296
; %bb.5:
	s_ashr_i32 s6, s35, 31
	s_mov_b32 s21, s4
	s_mov_b32 s7, s6
	;; [unrolled: 1-line block ×3, first 2 shown]
	s_add_nc_u64 s[14:15], s[34:35], s[6:7]
	s_delay_alu instid0(SALU_CYCLE_1) | instskip(NEXT) | instid1(SALU_CYCLE_1)
	s_xor_b64 s[14:15], s[14:15], s[6:7]
	s_cvt_f32_u32 s5, s14
	s_cvt_f32_u32 s9, s15
	s_sub_nc_u64 s[18:19], 0, s[14:15]
	s_wait_alu 0xfffe
	s_delay_alu instid0(SALU_CYCLE_1) | instskip(NEXT) | instid1(SALU_CYCLE_3)
	s_fmamk_f32 s5, s9, 0x4f800000, s5
	v_s_rcp_f32 s5, s5
	s_delay_alu instid0(TRANS32_DEP_1) | instskip(SKIP_1) | instid1(SALU_CYCLE_2)
	s_mul_f32 s5, s5, 0x5f7ffffc
	s_wait_alu 0xfffe
	s_mul_f32 s9, s5, 0x2f800000
	s_wait_alu 0xfffe
	s_delay_alu instid0(SALU_CYCLE_2) | instskip(SKIP_1) | instid1(SALU_CYCLE_2)
	s_trunc_f32 s9, s9
	s_wait_alu 0xfffe
	s_fmamk_f32 s5, s9, 0xcf800000, s5
	s_cvt_u32_f32 s17, s9
	s_wait_alu 0xfffe
	s_delay_alu instid0(SALU_CYCLE_1) | instskip(NEXT) | instid1(SALU_CYCLE_3)
	s_cvt_u32_f32 s16, s5
	s_mul_u64 s[22:23], s[18:19], s[16:17]
	s_delay_alu instid0(SALU_CYCLE_1)
	s_mul_hi_u32 s29, s16, s23
	s_mul_i32 s28, s16, s23
	s_mul_hi_u32 s20, s16, s22
	s_mul_i32 s9, s17, s22
	s_add_nc_u64 s[20:21], s[20:21], s[28:29]
	s_mul_hi_u32 s5, s17, s22
	s_mul_hi_u32 s30, s17, s23
	s_wait_alu 0xfffe
	s_add_co_u32 s9, s20, s9
	s_add_co_ci_u32 s24, s21, s5
	s_mul_i32 s22, s17, s23
	s_add_co_ci_u32 s23, s30, 0
	s_delay_alu instid0(SALU_CYCLE_1)
	s_add_nc_u64 s[20:21], s[24:25], s[22:23]
	s_mov_b32 s23, s4
	s_add_co_u32 s16, s16, s20
	s_cselect_b32 s5, -1, 0
	s_wait_alu 0xfffe
	s_cmp_lg_u32 s5, 0
	s_add_co_ci_u32 s17, s17, s21
	s_mov_b32 s21, s4
	s_mul_u64 s[18:19], s[18:19], s[16:17]
	s_delay_alu instid0(SALU_CYCLE_1)
	s_mul_hi_u32 s25, s16, s19
	s_mul_i32 s24, s16, s19
	s_mul_hi_u32 s20, s16, s18
	s_mul_i32 s9, s17, s18
	s_add_nc_u64 s[20:21], s[20:21], s[24:25]
	s_mul_hi_u32 s5, s17, s18
	s_mul_hi_u32 s28, s17, s19
	s_wait_alu 0xfffe
	s_add_co_u32 s9, s20, s9
	s_add_co_ci_u32 s22, s21, s5
	s_mul_i32 s18, s17, s19
	s_add_co_ci_u32 s19, s28, 0
	s_mov_b32 s21, s4
	s_add_nc_u64 s[18:19], s[22:23], s[18:19]
	s_delay_alu instid0(SALU_CYCLE_1)
	s_add_co_u32 s5, s16, s18
	s_cselect_b32 s9, -1, 0
	s_wait_alu 0xfffe
	s_cmp_lg_u32 s9, 0
	s_add_co_ci_u32 s9, s17, s19
	s_xor_b64 s[16:17], s[2:3], 0
	s_mov_b32 s19, s4
	s_wait_alu 0xfffe
	s_mul_hi_u32 s23, s16, s9
	s_mul_i32 s22, s16, s9
	s_mul_hi_u32 s20, s16, s5
	s_mul_hi_u32 s18, s17, s5
	s_mul_i32 s5, s17, s5
	s_add_nc_u64 s[20:21], s[20:21], s[22:23]
	s_mul_hi_u32 s24, s17, s9
	s_wait_alu 0xfffe
	s_add_co_u32 s5, s20, s5
	s_add_co_ci_u32 s18, s21, s18
	s_mul_i32 s22, s17, s9
	s_add_co_ci_u32 s23, s24, 0
	s_delay_alu instid0(SALU_CYCLE_1) | instskip(NEXT) | instid1(SALU_CYCLE_1)
	s_add_nc_u64 s[18:19], s[18:19], s[22:23]
	s_mul_u64 s[20:21], s[14:15], s[18:19]
	s_delay_alu instid0(SALU_CYCLE_1)
	s_sub_co_u32 s5, s16, s20
	s_cselect_b32 s9, -1, 0
	s_sub_co_i32 s16, s17, s21
	s_wait_alu 0xfffe
	s_cmp_lg_u32 s9, 0
	s_sub_co_ci_u32 s16, s16, s15
	s_sub_co_u32 s20, s5, s14
	s_cselect_b32 s22, -1, 0
	s_delay_alu instid0(SALU_CYCLE_1) | instskip(SKIP_2) | instid1(SALU_CYCLE_1)
	s_cmp_lg_u32 s22, 0
	s_add_nc_u64 s[22:23], s[18:19], 1
	s_sub_co_ci_u32 s16, s16, 0
	s_cmp_ge_u32 s16, s15
	s_cselect_b32 s24, -1, 0
	s_cmp_ge_u32 s20, s14
	s_cselect_b32 s20, -1, 0
	s_cmp_eq_u32 s16, s15
	s_cselect_b32 s16, s20, s24
	s_add_nc_u64 s[24:25], s[18:19], 2
	s_cmp_lg_u32 s16, 0
	s_cselect_b32 s16, s24, s22
	s_cselect_b32 s20, s25, s23
	s_cmp_lg_u32 s9, 0
	s_sub_co_ci_u32 s9, s17, s21
	s_wait_alu 0xfffe
	s_cmp_ge_u32 s9, s15
	s_cselect_b32 s17, -1, 0
	s_cmp_ge_u32 s5, s14
	s_cselect_b32 s5, -1, 0
	s_cmp_eq_u32 s9, s15
	s_wait_alu 0xfffe
	s_cselect_b32 s5, s5, s17
	s_wait_alu 0xfffe
	s_cmp_lg_u32 s5, 0
	s_cselect_b32 s15, s20, s19
	s_cselect_b32 s14, s16, s18
	s_xor_b64 s[6:7], 0, s[6:7]
	s_delay_alu instid0(SALU_CYCLE_1) | instskip(NEXT) | instid1(SALU_CYCLE_1)
	s_xor_b64 s[14:15], s[14:15], s[6:7]
	s_sub_nc_u64 s[48:49], s[14:15], s[6:7]
	s_and_not1_b32 vcc_lo, exec_lo, s4
	s_cbranch_vccnz .LBB5_7
.LBB5_6:
	v_cvt_f32_u32_e32 v1, s34
	s_sub_co_i32 s5, 0, s34
	s_mov_b32 s49, 0
	s_delay_alu instid0(VALU_DEP_1) | instskip(NEXT) | instid1(TRANS32_DEP_1)
	v_rcp_iflag_f32_e32 v1, v1
	v_mul_f32_e32 v1, 0x4f7ffffe, v1
	s_delay_alu instid0(VALU_DEP_1) | instskip(NEXT) | instid1(VALU_DEP_1)
	v_cvt_u32_f32_e32 v1, v1
	v_readfirstlane_b32 s4, v1
	s_wait_alu 0xfffe
	s_mul_i32 s5, s5, s4
	s_wait_alu 0xfffe
	s_mul_hi_u32 s5, s4, s5
	s_wait_alu 0xfffe
	s_add_co_i32 s4, s4, s5
	s_wait_alu 0xfffe
	s_mul_hi_u32 s4, s26, s4
	s_wait_alu 0xfffe
	s_mul_i32 s5, s4, s34
	s_add_co_i32 s6, s4, 1
	s_wait_alu 0xfffe
	s_sub_co_i32 s5, s26, s5
	s_wait_alu 0xfffe
	s_sub_co_i32 s7, s5, s34
	s_cmp_ge_u32 s5, s34
	s_cselect_b32 s4, s6, s4
	s_cselect_b32 s5, s7, s5
	s_wait_alu 0xfffe
	s_add_co_i32 s6, s4, 1
	s_cmp_ge_u32 s5, s34
	s_cselect_b32 s48, s6, s4
.LBB5_7:
	s_mov_b32 s4, 0
	s_wait_kmcnt 0x0
	s_mov_b32 s5, s41
	s_wait_alu 0xfffe
	s_cmp_lg_u64 s[4:5], 0
	s_cbranch_scc0 .LBB5_297
; %bb.8:
	s_ashr_i32 s6, s41, 31
	s_mov_b32 s21, s4
	s_mov_b32 s7, s6
	;; [unrolled: 1-line block ×3, first 2 shown]
	s_add_nc_u64 s[14:15], s[40:41], s[6:7]
	s_delay_alu instid0(SALU_CYCLE_1) | instskip(NEXT) | instid1(SALU_CYCLE_1)
	s_xor_b64 s[14:15], s[14:15], s[6:7]
	s_cvt_f32_u32 s5, s14
	s_cvt_f32_u32 s9, s15
	s_sub_nc_u64 s[18:19], 0, s[14:15]
	s_wait_alu 0xfffe
	s_delay_alu instid0(SALU_CYCLE_1) | instskip(SKIP_1) | instid1(SALU_CYCLE_2)
	s_fmamk_f32 s5, s9, 0x4f800000, s5
	s_wait_alu 0xfffe
	v_s_rcp_f32 s5, s5
	s_delay_alu instid0(TRANS32_DEP_1) | instskip(SKIP_1) | instid1(SALU_CYCLE_2)
	s_mul_f32 s5, s5, 0x5f7ffffc
	s_wait_alu 0xfffe
	s_mul_f32 s9, s5, 0x2f800000
	s_wait_alu 0xfffe
	s_delay_alu instid0(SALU_CYCLE_2) | instskip(SKIP_1) | instid1(SALU_CYCLE_2)
	s_trunc_f32 s9, s9
	s_wait_alu 0xfffe
	s_fmamk_f32 s5, s9, 0xcf800000, s5
	s_cvt_u32_f32 s17, s9
	s_wait_alu 0xfffe
	s_delay_alu instid0(SALU_CYCLE_1) | instskip(NEXT) | instid1(SALU_CYCLE_3)
	s_cvt_u32_f32 s16, s5
	s_mul_u64 s[22:23], s[18:19], s[16:17]
	s_delay_alu instid0(SALU_CYCLE_1)
	s_mul_hi_u32 s29, s16, s23
	s_mul_i32 s28, s16, s23
	s_mul_hi_u32 s20, s16, s22
	s_mul_i32 s9, s17, s22
	s_add_nc_u64 s[20:21], s[20:21], s[28:29]
	s_mul_hi_u32 s5, s17, s22
	s_mul_hi_u32 s30, s17, s23
	s_wait_alu 0xfffe
	s_add_co_u32 s9, s20, s9
	s_add_co_ci_u32 s24, s21, s5
	s_mul_i32 s22, s17, s23
	s_add_co_ci_u32 s23, s30, 0
	s_delay_alu instid0(SALU_CYCLE_1)
	s_add_nc_u64 s[20:21], s[24:25], s[22:23]
	s_mov_b32 s23, s4
	s_add_co_u32 s16, s16, s20
	s_cselect_b32 s5, -1, 0
	s_wait_alu 0xfffe
	s_cmp_lg_u32 s5, 0
	s_add_co_ci_u32 s17, s17, s21
	s_mov_b32 s21, s4
	s_mul_u64 s[18:19], s[18:19], s[16:17]
	s_delay_alu instid0(SALU_CYCLE_1)
	s_mul_hi_u32 s25, s16, s19
	s_mul_i32 s24, s16, s19
	s_mul_hi_u32 s20, s16, s18
	s_mul_i32 s9, s17, s18
	s_add_nc_u64 s[20:21], s[20:21], s[24:25]
	s_mul_hi_u32 s5, s17, s18
	s_mul_hi_u32 s28, s17, s19
	s_wait_alu 0xfffe
	s_add_co_u32 s9, s20, s9
	s_add_co_ci_u32 s22, s21, s5
	s_mul_i32 s18, s17, s19
	s_add_co_ci_u32 s19, s28, 0
	s_mov_b32 s21, s4
	s_add_nc_u64 s[18:19], s[22:23], s[18:19]
	s_delay_alu instid0(SALU_CYCLE_1)
	s_add_co_u32 s5, s16, s18
	s_cselect_b32 s9, -1, 0
	s_wait_alu 0xfffe
	s_cmp_lg_u32 s9, 0
	s_add_co_ci_u32 s9, s17, s19
	s_xor_b64 s[2:3], s[2:3], 0
	s_mov_b32 s17, s4
	s_wait_alu 0xfffe
	s_mul_hi_u32 s19, s2, s9
	s_mul_i32 s18, s2, s9
	s_mul_hi_u32 s20, s2, s5
	s_mul_hi_u32 s16, s3, s5
	s_mul_i32 s5, s3, s5
	s_add_nc_u64 s[18:19], s[20:21], s[18:19]
	s_mul_hi_u32 s22, s3, s9
	s_wait_alu 0xfffe
	s_add_co_u32 s5, s18, s5
	s_add_co_ci_u32 s16, s19, s16
	s_mul_i32 s20, s3, s9
	s_add_co_ci_u32 s21, s22, 0
	s_delay_alu instid0(SALU_CYCLE_1) | instskip(NEXT) | instid1(SALU_CYCLE_1)
	s_add_nc_u64 s[16:17], s[16:17], s[20:21]
	s_mul_u64 s[18:19], s[14:15], s[16:17]
	s_delay_alu instid0(SALU_CYCLE_1)
	s_sub_co_u32 s2, s2, s18
	s_cselect_b32 s5, -1, 0
	s_sub_co_i32 s9, s3, s19
	s_wait_alu 0xfffe
	s_cmp_lg_u32 s5, 0
	s_sub_co_ci_u32 s9, s9, s15
	s_sub_co_u32 s18, s2, s14
	s_cselect_b32 s20, -1, 0
	s_delay_alu instid0(SALU_CYCLE_1)
	s_cmp_lg_u32 s20, 0
	s_add_nc_u64 s[20:21], s[16:17], 1
	s_wait_alu 0xfffe
	s_sub_co_ci_u32 s9, s9, 0
	s_wait_alu 0xfffe
	s_cmp_ge_u32 s9, s15
	s_cselect_b32 s22, -1, 0
	s_cmp_ge_u32 s18, s14
	s_cselect_b32 s18, -1, 0
	s_cmp_eq_u32 s9, s15
	s_cselect_b32 s9, s18, s22
	s_add_nc_u64 s[22:23], s[16:17], 2
	s_wait_alu 0xfffe
	s_cmp_lg_u32 s9, 0
	s_cselect_b32 s9, s22, s20
	s_cselect_b32 s18, s23, s21
	s_cmp_lg_u32 s5, 0
	s_sub_co_ci_u32 s3, s3, s19
	s_delay_alu instid0(SALU_CYCLE_1)
	s_cmp_ge_u32 s3, s15
	s_cselect_b32 s5, -1, 0
	s_cmp_ge_u32 s2, s14
	s_cselect_b32 s2, -1, 0
	s_cmp_eq_u32 s3, s15
	s_wait_alu 0xfffe
	s_cselect_b32 s2, s2, s5
	s_delay_alu instid0(SALU_CYCLE_1) | instskip(SKIP_3) | instid1(SALU_CYCLE_1)
	s_cmp_lg_u32 s2, 0
	s_cselect_b32 s3, s18, s17
	s_cselect_b32 s2, s9, s16
	s_xor_b64 s[6:7], 0, s[6:7]
	s_xor_b64 s[2:3], s[2:3], s[6:7]
	s_delay_alu instid0(SALU_CYCLE_1)
	s_sub_nc_u64 s[50:51], s[2:3], s[6:7]
	s_and_not1_b32 vcc_lo, exec_lo, s4
	s_cbranch_vccnz .LBB5_10
.LBB5_9:
	v_cvt_f32_u32_e32 v1, s40
	s_sub_co_i32 s3, 0, s40
	s_mov_b32 s51, 0
	s_delay_alu instid0(VALU_DEP_1) | instskip(NEXT) | instid1(TRANS32_DEP_1)
	v_rcp_iflag_f32_e32 v1, v1
	v_mul_f32_e32 v1, 0x4f7ffffe, v1
	s_delay_alu instid0(VALU_DEP_1) | instskip(NEXT) | instid1(VALU_DEP_1)
	v_cvt_u32_f32_e32 v1, v1
	v_readfirstlane_b32 s2, v1
	s_mul_i32 s3, s3, s2
	s_delay_alu instid0(SALU_CYCLE_1) | instskip(NEXT) | instid1(SALU_CYCLE_1)
	s_mul_hi_u32 s3, s2, s3
	s_add_co_i32 s2, s2, s3
	s_delay_alu instid0(SALU_CYCLE_1) | instskip(NEXT) | instid1(SALU_CYCLE_1)
	s_mul_hi_u32 s2, s26, s2
	s_mul_i32 s3, s2, s40
	s_add_co_i32 s4, s2, 1
	s_sub_co_i32 s3, s26, s3
	s_delay_alu instid0(SALU_CYCLE_1)
	s_sub_co_i32 s5, s3, s40
	s_cmp_ge_u32 s3, s40
	s_wait_alu 0xfffe
	s_cselect_b32 s2, s4, s2
	s_cselect_b32 s3, s5, s3
	s_add_co_i32 s4, s2, 1
	s_cmp_ge_u32 s3, s40
	s_wait_alu 0xfffe
	s_cselect_b32 s50, s4, s2
.LBB5_10:
	s_clause 0x1
	s_load_b128 s[4:7], s[0:1], 0xd0
	s_load_b64 s[16:17], s[0:1], 0x0
	v_cmp_eq_u32_e64 s2, 0, v0
	s_add_nc_u64 s[14:15], s[0:1], 0x500
	s_mov_b32 s59, 0
	s_and_saveexec_b32 s3, s2
	s_cbranch_execz .LBB5_12
; %bb.11:
	v_dual_mov_b32 v1, 0 :: v_dual_mov_b32 v4, s37
	s_delay_alu instid0(VALU_DEP_1)
	v_dual_mov_b32 v3, s36 :: v_dual_mov_b32 v2, v1
	ds_store_b32 v1, v1 offset:5136
	ds_store_b128 v1, v[1:4] offset:5120
.LBB5_12:
	s_or_b32 exec_lo, exec_lo, s3
	s_clause 0x3
	s_load_b128 s[20:23], s[0:1], 0x430
	s_load_b64 s[18:19], s[0:1], 0x360
	; meta instruction
	s_load_b128 s[44:47], s[0:1], 0x290
	s_load_b64 s[0:1], s[0:1], 0x1c0
	v_mad_co_u64_u32 v[4:5], null, s42, v0, 0
	v_mbcnt_lo_u32_b32 v34, -1, 0
	s_mul_u64 s[10:11], s[12:13], s[10:11]
	v_cmp_gt_u32_e32 vcc_lo, 32, v0
	v_dual_mov_b32 v3, 0 :: v_dual_lshlrev_b32 v16, 2, v0
	s_wait_dscnt 0x0
	s_delay_alu instid0(VALU_DEP_4)
	v_mov_b32_e32 v1, v5
	s_barrier_signal -1
	s_barrier_wait -1
	v_or_b32_e32 v9, 3, v16
	global_inv scope:SCOPE_SE
	v_mad_co_u64_u32 v[6:7], null, s43, v0, v[1:2]
	v_add_nc_u32_e32 v2, 2, v0
	v_lshlrev_b64_e64 v[7:8], v34, -1
	s_wait_kmcnt 0x0
	v_writelane_b32 v61, s20, 0
	s_load_b32 s9, s[14:15], 0xc
	v_mad_co_u64_u32 v[21:22], null, s42, v9, 0
	v_or_b32_e32 v11, 2, v16
	v_writelane_b32 v61, s21, 1
	v_not_b32_e32 v35, v7
	v_not_b32_e32 v7, v0
	v_mov_b32_e32 v5, v6
	v_mad_co_u64_u32 v[23:24], null, s42, v11, 0
	v_writelane_b32 v61, s22, 2
	v_mad_co_u64_u32 v[25:26], null, s42, v16, s[42:43]
	v_mov_b32_e32 v17, v3
	v_mul_lo_u32 v42, 0, s42
	v_writelane_b32 v61, s23, 3
	v_cmp_lt_i64_e64 s88, 0xc00, s[36:37]
	s_mov_b32 s57, s59
	v_cmp_gt_u32_e64 s3, 2, v0
	v_lshl_or_b32 v41, v34, 3, 0xc00
	v_writelane_b32 v61, s18, 4
	s_wait_kmcnt 0x0
	s_and_b32 s56, s9, 0xffff
	s_bfe_u32 s9, s9, 0xb0005
	s_add_nc_u64 s[64:65], s[56:57], -1
	s_mov_b32 s90, s42
	v_writelane_b32 v61, s19, 5
	s_add_nc_u64 s[66:67], s[64:65], s[36:37]
	s_mov_b32 s91, s43
	s_mov_b32 s92, s42
	;; [unrolled: 1-line block ×3, first 2 shown]
	v_writelane_b32 v61, s0, 6
	s_mov_b32 s94, s42
	s_mov_b32 s95, s43
	s_mov_b32 s96, s42
	s_mov_b32 s97, s43
	v_writelane_b32 v61, s1, 7
	s_sub_nc_u64 s[0:1], s[26:27], s[10:11]
	s_mul_u64 s[10:11], s[12:13], s[4:5]
	s_wait_alu 0xfffe
	s_mul_u64 s[6:7], s[0:1], s[6:7]
	v_cmp_gt_i32_e64 s0, 4, v34
	s_add_nc_u64 s[4:5], s[16:17], s[10:11]
	v_cmp_eq_u32_e64 s1, 0, v34
	s_wait_alu 0xfffe
	s_add_nc_u64 s[62:63], s[4:5], s[6:7]
	s_movk_i32 s4, 0x3e0
	s_and_b32 s33, vcc_lo, s0
	v_add_co_u32 v14, vcc_lo, s62, v4
	s_delay_alu instid0(VALU_DEP_1)
	v_add_co_ci_u32_e64 v15, null, s63, v6, vcc_lo
	v_cmp_gt_i64_e32 vcc_lo, s[36:37], v[2:3]
	s_wait_alu 0xfffe
	v_and_or_b32 v36, v0, s4, 0xc00
	s_cmp_gt_u32 s56, 31
	s_add_nc_u64 s[6:7], s[10:11], s[6:7]
	s_cselect_b32 s89, -1, 0
	s_cmp_lt_u32 ttmp9, s8
	s_wait_alu 0xfffd
	v_cndmask_b32_e64 v2, v2, s36, vcc_lo
	v_cndmask_b32_e64 v8, 0, s37, vcc_lo
	s_cselect_b32 s58, 12, 18
	s_add_co_i32 s8, s9, -1
	s_add_nc_u64 s[68:69], s[16:17], s[6:7]
	v_add_co_u32 v7, vcc_lo, v2, v7
	v_mov_b32_e32 v1, v3
	s_wait_alu 0xfffd
	v_add_co_ci_u32_e64 v8, null, -1, v8, vcc_lo
	s_delay_alu instid0(VALU_DEP_3)
	v_and_b32_e32 v18, -4, v7
	s_wait_alu 0xfffe
	s_and_b32 s8, s8, 0xffff
	s_bfe_u32 s98, s56, 0x30005
	v_cmp_lt_u64_e64 s4, 3, v[7:8]
	s_wait_alu 0xfffe
	s_cmp_gt_u32 s8, 6
	v_add_co_u32 v20, vcc_lo, v18, v0
	s_wait_alu 0xfffd
	v_add_co_ci_u32_e64 v2, null, 0, v8, vcc_lo
	v_mov_b32_e32 v2, v22
	v_add_co_u32 v39, s6, s36, v0
	v_mov_b32_e32 v28, s38
	v_add_co_u32 v12, vcc_lo, s68, v4
	s_delay_alu instid0(VALU_DEP_4)
	v_mad_co_u64_u32 v[9:10], null, s43, v9, v[2:3]
	v_mov_b32_e32 v19, v8
	v_cmp_gt_i64_e64 s0, s[36:37], v[0:1]
	s_cselect_b32 s99, -1, 0
	s_and_b32 s100, s9, 0x7f8
	v_add_co_ci_u32_e64 v40, null, s37, 0, s6
	v_cmp_ne_u64_e64 s5, v[7:8], v[18:19]
	v_dual_mov_b32 v7, v24 :: v_dual_mov_b32 v8, v26
	v_lshlrev_b64_e32 v[26:27], 2, v[4:5]
	v_mov_b32_e32 v24, v9
	s_wait_alu 0xfffd
	v_add_co_ci_u32_e64 v13, null, s69, v6, vcc_lo
	v_mad_co_u64_u32 v[10:11], null, s43, v11, v[7:8]
	v_mad_co_u64_u32 v[7:8], null, s43, v16, v[8:9]
	v_dual_mov_b32 v29, s39 :: v_dual_mov_b32 v44, 0
	v_dual_mov_b32 v22, 0 :: v_dual_mov_b32 v43, 0
	s_delay_alu instid0(VALU_DEP_4) | instskip(SKIP_1) | instid1(VALU_DEP_4)
	v_mov_b32_e32 v37, v10
	s_cmp_lg_u32 s98, 0
	v_mov_b32_e32 v38, v7
	s_mov_b32 s101, 6
	s_cselect_b32 s102, -1, 0
	s_lshl_b64 s[70:71], s[42:43], 2
	s_mul_u64 s[60:61], s[42:43], s[56:57]
	s_add_nc_u64 s[38:39], s[14:15], s[58:59]
	s_mov_b32 s103, 0
	s_mov_b32 s104, 0
                                        ; implicit-def: $sgpr54
                                        ; implicit-def: $sgpr28
                                        ; implicit-def: $vcc_hi
                                        ; implicit-def: $sgpr53
                                        ; implicit-def: $sgpr55
                                        ; implicit-def: $sgpr52
	s_branch .LBB5_16
.LBB5_13:                               ;   in Loop: Header=BB5_16 Depth=1
	s_wait_alu 0xfffe
	s_or_b32 exec_lo, exec_lo, s9
	s_delay_alu instid0(SALU_CYCLE_1)
	s_and_b32 s7, s7, exec_lo
	s_and_not1_b32 s22, s22, exec_lo
	s_and_not1_b32 s21, s21, exec_lo
	s_or_not1_b32 s18, s8, exec_lo
.LBB5_14:                               ;   in Loop: Header=BB5_16 Depth=1
	s_wait_alu 0xfffe
	s_or_b32 exec_lo, exec_lo, s6
	s_delay_alu instid0(SALU_CYCLE_1)
	s_and_not1_b32 s6, s52, exec_lo
	s_and_b32 s7, s7, exec_lo
	s_and_not1_b32 s8, s53, exec_lo
	s_wait_alu 0xfffe
	s_or_b32 s52, s6, s7
	s_and_not1_b32 s6, s55, exec_lo
	s_and_b32 s7, s22, exec_lo
	s_and_b32 s9, s21, exec_lo
	s_wait_alu 0xfffe
	s_or_b32 s55, s6, s7
	s_or_b32 s53, s8, s9
	s_or_not1_b32 s18, s18, exec_lo
.LBB5_15:                               ;   in Loop: Header=BB5_16 Depth=1
	s_wait_alu 0xfffe
	s_or_b32 exec_lo, exec_lo, s17
	s_delay_alu instid0(SALU_CYCLE_1)
	s_and_b32 s6, exec_lo, s18
	v_dual_mov_b32 v29, v9 :: v_dual_mov_b32 v28, v8
	s_wait_alu 0xfffe
	s_or_b32 s103, s6, s103
	s_and_not1_b32 s6, vcc_hi, exec_lo
	s_and_b32 s7, s52, exec_lo
	s_and_not1_b32 s8, s28, exec_lo
	s_wait_alu 0xfffe
	s_or_b32 vcc_hi, s6, s7
	s_and_b32 s6, s55, exec_lo
	s_and_not1_b32 s7, s54, exec_lo
	s_and_b32 s9, s53, exec_lo
	s_wait_alu 0xfffe
	s_or_b32 s28, s8, s6
	s_or_b32 s54, s7, s9
	s_and_not1_b32 exec_lo, exec_lo, s103
	s_cbranch_execz .LBB5_278
.LBB5_16:                               ; =>This Loop Header: Depth=1
                                        ;     Child Loop BB5_21 Depth 2
                                        ;     Child Loop BB5_35 Depth 2
	;; [unrolled: 1-line block ×17, first 2 shown]
	ds_load_b128 v[4:7], v3 offset:5120
	s_wait_dscnt 0x0
	v_readfirstlane_b32 s73, v5
	v_readfirstlane_b32 s72, v4
	s_wait_alu 0xf1ff
	s_delay_alu instid0(VALU_DEP_1)
	v_cmp_gt_i64_e64 s6, s[72:73], 0
	s_and_b32 vcc_lo, exec_lo, s6
	s_wait_alu 0xfffe
	s_cbranch_vccnz .LBB5_48
; %bb.17:                               ;   in Loop: Header=BB5_16 Depth=1
	s_and_b32 vcc_lo, exec_lo, s88
	s_wait_alu 0xfffe
	s_cbranch_vccz .LBB5_29
; %bb.18:                               ;   in Loop: Header=BB5_16 Depth=1
	v_cmp_gt_i64_e32 vcc_lo, 0xc01, v[6:7]
	s_mov_b32 s8, 0
	s_mov_b32 s6, 0
	s_cbranch_vccz .LBB5_30
; %bb.19:                               ;   in Loop: Header=BB5_16 Depth=1
	global_load_u16 v2, v3, s[38:39]
	global_load_u8 v8, v[14:15], off
	s_mov_b32 s9, 0
	s_wait_loadcnt 0x1
	v_and_b32_e32 v2, 0xffff, v2
	s_delay_alu instid0(VALU_DEP_1) | instskip(SKIP_3) | instid1(VALU_DEP_3)
	v_add_co_u32 v4, s6, v0, v2
	s_wait_alu 0xf1fe
	v_add_co_ci_u32_e64 v5, null, 0, 0, s6
	v_mul_lo_u32 v6, v2, s43
	v_mul_lo_u32 v10, s43, v4
	v_mul_hi_u32 v11, v2, s42
	s_delay_alu instid0(VALU_DEP_4) | instskip(SKIP_2) | instid1(VALU_DEP_2)
	v_mul_lo_u32 v7, s42, v5
	v_mad_co_u64_u32 v[4:5], null, s42, v4, s[68:69]
	v_add_nc_u32_e32 v6, v6, v42
	v_add3_u32 v5, v10, v5, v7
	s_delay_alu instid0(VALU_DEP_2)
	v_dual_mov_b32 v7, v1 :: v_dual_add_nc_u32 v10, v6, v11
	v_mul_lo_u32 v9, v2, s42
	v_mov_b32_e32 v6, v0
	s_branch .LBB5_21
.LBB5_20:                               ;   in Loop: Header=BB5_21 Depth=2
	s_wait_alu 0xfffe
	s_or_b32 exec_lo, exec_lo, s7
	v_add_co_u32 v4, vcc_lo, v4, v9
	s_wait_alu 0xfffd
	v_add_co_ci_u32_e64 v5, null, v5, v10, vcc_lo
	v_mov_b32_e32 v8, v11
	s_and_not1_b32 exec_lo, exec_lo, s9
	s_cbranch_execz .LBB5_82
.LBB5_21:                               ;   Parent Loop BB5_16 Depth=1
                                        ; =>  This Inner Loop Header: Depth=2
	s_delay_alu instid0(VALU_DEP_1)
	v_add_co_u32 v6, vcc_lo, v6, v2
	s_wait_alu 0xfffd
	v_add_co_ci_u32_e64 v7, null, 0, v7, vcc_lo
	s_wait_dscnt 0x0
	v_dual_mov_b32 v30, 0 :: v_dual_mov_b32 v11, 0
	s_mov_b32 s7, exec_lo
	s_delay_alu instid0(VALU_DEP_2)
	v_cmp_le_i64_e32 vcc_lo, s[36:37], v[6:7]
	v_cmpx_gt_i64_e64 s[36:37], v[6:7]
	s_cbranch_execz .LBB5_23
; %bb.22:                               ;   in Loop: Header=BB5_21 Depth=2
	global_load_u8 v11, v[4:5], off
.LBB5_23:                               ;   in Loop: Header=BB5_21 Depth=2
	s_wait_alu 0xfffe
	s_or_b32 exec_lo, exec_lo, s7
	s_wait_loadcnt 0x0
	v_and_b32_e32 v31, v8, v43
	s_delay_alu instid0(VALU_DEP_1) | instskip(NEXT) | instid1(VALU_DEP_1)
	v_and_b32_e32 v31, 0xff, v31
	v_cmp_eq_u32_e64 s6, v31, v22
	s_cmp_lg_u32 s6, 0
	s_cselect_b32 s7, -1, 0
	s_wait_alu 0xfffe
	s_and_b32 s7, s1, s7
	s_wait_alu 0xfffe
	s_and_saveexec_b32 s10, s7
	s_cbranch_execz .LBB5_27
; %bb.24:                               ;   in Loop: Header=BB5_21 Depth=2
	s_mov_b32 s13, exec_lo
	s_bcnt1_i32_b32 s11, s6
	s_wait_alu 0xfffe
	v_mbcnt_lo_u32_b32 v30, s13, 0
	s_mov_b32 s12, exec_lo
                                        ; implicit-def: $vgpr31
	s_delay_alu instid0(VALU_DEP_1)
	v_cmpx_eq_u32_e32 0, v30
; %bb.25:                               ;   in Loop: Header=BB5_21 Depth=2
	s_bcnt1_i32_b32 s7, s13
	s_wait_alu 0xfffe
	s_mul_i32 s7, s11, s7
	s_wait_alu 0xfffe
	v_mov_b32_e32 v31, s7
	ds_add_rtn_u32 v31, v3, v31 offset:5136
; %bb.26:                               ;   in Loop: Header=BB5_21 Depth=2
	s_or_b32 exec_lo, exec_lo, s12
	s_wait_dscnt 0x0
	v_readfirstlane_b32 s7, v31
	s_wait_alu 0xf1ff
	s_delay_alu instid0(VALU_DEP_1)
	v_mad_u32_u24 v30, s11, v30, s7
.LBB5_27:                               ;   in Loop: Header=BB5_21 Depth=2
	s_wait_alu 0xfffe
	s_or_b32 exec_lo, exec_lo, s10
	ds_bpermute_b32 v30, v3, v30
	s_and_b32 s7, exec_lo, vcc_lo
	s_wait_alu 0xfffe
	s_or_b32 s9, s7, s9
	s_and_saveexec_b32 s7, s6
	s_cbranch_execz .LBB5_20
; %bb.28:                               ;   in Loop: Header=BB5_21 Depth=2
	v_and_b32_e32 v31, s6, v35
	s_wait_dscnt 0x0
	s_delay_alu instid0(VALU_DEP_1)
	v_bcnt_u32_b32 v30, v31, v30
	ds_store_b8 v30, v8
	s_branch .LBB5_20
.LBB5_29:                               ;   in Loop: Header=BB5_16 Depth=1
	s_mov_b32 s8, -1
	s_mov_b32 s6, 0
.LBB5_30:                               ;   in Loop: Header=BB5_16 Depth=1
	s_wait_alu 0xfffe
	s_and_b32 vcc_lo, exec_lo, s8
	s_wait_alu 0xfffe
	s_cbranch_vccz .LBB5_46
.LBB5_31:                               ;   in Loop: Header=BB5_16 Depth=1
	s_and_saveexec_b32 s12, s0
	s_cbranch_execz .LBB5_43
; %bb.32:                               ;   in Loop: Header=BB5_16 Depth=1
	global_load_u16 v4, v3, s[38:39]
	global_load_u8 v32, v[14:15], off
	v_mov_b32_e32 v8, v0
	s_mov_b32 s13, exec_lo
	s_wait_loadcnt 0x1
	v_and_b32_e32 v2, 0xffff, v4
	v_readfirstlane_b32 s6, v4
	s_delay_alu instid0(VALU_DEP_2) | instskip(NEXT) | instid1(VALU_DEP_1)
	v_add_nc_u32_e32 v2, v2, v0
	v_cmpx_gt_i64_e64 s[36:37], v[2:3]
	s_cbranch_execz .LBB5_42
; %bb.33:                               ;   in Loop: Header=BB5_16 Depth=1
	s_and_b32 s58, s6, 0xffff
	v_dual_mov_b32 v7, v1 :: v_dual_mov_b32 v6, v0
	s_wait_alu 0xfffe
	s_cmp_eq_u32 s58, 1
	v_dual_mov_b32 v5, v3 :: v_dual_mov_b32 v4, v2
	s_cselect_b32 s6, -1, 0
                                        ; implicit-def: $vgpr8_vgpr9
	s_wait_alu 0xfffe
	s_and_b32 s7, s4, s6
	s_mov_b32 s6, -1
	s_wait_alu 0xfffe
	s_and_saveexec_b32 s8, s7
	s_cbranch_execz .LBB5_37
; %bb.34:                               ;   in Loop: Header=BB5_16 Depth=1
	v_add_co_u32 v8, s6, v2, 3
	s_wait_alu 0xf1ff
	v_add_co_ci_u32_e64 v9, null, 0, 0, s6
	v_add_co_u32 v6, s6, v2, 2
	s_wait_alu 0xf1ff
	v_add_co_ci_u32_e64 v7, null, 0, 0, s6
	;; [unrolled: 3-line block ×3, first 2 shown]
	v_mov_b32_e32 v11, v9
	v_dual_mov_b32 v31, v19 :: v_dual_mov_b32 v10, v8
	s_wait_loadcnt 0x0
	v_dual_mov_b32 v30, v18 :: v_dual_lshlrev_b32 v45, 24, v32
	v_mov_b32_e32 v9, v7
	v_dual_mov_b32 v33, v0 :: v_dual_mov_b32 v8, v6
	v_mov_b32_e32 v7, v5
	v_mov_b32_e32 v6, v4
	;; [unrolled: 1-line block ×4, first 2 shown]
	s_mov_b32 s9, 0
.LBB5_35:                               ;   Parent Loop BB5_16 Depth=1
                                        ; =>  This Inner Loop Header: Depth=2
	v_mul_lo_u32 v55, v7, s92
	v_mul_lo_u32 v56, v6, s93
	v_mad_co_u64_u32 v[48:49], null, v6, s92, 0
	v_mul_lo_u32 v32, v9, s94
	v_mul_lo_u32 v54, v8, s95
	v_mad_co_u64_u32 v[46:47], null, v8, s94, 0
	;; [unrolled: 3-line block ×3, first 2 shown]
	v_mad_co_u64_u32 v[52:53], null, v10, s96, s[62:63]
	v_mul_lo_u32 v59, v10, s97
	v_mul_lo_u32 v60, v11, s96
	v_add3_u32 v55, v49, v56, v55
	v_add3_u32 v32, v47, v54, v32
	;; [unrolled: 1-line block ×3, first 2 shown]
	v_add_co_u32 v54, s7, s62, v48
	v_add_co_u32 v49, s6, s62, v46
	v_add3_u32 v53, v60, v53, v59
	v_add_co_u32 v47, vcc_lo, s62, v50
	s_wait_alu 0xf1ff
	v_add_co_ci_u32_e64 v55, null, s63, v55, s7
	v_add_co_ci_u32_e64 v50, null, s63, v32, s6
	s_wait_alu 0xfffd
	v_add_co_ci_u32_e64 v48, null, s63, v51, vcc_lo
	s_clause 0x3
	global_load_u8 v32, v[52:53], off
	global_load_u8 v46, v[54:55], off
	;; [unrolled: 1-line block ×4, first 2 shown]
	v_add_co_u32 v10, vcc_lo, v10, 4
	s_wait_alu 0xfffd
	v_add_co_ci_u32_e64 v11, null, 0, v11, vcc_lo
	v_add_co_u32 v8, vcc_lo, v8, 4
	s_wait_alu 0xfffd
	v_add_co_ci_u32_e64 v9, null, 0, v9, vcc_lo
	;; [unrolled: 3-line block ×3, first 2 shown]
	v_add_co_u32 v30, vcc_lo, v30, -4
	s_wait_alu 0xfffd
	v_add_co_ci_u32_e64 v31, null, -1, v31, vcc_lo
	v_add_co_u32 v4, vcc_lo, v4, 4
	s_wait_alu 0xfffd
	v_add_co_ci_u32_e64 v5, null, 0, v5, vcc_lo
	s_delay_alu instid0(VALU_DEP_3)
	v_cmp_eq_u64_e64 s6, 0, v[30:31]
	s_wait_alu 0xfffe
	s_or_b32 s9, s6, s9
	s_wait_loadcnt 0x0
	v_perm_b32 v48, v47, v46, 0xc0c0004
	v_perm_b32 v46, v46, v49, 0xc0c0004
	;; [unrolled: 1-line block ×4, first 2 shown]
	s_delay_alu instid0(VALU_DEP_2) | instskip(NEXT) | instid1(VALU_DEP_2)
	v_lshl_or_b32 v45, v46, 16, v45
	v_lshl_or_b32 v46, v47, 16, v48
	ds_store_b32 v33, v45
	v_add_nc_u32_e32 v33, 4, v33
	v_mov_b32_e32 v45, v46
	s_wait_alu 0xfffe
	s_and_not1_b32 exec_lo, exec_lo, s9
	s_cbranch_execnz .LBB5_35
; %bb.36:                               ;   in Loop: Header=BB5_16 Depth=1
	s_or_b32 exec_lo, exec_lo, s9
	v_add_co_u32 v4, vcc_lo, v2, v18
	s_wait_alu 0xfffd
	v_add_co_ci_u32_e64 v5, null, 0, v19, vcc_lo
	v_dual_mov_b32 v6, v20 :: v_dual_mov_b32 v7, v21
	s_delay_alu instid0(VALU_DEP_3)
	v_add_co_u32 v8, vcc_lo, v4, -1
	s_or_not1_b32 s6, s5, exec_lo
	s_wait_alu 0xfffd
	v_add_co_ci_u32_e64 v2, null, -1, v5, vcc_lo
.LBB5_37:                               ;   in Loop: Header=BB5_16 Depth=1
	s_wait_alu 0xfffe
	s_or_b32 exec_lo, exec_lo, s8
	s_and_saveexec_b32 s7, s6
	s_cbranch_execz .LBB5_41
; %bb.38:                               ;   in Loop: Header=BB5_16 Depth=1
	v_mad_co_u64_u32 v[9:10], null, s42, v4, s[68:69]
	v_mul_lo_u32 v2, s42, v5
	v_mul_lo_u32 v7, s43, v4
	s_sub_nc_u64 s[8:9], 0, s[58:59]
	s_mul_u64 s[10:11], s[42:43], s[58:59]
	s_mov_b32 s14, 0
	s_delay_alu instid0(VALU_DEP_1)
	v_add3_u32 v10, v7, v10, v2
.LBB5_39:                               ;   Parent Loop BB5_16 Depth=1
                                        ; =>  This Inner Loop Header: Depth=2
	global_load_u8 v2, v[9:10], off
	v_dual_mov_b32 v8, v5 :: v_dual_mov_b32 v7, v4
	s_wait_alu 0xfffe
	v_add_co_u32 v9, vcc_lo, v9, s10
	s_wait_alu 0xfffd
	v_add_co_ci_u32_e64 v10, null, s11, v10, vcc_lo
	v_add_co_u32 v4, s6, v7, s58
	s_wait_alu 0xf1ff
	v_add_co_ci_u32_e64 v5, null, 0, v8, s6
	s_wait_loadcnt 0x1
	ds_store_b8 v6, v32
	v_mov_b32_e32 v6, v7
	v_mov_b32_e32 v7, v8
	v_cmp_le_i64_e32 vcc_lo, s[36:37], v[4:5]
	v_add_co_u32 v8, s6, s8, v4
	s_wait_alu 0xf1ff
	v_add_co_ci_u32_e64 v7, null, s9, v5, s6
	s_or_b32 s14, vcc_lo, s14
	s_wait_loadcnt 0x0
	v_mov_b32_e32 v32, v2
	s_wait_alu 0xfffe
	s_and_not1_b32 exec_lo, exec_lo, s14
	s_cbranch_execnz .LBB5_39
; %bb.40:                               ;   in Loop: Header=BB5_16 Depth=1
	s_or_b32 exec_lo, exec_lo, s14
	v_mov_b32_e32 v32, v2
.LBB5_41:                               ;   in Loop: Header=BB5_16 Depth=1
	s_wait_alu 0xfffe
	s_or_b32 exec_lo, exec_lo, s7
.LBB5_42:                               ;   in Loop: Header=BB5_16 Depth=1
	s_wait_alu 0xfffe
	s_or_b32 exec_lo, exec_lo, s13
	s_wait_loadcnt 0x0
	ds_store_b8 v8, v32
.LBB5_43:                               ;   in Loop: Header=BB5_16 Depth=1
	s_wait_alu 0xfffe
	s_or_b32 exec_lo, exec_lo, s12
	s_wait_loadcnt_dscnt 0x0
	s_barrier_signal -1
	s_barrier_wait -1
	global_inv scope:SCOPE_SE
	s_and_saveexec_b32 s6, s2
; %bb.44:                               ;   in Loop: Header=BB5_16 Depth=1
	v_dual_mov_b32 v4, s36 :: v_dual_mov_b32 v5, s37
	ds_store_b64 v3, v[4:5] offset:5120
; %bb.45:                               ;   in Loop: Header=BB5_16 Depth=1
	s_wait_alu 0xfffe
	s_or_b32 exec_lo, exec_lo, s6
	s_mov_b32 s6, -1
	s_wait_loadcnt_dscnt 0x0
	s_barrier_signal -1
	s_barrier_wait -1
.LBB5_46:                               ;   in Loop: Header=BB5_16 Depth=1
	s_wait_alu 0xfffe
	s_and_b32 vcc_lo, exec_lo, s6
	s_wait_alu 0xfffe
	s_cbranch_vccz .LBB5_48
; %bb.47:                               ;   in Loop: Header=BB5_16 Depth=1
	s_wait_loadcnt 0x0
	global_inv scope:SCOPE_SE
	ds_load_b64 v[4:5], v3 offset:5120
	s_wait_dscnt 0x0
	v_readfirstlane_b32 s72, v4
.LBB5_48:                               ;   in Loop: Header=BB5_16 Depth=1
	s_delay_alu instid0(VALU_DEP_1)
	s_cmp_lt_i32 s72, 1
	s_mov_b32 s6, -1
                                        ; implicit-def: $vgpr10_vgpr11
                                        ; implicit-def: $vgpr6_vgpr7
	s_cbranch_scc1 .LBB5_58
; %bb.49:                               ;   in Loop: Header=BB5_16 Depth=1
	s_wait_alu 0xfffe
	s_and_b32 vcc_lo, exec_lo, s6
	s_wait_alu 0xfffe
	s_cbranch_vccnz .LBB5_72
.LBB5_50:                               ;   in Loop: Header=BB5_16 Depth=1
	s_lshl_b32 s6, s104, 7
	s_and_saveexec_b32 s7, s1
	s_cbranch_execz .LBB5_52
.LBB5_51:                               ;   in Loop: Header=BB5_16 Depth=1
	s_wait_alu 0xfffe
	v_lshl_add_u32 v2, s6, 3, v36
	ds_store_b128 v2, v[4:7]
	ds_store_b128 v2, v[8:11] offset:16
.LBB5_52:                               ;   in Loop: Header=BB5_16 Depth=1
	s_wait_alu 0xfffe
	s_or_b32 exec_lo, exec_lo, s7
	s_wait_loadcnt_dscnt 0x0
	s_barrier_signal -1
	s_barrier_wait -1
	global_inv scope:SCOPE_SE
	s_and_saveexec_b32 s7, s33
	s_cbranch_execz .LBB5_89
; %bb.53:                               ;   in Loop: Header=BB5_16 Depth=1
	v_mov_b32_e32 v4, 0
	v_mov_b32_e32 v5, 0
	s_and_not1_b32 vcc_lo, exec_lo, s89
	s_wait_alu 0xfffe
	s_cbranch_vccnz .LBB5_88
; %bb.54:                               ;   in Loop: Header=BB5_16 Depth=1
	v_mov_b32_e32 v4, 0
	v_mov_b32_e32 v5, 0
	s_and_not1_b32 vcc_lo, exec_lo, s99
	s_wait_alu 0xfffe
	s_cbranch_vccnz .LBB5_85
; %bb.55:                               ;   in Loop: Header=BB5_16 Depth=1
	v_lshl_add_u32 v2, s104, 10, v41
	s_mov_b32 s8, 0
.LBB5_56:                               ;   Parent Loop BB5_16 Depth=1
                                        ; =>  This Inner Loop Header: Depth=2
	ds_load_2addr_b64 v[6:9], v2 offset1:4
	ds_load_2addr_b64 v[30:33], v2 offset0:8 offset1:12
	ds_load_2addr_b64 v[45:48], v2 offset0:16 offset1:20
	s_wait_alu 0xfffe
	s_add_co_i32 s8, s8, 8
	s_wait_alu 0xfffe
	s_cmp_eq_u32 s100, s8
	s_wait_dscnt 0x2
	v_add_co_u32 v4, vcc_lo, v6, v4
	s_wait_alu 0xfffd
	v_add_co_ci_u32_e64 v5, null, v7, v5, vcc_lo
	s_delay_alu instid0(VALU_DEP_2) | instskip(SKIP_1) | instid1(VALU_DEP_2)
	v_add_co_u32 v8, vcc_lo, v8, v4
	s_wait_alu 0xfffd
	v_add_co_ci_u32_e64 v9, null, v9, v5, vcc_lo
	ds_load_2addr_b64 v[4:7], v2 offset0:24 offset1:28
	s_wait_dscnt 0x2
	v_add_co_u32 v8, vcc_lo, v30, v8
	s_wait_alu 0xfffd
	v_add_co_ci_u32_e64 v9, null, v31, v9, vcc_lo
	v_add_nc_u32_e32 v2, 0x100, v2
	s_delay_alu instid0(VALU_DEP_3) | instskip(SKIP_1) | instid1(VALU_DEP_3)
	v_add_co_u32 v8, vcc_lo, v32, v8
	s_wait_alu 0xfffd
	v_add_co_ci_u32_e64 v9, null, v33, v9, vcc_lo
	s_wait_dscnt 0x1
	s_delay_alu instid0(VALU_DEP_2) | instskip(SKIP_1) | instid1(VALU_DEP_2)
	v_add_co_u32 v8, vcc_lo, v45, v8
	s_wait_alu 0xfffd
	v_add_co_ci_u32_e64 v9, null, v46, v9, vcc_lo
	s_delay_alu instid0(VALU_DEP_2) | instskip(SKIP_1) | instid1(VALU_DEP_2)
	v_add_co_u32 v8, vcc_lo, v47, v8
	s_wait_alu 0xfffd
	v_add_co_ci_u32_e64 v9, null, v48, v9, vcc_lo
	s_wait_dscnt 0x0
	s_delay_alu instid0(VALU_DEP_2) | instskip(SKIP_1) | instid1(VALU_DEP_2)
	v_add_co_u32 v4, vcc_lo, v4, v8
	s_wait_alu 0xfffd
	v_add_co_ci_u32_e64 v5, null, v5, v9, vcc_lo
	s_delay_alu instid0(VALU_DEP_2) | instskip(SKIP_1) | instid1(VALU_DEP_2)
	v_add_co_u32 v4, vcc_lo, v6, v4
	s_wait_alu 0xfffd
	v_add_co_ci_u32_e64 v5, null, v7, v5, vcc_lo
	s_cbranch_scc0 .LBB5_56
; %bb.57:                               ;   in Loop: Header=BB5_16 Depth=1
	s_mov_b32 s8, s100
	s_and_not1_b32 vcc_lo, exec_lo, s102
	s_wait_alu 0xfffe
	s_cbranch_vccz .LBB5_86
	s_branch .LBB5_88
.LBB5_58:                               ;   in Loop: Header=BB5_16 Depth=1
	global_load_u16 v2, v3, s[38:39]
	s_mov_b32 s7, s37
	s_wait_loadcnt 0x0
	v_readfirstlane_b32 s6, v2
	s_wait_alu 0xfffe
	s_and_b32 s8, 0xffff, s6
	s_mov_b32 s6, s59
	s_wait_alu 0xfffe
	s_lshl_b32 s74, s8, 2
	s_cmp_lg_u64 s[6:7], 0
	s_cbranch_scc0 .LBB5_81
; %bb.59:                               ;   in Loop: Header=BB5_16 Depth=1
	s_mov_b32 s75, s59
	s_wait_alu 0xfffe
	s_add_nc_u64 s[6:7], s[74:75], 0
	s_wait_alu 0xfffe
	s_xor_b64 s[6:7], s[6:7], 0
	s_wait_alu 0xfffe
	s_cvt_f32_u32 s8, s6
	s_cvt_f32_u32 s9, s7
	s_sub_nc_u64 s[10:11], 0, s[6:7]
	s_wait_alu 0xfffe
	s_delay_alu instid0(SALU_CYCLE_1) | instskip(SKIP_1) | instid1(SALU_CYCLE_2)
	s_fmamk_f32 s8, s9, 0x4f800000, s8
	s_wait_alu 0xfffe
	v_s_rcp_f32 s8, s8
	s_delay_alu instid0(TRANS32_DEP_1) | instskip(SKIP_1) | instid1(SALU_CYCLE_2)
	s_mul_f32 s8, s8, 0x5f7ffffc
	s_wait_alu 0xfffe
	s_mul_f32 s9, s8, 0x2f800000
	s_wait_alu 0xfffe
	s_delay_alu instid0(SALU_CYCLE_2) | instskip(SKIP_1) | instid1(SALU_CYCLE_2)
	s_trunc_f32 s9, s9
	s_wait_alu 0xfffe
	s_fmamk_f32 s8, s9, 0xcf800000, s8
	s_cvt_u32_f32 s9, s9
	s_wait_alu 0xfffe
	s_delay_alu instid0(SALU_CYCLE_1) | instskip(SKIP_1) | instid1(SALU_CYCLE_2)
	s_cvt_u32_f32 s8, s8
	s_wait_alu 0xfffe
	s_mul_u64 s[12:13], s[10:11], s[8:9]
	s_wait_alu 0xfffe
	s_mul_hi_u32 s15, s8, s13
	s_mul_i32 s14, s8, s13
	s_mul_hi_u32 s58, s8, s12
	s_mul_i32 s17, s9, s12
	s_wait_alu 0xfffe
	s_add_nc_u64 s[14:15], s[58:59], s[14:15]
	s_mul_hi_u32 s16, s9, s12
	s_mul_hi_u32 s18, s9, s13
	s_mul_i32 s12, s9, s13
	s_wait_alu 0xfffe
	s_add_co_u32 s13, s14, s17
	s_add_co_ci_u32 s58, s15, s16
	s_add_co_ci_u32 s13, s18, 0
	s_wait_alu 0xfffe
	s_add_nc_u64 s[12:13], s[58:59], s[12:13]
	s_wait_alu 0xfffe
	s_add_co_u32 s8, s8, s12
	s_cselect_b32 s12, -1, 0
	s_wait_alu 0xfffe
	s_cmp_lg_u32 s12, 0
	s_add_co_ci_u32 s9, s9, s13
	s_wait_alu 0xfffe
	s_mul_u64 s[10:11], s[10:11], s[8:9]
	s_wait_alu 0xfffe
	s_mul_hi_u32 s13, s8, s11
	s_mul_i32 s12, s8, s11
	s_mul_hi_u32 s58, s8, s10
	s_mul_i32 s15, s9, s10
	s_wait_alu 0xfffe
	s_add_nc_u64 s[12:13], s[58:59], s[12:13]
	s_mul_hi_u32 s14, s9, s10
	s_mul_hi_u32 s16, s9, s11
	s_mul_i32 s10, s9, s11
	s_wait_alu 0xfffe
	s_add_co_u32 s11, s12, s15
	s_add_co_ci_u32 s58, s13, s14
	s_add_co_ci_u32 s11, s16, 0
	s_wait_alu 0xfffe
	s_add_nc_u64 s[10:11], s[58:59], s[10:11]
	s_wait_alu 0xfffe
	s_add_co_u32 s14, s8, s10
	s_cselect_b32 s8, -1, 0
	s_wait_alu 0xfffe
	s_cmp_lg_u32 s8, 0
	s_add_co_ci_u32 s15, s9, s11
	s_ashr_i32 s8, s37, 31
	s_wait_alu 0xfffe
	s_mov_b32 s9, s8
	s_wait_alu 0xfffe
	s_add_nc_u64 s[10:11], s[36:37], s[8:9]
	s_wait_alu 0xfffe
	s_xor_b64 s[10:11], s[10:11], s[8:9]
	s_wait_alu 0xfffe
	s_mul_hi_u32 s13, s10, s15
	s_mul_i32 s12, s10, s15
	s_mul_hi_u32 s58, s10, s14
	s_mul_i32 s18, s11, s14
	s_wait_alu 0xfffe
	s_add_nc_u64 s[12:13], s[58:59], s[12:13]
	s_mul_hi_u32 s17, s11, s14
	s_mul_hi_u32 s16, s11, s15
	s_wait_alu 0xfffe
	s_add_co_u32 s12, s12, s18
	s_add_co_ci_u32 s58, s13, s17
	s_mul_i32 s14, s11, s15
	s_add_co_ci_u32 s15, s16, 0
	s_wait_alu 0xfffe
	s_add_nc_u64 s[12:13], s[58:59], s[14:15]
	s_wait_alu 0xfffe
	s_mul_u64 s[12:13], s[6:7], s[12:13]
	s_wait_alu 0xfffe
	s_sub_co_u32 s10, s10, s12
	s_cselect_b32 s12, -1, 0
	s_sub_co_i32 s14, s11, s13
	s_wait_alu 0xfffe
	s_cmp_lg_u32 s12, 0
	s_sub_co_ci_u32 s14, s14, s7
	s_sub_co_u32 s15, s10, s6
	s_cselect_b32 s16, -1, 0
	s_wait_alu 0xfffe
	s_cmp_lg_u32 s16, 0
	s_sub_co_ci_u32 s17, s14, 0
	s_wait_alu 0xfffe
	s_cmp_ge_u32 s17, s7
	s_cselect_b32 s18, -1, 0
	s_cmp_ge_u32 s15, s6
	s_cselect_b32 s19, -1, 0
	s_cmp_eq_u32 s17, s7
	s_wait_alu 0xfffe
	s_cselect_b32 s18, s19, s18
	s_cmp_lg_u32 s16, 0
	s_sub_co_ci_u32 s14, s14, s7
	s_sub_co_u32 s16, s15, s6
	s_cselect_b32 s19, -1, 0
	s_wait_alu 0xfffe
	s_cmp_lg_u32 s19, 0
	s_sub_co_ci_u32 s14, s14, 0
	s_cmp_lg_u32 s18, 0
	s_cselect_b32 s15, s16, s15
	s_wait_alu 0xfffe
	s_cselect_b32 s14, s14, s17
	s_cmp_lg_u32 s12, 0
	s_sub_co_ci_u32 s11, s11, s13
	s_wait_alu 0xfffe
	s_cmp_ge_u32 s11, s7
	s_cselect_b32 s12, -1, 0
	s_cmp_ge_u32 s10, s6
	s_cselect_b32 s6, -1, 0
	s_cmp_eq_u32 s11, s7
	s_wait_alu 0xfffe
	s_cselect_b32 s6, s6, s12
	s_wait_alu 0xfffe
	s_cmp_lg_u32 s6, 0
	s_cselect_b32 s7, s14, s11
	s_cselect_b32 s6, s15, s10
	s_wait_alu 0xfffe
	s_xor_b64 s[6:7], s[6:7], s[8:9]
	s_wait_alu 0xfffe
	s_sub_nc_u64 s[76:77], s[6:7], s[8:9]
	s_cbranch_execnz .LBB5_61
.LBB5_60:                               ;   in Loop: Header=BB5_16 Depth=1
	s_wait_alu 0xfffe
	v_cvt_f32_u32_e32 v4, s74
	s_sub_co_i32 s7, 0, s74
	s_delay_alu instid0(VALU_DEP_1) | instskip(NEXT) | instid1(TRANS32_DEP_1)
	v_rcp_iflag_f32_e32 v4, v4
	v_mul_f32_e32 v4, 0x4f7ffffe, v4
	s_delay_alu instid0(VALU_DEP_1) | instskip(NEXT) | instid1(VALU_DEP_1)
	v_cvt_u32_f32_e32 v4, v4
	v_readfirstlane_b32 s6, v4
	s_wait_alu 0xfffe
	s_mul_i32 s7, s7, s6
	s_wait_alu 0xfffe
	s_mul_hi_u32 s7, s6, s7
	s_wait_alu 0xfffe
	s_add_co_i32 s6, s6, s7
	s_wait_alu 0xfffe
	s_mul_hi_u32 s6, s36, s6
	s_wait_alu 0xfffe
	s_mul_i32 s6, s6, s74
	s_wait_alu 0xfffe
	s_sub_co_i32 s6, s36, s6
	s_wait_alu 0xfffe
	s_sub_co_i32 s7, s6, s74
	s_cmp_ge_u32 s6, s74
	s_wait_alu 0xfffe
	s_cselect_b32 s6, s7, s6
	s_wait_alu 0xfffe
	s_sub_co_i32 s7, s6, s74
	s_cmp_ge_u32 s6, s74
	s_wait_alu 0xfffe
	s_cselect_b32 s58, s7, s6
	s_wait_alu 0xfffe
	s_mov_b64 s[76:77], s[58:59]
.LBB5_61:                               ;   in Loop: Header=BB5_16 Depth=1
	v_mov_b32_e32 v4, 0
	v_dual_mov_b32 v8, 0 :: v_dual_mov_b32 v5, 0
	v_dual_mov_b32 v6, 0 :: v_dual_mov_b32 v9, 0
	;; [unrolled: 1-line block ×3, first 2 shown]
	v_dual_mov_b32 v11, 0 :: v_dual_and_b32 v2, 0xffff, v2
	s_wait_alu 0xfffe
	s_sub_nc_u64 s[78:79], s[36:37], s[76:77]
	s_mov_b32 s25, exec_lo
	s_wait_alu 0xfffe
	v_cmpx_gt_i64_e64 s[78:79], v[16:17]
	s_cbranch_execz .LBB5_65
; %bb.62:                               ;   in Loop: Header=BB5_16 Depth=1
	v_mul_lo_u32 v4, v2, s71
	v_mul_lo_u32 v5, 0, s70
	v_mul_hi_u32 v6, v2, s70
	v_mul_lo_u32 v45, v2, s70
	v_dual_mov_b32 v30, s62 :: v_dual_mov_b32 v33, v17
	v_mov_b32_e32 v32, v16
	s_mov_b64 s[80:81], 0
	v_dual_mov_b32 v31, s63 :: v_dual_add_nc_u32 v4, v4, v5
	s_mov_b32 s29, 0
	s_mov_b64 s[82:83], 0
	s_mov_b64 s[84:85], 0
	;; [unrolled: 1-line block ×3, first 2 shown]
	v_add_nc_u32_e32 v46, v4, v6
.LBB5_63:                               ;   Parent Loop BB5_16 Depth=1
                                        ; =>  This Inner Loop Header: Depth=2
	v_add_co_u32 v4, vcc_lo, v30, v26
	s_wait_alu 0xfffd
	v_add_co_ci_u32_e64 v5, null, v31, v27, vcc_lo
	global_load_u8 v6, v[4:5], off
	v_add_co_u32 v4, vcc_lo, v30, v25
	s_wait_alu 0xfffd
	v_add_co_ci_u32_e64 v5, null, v31, v38, vcc_lo
	global_load_u8 v7, v[4:5], off
	;; [unrolled: 4-line block ×4, first 2 shown]
	s_wait_loadcnt 0x3
	v_and_b32_e32 v5, v43, v6
	s_delay_alu instid0(VALU_DEP_1) | instskip(SKIP_2) | instid1(VALU_DEP_1)
	v_cmp_eq_u32_e32 vcc_lo, v5, v22
	s_wait_loadcnt 0x2
	v_and_b32_e32 v5, v43, v7
	v_cmp_eq_u32_e64 s6, v5, v22
	s_wait_loadcnt 0x1
	v_and_b32_e32 v5, v43, v8
	s_delay_alu instid0(VALU_DEP_1) | instskip(SKIP_3) | instid1(VALU_DEP_2)
	v_cmp_eq_u32_e64 s7, v5, v22
	s_wait_loadcnt 0x0
	v_and_b32_e32 v5, v43, v4
	v_bfe_u32 v4, v4, s101, 2
	v_cmp_eq_u32_e64 s8, v5, v22
	v_bfe_u32 v5, v6, s101, 2
	s_delay_alu instid0(VALU_DEP_3)
	v_cmp_eq_u32_e64 s21, 0, v4
	v_cmp_eq_u32_e64 s22, 1, v4
	;; [unrolled: 1-line block ×8, first 2 shown]
	v_bfe_u32 v5, v7, s101, 2
	s_and_b32 s9, vcc_lo, s9
	s_and_b32 s21, s8, s21
	s_wait_alu 0xfffe
	v_cndmask_b32_e64 v4, 0, 1, s9
	s_and_b32 s10, vcc_lo, s10
	v_cmp_eq_u32_e64 s13, 0, v5
	v_cmp_eq_u32_e64 s14, 1, v5
	;; [unrolled: 1-line block ×4, first 2 shown]
	v_bfe_u32 v5, v8, s101, 2
	s_and_b32 s13, s6, s13
	v_cmp_ne_u32_e64 s9, 0, v4
	s_wait_alu 0xfffe
	v_cndmask_b32_e64 v4, 0, 1, s13
	s_and_b32 s14, s6, s14
	v_cmp_eq_u32_e64 s17, 0, v5
	v_cmp_eq_u32_e64 s18, 1, v5
	s_and_b32 s22, s8, s22
	v_cmp_ne_u32_e64 s13, 0, v4
	s_and_b32 s11, vcc_lo, s11
	s_and_b32 s17, s7, s17
	s_and_b32 s18, s7, s18
	s_wait_alu 0xfffe
	v_cndmask_b32_e64 v4, 0, 1, s17
	v_cmp_eq_u32_e64 s19, 2, v5
	s_and_b32 s15, s6, s15
	s_and_b32 s23, s8, s23
	s_and_b32 s12, vcc_lo, s12
	v_cmp_ne_u32_e64 s17, 0, v4
	v_cndmask_b32_e64 v4, 0, 1, s21
	s_and_b32 s19, s7, s19
	v_cmp_eq_u32_e64 s20, 3, v5
	s_and_b32 s6, s6, s16
	s_and_b32 s8, s8, s24
	v_cmp_ne_u32_e64 s21, 0, v4
	v_cndmask_b32_e64 v4, 0, 1, s10
	s_and_b32 s7, s7, s20
	v_add_co_u32 v30, s16, v30, v45
	s_bcnt1_i32_b32 s9, s9
	v_cmp_ne_u32_e64 s10, 0, v4
	v_cndmask_b32_e64 v4, 0, 1, s14
	s_bcnt1_i32_b32 s13, s13
	v_add_co_ci_u32_e64 v31, null, v31, v46, s16
	s_bcnt1_i32_b32 s16, s17
	v_cmp_ne_u32_e64 s14, 0, v4
	v_cndmask_b32_e64 v4, 0, 1, s18
	s_bcnt1_i32_b32 s10, s10
	s_wait_alu 0xfffe
	s_add_co_i32 s9, s13, s9
	s_bcnt1_i32_b32 s17, s21
	s_bcnt1_i32_b32 s14, s14
	v_cmp_ne_u32_e64 s18, 0, v4
	v_cndmask_b32_e64 v4, 0, 1, s22
	s_wait_alu 0xfffe
	s_add_co_i32 s10, s14, s10
	s_add_co_i32 s9, s9, s16
	s_bcnt1_i32_b32 s18, s18
	v_cmp_ne_u32_e64 s22, 0, v4
	v_cndmask_b32_e64 v4, 0, 1, s11
	s_wait_alu 0xfffe
	s_add_co_i32 s10, s10, s18
	s_add_co_i32 s58, s9, s17
	s_bcnt1_i32_b32 s20, s22
	v_cmp_ne_u32_e64 s11, 0, v4
	v_cndmask_b32_e64 v4, 0, 1, s15
	s_wait_alu 0xfffe
	s_add_nc_u64 s[86:87], s[86:87], s[58:59]
	s_add_co_i32 s58, s10, s20
	s_bcnt1_i32_b32 s11, s11
	v_cmp_ne_u32_e64 s15, 0, v4
	v_cndmask_b32_e64 v4, 0, 1, s19
	s_wait_alu 0xfffe
	s_add_nc_u64 s[84:85], s[84:85], s[58:59]
	s_wait_alu 0xfffe
	v_mov_b32_e32 v6, s84
	s_bcnt1_i32_b32 s15, s15
	v_cmp_ne_u32_e64 s19, 0, v4
	v_cndmask_b32_e64 v4, 0, 1, s23
	s_wait_alu 0xfffe
	s_add_co_i32 s11, s15, s11
	v_mov_b32_e32 v7, s85
	s_bcnt1_i32_b32 s19, s19
	v_cmp_ne_u32_e64 s23, 0, v4
	v_cndmask_b32_e64 v4, 0, 1, s12
	v_add_co_u32 v32, s12, v32, s74
	s_wait_alu 0xfffe
	s_add_co_i32 s11, s11, s19
	s_bcnt1_i32_b32 s21, s23
	v_cmp_ne_u32_e32 vcc_lo, 0, v4
	v_cndmask_b32_e64 v4, 0, 1, s6
	v_add_co_ci_u32_e64 v33, null, 0, v33, s12
	s_wait_alu 0xfffe
	s_add_co_i32 s58, s11, s21
	s_bcnt1_i32_b32 s22, vcc_lo
	v_cmp_ne_u32_e64 s6, 0, v4
	v_cndmask_b32_e64 v4, 0, 1, s7
	s_wait_alu 0xfffe
	s_add_nc_u64 s[82:83], s[82:83], s[58:59]
	v_cmp_le_i64_e64 s12, s[78:79], v[32:33]
	s_wait_alu 0xfffe
	v_mov_b32_e32 v8, s82
	s_bcnt1_i32_b32 s6, s6
	v_cmp_ne_u32_e64 s7, 0, v4
	v_cndmask_b32_e64 v4, 0, 1, s8
	s_wait_alu 0xfffe
	s_add_co_i32 s6, s6, s22
	v_mov_b32_e32 v9, s83
	s_bcnt1_i32_b32 s7, s7
	v_cmp_ne_u32_e64 s8, 0, v4
	s_wait_alu 0xfffe
	s_add_co_i32 s6, s6, s7
	v_dual_mov_b32 v4, s86 :: v_dual_mov_b32 v5, s87
	s_bcnt1_i32_b32 s8, s8
	s_wait_alu 0xfffe
	s_add_co_i32 s58, s6, s8
	s_or_b32 s29, s12, s29
	s_wait_alu 0xfffe
	s_add_nc_u64 s[80:81], s[80:81], s[58:59]
	s_wait_alu 0xfffe
	v_dual_mov_b32 v10, s80 :: v_dual_mov_b32 v11, s81
	s_and_not1_b32 exec_lo, exec_lo, s29
	s_cbranch_execnz .LBB5_63
; %bb.64:                               ;   in Loop: Header=BB5_16 Depth=1
	s_or_b32 exec_lo, exec_lo, s29
.LBB5_65:                               ;   in Loop: Header=BB5_16 Depth=1
	s_delay_alu instid0(SALU_CYCLE_1)
	s_or_b32 exec_lo, exec_lo, s25
	v_add_co_u32 v30, s6, s78, v0
	s_wait_alu 0xf1ff
	v_add_co_ci_u32_e64 v31, null, s79, 0, s6
	s_mov_b32 s9, exec_lo
	v_cmpx_gt_i64_e64 s[36:37], v[30:31]
	s_cbranch_execz .LBB5_71
; %bb.66:                               ;   in Loop: Header=BB5_16 Depth=1
	v_mad_co_u64_u32 v[32:33], null, v30, s42, s[62:63]
	v_mul_lo_u32 v45, v30, s43
	v_mul_lo_u32 v46, v31, s42
	v_mul_hi_u32 v49, v2, s42
	s_mov_b32 s10, 0
	s_delay_alu instid0(VALU_DEP_2)
	v_add3_u32 v33, v46, v33, v45
	v_mul_lo_u32 v45, v2, s43
	global_load_u8 v48, v[32:33], off
	v_add_co_u32 v32, vcc_lo, v39, v2
	s_wait_alu 0xfffd
	v_add_co_ci_u32_e64 v33, null, 0, v40, vcc_lo
	v_add_nc_u32_e32 v50, v45, v42
	s_delay_alu instid0(VALU_DEP_3) | instskip(SKIP_1) | instid1(VALU_DEP_3)
	v_sub_co_u32 v32, vcc_lo, v32, s76
	s_wait_alu 0xfffd
	v_subrev_co_ci_u32_e64 v33, null, s77, v33, vcc_lo
	v_mul_lo_u32 v45, v2, s42
	s_delay_alu instid0(VALU_DEP_3) | instskip(NEXT) | instid1(VALU_DEP_3)
	v_mul_lo_u32 v47, s43, v32
	v_mul_lo_u32 v46, s42, v33
	v_mad_co_u64_u32 v[32:33], null, s42, v32, s[68:69]
	s_delay_alu instid0(VALU_DEP_1)
	v_add3_u32 v33, v47, v33, v46
	v_add_nc_u32_e32 v46, v50, v49
	s_branch .LBB5_68
.LBB5_67:                               ;   in Loop: Header=BB5_68 Depth=2
	s_wait_alu 0xfffe
	s_or_b32 exec_lo, exec_lo, s7
	s_wait_loadcnt 0x0
	v_and_b32_e32 v48, 0xff, v48
	s_and_b32 s8, exec_lo, vcc_lo
	s_wait_alu 0xfffe
	s_or_b32 s10, s8, s10
	s_delay_alu instid0(VALU_DEP_1) | instskip(SKIP_1) | instid1(VALU_DEP_2)
	v_and_b32_e32 v49, v43, v48
	v_bfe_u32 v48, v48, s101, 2
	v_cmp_eq_u32_e64 s6, v49, v22
	s_delay_alu instid0(VALU_DEP_2)
	v_cmp_eq_u32_e64 s7, 0, v48
	v_cmp_eq_u32_e32 vcc_lo, 1, v48
	v_cmp_eq_u32_e64 s8, 2, v48
	s_and_b32 s7, s6, s7
	s_wait_alu 0xfffe
	v_cndmask_b32_e64 v49, 0, 1, s7
	s_and_b32 s7, s6, vcc_lo
	v_cmp_eq_u32_e32 vcc_lo, 3, v48
	s_wait_alu 0xfffe
	v_cndmask_b32_e64 v50, 0, 1, s7
	s_and_b32 s7, s6, s8
	s_wait_alu 0xfffe
	v_cndmask_b32_e64 v48, 0, 1, s7
	v_cmp_ne_u32_e64 s7, 0, v49
	v_cmp_ne_u32_e64 s8, 0, v50
	s_and_b32 s6, s6, vcc_lo
	s_wait_alu 0xfffe
	v_cndmask_b32_e64 v49, 0, 1, s6
	s_bcnt1_i32_b32 s6, s7
	v_cmp_ne_u32_e32 vcc_lo, 0, v48
	s_bcnt1_i32_b32 s7, s8
	s_wait_alu 0xfffe
	v_add_co_u32 v4, s6, v4, s6
	s_wait_alu 0xf1ff
	v_add_co_ci_u32_e64 v5, null, 0, v5, s6
	v_add_co_u32 v6, s6, v6, s7
	s_wait_alu 0xf1ff
	v_add_co_ci_u32_e64 v7, null, 0, v7, s6
	s_bcnt1_i32_b32 s6, vcc_lo
	v_cmp_ne_u32_e32 vcc_lo, 0, v49
	s_wait_alu 0xfffe
	v_add_co_u32 v8, s6, v8, s6
	s_wait_alu 0xf1ff
	v_add_co_ci_u32_e64 v9, null, 0, v9, s6
	s_bcnt1_i32_b32 s6, vcc_lo
	v_mov_b32_e32 v48, v47
	s_wait_alu 0xfffe
	v_add_co_u32 v10, vcc_lo, v10, s6
	s_wait_alu 0xfffd
	v_add_co_ci_u32_e64 v11, null, 0, v11, vcc_lo
	v_add_co_u32 v32, vcc_lo, v32, v45
	s_wait_alu 0xfffd
	v_add_co_ci_u32_e64 v33, null, v33, v46, vcc_lo
	s_and_not1_b32 exec_lo, exec_lo, s10
	s_cbranch_execz .LBB5_70
.LBB5_68:                               ;   Parent Loop BB5_16 Depth=1
                                        ; =>  This Inner Loop Header: Depth=2
	v_add_co_u32 v30, vcc_lo, v30, v2
	s_wait_alu 0xfffd
	v_add_co_ci_u32_e64 v31, null, 0, v31, vcc_lo
	v_mov_b32_e32 v47, 0
	s_mov_b32 s7, exec_lo
	s_delay_alu instid0(VALU_DEP_2)
	v_cmp_le_i64_e32 vcc_lo, s[36:37], v[30:31]
	v_cmpx_gt_i64_e64 s[36:37], v[30:31]
	s_cbranch_execz .LBB5_67
; %bb.69:                               ;   in Loop: Header=BB5_68 Depth=2
	global_load_u8 v47, v[32:33], off
	s_branch .LBB5_67
.LBB5_70:                               ;   in Loop: Header=BB5_16 Depth=1
	s_or_b32 exec_lo, exec_lo, s10
.LBB5_71:                               ;   in Loop: Header=BB5_16 Depth=1
	s_wait_alu 0xfffe
	s_or_b32 exec_lo, exec_lo, s9
	s_branch .LBB5_50
.LBB5_72:                               ;   in Loop: Header=BB5_16 Depth=1
	global_load_u16 v2, v3, s[38:39]
	v_mov_b32_e32 v6, 0
	v_mov_b32_e32 v8, 0
	v_dual_mov_b32 v10, 0 :: v_dual_mov_b32 v9, 0
	v_mov_b32_e32 v11, 0
	s_mov_b32 s73, exec_lo
	v_mov_b32_e32 v7, 0
	s_wait_loadcnt 0x0
	v_readfirstlane_b32 s6, v2
	v_and_b32_e32 v2, 0xffff, v2
	s_and_b32 s29, 0xffff, s6
	s_wait_alu 0xfffe
	s_lshl_b32 s31, s29, 2
	s_wait_alu 0xfffe
	s_cvt_f32_u32 s6, s31
	s_sub_co_i32 s7, 0, s31
	s_wait_alu 0xfffe
	s_delay_alu instid0(SALU_CYCLE_1) | instskip(NEXT) | instid1(TRANS32_DEP_1)
	v_rcp_iflag_f32_e32 v4, s6
	v_readfirstlane_b32 s6, v4
	s_mul_f32 s6, s6, 0x4f7ffffe
	s_wait_alu 0xfffe
	s_delay_alu instid0(SALU_CYCLE_2) | instskip(SKIP_1) | instid1(SALU_CYCLE_2)
	s_cvt_u32_f32 s6, s6
	s_wait_alu 0xfffe
	s_mul_i32 s7, s7, s6
	s_wait_alu 0xfffe
	s_mul_hi_u32 s7, s6, s7
	s_wait_alu 0xfffe
	s_add_co_i32 s6, s6, s7
	s_wait_alu 0xfffe
	s_mul_hi_u32 s6, s72, s6
	s_wait_alu 0xfffe
	s_mul_i32 s7, s6, s31
	s_add_co_i32 s8, s6, 1
	s_wait_alu 0xfffe
	s_sub_co_i32 s7, s72, s7
	s_wait_alu 0xfffe
	s_sub_co_i32 s9, s7, s31
	s_cmp_ge_u32 s7, s31
	s_cselect_b32 s6, s8, s6
	s_wait_alu 0xfffe
	s_cselect_b32 s7, s9, s7
	s_add_co_i32 s8, s6, 1
	s_wait_alu 0xfffe
	s_cmp_ge_u32 s7, s31
	s_cselect_b32 s30, s8, s6
	s_wait_alu 0xfffe
	v_mul_hi_u32 v5, s30, v2
	v_mul_lo_u32 v4, s30, v2
	s_delay_alu instid0(VALU_DEP_1) | instskip(SKIP_2) | instid1(VALU_DEP_3)
	v_lshlrev_b64_e32 v[30:31], 2, v[4:5]
	v_mov_b32_e32 v4, 0
	v_mov_b32_e32 v5, 0
	v_cmpx_gt_u64_e64 v[30:31], v[16:17]
	s_cbranch_execz .LBB5_76
; %bb.73:                               ;   in Loop: Header=BB5_16 Depth=1
	v_mov_b32_e32 v33, v17
	v_dual_mov_b32 v45, v16 :: v_dual_mov_b32 v32, v16
	s_mov_b64 s[74:75], 0
	s_mov_b32 s82, 0
	s_mov_b64 s[76:77], 0
	s_mov_b64 s[78:79], 0
	;; [unrolled: 1-line block ×3, first 2 shown]
.LBB5_74:                               ;   Parent Loop BB5_16 Depth=1
                                        ; =>  This Inner Loop Header: Depth=2
	ds_load_b32 v4, v45
	v_add_co_u32 v32, vcc_lo, v32, s31
	s_wait_alu 0xfffd
	v_add_co_ci_u32_e64 v33, null, 0, v33, vcc_lo
	s_delay_alu instid0(VALU_DEP_1)
	v_cmp_ge_u64_e32 vcc_lo, v[32:33], v[30:31]
	s_wait_dscnt 0x0
	v_and_b32_e32 v5, 0xff, v4
	v_bfe_u32 v6, v4, 8, 8
	v_bfe_u32 v7, v4, 16, 8
	v_lshrrev_b32_e32 v4, 24, v4
	s_delay_alu instid0(VALU_DEP_4) | instskip(NEXT) | instid1(VALU_DEP_4)
	v_and_b32_e32 v8, v43, v5
	v_and_b32_e32 v9, v43, v6
	v_bfe_u32 v5, v5, s101, 2
	v_bfe_u32 v6, v6, s101, 2
	s_delay_alu instid0(VALU_DEP_4)
	v_cmp_eq_u32_e64 s6, v8, v22
	v_and_b32_e32 v8, v43, v7
	v_bfe_u32 v7, v7, s101, 2
	v_cmp_eq_u32_e64 s7, v9, v22
	v_and_b32_e32 v9, v43, v4
	v_bfe_u32 v4, v4, s101, 2
	v_cmp_eq_u32_e64 s10, 0, v5
	v_cmp_eq_u32_e64 s11, 0, v6
	;; [unrolled: 1-line block ×9, first 2 shown]
	s_and_b32 s10, s6, s10
	s_and_b32 s11, s7, s11
	v_cmp_eq_u32_e64 s15, 1, v6
	v_cmp_eq_u32_e64 s18, 2, v5
	;; [unrolled: 1-line block ×7, first 2 shown]
	s_and_b32 s12, s8, s12
	s_wait_alu 0xfffe
	v_cndmask_b32_e64 v4, 0, 1, s10
	v_cndmask_b32_e64 v5, 0, 1, s11
	s_and_b32 s13, s9, s13
	v_cmp_eq_u32_e64 s20, 2, v7
	v_cmp_eq_u32_e64 s24, 3, v7
	v_cndmask_b32_e64 v6, 0, 1, s12
	s_and_b32 s14, s6, s14
	s_and_b32 s16, s8, s16
	;; [unrolled: 1-line block ×3, first 2 shown]
	s_wait_alu 0xfffe
	v_cndmask_b32_e64 v7, 0, 1, s13
	s_and_b32 s15, s7, s15
	s_and_b32 s18, s6, s18
	;; [unrolled: 1-line block ×5, first 2 shown]
	v_cndmask_b32_e64 v8, 0, 1, s14
	v_cmp_ne_u32_e64 s6, 0, v4
	v_cndmask_b32_e64 v4, 0, 1, s16
	v_cmp_ne_u32_e64 s7, 0, v5
	v_cndmask_b32_e64 v5, 0, 1, s17
	s_wait_alu 0xfffe
	v_cndmask_b32_e64 v9, 0, 1, s15
	s_and_b32 s20, s8, s20
	s_and_b32 s24, s8, s24
	v_cmp_ne_u32_e64 s8, 0, v6
	v_cndmask_b32_e64 v6, 0, 1, s18
	s_and_b32 s21, s9, s21
	s_and_b32 s25, s9, s25
	v_cmp_ne_u32_e64 s9, 0, v7
	v_cndmask_b32_e64 v7, 0, 1, s19
	v_cmp_ne_u32_e64 s10, 0, v8
	s_wait_alu 0xfffe
	v_cndmask_b32_e64 v8, 0, 1, s20
	v_cmp_ne_u32_e64 s12, 0, v4
	v_cndmask_b32_e64 v4, 0, 1, s22
	v_cmp_ne_u32_e64 s13, 0, v5
	;; [unrolled: 2-line block ×5, first 2 shown]
	v_cndmask_b32_e64 v7, 0, 1, s25
	s_bcnt1_i32_b32 s6, s6
	s_bcnt1_i32_b32 s7, s7
	v_cmp_ne_u32_e64 s16, 0, v8
	v_cmp_ne_u32_e64 s18, 0, v4
	;; [unrolled: 1-line block ×3, first 2 shown]
	s_bcnt1_i32_b32 s8, s8
	s_bcnt1_i32_b32 s10, s10
	;; [unrolled: 1-line block ×3, first 2 shown]
	s_wait_alu 0xfffe
	s_add_co_i32 s6, s7, s6
	v_cmp_ne_u32_e64 s17, 0, v9
	v_cmp_ne_u32_e64 s20, 0, v6
	s_bcnt1_i32_b32 s9, s9
	s_bcnt1_i32_b32 s12, s12
	;; [unrolled: 1-line block ×4, first 2 shown]
	s_add_co_i32 s7, s11, s10
	s_wait_alu 0xfffe
	s_add_co_i32 s6, s6, s8
	v_cmp_ne_u32_e64 s21, 0, v7
	s_bcnt1_i32_b32 s13, s13
	s_bcnt1_i32_b32 s16, s16
	;; [unrolled: 1-line block ×4, first 2 shown]
	s_add_co_i32 s10, s15, s14
	s_add_co_i32 s7, s7, s12
	s_wait_alu 0xfffe
	s_add_co_i32 s58, s6, s9
	s_bcnt1_i32_b32 s17, s17
	s_bcnt1_i32_b32 s20, s20
	s_add_co_i32 s11, s19, s18
	s_add_co_i32 s8, s10, s16
	s_wait_alu 0xfffe
	s_add_nc_u64 s[80:81], s[80:81], s[58:59]
	s_add_co_i32 s58, s7, s13
	s_bcnt1_i32_b32 s21, s21
	s_add_co_i32 s10, s11, s20
	s_wait_alu 0xfffe
	s_add_nc_u64 s[78:79], s[78:79], s[58:59]
	s_add_co_i32 s58, s8, s17
	v_dual_mov_b32 v4, s80 :: v_dual_add_nc_u32 v45, s31, v45
	s_wait_alu 0xfffe
	s_add_nc_u64 s[76:77], s[76:77], s[58:59]
	s_add_co_i32 s58, s10, s21
	v_mov_b32_e32 v6, s78
	s_wait_alu 0xfffe
	s_add_nc_u64 s[74:75], s[74:75], s[58:59]
	s_wait_alu 0xfffe
	v_dual_mov_b32 v5, s81 :: v_dual_mov_b32 v10, s74
	v_dual_mov_b32 v7, s79 :: v_dual_mov_b32 v8, s76
	v_mov_b32_e32 v9, s77
	v_mov_b32_e32 v11, s75
	s_or_b32 s82, vcc_lo, s82
	s_wait_alu 0xfffe
	s_and_not1_b32 exec_lo, exec_lo, s82
	s_cbranch_execnz .LBB5_74
; %bb.75:                               ;   in Loop: Header=BB5_16 Depth=1
	s_or_b32 exec_lo, exec_lo, s82
.LBB5_76:                               ;   in Loop: Header=BB5_16 Depth=1
	s_delay_alu instid0(SALU_CYCLE_1)
	s_or_b32 exec_lo, exec_lo, s73
	v_add_co_u32 v30, vcc_lo, v30, v0
	s_wait_alu 0xfffd
	v_add_co_ci_u32_e64 v31, null, 0, v31, vcc_lo
	s_and_b32 s58, s72, 0x7fffffff
	s_mov_b32 s11, exec_lo
	s_wait_alu 0xfffe
	v_cmpx_gt_u64_e64 s[58:59], v[30:31]
	s_cbranch_execz .LBB5_80
; %bb.77:                               ;   in Loop: Header=BB5_16 Depth=1
	s_mul_i32 s30, s30, s29
	s_mov_b32 s12, 0
	s_wait_alu 0xfffe
	v_lshl_add_u32 v32, s30, 2, v0
.LBB5_78:                               ;   Parent Loop BB5_16 Depth=1
                                        ; =>  This Inner Loop Header: Depth=2
	ds_load_u8 v33, v32
	v_add_co_u32 v30, vcc_lo, v30, v2
	s_wait_alu 0xfffd
	v_add_co_ci_u32_e64 v31, null, 0, v31, vcc_lo
	v_add_nc_u32_e32 v32, s29, v32
	s_delay_alu instid0(VALU_DEP_2) | instskip(SKIP_3) | instid1(VALU_DEP_2)
	v_cmp_le_u64_e32 vcc_lo, s[58:59], v[30:31]
	s_wait_dscnt 0x0
	v_and_b32_e32 v45, v43, v33
	v_bfe_u32 v33, v33, s101, 2
	v_cmp_eq_u32_e64 s6, v45, v22
	s_delay_alu instid0(VALU_DEP_2)
	v_cmp_eq_u32_e64 s7, 0, v33
	v_cmp_eq_u32_e64 s8, 1, v33
	;; [unrolled: 1-line block ×4, first 2 shown]
	s_and_b32 s7, s6, s7
	s_wait_alu 0xfffe
	v_cndmask_b32_e64 v33, 0, 1, s7
	s_and_b32 s7, s6, s8
	s_wait_alu 0xfffe
	v_cndmask_b32_e64 v45, 0, 1, s7
	s_and_b32 s7, s6, s9
	s_and_b32 s6, s6, s10
	s_wait_alu 0xfffe
	v_cndmask_b32_e64 v46, 0, 1, s7
	v_cndmask_b32_e64 v47, 0, 1, s6
	v_cmp_ne_u32_e64 s6, 0, v33
	v_cmp_ne_u32_e64 s7, 0, v45
	s_delay_alu instid0(VALU_DEP_4) | instskip(NEXT) | instid1(VALU_DEP_4)
	v_cmp_ne_u32_e64 s8, 0, v46
	v_cmp_ne_u32_e64 s9, 0, v47
	s_bcnt1_i32_b32 s6, s6
	s_bcnt1_i32_b32 s7, s7
	s_wait_alu 0xfffe
	v_add_co_u32 v4, s6, v4, s6
	s_bcnt1_i32_b32 s8, s8
	v_add_co_ci_u32_e64 v5, null, 0, v5, s6
	v_add_co_u32 v6, s6, v6, s7
	s_bcnt1_i32_b32 s9, s9
	v_add_co_ci_u32_e64 v7, null, 0, v7, s6
	s_wait_alu 0xfffe
	v_add_co_u32 v8, s6, v8, s8
	s_wait_alu 0xf1ff
	v_add_co_ci_u32_e64 v9, null, 0, v9, s6
	v_add_co_u32 v10, s6, v10, s9
	s_wait_alu 0xf1ff
	v_add_co_ci_u32_e64 v11, null, 0, v11, s6
	s_or_b32 s12, vcc_lo, s12
	s_wait_alu 0xfffe
	s_and_not1_b32 exec_lo, exec_lo, s12
	s_cbranch_execnz .LBB5_78
; %bb.79:                               ;   in Loop: Header=BB5_16 Depth=1
	s_or_b32 exec_lo, exec_lo, s12
.LBB5_80:                               ;   in Loop: Header=BB5_16 Depth=1
	s_delay_alu instid0(SALU_CYCLE_1)
	s_or_b32 exec_lo, exec_lo, s11
	s_lshl_b32 s6, s104, 7
	s_and_saveexec_b32 s7, s1
	s_cbranch_execnz .LBB5_51
	s_branch .LBB5_52
.LBB5_81:                               ;   in Loop: Header=BB5_16 Depth=1
                                        ; implicit-def: $sgpr76_sgpr77
	s_branch .LBB5_60
.LBB5_82:                               ;   in Loop: Header=BB5_16 Depth=1
	s_or_b32 exec_lo, exec_lo, s9
	s_wait_dscnt 0x0
	s_barrier_signal -1
	s_barrier_wait -1
	global_inv scope:SCOPE_SE
	s_and_saveexec_b32 s6, s2
	s_cbranch_execz .LBB5_84
; %bb.83:                               ;   in Loop: Header=BB5_16 Depth=1
	ds_load_b32 v4, v3 offset:5136
	s_wait_dscnt 0x0
	v_ashrrev_i32_e32 v5, 31, v4
	ds_store_b64 v3, v[4:5] offset:5120
.LBB5_84:                               ;   in Loop: Header=BB5_16 Depth=1
	s_wait_alu 0xfffe
	s_or_b32 exec_lo, exec_lo, s6
	s_wait_loadcnt_dscnt 0x0
	s_barrier_signal -1
	s_mov_b32 s6, -1
	s_barrier_wait -1
	s_and_b32 vcc_lo, exec_lo, s8
	s_wait_alu 0xfffe
	s_cbranch_vccnz .LBB5_31
	s_branch .LBB5_46
.LBB5_85:                               ;   in Loop: Header=BB5_16 Depth=1
	s_mov_b32 s8, 0
	s_and_not1_b32 vcc_lo, exec_lo, s102
	s_wait_alu 0xfffe
	s_cbranch_vccnz .LBB5_88
.LBB5_86:                               ;   in Loop: Header=BB5_16 Depth=1
	s_lshl_b32 s9, s104, 10
	s_lshl_b32 s8, s8, 5
	s_wait_alu 0xfffe
	v_add3_u32 v2, s9, s8, v41
	s_mov_b32 s8, s98
.LBB5_87:                               ;   Parent Loop BB5_16 Depth=1
                                        ; =>  This Inner Loop Header: Depth=2
	ds_load_b64 v[6:7], v2
	v_add_nc_u32_e32 v2, 32, v2
	s_wait_alu 0xfffe
	s_add_co_i32 s8, s8, -1
	s_wait_alu 0xfffe
	s_cmp_lg_u32 s8, 0
	s_wait_dscnt 0x0
	v_add_co_u32 v4, vcc_lo, v6, v4
	s_wait_alu 0xfffd
	v_add_co_ci_u32_e64 v5, null, v7, v5, vcc_lo
	s_cbranch_scc1 .LBB5_87
.LBB5_88:                               ;   in Loop: Header=BB5_16 Depth=1
	v_add_lshl_u32 v2, s6, v34, 3
	ds_store_b64 v2, v[4:5] offset:3072
.LBB5_89:                               ;   in Loop: Header=BB5_16 Depth=1
	s_wait_alu 0xfffe
	s_or_b32 exec_lo, exec_lo, s7
	s_lshl_b32 s6, s6, 3
	s_wait_loadcnt_dscnt 0x0
	s_wait_alu 0xfffe
	v_mov_b32_e32 v2, s6
	s_barrier_signal -1
	s_barrier_wait -1
	global_inv scope:SCOPE_SE
	v_cmp_eq_u64_e32 vcc_lo, 1, v[28:29]
	ds_load_b128 v[4:7], v2 offset:3072
	ds_load_b128 v[8:11], v2 offset:3088
	s_lshl_b32 s16, 3, s101
	s_mov_b32 s18, -1
	s_wait_alu 0xfffe
	s_not_b32 s20, s16
                                        ; implicit-def: $sgpr22
                                        ; implicit-def: $sgpr21
	s_wait_dscnt 0x1
	v_cmp_eq_u64_e64 s6, 1, v[4:5]
	s_wait_dscnt 0x0
	v_readfirstlane_b32 s10, v8
	v_readfirstlane_b32 s11, v9
	;; [unrolled: 1-line block ×4, first 2 shown]
	s_and_b32 s19, s6, vcc_lo
	s_mov_b32 s6, -1
	s_wait_alu 0xfffe
	s_and_saveexec_b32 s17, s19
	s_cbranch_execz .LBB5_121
; %bb.90:                               ;   in Loop: Header=BB5_16 Depth=1
	ds_load_b64 v[8:9], v3 offset:5120
	s_wait_loadcnt_dscnt 0x0
	s_barrier_signal -1
	s_barrier_wait -1
	global_inv scope:SCOPE_SE
	v_readfirstlane_b32 s12, v8
	v_readfirstlane_b32 s13, v9
	s_and_saveexec_b32 s6, s3
; %bb.91:                               ;   in Loop: Header=BB5_16 Depth=1
	ds_store_b8 v0, v3 offset:3072
; %bb.92:                               ;   in Loop: Header=BB5_16 Depth=1
	s_wait_alu 0xfffe
	s_or_b32 exec_lo, exec_lo, s6
	v_cmp_lt_i64_e64 s6, s[12:13], 1
	v_and_b32_e32 v22, s20, v22
	v_or_b32_e32 v43, s16, v43
	s_mov_b32 s21, -1
	s_mov_b32 s22, 0
	s_mov_b32 s23, 0
	s_and_b32 vcc_lo, exec_lo, s6
	s_mov_b32 s7, -1
	s_wait_loadcnt_dscnt 0x0
	s_barrier_signal -1
	s_barrier_wait -1
	global_inv scope:SCOPE_SE
                                        ; implicit-def: $vgpr44
	s_wait_alu 0xfffe
	s_cbranch_vccz .LBB5_106
; %bb.93:                               ;   in Loop: Header=BB5_16 Depth=1
	s_mov_b32 s6, s59
	s_mov_b32 s7, s67
	s_wait_alu 0xfffe
	s_cmp_lg_u64 s[6:7], 0
	s_cbranch_scc0 .LBB5_147
; %bb.94:                               ;   in Loop: Header=BB5_16 Depth=1
	s_add_nc_u64 s[6:7], s[56:57], 0
	s_wait_alu 0xfffe
	s_xor_b64 s[6:7], s[6:7], 0
	s_wait_alu 0xfffe
	s_cvt_f32_u32 s14, s6
	s_cvt_f32_u32 s15, s7
	s_sub_nc_u64 s[24:25], 0, s[6:7]
	s_wait_alu 0xfffe
	s_delay_alu instid0(SALU_CYCLE_1) | instskip(SKIP_1) | instid1(SALU_CYCLE_2)
	s_fmamk_f32 s14, s15, 0x4f800000, s14
	s_wait_alu 0xfffe
	v_s_rcp_f32 s14, s14
	s_delay_alu instid0(TRANS32_DEP_1) | instskip(SKIP_1) | instid1(SALU_CYCLE_2)
	s_mul_f32 s14, s14, 0x5f7ffffc
	s_wait_alu 0xfffe
	s_mul_f32 s15, s14, 0x2f800000
	s_wait_alu 0xfffe
	s_delay_alu instid0(SALU_CYCLE_2) | instskip(SKIP_1) | instid1(SALU_CYCLE_2)
	s_trunc_f32 s15, s15
	s_wait_alu 0xfffe
	s_fmamk_f32 s14, s15, 0xcf800000, s14
	s_cvt_u32_f32 s15, s15
	s_wait_alu 0xfffe
	s_delay_alu instid0(SALU_CYCLE_1) | instskip(SKIP_1) | instid1(SALU_CYCLE_2)
	s_cvt_u32_f32 s14, s14
	s_wait_alu 0xfffe
	s_mul_u64 s[30:31], s[24:25], s[14:15]
	s_wait_alu 0xfffe
	s_mul_hi_u32 s73, s14, s31
	s_mul_i32 s72, s14, s31
	s_mul_hi_u32 s58, s14, s30
	s_mul_i32 s29, s15, s30
	s_wait_alu 0xfffe
	s_add_nc_u64 s[72:73], s[58:59], s[72:73]
	s_mul_hi_u32 s23, s15, s30
	s_mul_hi_u32 s74, s15, s31
	s_wait_alu 0xfffe
	s_add_co_u32 s29, s72, s29
	s_add_co_ci_u32 s58, s73, s23
	s_mul_i32 s30, s15, s31
	s_add_co_ci_u32 s31, s74, 0
	s_wait_alu 0xfffe
	s_add_nc_u64 s[30:31], s[58:59], s[30:31]
	s_wait_alu 0xfffe
	s_add_co_u32 s14, s14, s30
	s_cselect_b32 s23, -1, 0
	s_wait_alu 0xfffe
	s_cmp_lg_u32 s23, 0
	s_add_co_ci_u32 s15, s15, s31
	s_wait_alu 0xfffe
	s_mul_u64 s[24:25], s[24:25], s[14:15]
	s_wait_alu 0xfffe
	s_mul_hi_u32 s31, s14, s25
	s_mul_i32 s30, s14, s25
	s_mul_hi_u32 s58, s14, s24
	s_mul_i32 s29, s15, s24
	s_wait_alu 0xfffe
	s_add_nc_u64 s[30:31], s[58:59], s[30:31]
	s_mul_hi_u32 s23, s15, s24
	s_mul_hi_u32 s72, s15, s25
	s_mul_i32 s24, s15, s25
	s_wait_alu 0xfffe
	s_add_co_u32 s25, s30, s29
	s_add_co_ci_u32 s58, s31, s23
	s_add_co_ci_u32 s25, s72, 0
	s_wait_alu 0xfffe
	s_add_nc_u64 s[24:25], s[58:59], s[24:25]
	s_wait_alu 0xfffe
	s_add_co_u32 s23, s14, s24
	s_cselect_b32 s14, -1, 0
	s_wait_alu 0xfffe
	s_cmp_lg_u32 s14, 0
	s_add_co_ci_u32 s29, s15, s25
	s_ashr_i32 s14, s67, 31
	s_wait_alu 0xfffe
	s_mov_b32 s15, s14
	s_wait_alu 0xfffe
	s_add_nc_u64 s[24:25], s[66:67], s[14:15]
	s_wait_alu 0xfffe
	s_xor_b64 s[24:25], s[24:25], s[14:15]
	s_wait_alu 0xfffe
	s_mul_hi_u32 s31, s24, s29
	s_mul_i32 s30, s24, s29
	s_mul_hi_u32 s58, s24, s23
	s_mul_hi_u32 s74, s25, s23
	s_mul_i32 s23, s25, s23
	s_wait_alu 0xfffe
	s_add_nc_u64 s[30:31], s[58:59], s[30:31]
	s_mul_hi_u32 s73, s25, s29
	s_wait_alu 0xfffe
	s_add_co_u32 s23, s30, s23
	s_add_co_ci_u32 s58, s31, s74
	s_mul_i32 s72, s25, s29
	s_add_co_ci_u32 s73, s73, 0
	s_wait_alu 0xfffe
	s_add_nc_u64 s[30:31], s[58:59], s[72:73]
	s_wait_alu 0xfffe
	s_mul_u64 s[30:31], s[6:7], s[30:31]
	s_wait_alu 0xfffe
	s_sub_co_u32 s23, s24, s30
	s_cselect_b32 s24, -1, 0
	s_sub_co_i32 s29, s25, s31
	s_wait_alu 0xfffe
	s_cmp_lg_u32 s24, 0
	s_sub_co_ci_u32 s29, s29, s7
	s_sub_co_u32 s30, s23, s6
	s_cselect_b32 s58, -1, 0
	s_wait_alu 0xfffe
	s_cmp_lg_u32 s58, 0
	s_sub_co_ci_u32 s72, s29, 0
	s_wait_alu 0xfffe
	s_cmp_ge_u32 s72, s7
	s_cselect_b32 s73, -1, 0
	s_cmp_ge_u32 s30, s6
	s_cselect_b32 s74, -1, 0
	s_cmp_eq_u32 s72, s7
	s_wait_alu 0xfffe
	s_cselect_b32 s73, s74, s73
	s_cmp_lg_u32 s58, 0
	s_sub_co_ci_u32 s29, s29, s7
	s_sub_co_u32 s58, s30, s6
	s_cselect_b32 s74, -1, 0
	s_wait_alu 0xfffe
	s_cmp_lg_u32 s74, 0
	s_sub_co_ci_u32 s29, s29, 0
	s_cmp_lg_u32 s73, 0
	s_cselect_b32 s30, s58, s30
	s_wait_alu 0xfffe
	s_cselect_b32 s29, s29, s72
	s_cmp_lg_u32 s24, 0
	s_sub_co_ci_u32 s24, s25, s31
	s_wait_alu 0xfffe
	s_cmp_ge_u32 s24, s7
	s_cselect_b32 s25, -1, 0
	s_cmp_ge_u32 s23, s6
	s_cselect_b32 s6, -1, 0
	s_cmp_eq_u32 s24, s7
	s_wait_alu 0xfffe
	s_cselect_b32 s6, s6, s25
	s_wait_alu 0xfffe
	s_cmp_lg_u32 s6, 0
	s_cselect_b32 s7, s29, s24
	s_cselect_b32 s6, s30, s23
	s_wait_alu 0xfffe
	s_xor_b64 s[6:7], s[6:7], s[14:15]
	s_wait_alu 0xfffe
	s_sub_nc_u64 s[6:7], s[6:7], s[14:15]
	s_cbranch_execnz .LBB5_96
.LBB5_95:                               ;   in Loop: Header=BB5_16 Depth=1
	v_cvt_f32_u32_e32 v2, s56
	s_sub_co_i32 s7, 0, s56
	s_delay_alu instid0(VALU_DEP_1) | instskip(NEXT) | instid1(TRANS32_DEP_1)
	v_rcp_iflag_f32_e32 v2, v2
	v_mul_f32_e32 v2, 0x4f7ffffe, v2
	s_delay_alu instid0(VALU_DEP_1) | instskip(NEXT) | instid1(VALU_DEP_1)
	v_cvt_u32_f32_e32 v2, v2
	v_readfirstlane_b32 s6, v2
	s_wait_alu 0xfffe
	s_mul_i32 s7, s7, s6
	s_wait_alu 0xfffe
	s_mul_hi_u32 s7, s6, s7
	s_wait_alu 0xfffe
	s_add_co_i32 s6, s6, s7
	s_wait_alu 0xfffe
	s_mul_hi_u32 s6, s66, s6
	s_wait_alu 0xfffe
	s_mul_i32 s6, s6, s56
	s_wait_alu 0xfffe
	s_sub_co_i32 s6, s66, s6
	s_wait_alu 0xfffe
	s_sub_co_i32 s7, s6, s56
	s_cmp_ge_u32 s6, s56
	s_wait_alu 0xfffe
	s_cselect_b32 s6, s7, s6
	s_wait_alu 0xfffe
	s_sub_co_i32 s7, s6, s56
	s_cmp_ge_u32 s6, s56
	s_wait_alu 0xfffe
	s_cselect_b32 s58, s7, s6
	s_wait_alu 0xfffe
	s_mov_b64 s[6:7], s[58:59]
.LBB5_96:                               ;   in Loop: Header=BB5_16 Depth=1
	s_wait_alu 0xfffe
	s_sub_nc_u64 s[14:15], s[66:67], s[6:7]
	s_mov_b32 s7, 0
	s_mov_b32 s23, 0
	s_mov_b32 s24, exec_lo
                                        ; implicit-def: $vgpr44
	s_wait_alu 0xfffe
	v_cmpx_gt_i64_e64 s[14:15], v[0:1]
	s_cbranch_execz .LBB5_105
; %bb.97:                               ;   in Loop: Header=BB5_16 Depth=1
	v_dual_mov_b32 v8, v12 :: v_dual_mov_b32 v9, v13
	v_dual_mov_b32 v11, v1 :: v_dual_mov_b32 v10, v0
                                        ; implicit-def: $sgpr25
	s_branch .LBB5_100
.LBB5_98:                               ;   in Loop: Header=BB5_100 Depth=2
	s_wait_alu 0xfffe
	s_or_b32 exec_lo, exec_lo, s6
	s_wait_loadcnt_dscnt 0x0
	s_barrier_signal -1
	s_barrier_wait -1
	global_inv scope:SCOPE_SE
	ds_load_u16 v2, v3 offset:3072
	s_mov_b32 s6, -1
	s_mov_b32 s29, -1
	s_wait_loadcnt_dscnt 0x0
	s_barrier_signal -1
	s_barrier_wait -1
	global_inv scope:SCOPE_SE
	v_and_b32_e32 v30, 0xff, v2
	s_delay_alu instid0(VALU_DEP_1)
	v_cmp_ne_u32_e32 vcc_lo, 0, v30
	s_cbranch_vccz .LBB5_103
.LBB5_99:                               ;   in Loop: Header=BB5_100 Depth=2
	s_wait_alu 0xfffe
	s_and_b32 s6, exec_lo, s6
	s_wait_alu 0xfffe
	s_or_b32 s23, s6, s23
	s_and_not1_b32 s6, s25, exec_lo
	s_and_b32 s25, s29, exec_lo
	s_wait_alu 0xfffe
	s_or_b32 s25, s6, s25
	s_and_not1_b32 exec_lo, exec_lo, s23
	s_cbranch_execz .LBB5_104
.LBB5_100:                              ;   Parent Loop BB5_16 Depth=1
                                        ; =>  This Inner Loop Header: Depth=2
	s_mov_b32 s6, exec_lo
	s_delay_alu instid0(VALU_DEP_1)
	v_cmpx_gt_i64_e64 s[36:37], v[10:11]
	s_cbranch_execz .LBB5_98
; %bb.101:                              ;   in Loop: Header=BB5_100 Depth=2
	global_load_u8 v2, v[8:9], off
	s_wait_loadcnt 0x0
	v_and_b32_e32 v30, v2, v43
	s_delay_alu instid0(VALU_DEP_1) | instskip(NEXT) | instid1(VALU_DEP_1)
	v_and_b32_e32 v30, 0xff, v30
	v_cmp_eq_u32_e32 vcc_lo, v30, v22
	s_and_b32 exec_lo, exec_lo, vcc_lo
	s_cbranch_execz .LBB5_98
; %bb.102:                              ;   in Loop: Header=BB5_100 Depth=2
	v_lshlrev_b16 v2, 8, v2
	s_delay_alu instid0(VALU_DEP_1)
	v_or_b32_e32 v2, 1, v2
	ds_store_b16 v3, v2 offset:3072
	s_branch .LBB5_98
.LBB5_103:                              ;   in Loop: Header=BB5_100 Depth=2
	v_add_co_u32 v10, vcc_lo, v10, s56
	s_wait_alu 0xfffd
	v_add_co_ci_u32_e64 v11, null, 0, v11, vcc_lo
	v_add_co_u32 v8, s6, v8, s60
	s_wait_alu 0xf1fe
	v_add_co_ci_u32_e64 v9, null, s61, v9, s6
	s_delay_alu instid0(VALU_DEP_3)
	v_cmp_le_i64_e32 vcc_lo, s[14:15], v[10:11]
	s_mov_b32 s29, 0
	s_or_not1_b32 s6, vcc_lo, exec_lo
	s_branch .LBB5_99
.LBB5_104:                              ;   in Loop: Header=BB5_16 Depth=1
	s_or_b32 exec_lo, exec_lo, s23
	v_and_b32_e32 v2, 0xffff, v2
	s_wait_alu 0xfffe
	s_and_b32 s23, s25, exec_lo
	s_delay_alu instid0(VALU_DEP_1)
	v_lshrrev_b32_e32 v44, 8, v2
.LBB5_105:                              ;   in Loop: Header=BB5_16 Depth=1
	s_or_b32 exec_lo, exec_lo, s24
.LBB5_106:                              ;   in Loop: Header=BB5_16 Depth=1
	s_delay_alu instid0(SALU_CYCLE_1)
	s_and_b32 vcc_lo, exec_lo, s7
	s_wait_alu 0xfffe
	s_cbranch_vccz .LBB5_120
; %bb.107:                              ;   in Loop: Header=BB5_16 Depth=1
	s_add_nc_u64 s[6:7], s[12:13], s[64:65]
	s_mov_b32 s14, s59
	s_wait_alu 0xfffe
	s_mov_b32 s15, s7
	s_wait_alu 0xfffe
	s_cmp_lg_u64 s[14:15], 0
	s_cbranch_scc0 .LBB5_148
; %bb.108:                              ;   in Loop: Header=BB5_16 Depth=1
	s_add_nc_u64 s[14:15], s[56:57], 0
	s_wait_alu 0xfffe
	s_xor_b64 s[14:15], s[14:15], 0
	s_wait_alu 0xfffe
	s_cvt_f32_u32 s21, s14
	s_cvt_f32_u32 s22, s15
	s_sub_nc_u64 s[30:31], 0, s[14:15]
	s_wait_alu 0xfffe
	s_delay_alu instid0(SALU_CYCLE_1) | instskip(SKIP_1) | instid1(SALU_CYCLE_2)
	s_fmamk_f32 s21, s22, 0x4f800000, s21
	s_wait_alu 0xfffe
	v_s_rcp_f32 s21, s21
	s_delay_alu instid0(TRANS32_DEP_1) | instskip(SKIP_1) | instid1(SALU_CYCLE_2)
	s_mul_f32 s21, s21, 0x5f7ffffc
	s_wait_alu 0xfffe
	s_mul_f32 s22, s21, 0x2f800000
	s_wait_alu 0xfffe
	s_delay_alu instid0(SALU_CYCLE_2) | instskip(SKIP_1) | instid1(SALU_CYCLE_2)
	s_trunc_f32 s22, s22
	s_wait_alu 0xfffe
	s_fmamk_f32 s21, s22, 0xcf800000, s21
	s_cvt_u32_f32 s25, s22
	s_wait_alu 0xfffe
	s_delay_alu instid0(SALU_CYCLE_1) | instskip(SKIP_1) | instid1(SALU_CYCLE_2)
	s_cvt_u32_f32 s24, s21
	s_wait_alu 0xfffe
	s_mul_u64 s[72:73], s[30:31], s[24:25]
	s_wait_alu 0xfffe
	s_mul_hi_u32 s75, s24, s73
	s_mul_i32 s74, s24, s73
	s_mul_hi_u32 s58, s24, s72
	s_mul_i32 s22, s25, s72
	s_wait_alu 0xfffe
	s_add_nc_u64 s[74:75], s[58:59], s[74:75]
	s_mul_hi_u32 s21, s25, s72
	s_mul_hi_u32 s29, s25, s73
	s_wait_alu 0xfffe
	s_add_co_u32 s22, s74, s22
	s_add_co_ci_u32 s58, s75, s21
	s_mul_i32 s72, s25, s73
	s_add_co_ci_u32 s73, s29, 0
	s_wait_alu 0xfffe
	s_add_nc_u64 s[72:73], s[58:59], s[72:73]
	s_wait_alu 0xfffe
	s_add_co_u32 s24, s24, s72
	s_cselect_b32 s21, -1, 0
	s_wait_alu 0xfffe
	s_cmp_lg_u32 s21, 0
	s_add_co_ci_u32 s25, s25, s73
	s_wait_alu 0xfffe
	s_mul_u64 s[30:31], s[30:31], s[24:25]
	s_wait_alu 0xfffe
	s_mul_hi_u32 s73, s24, s31
	s_mul_i32 s72, s24, s31
	s_mul_hi_u32 s58, s24, s30
	s_mul_i32 s22, s25, s30
	s_wait_alu 0xfffe
	s_add_nc_u64 s[72:73], s[58:59], s[72:73]
	s_mul_hi_u32 s21, s25, s30
	s_mul_hi_u32 s29, s25, s31
	s_wait_alu 0xfffe
	s_add_co_u32 s22, s72, s22
	s_add_co_ci_u32 s58, s73, s21
	s_mul_i32 s30, s25, s31
	s_add_co_ci_u32 s31, s29, 0
	s_wait_alu 0xfffe
	s_add_nc_u64 s[30:31], s[58:59], s[30:31]
	s_wait_alu 0xfffe
	s_add_co_u32 s21, s24, s30
	s_cselect_b32 s22, -1, 0
	s_wait_alu 0xfffe
	s_cmp_lg_u32 s22, 0
	s_add_co_ci_u32 s22, s25, s31
	s_ashr_i32 s24, s7, 31
	s_wait_alu 0xfffe
	s_mov_b32 s25, s24
	s_wait_alu 0xfffe
	s_add_nc_u64 s[30:31], s[6:7], s[24:25]
	s_wait_alu 0xfffe
	s_xor_b64 s[30:31], s[30:31], s[24:25]
	s_wait_alu 0xfffe
	s_mul_hi_u32 s73, s30, s22
	s_mul_i32 s72, s30, s22
	s_mul_hi_u32 s58, s30, s21
	s_mul_hi_u32 s75, s31, s21
	s_mul_i32 s21, s31, s21
	s_wait_alu 0xfffe
	s_add_nc_u64 s[72:73], s[58:59], s[72:73]
	s_mul_hi_u32 s29, s31, s22
	s_wait_alu 0xfffe
	s_add_co_u32 s21, s72, s21
	s_add_co_ci_u32 s58, s73, s75
	s_mul_i32 s74, s31, s22
	s_add_co_ci_u32 s75, s29, 0
	s_wait_alu 0xfffe
	s_add_nc_u64 s[72:73], s[58:59], s[74:75]
	s_wait_alu 0xfffe
	s_mul_u64 s[72:73], s[14:15], s[72:73]
	s_wait_alu 0xfffe
	s_sub_co_u32 s21, s30, s72
	s_cselect_b32 s22, -1, 0
	s_sub_co_i32 s29, s31, s73
	s_wait_alu 0xfffe
	s_cmp_lg_u32 s22, 0
	s_sub_co_ci_u32 s29, s29, s15
	s_sub_co_u32 s30, s21, s14
	s_cselect_b32 s58, -1, 0
	s_wait_alu 0xfffe
	s_cmp_lg_u32 s58, 0
	s_sub_co_ci_u32 s72, s29, 0
	s_wait_alu 0xfffe
	s_cmp_ge_u32 s72, s15
	s_cselect_b32 s74, -1, 0
	s_cmp_ge_u32 s30, s14
	s_cselect_b32 s75, -1, 0
	s_cmp_eq_u32 s72, s15
	s_wait_alu 0xfffe
	s_cselect_b32 s74, s75, s74
	s_cmp_lg_u32 s58, 0
	s_sub_co_ci_u32 s29, s29, s15
	s_sub_co_u32 s58, s30, s14
	s_cselect_b32 s75, -1, 0
	s_wait_alu 0xfffe
	s_cmp_lg_u32 s75, 0
	s_sub_co_ci_u32 s29, s29, 0
	s_cmp_lg_u32 s74, 0
	s_cselect_b32 s30, s58, s30
	s_wait_alu 0xfffe
	s_cselect_b32 s29, s29, s72
	s_cmp_lg_u32 s22, 0
	s_sub_co_ci_u32 s22, s31, s73
	s_wait_alu 0xfffe
	s_cmp_ge_u32 s22, s15
	s_cselect_b32 s31, -1, 0
	s_cmp_ge_u32 s21, s14
	s_cselect_b32 s14, -1, 0
	s_cmp_eq_u32 s22, s15
	s_wait_alu 0xfffe
	s_cselect_b32 s14, s14, s31
	s_wait_alu 0xfffe
	s_cmp_lg_u32 s14, 0
	s_cselect_b32 s15, s29, s22
	s_cselect_b32 s14, s30, s21
	s_wait_alu 0xfffe
	s_xor_b64 s[14:15], s[14:15], s[24:25]
	s_wait_alu 0xfffe
	s_sub_nc_u64 s[14:15], s[14:15], s[24:25]
	s_cbranch_execnz .LBB5_110
.LBB5_109:                              ;   in Loop: Header=BB5_16 Depth=1
	v_cvt_f32_u32_e32 v2, s56
	s_sub_co_i32 s15, 0, s56
	s_delay_alu instid0(VALU_DEP_1) | instskip(NEXT) | instid1(TRANS32_DEP_1)
	v_rcp_iflag_f32_e32 v2, v2
	v_mul_f32_e32 v2, 0x4f7ffffe, v2
	s_delay_alu instid0(VALU_DEP_1) | instskip(NEXT) | instid1(VALU_DEP_1)
	v_cvt_u32_f32_e32 v2, v2
	v_readfirstlane_b32 s14, v2
	s_wait_alu 0xfffe
	s_mul_i32 s15, s15, s14
	s_wait_alu 0xfffe
	s_mul_hi_u32 s15, s14, s15
	s_wait_alu 0xfffe
	s_add_co_i32 s14, s14, s15
	s_wait_alu 0xfffe
	s_mul_hi_u32 s14, s6, s14
	s_wait_alu 0xfffe
	s_mul_i32 s14, s14, s56
	s_wait_alu 0xfffe
	s_sub_co_i32 s14, s6, s14
	s_wait_alu 0xfffe
	s_sub_co_i32 s15, s14, s56
	s_cmp_ge_u32 s14, s56
	s_wait_alu 0xfffe
	s_cselect_b32 s14, s15, s14
	s_wait_alu 0xfffe
	s_sub_co_i32 s15, s14, s56
	s_cmp_ge_u32 s14, s56
	s_wait_alu 0xfffe
	s_cselect_b32 s58, s15, s14
	s_wait_alu 0xfffe
	s_mov_b64 s[14:15], s[58:59]
.LBB5_110:                              ;   in Loop: Header=BB5_16 Depth=1
	s_wait_alu 0xfffe
	s_sub_nc_u64 s[6:7], s[6:7], s[14:15]
	s_mov_b32 s14, exec_lo
                                        ; implicit-def: $vgpr44
	s_wait_alu 0xfffe
	v_cmpx_gt_i64_e64 s[6:7], v[0:1]
	s_cbranch_execz .LBB5_119
; %bb.111:                              ;   in Loop: Header=BB5_16 Depth=1
	v_dual_mov_b32 v2, v0 :: v_dual_mov_b32 v9, v1
	v_mov_b32_e32 v8, v0
	s_mov_b32 s21, 0
                                        ; implicit-def: $sgpr15
	s_branch .LBB5_114
.LBB5_112:                              ;   in Loop: Header=BB5_114 Depth=2
	s_wait_alu 0xfffe
	s_or_b32 exec_lo, exec_lo, s22
	s_wait_loadcnt_dscnt 0x0
	s_barrier_signal -1
	s_barrier_wait -1
	global_inv scope:SCOPE_SE
	ds_load_u16 v10, v3 offset:3072
	s_mov_b32 s22, -1
	s_mov_b32 s24, -1
	s_wait_loadcnt_dscnt 0x0
	s_barrier_signal -1
	s_barrier_wait -1
	global_inv scope:SCOPE_SE
	v_and_b32_e32 v11, 0xff, v10
	s_delay_alu instid0(VALU_DEP_1)
	v_cmp_ne_u32_e32 vcc_lo, 0, v11
	s_cbranch_vccz .LBB5_117
.LBB5_113:                              ;   in Loop: Header=BB5_114 Depth=2
	s_wait_alu 0xfffe
	s_and_b32 s22, exec_lo, s22
	s_wait_alu 0xfffe
	s_or_b32 s21, s22, s21
	s_and_not1_b32 s15, s15, exec_lo
	s_and_b32 s22, s24, exec_lo
	s_wait_alu 0xfffe
	s_or_b32 s15, s15, s22
	s_and_not1_b32 exec_lo, exec_lo, s21
	s_cbranch_execz .LBB5_118
.LBB5_114:                              ;   Parent Loop BB5_16 Depth=1
                                        ; =>  This Inner Loop Header: Depth=2
	s_mov_b32 s22, exec_lo
	s_delay_alu instid0(VALU_DEP_1)
	v_cmpx_gt_u64_e64 s[12:13], v[8:9]
	s_cbranch_execz .LBB5_112
; %bb.115:                              ;   in Loop: Header=BB5_114 Depth=2
	ds_load_u8 v10, v2
	s_wait_dscnt 0x0
	v_and_b32_e32 v11, v10, v43
	s_delay_alu instid0(VALU_DEP_1) | instskip(NEXT) | instid1(VALU_DEP_1)
	v_and_b32_e32 v11, 0xff, v11
	v_cmp_eq_u32_e32 vcc_lo, v11, v22
	s_and_b32 exec_lo, exec_lo, vcc_lo
	s_cbranch_execz .LBB5_112
; %bb.116:                              ;   in Loop: Header=BB5_114 Depth=2
	v_lshlrev_b16 v10, 8, v10
	s_delay_alu instid0(VALU_DEP_1)
	v_or_b32_e32 v10, 1, v10
	ds_store_b16 v3, v10 offset:3072
	s_branch .LBB5_112
.LBB5_117:                              ;   in Loop: Header=BB5_114 Depth=2
	v_add_co_u32 v8, vcc_lo, v8, s56
	s_wait_alu 0xfffd
	v_add_co_ci_u32_e64 v9, null, 0, v9, vcc_lo
	v_add_nc_u32_e32 v2, s56, v2
	s_mov_b32 s24, 0
	s_delay_alu instid0(VALU_DEP_2)
	v_cmp_le_i64_e32 vcc_lo, s[6:7], v[8:9]
	s_or_not1_b32 s22, vcc_lo, exec_lo
	s_branch .LBB5_113
.LBB5_118:                              ;   in Loop: Header=BB5_16 Depth=1
	s_or_b32 exec_lo, exec_lo, s21
	v_and_b32_e32 v2, 0xffff, v10
	s_and_not1_b32 s6, s23, exec_lo
	s_wait_alu 0xfffe
	s_and_b32 s7, s15, exec_lo
	s_wait_alu 0xfffe
	s_or_b32 s23, s6, s7
	v_lshrrev_b32_e32 v44, 8, v2
.LBB5_119:                              ;   in Loop: Header=BB5_16 Depth=1
	s_or_b32 exec_lo, exec_lo, s14
	s_mov_b32 s21, 0
	s_mov_b32 s22, -1
.LBB5_120:                              ;   in Loop: Header=BB5_16 Depth=1
	s_wait_alu 0xfffe
	s_or_not1_b32 s6, s23, exec_lo
.LBB5_121:                              ;   in Loop: Header=BB5_16 Depth=1
	s_wait_alu 0xfffe
	s_or_b32 exec_lo, exec_lo, s17
	s_delay_alu instid0(SALU_CYCLE_1)
	s_and_not1_b32 s7, s55, exec_lo
	s_and_b32 s12, s22, exec_lo
	s_and_not1_b32 s13, s53, exec_lo
	s_and_b32 s14, s21, exec_lo
	s_and_not1_b32 s52, s52, exec_lo
	s_wait_alu 0xfffe
	s_or_b32 s55, s7, s12
	s_or_b32 s53, s13, s14
                                        ; implicit-def: $vgpr8_vgpr9
	s_and_saveexec_b32 s17, s6
	s_cbranch_execz .LBB5_15
; %bb.122:                              ;   in Loop: Header=BB5_16 Depth=1
	v_mov_b32_e32 v8, 1
	v_dual_mov_b32 v9, 0 :: v_dual_mov_b32 v2, 1
	s_xor_b32 s12, s19, -1
	s_mov_b32 s7, 0
	s_wait_alu 0xfffe
	s_and_saveexec_b32 s6, s12
	s_cbranch_execz .LBB5_131
; %bb.123:                              ;   in Loop: Header=BB5_16 Depth=1
	s_mov_b32 s7, exec_lo
	v_cmpx_le_i64_e64 v[28:29], v[4:5]
	s_wait_alu 0xfffe
	s_xor_b32 s7, exec_lo, s7
	s_cbranch_execz .LBB5_128
; %bb.124:                              ;   in Loop: Header=BB5_16 Depth=1
	ds_load_b64 v[8:9], v3 offset:5120
	v_and_b32_e32 v22, s20, v22
	v_or_b32_e32 v43, s16, v43
	s_wait_dscnt 0x0
	v_cmp_ne_u64_e32 vcc_lo, 0, v[8:9]
	s_cbranch_vccnz .LBB5_128
; %bb.125:                              ;   in Loop: Header=BB5_16 Depth=1
	s_and_saveexec_b32 s12, s2
; %bb.126:                              ;   in Loop: Header=BB5_16 Depth=1
	ds_store_b64 v3, v[4:5] offset:5128
; %bb.127:                              ;   in Loop: Header=BB5_16 Depth=1
	s_wait_alu 0xfffe
	s_or_b32 exec_lo, exec_lo, s12
	s_wait_loadcnt_dscnt 0x0
	s_barrier_signal -1
	s_barrier_wait -1
	global_inv scope:SCOPE_SE
.LBB5_128:                              ;   in Loop: Header=BB5_16 Depth=1
	s_wait_alu 0xfffe
	s_or_saveexec_b32 s7, s7
	v_mov_b32_e32 v2, 8
	s_mov_b32 s12, 0
	s_wait_alu 0xfffe
	s_xor_b32 exec_lo, exec_lo, s7
; %bb.129:                              ;   in Loop: Header=BB5_16 Depth=1
	v_sub_co_u32 v28, vcc_lo, v28, v4
	s_wait_alu 0xfffd
	v_sub_co_ci_u32_e64 v29, null, v29, v5, vcc_lo
	v_mov_b32_e32 v2, 0
	s_mov_b32 s12, exec_lo
; %bb.130:                              ;   in Loop: Header=BB5_16 Depth=1
	s_or_b32 exec_lo, exec_lo, s7
	s_delay_alu instid0(VALU_DEP_2)
	v_dual_mov_b32 v8, v28 :: v_dual_mov_b32 v9, v29
	s_wait_alu 0xfffe
	s_and_b32 s7, s12, exec_lo
.LBB5_131:                              ;   in Loop: Header=BB5_16 Depth=1
	s_wait_alu 0xfffe
	s_or_b32 exec_lo, exec_lo, s6
	s_mov_b32 s18, -1
	s_mov_b32 s6, -1
                                        ; implicit-def: $sgpr21
                                        ; implicit-def: $sgpr22
	s_and_saveexec_b32 s12, s7
	s_wait_alu 0xfffe
	s_xor_b32 s19, exec_lo, s12
	s_cbranch_execz .LBB5_273
; %bb.132:                              ;   in Loop: Header=BB5_16 Depth=1
	v_cmp_eq_u64_e32 vcc_lo, 1, v[6:7]
	v_cmp_eq_u64_e64 s6, 1, v[8:9]
                                        ; implicit-def: $sgpr22
                                        ; implicit-def: $sgpr21
	s_and_b32 s24, vcc_lo, s6
	s_mov_b32 s6, -1
	s_wait_alu 0xfffe
	s_and_saveexec_b32 s23, s24
	s_cbranch_execz .LBB5_166
; %bb.133:                              ;   in Loop: Header=BB5_16 Depth=1
	ds_load_b64 v[4:5], v3 offset:5120
	s_wait_loadcnt_dscnt 0x0
	s_barrier_signal -1
	s_barrier_wait -1
	global_inv scope:SCOPE_SE
	v_readfirstlane_b32 s12, v4
	v_readfirstlane_b32 s13, v5
	s_and_saveexec_b32 s6, s3
; %bb.134:                              ;   in Loop: Header=BB5_16 Depth=1
	ds_store_b8 v0, v3 offset:3072
; %bb.135:                              ;   in Loop: Header=BB5_16 Depth=1
	s_wait_alu 0xfffe
	s_or_b32 exec_lo, exec_lo, s6
	s_lshl_b32 s6, 1, s101
	v_or_b32_e32 v43, s16, v43
	s_wait_alu 0xfffe
	v_and_or_b32 v22, v22, s20, s6
	v_cmp_gt_i64_e64 s6, s[12:13], 0
	s_mov_b32 s21, -1
	s_mov_b32 s22, 0
	s_mov_b32 s25, 0
	s_mov_b32 s7, -1
	s_wait_loadcnt_dscnt 0x0
	s_and_b32 vcc_lo, exec_lo, s6
	s_barrier_signal -1
	s_barrier_wait -1
	global_inv scope:SCOPE_SE
                                        ; implicit-def: $vgpr44
	s_wait_alu 0xfffe
	s_cbranch_vccnz .LBB5_151
; %bb.136:                              ;   in Loop: Header=BB5_16 Depth=1
	s_mov_b32 s6, s59
	s_mov_b32 s7, s67
	s_wait_alu 0xfffe
	s_cmp_lg_u64 s[6:7], 0
	s_cbranch_scc0 .LBB5_193
; %bb.137:                              ;   in Loop: Header=BB5_16 Depth=1
	s_add_nc_u64 s[6:7], s[56:57], 0
	s_wait_alu 0xfffe
	s_xor_b64 s[6:7], s[6:7], 0
	s_wait_alu 0xfffe
	s_cvt_f32_u32 s14, s6
	s_cvt_f32_u32 s15, s7
	s_sub_nc_u64 s[30:31], 0, s[6:7]
	s_wait_alu 0xfffe
	s_delay_alu instid0(SALU_CYCLE_1) | instskip(SKIP_1) | instid1(SALU_CYCLE_2)
	s_fmamk_f32 s14, s15, 0x4f800000, s14
	s_wait_alu 0xfffe
	v_s_rcp_f32 s14, s14
	s_delay_alu instid0(TRANS32_DEP_1) | instskip(SKIP_1) | instid1(SALU_CYCLE_2)
	s_mul_f32 s14, s14, 0x5f7ffffc
	s_wait_alu 0xfffe
	s_mul_f32 s15, s14, 0x2f800000
	s_wait_alu 0xfffe
	s_delay_alu instid0(SALU_CYCLE_2) | instskip(SKIP_1) | instid1(SALU_CYCLE_2)
	s_trunc_f32 s15, s15
	s_wait_alu 0xfffe
	s_fmamk_f32 s14, s15, 0xcf800000, s14
	s_cvt_u32_f32 s15, s15
	s_wait_alu 0xfffe
	s_delay_alu instid0(SALU_CYCLE_1) | instskip(SKIP_1) | instid1(SALU_CYCLE_2)
	s_cvt_u32_f32 s14, s14
	s_wait_alu 0xfffe
	s_mul_u64 s[72:73], s[30:31], s[14:15]
	s_wait_alu 0xfffe
	s_mul_hi_u32 s75, s14, s73
	s_mul_i32 s74, s14, s73
	s_mul_hi_u32 s58, s14, s72
	s_mul_i32 s29, s15, s72
	s_wait_alu 0xfffe
	s_add_nc_u64 s[74:75], s[58:59], s[74:75]
	s_mul_hi_u32 s25, s15, s72
	s_mul_hi_u32 s76, s15, s73
	s_wait_alu 0xfffe
	s_add_co_u32 s29, s74, s29
	s_add_co_ci_u32 s58, s75, s25
	s_mul_i32 s72, s15, s73
	s_add_co_ci_u32 s73, s76, 0
	s_wait_alu 0xfffe
	s_add_nc_u64 s[72:73], s[58:59], s[72:73]
	s_wait_alu 0xfffe
	s_add_co_u32 s14, s14, s72
	s_cselect_b32 s25, -1, 0
	s_wait_alu 0xfffe
	s_cmp_lg_u32 s25, 0
	s_add_co_ci_u32 s15, s15, s73
	s_wait_alu 0xfffe
	s_mul_u64 s[30:31], s[30:31], s[14:15]
	s_wait_alu 0xfffe
	s_mul_hi_u32 s73, s14, s31
	s_mul_i32 s72, s14, s31
	s_mul_hi_u32 s58, s14, s30
	s_mul_i32 s29, s15, s30
	s_wait_alu 0xfffe
	s_add_nc_u64 s[72:73], s[58:59], s[72:73]
	s_mul_hi_u32 s25, s15, s30
	s_mul_hi_u32 s74, s15, s31
	s_wait_alu 0xfffe
	s_add_co_u32 s29, s72, s29
	s_add_co_ci_u32 s58, s73, s25
	s_mul_i32 s30, s15, s31
	s_add_co_ci_u32 s31, s74, 0
	s_wait_alu 0xfffe
	s_add_nc_u64 s[30:31], s[58:59], s[30:31]
	s_wait_alu 0xfffe
	s_add_co_u32 s25, s14, s30
	s_cselect_b32 s14, -1, 0
	s_wait_alu 0xfffe
	s_cmp_lg_u32 s14, 0
	s_add_co_ci_u32 s29, s15, s31
	s_ashr_i32 s14, s67, 31
	s_wait_alu 0xfffe
	s_mov_b32 s15, s14
	s_wait_alu 0xfffe
	s_add_nc_u64 s[30:31], s[66:67], s[14:15]
	s_wait_alu 0xfffe
	s_xor_b64 s[30:31], s[30:31], s[14:15]
	s_wait_alu 0xfffe
	s_mul_hi_u32 s73, s30, s29
	s_mul_i32 s72, s30, s29
	s_mul_hi_u32 s58, s30, s25
	s_mul_hi_u32 s76, s31, s25
	s_mul_i32 s25, s31, s25
	s_wait_alu 0xfffe
	s_add_nc_u64 s[72:73], s[58:59], s[72:73]
	s_mul_hi_u32 s75, s31, s29
	s_wait_alu 0xfffe
	s_add_co_u32 s25, s72, s25
	s_add_co_ci_u32 s58, s73, s76
	s_mul_i32 s74, s31, s29
	s_add_co_ci_u32 s75, s75, 0
	s_wait_alu 0xfffe
	s_add_nc_u64 s[72:73], s[58:59], s[74:75]
	s_wait_alu 0xfffe
	s_mul_u64 s[72:73], s[6:7], s[72:73]
	s_wait_alu 0xfffe
	s_sub_co_u32 s25, s30, s72
	s_cselect_b32 s29, -1, 0
	s_sub_co_i32 s30, s31, s73
	s_wait_alu 0xfffe
	s_cmp_lg_u32 s29, 0
	s_sub_co_ci_u32 s30, s30, s7
	s_sub_co_u32 s58, s25, s6
	s_cselect_b32 s72, -1, 0
	s_wait_alu 0xfffe
	s_cmp_lg_u32 s72, 0
	s_sub_co_ci_u32 s74, s30, 0
	s_wait_alu 0xfffe
	s_cmp_ge_u32 s74, s7
	s_cselect_b32 s75, -1, 0
	s_cmp_ge_u32 s58, s6
	s_cselect_b32 s76, -1, 0
	s_cmp_eq_u32 s74, s7
	s_wait_alu 0xfffe
	s_cselect_b32 s75, s76, s75
	s_cmp_lg_u32 s72, 0
	s_sub_co_ci_u32 s30, s30, s7
	s_sub_co_u32 s72, s58, s6
	s_cselect_b32 s76, -1, 0
	s_wait_alu 0xfffe
	s_cmp_lg_u32 s76, 0
	s_sub_co_ci_u32 s30, s30, 0
	s_cmp_lg_u32 s75, 0
	s_cselect_b32 s58, s72, s58
	s_wait_alu 0xfffe
	s_cselect_b32 s30, s30, s74
	s_cmp_lg_u32 s29, 0
	s_sub_co_ci_u32 s29, s31, s73
	s_wait_alu 0xfffe
	s_cmp_ge_u32 s29, s7
	s_cselect_b32 s31, -1, 0
	s_cmp_ge_u32 s25, s6
	s_cselect_b32 s6, -1, 0
	s_cmp_eq_u32 s29, s7
	s_wait_alu 0xfffe
	s_cselect_b32 s6, s6, s31
	s_wait_alu 0xfffe
	s_cmp_lg_u32 s6, 0
	s_cselect_b32 s7, s30, s29
	s_cselect_b32 s6, s58, s25
	s_wait_alu 0xfffe
	s_xor_b64 s[6:7], s[6:7], s[14:15]
	s_wait_alu 0xfffe
	s_sub_nc_u64 s[6:7], s[6:7], s[14:15]
	s_cbranch_execnz .LBB5_139
.LBB5_138:                              ;   in Loop: Header=BB5_16 Depth=1
	v_cvt_f32_u32_e32 v4, s56
	s_sub_co_i32 s7, 0, s56
	s_delay_alu instid0(VALU_DEP_1) | instskip(NEXT) | instid1(TRANS32_DEP_1)
	v_rcp_iflag_f32_e32 v4, v4
	v_mul_f32_e32 v4, 0x4f7ffffe, v4
	s_delay_alu instid0(VALU_DEP_1) | instskip(NEXT) | instid1(VALU_DEP_1)
	v_cvt_u32_f32_e32 v4, v4
	v_readfirstlane_b32 s6, v4
	s_wait_alu 0xfffe
	s_mul_i32 s7, s7, s6
	s_wait_alu 0xfffe
	s_mul_hi_u32 s7, s6, s7
	s_wait_alu 0xfffe
	s_add_co_i32 s6, s6, s7
	s_wait_alu 0xfffe
	s_mul_hi_u32 s6, s66, s6
	s_wait_alu 0xfffe
	s_mul_i32 s6, s6, s56
	s_wait_alu 0xfffe
	s_sub_co_i32 s6, s66, s6
	s_wait_alu 0xfffe
	s_sub_co_i32 s7, s6, s56
	s_cmp_ge_u32 s6, s56
	s_wait_alu 0xfffe
	s_cselect_b32 s6, s7, s6
	s_wait_alu 0xfffe
	s_sub_co_i32 s7, s6, s56
	s_cmp_ge_u32 s6, s56
	s_wait_alu 0xfffe
	s_cselect_b32 s58, s7, s6
	s_wait_alu 0xfffe
	s_mov_b64 s[6:7], s[58:59]
.LBB5_139:                              ;   in Loop: Header=BB5_16 Depth=1
	s_wait_alu 0xfffe
	s_sub_nc_u64 s[14:15], s[66:67], s[6:7]
	s_mov_b32 s7, 0
	s_mov_b32 s25, 0
	s_mov_b32 s29, exec_lo
                                        ; implicit-def: $vgpr44
	s_wait_alu 0xfffe
	v_cmpx_gt_i64_e64 s[14:15], v[0:1]
	s_cbranch_execz .LBB5_150
; %bb.140:                              ;   in Loop: Header=BB5_16 Depth=1
	v_dual_mov_b32 v4, v12 :: v_dual_mov_b32 v5, v13
	v_dual_mov_b32 v11, v1 :: v_dual_mov_b32 v10, v0
                                        ; implicit-def: $sgpr30
	s_branch .LBB5_143
.LBB5_141:                              ;   in Loop: Header=BB5_143 Depth=2
	s_wait_alu 0xfffe
	s_or_b32 exec_lo, exec_lo, s6
	s_wait_loadcnt_dscnt 0x0
	s_barrier_signal -1
	s_barrier_wait -1
	global_inv scope:SCOPE_SE
	ds_load_u16 v28, v3 offset:3072
	s_mov_b32 s6, -1
	s_mov_b32 s31, -1
	s_wait_loadcnt_dscnt 0x0
	s_barrier_signal -1
	s_barrier_wait -1
	global_inv scope:SCOPE_SE
	v_and_b32_e32 v29, 0xff, v28
	s_delay_alu instid0(VALU_DEP_1)
	v_cmp_ne_u32_e32 vcc_lo, 0, v29
	s_cbranch_vccz .LBB5_146
.LBB5_142:                              ;   in Loop: Header=BB5_143 Depth=2
	s_wait_alu 0xfffe
	s_and_b32 s6, exec_lo, s6
	s_wait_alu 0xfffe
	s_or_b32 s25, s6, s25
	s_and_not1_b32 s6, s30, exec_lo
	s_and_b32 s30, s31, exec_lo
	s_wait_alu 0xfffe
	s_or_b32 s30, s6, s30
	s_and_not1_b32 exec_lo, exec_lo, s25
	s_cbranch_execz .LBB5_149
.LBB5_143:                              ;   Parent Loop BB5_16 Depth=1
                                        ; =>  This Inner Loop Header: Depth=2
	s_mov_b32 s6, exec_lo
	s_delay_alu instid0(VALU_DEP_1)
	v_cmpx_gt_i64_e64 s[36:37], v[10:11]
	s_cbranch_execz .LBB5_141
; %bb.144:                              ;   in Loop: Header=BB5_143 Depth=2
	global_load_u8 v28, v[4:5], off
	s_wait_loadcnt 0x0
	v_and_b32_e32 v29, v28, v43
	s_delay_alu instid0(VALU_DEP_1) | instskip(NEXT) | instid1(VALU_DEP_1)
	v_and_b32_e32 v29, 0xff, v29
	v_cmp_eq_u32_e32 vcc_lo, v29, v22
	s_and_b32 exec_lo, exec_lo, vcc_lo
	s_cbranch_execz .LBB5_141
; %bb.145:                              ;   in Loop: Header=BB5_143 Depth=2
	v_lshlrev_b16 v28, 8, v28
	s_delay_alu instid0(VALU_DEP_1)
	v_or_b32_e32 v28, 1, v28
	ds_store_b16 v3, v28 offset:3072
	s_branch .LBB5_141
.LBB5_146:                              ;   in Loop: Header=BB5_143 Depth=2
	v_add_co_u32 v10, vcc_lo, v10, s56
	s_wait_alu 0xfffd
	v_add_co_ci_u32_e64 v11, null, 0, v11, vcc_lo
	v_add_co_u32 v4, s6, v4, s60
	s_wait_alu 0xf1fe
	v_add_co_ci_u32_e64 v5, null, s61, v5, s6
	s_delay_alu instid0(VALU_DEP_3)
	v_cmp_le_i64_e32 vcc_lo, s[14:15], v[10:11]
	s_mov_b32 s31, 0
	s_or_not1_b32 s6, vcc_lo, exec_lo
	s_branch .LBB5_142
.LBB5_147:                              ;   in Loop: Header=BB5_16 Depth=1
                                        ; implicit-def: $sgpr6_sgpr7
	s_branch .LBB5_95
.LBB5_148:                              ;   in Loop: Header=BB5_16 Depth=1
                                        ; implicit-def: $sgpr14_sgpr15
	s_branch .LBB5_109
.LBB5_149:                              ;   in Loop: Header=BB5_16 Depth=1
	s_or_b32 exec_lo, exec_lo, s25
	v_and_b32_e32 v4, 0xffff, v28
	s_wait_alu 0xfffe
	s_and_b32 s25, s30, exec_lo
	s_delay_alu instid0(VALU_DEP_1)
	v_lshrrev_b32_e32 v44, 8, v4
.LBB5_150:                              ;   in Loop: Header=BB5_16 Depth=1
	s_or_b32 exec_lo, exec_lo, s29
.LBB5_151:                              ;   in Loop: Header=BB5_16 Depth=1
	s_delay_alu instid0(SALU_CYCLE_1)
	s_and_b32 vcc_lo, exec_lo, s7
	s_wait_alu 0xfffe
	s_cbranch_vccz .LBB5_165
; %bb.152:                              ;   in Loop: Header=BB5_16 Depth=1
	s_add_nc_u64 s[6:7], s[12:13], s[64:65]
	s_mov_b32 s14, s59
	s_wait_alu 0xfffe
	s_mov_b32 s15, s7
	s_wait_alu 0xfffe
	s_cmp_lg_u64 s[14:15], 0
	s_cbranch_scc0 .LBB5_194
; %bb.153:                              ;   in Loop: Header=BB5_16 Depth=1
	s_add_nc_u64 s[14:15], s[56:57], 0
	s_wait_alu 0xfffe
	s_xor_b64 s[14:15], s[14:15], 0
	s_wait_alu 0xfffe
	s_cvt_f32_u32 s21, s14
	s_cvt_f32_u32 s22, s15
	s_sub_nc_u64 s[72:73], 0, s[14:15]
	s_wait_alu 0xfffe
	s_delay_alu instid0(SALU_CYCLE_1) | instskip(SKIP_1) | instid1(SALU_CYCLE_2)
	s_fmamk_f32 s21, s22, 0x4f800000, s21
	s_wait_alu 0xfffe
	v_s_rcp_f32 s21, s21
	s_delay_alu instid0(TRANS32_DEP_1) | instskip(SKIP_1) | instid1(SALU_CYCLE_2)
	s_mul_f32 s21, s21, 0x5f7ffffc
	s_wait_alu 0xfffe
	s_mul_f32 s22, s21, 0x2f800000
	s_wait_alu 0xfffe
	s_delay_alu instid0(SALU_CYCLE_2) | instskip(SKIP_1) | instid1(SALU_CYCLE_2)
	s_trunc_f32 s22, s22
	s_wait_alu 0xfffe
	s_fmamk_f32 s21, s22, 0xcf800000, s21
	s_cvt_u32_f32 s31, s22
	s_wait_alu 0xfffe
	s_delay_alu instid0(SALU_CYCLE_1) | instskip(SKIP_1) | instid1(SALU_CYCLE_2)
	s_cvt_u32_f32 s30, s21
	s_wait_alu 0xfffe
	s_mul_u64 s[74:75], s[72:73], s[30:31]
	s_wait_alu 0xfffe
	s_mul_hi_u32 s77, s30, s75
	s_mul_i32 s76, s30, s75
	s_mul_hi_u32 s58, s30, s74
	s_mul_i32 s22, s31, s74
	s_wait_alu 0xfffe
	s_add_nc_u64 s[76:77], s[58:59], s[76:77]
	s_mul_hi_u32 s21, s31, s74
	s_mul_hi_u32 s29, s31, s75
	s_wait_alu 0xfffe
	s_add_co_u32 s22, s76, s22
	s_add_co_ci_u32 s58, s77, s21
	s_mul_i32 s74, s31, s75
	s_add_co_ci_u32 s75, s29, 0
	s_wait_alu 0xfffe
	s_add_nc_u64 s[74:75], s[58:59], s[74:75]
	s_wait_alu 0xfffe
	s_add_co_u32 s30, s30, s74
	s_cselect_b32 s21, -1, 0
	s_wait_alu 0xfffe
	s_cmp_lg_u32 s21, 0
	s_add_co_ci_u32 s31, s31, s75
	s_wait_alu 0xfffe
	s_mul_u64 s[72:73], s[72:73], s[30:31]
	s_wait_alu 0xfffe
	s_mul_hi_u32 s75, s30, s73
	s_mul_i32 s74, s30, s73
	s_mul_hi_u32 s58, s30, s72
	s_mul_i32 s22, s31, s72
	s_wait_alu 0xfffe
	s_add_nc_u64 s[74:75], s[58:59], s[74:75]
	s_mul_hi_u32 s21, s31, s72
	s_mul_hi_u32 s29, s31, s73
	s_wait_alu 0xfffe
	s_add_co_u32 s22, s74, s22
	s_add_co_ci_u32 s58, s75, s21
	s_mul_i32 s72, s31, s73
	s_add_co_ci_u32 s73, s29, 0
	s_wait_alu 0xfffe
	s_add_nc_u64 s[72:73], s[58:59], s[72:73]
	s_wait_alu 0xfffe
	s_add_co_u32 s21, s30, s72
	s_cselect_b32 s22, -1, 0
	s_wait_alu 0xfffe
	s_cmp_lg_u32 s22, 0
	s_add_co_ci_u32 s22, s31, s73
	s_ashr_i32 s30, s7, 31
	s_wait_alu 0xfffe
	s_mov_b32 s31, s30
	s_wait_alu 0xfffe
	s_add_nc_u64 s[72:73], s[6:7], s[30:31]
	s_wait_alu 0xfffe
	s_xor_b64 s[72:73], s[72:73], s[30:31]
	s_wait_alu 0xfffe
	s_mul_hi_u32 s75, s72, s22
	s_mul_i32 s74, s72, s22
	s_mul_hi_u32 s58, s72, s21
	s_mul_hi_u32 s77, s73, s21
	s_mul_i32 s21, s73, s21
	s_wait_alu 0xfffe
	s_add_nc_u64 s[74:75], s[58:59], s[74:75]
	s_mul_hi_u32 s29, s73, s22
	s_wait_alu 0xfffe
	s_add_co_u32 s21, s74, s21
	s_add_co_ci_u32 s58, s75, s77
	s_mul_i32 s76, s73, s22
	s_add_co_ci_u32 s77, s29, 0
	s_wait_alu 0xfffe
	s_add_nc_u64 s[74:75], s[58:59], s[76:77]
	s_wait_alu 0xfffe
	s_mul_u64 s[74:75], s[14:15], s[74:75]
	s_wait_alu 0xfffe
	s_sub_co_u32 s21, s72, s74
	s_cselect_b32 s22, -1, 0
	s_sub_co_i32 s29, s73, s75
	s_wait_alu 0xfffe
	s_cmp_lg_u32 s22, 0
	s_sub_co_ci_u32 s29, s29, s15
	s_sub_co_u32 s58, s21, s14
	s_cselect_b32 s72, -1, 0
	s_wait_alu 0xfffe
	s_cmp_lg_u32 s72, 0
	s_sub_co_ci_u32 s74, s29, 0
	s_wait_alu 0xfffe
	s_cmp_ge_u32 s74, s15
	s_cselect_b32 s76, -1, 0
	s_cmp_ge_u32 s58, s14
	s_cselect_b32 s77, -1, 0
	s_cmp_eq_u32 s74, s15
	s_wait_alu 0xfffe
	s_cselect_b32 s76, s77, s76
	s_cmp_lg_u32 s72, 0
	s_sub_co_ci_u32 s29, s29, s15
	s_sub_co_u32 s72, s58, s14
	s_cselect_b32 s77, -1, 0
	s_wait_alu 0xfffe
	s_cmp_lg_u32 s77, 0
	s_sub_co_ci_u32 s29, s29, 0
	s_cmp_lg_u32 s76, 0
	s_cselect_b32 s58, s72, s58
	s_wait_alu 0xfffe
	s_cselect_b32 s29, s29, s74
	s_cmp_lg_u32 s22, 0
	s_sub_co_ci_u32 s22, s73, s75
	s_wait_alu 0xfffe
	s_cmp_ge_u32 s22, s15
	s_cselect_b32 s72, -1, 0
	s_cmp_ge_u32 s21, s14
	s_cselect_b32 s14, -1, 0
	s_cmp_eq_u32 s22, s15
	s_wait_alu 0xfffe
	s_cselect_b32 s14, s14, s72
	s_wait_alu 0xfffe
	s_cmp_lg_u32 s14, 0
	s_cselect_b32 s15, s29, s22
	s_cselect_b32 s14, s58, s21
	s_wait_alu 0xfffe
	s_xor_b64 s[14:15], s[14:15], s[30:31]
	s_wait_alu 0xfffe
	s_sub_nc_u64 s[14:15], s[14:15], s[30:31]
	s_cbranch_execnz .LBB5_155
.LBB5_154:                              ;   in Loop: Header=BB5_16 Depth=1
	v_cvt_f32_u32_e32 v4, s56
	s_sub_co_i32 s15, 0, s56
	s_delay_alu instid0(VALU_DEP_1) | instskip(NEXT) | instid1(TRANS32_DEP_1)
	v_rcp_iflag_f32_e32 v4, v4
	v_mul_f32_e32 v4, 0x4f7ffffe, v4
	s_delay_alu instid0(VALU_DEP_1) | instskip(NEXT) | instid1(VALU_DEP_1)
	v_cvt_u32_f32_e32 v4, v4
	v_readfirstlane_b32 s14, v4
	s_wait_alu 0xfffe
	s_mul_i32 s15, s15, s14
	s_wait_alu 0xfffe
	s_mul_hi_u32 s15, s14, s15
	s_wait_alu 0xfffe
	s_add_co_i32 s14, s14, s15
	s_wait_alu 0xfffe
	s_mul_hi_u32 s14, s6, s14
	s_wait_alu 0xfffe
	s_mul_i32 s14, s14, s56
	s_wait_alu 0xfffe
	s_sub_co_i32 s14, s6, s14
	s_wait_alu 0xfffe
	s_sub_co_i32 s15, s14, s56
	s_cmp_ge_u32 s14, s56
	s_wait_alu 0xfffe
	s_cselect_b32 s14, s15, s14
	s_wait_alu 0xfffe
	s_sub_co_i32 s15, s14, s56
	s_cmp_ge_u32 s14, s56
	s_wait_alu 0xfffe
	s_cselect_b32 s58, s15, s14
	s_wait_alu 0xfffe
	s_mov_b64 s[14:15], s[58:59]
.LBB5_155:                              ;   in Loop: Header=BB5_16 Depth=1
	s_wait_alu 0xfffe
	s_sub_nc_u64 s[6:7], s[6:7], s[14:15]
	s_mov_b32 s14, exec_lo
                                        ; implicit-def: $vgpr44
	s_wait_alu 0xfffe
	v_cmpx_gt_i64_e64 s[6:7], v[0:1]
	s_cbranch_execz .LBB5_164
; %bb.156:                              ;   in Loop: Header=BB5_16 Depth=1
	v_dual_mov_b32 v10, v0 :: v_dual_mov_b32 v5, v1
	v_mov_b32_e32 v4, v0
	s_mov_b32 s15, 0
                                        ; implicit-def: $sgpr21
	s_branch .LBB5_159
.LBB5_157:                              ;   in Loop: Header=BB5_159 Depth=2
	s_wait_alu 0xfffe
	s_or_b32 exec_lo, exec_lo, s22
	s_wait_loadcnt_dscnt 0x0
	s_barrier_signal -1
	s_barrier_wait -1
	global_inv scope:SCOPE_SE
	ds_load_u16 v11, v3 offset:3072
	s_mov_b32 s22, -1
	s_mov_b32 s29, -1
	s_wait_loadcnt_dscnt 0x0
	s_barrier_signal -1
	s_barrier_wait -1
	global_inv scope:SCOPE_SE
	v_and_b32_e32 v28, 0xff, v11
	s_delay_alu instid0(VALU_DEP_1)
	v_cmp_eq_u32_e32 vcc_lo, 0, v28
	s_cbranch_vccnz .LBB5_162
.LBB5_158:                              ;   in Loop: Header=BB5_159 Depth=2
	s_wait_alu 0xfffe
	s_and_b32 s22, exec_lo, s22
	s_wait_alu 0xfffe
	s_or_b32 s15, s22, s15
	s_and_not1_b32 s21, s21, exec_lo
	s_and_b32 s22, s29, exec_lo
	s_wait_alu 0xfffe
	s_or_b32 s21, s21, s22
	s_and_not1_b32 exec_lo, exec_lo, s15
	s_cbranch_execz .LBB5_163
.LBB5_159:                              ;   Parent Loop BB5_16 Depth=1
                                        ; =>  This Inner Loop Header: Depth=2
	s_mov_b32 s22, exec_lo
	s_delay_alu instid0(VALU_DEP_1)
	v_cmpx_gt_u64_e64 s[12:13], v[4:5]
	s_cbranch_execz .LBB5_157
; %bb.160:                              ;   in Loop: Header=BB5_159 Depth=2
	ds_load_u8 v11, v10
	s_wait_dscnt 0x0
	v_and_b32_e32 v28, v11, v43
	s_delay_alu instid0(VALU_DEP_1) | instskip(NEXT) | instid1(VALU_DEP_1)
	v_and_b32_e32 v28, 0xff, v28
	v_cmp_eq_u32_e32 vcc_lo, v28, v22
	s_and_b32 exec_lo, exec_lo, vcc_lo
	s_cbranch_execz .LBB5_157
; %bb.161:                              ;   in Loop: Header=BB5_159 Depth=2
	v_lshlrev_b16 v11, 8, v11
	s_delay_alu instid0(VALU_DEP_1)
	v_or_b32_e32 v11, 1, v11
	ds_store_b16 v3, v11 offset:3072
	s_branch .LBB5_157
.LBB5_162:                              ;   in Loop: Header=BB5_159 Depth=2
	v_add_co_u32 v4, vcc_lo, v4, s56
	s_wait_alu 0xfffd
	v_add_co_ci_u32_e64 v5, null, 0, v5, vcc_lo
	v_add_nc_u32_e32 v10, s56, v10
	s_mov_b32 s29, 0
	s_delay_alu instid0(VALU_DEP_2)
	v_cmp_le_i64_e32 vcc_lo, s[6:7], v[4:5]
	s_or_not1_b32 s22, vcc_lo, exec_lo
	s_branch .LBB5_158
.LBB5_163:                              ;   in Loop: Header=BB5_16 Depth=1
	s_or_b32 exec_lo, exec_lo, s15
	v_and_b32_e32 v4, 0xffff, v11
	s_and_not1_b32 s6, s25, exec_lo
	s_wait_alu 0xfffe
	s_and_b32 s7, s21, exec_lo
	s_wait_alu 0xfffe
	s_or_b32 s25, s6, s7
	v_lshrrev_b32_e32 v44, 8, v4
.LBB5_164:                              ;   in Loop: Header=BB5_16 Depth=1
	s_or_b32 exec_lo, exec_lo, s14
	s_mov_b32 s21, 0
	s_mov_b32 s22, -1
.LBB5_165:                              ;   in Loop: Header=BB5_16 Depth=1
	s_wait_alu 0xfffe
	s_or_not1_b32 s6, s25, exec_lo
.LBB5_166:                              ;   in Loop: Header=BB5_16 Depth=1
	s_wait_alu 0xfffe
	s_or_b32 exec_lo, exec_lo, s23
	s_mov_b32 s7, 0
	s_and_saveexec_b32 s23, s6
	s_cbranch_execz .LBB5_272
; %bb.167:                              ;   in Loop: Header=BB5_16 Depth=1
	v_mov_b32_e32 v4, 1
	v_dual_mov_b32 v5, 0 :: v_dual_mov_b32 v2, 1
	s_xor_b32 s12, s24, -1
	s_wait_alu 0xfffe
	s_and_saveexec_b32 s6, s12
	s_cbranch_execz .LBB5_177
; %bb.168:                              ;   in Loop: Header=BB5_16 Depth=1
	s_mov_b32 s7, exec_lo
	v_cmpx_le_i64_e64 v[8:9], v[6:7]
	s_wait_alu 0xfffe
	s_xor_b32 s7, exec_lo, s7
	s_cbranch_execz .LBB5_174
; %bb.169:                              ;   in Loop: Header=BB5_16 Depth=1
	ds_load_b64 v[4:5], v3 offset:5120
	s_lshl_b32 s12, 1, s101
	v_or_b32_e32 v43, s16, v43
	s_wait_alu 0xfffe
	v_and_or_b32 v22, v22, s20, s12
	s_wait_dscnt 0x0
	v_cmp_ne_u64_e32 vcc_lo, 0, v[4:5]
	s_cbranch_vccnz .LBB5_173
; %bb.170:                              ;   in Loop: Header=BB5_16 Depth=1
	s_and_saveexec_b32 s12, s2
; %bb.171:                              ;   in Loop: Header=BB5_16 Depth=1
	ds_store_b64 v3, v[6:7] offset:5128
; %bb.172:                              ;   in Loop: Header=BB5_16 Depth=1
	s_wait_alu 0xfffe
	s_or_b32 exec_lo, exec_lo, s12
	s_wait_loadcnt_dscnt 0x0
	s_barrier_signal -1
	s_barrier_wait -1
	global_inv scope:SCOPE_SE
.LBB5_173:                              ;   in Loop: Header=BB5_16 Depth=1
                                        ; implicit-def: $vgpr4_vgpr5_vgpr6_vgpr7
.LBB5_174:                              ;   in Loop: Header=BB5_16 Depth=1
	s_wait_alu 0xfffe
	s_or_saveexec_b32 s7, s7
	v_mov_b32_e32 v2, 8
	s_mov_b32 s12, 0
	s_wait_alu 0xfffe
	s_xor_b32 exec_lo, exec_lo, s7
; %bb.175:                              ;   in Loop: Header=BB5_16 Depth=1
	v_sub_co_u32 v8, vcc_lo, v8, v6
	s_wait_alu 0xfffd
	v_sub_co_ci_u32_e64 v9, null, v9, v7, vcc_lo
	v_mov_b32_e32 v2, 0
	s_mov_b32 s12, exec_lo
; %bb.176:                              ;   in Loop: Header=BB5_16 Depth=1
	s_or_b32 exec_lo, exec_lo, s7
	s_delay_alu instid0(VALU_DEP_2)
	v_dual_mov_b32 v4, v8 :: v_dual_mov_b32 v5, v9
	s_wait_alu 0xfffe
	s_and_b32 s7, s12, exec_lo
.LBB5_177:                              ;   in Loop: Header=BB5_16 Depth=1
	s_wait_alu 0xfffe
	s_or_b32 exec_lo, exec_lo, s6
	s_mov_b32 s6, -1
                                        ; implicit-def: $sgpr25
                                        ; implicit-def: $sgpr29
	s_and_saveexec_b32 s24, s7
	s_cbranch_execz .LBB5_271
; %bb.178:                              ;   in Loop: Header=BB5_16 Depth=1
	v_cmp_eq_u64_e32 vcc_lo, 1, v[4:5]
	s_cmp_eq_u64 s[10:11], 1
                                        ; implicit-def: $sgpr29
                                        ; implicit-def: $sgpr25
	s_cselect_b32 s6, -1, 0
	s_wait_alu 0xfffe
	s_and_b32 s30, s6, vcc_lo
	s_mov_b32 s6, -1
	s_wait_alu 0xfffe
	s_and_saveexec_b32 s31, s30
	s_cbranch_execz .LBB5_212
; %bb.179:                              ;   in Loop: Header=BB5_16 Depth=1
	ds_load_b64 v[6:7], v3 offset:5120
	s_wait_loadcnt_dscnt 0x0
	s_barrier_signal -1
	s_barrier_wait -1
	global_inv scope:SCOPE_SE
	v_readfirstlane_b32 s12, v6
	v_readfirstlane_b32 s13, v7
	s_and_saveexec_b32 s6, s3
; %bb.180:                              ;   in Loop: Header=BB5_16 Depth=1
	ds_store_b8 v0, v3 offset:3072
; %bb.181:                              ;   in Loop: Header=BB5_16 Depth=1
	s_wait_alu 0xfffe
	s_or_b32 exec_lo, exec_lo, s6
	s_lshl_b32 s6, 2, s101
	v_or_b32_e32 v43, s16, v43
	s_wait_alu 0xfffe
	v_and_or_b32 v22, v22, s20, s6
	v_cmp_gt_i64_e64 s6, s[12:13], 0
	s_mov_b32 s25, -1
	s_mov_b32 s29, 0
	s_mov_b32 s72, 0
	s_mov_b32 s7, -1
	s_wait_loadcnt_dscnt 0x0
	s_and_b32 vcc_lo, exec_lo, s6
	s_barrier_signal -1
	s_barrier_wait -1
	global_inv scope:SCOPE_SE
                                        ; implicit-def: $vgpr44
	s_wait_alu 0xfffe
	s_cbranch_vccnz .LBB5_197
; %bb.182:                              ;   in Loop: Header=BB5_16 Depth=1
	s_mov_b32 s6, s59
	s_mov_b32 s7, s67
	s_wait_alu 0xfffe
	s_cmp_lg_u64 s[6:7], 0
	s_cbranch_scc0 .LBB5_238
; %bb.183:                              ;   in Loop: Header=BB5_16 Depth=1
	s_add_nc_u64 s[6:7], s[56:57], 0
	s_wait_alu 0xfffe
	s_xor_b64 s[6:7], s[6:7], 0
	s_wait_alu 0xfffe
	s_cvt_f32_u32 s14, s6
	s_cvt_f32_u32 s15, s7
	s_sub_nc_u64 s[72:73], 0, s[6:7]
	s_wait_alu 0xfffe
	s_delay_alu instid0(SALU_CYCLE_1) | instskip(SKIP_1) | instid1(SALU_CYCLE_2)
	s_fmamk_f32 s14, s15, 0x4f800000, s14
	s_wait_alu 0xfffe
	v_s_rcp_f32 s14, s14
	s_delay_alu instid0(TRANS32_DEP_1) | instskip(SKIP_1) | instid1(SALU_CYCLE_2)
	s_mul_f32 s14, s14, 0x5f7ffffc
	s_wait_alu 0xfffe
	s_mul_f32 s15, s14, 0x2f800000
	s_wait_alu 0xfffe
	s_delay_alu instid0(SALU_CYCLE_2) | instskip(SKIP_1) | instid1(SALU_CYCLE_2)
	s_trunc_f32 s15, s15
	s_wait_alu 0xfffe
	s_fmamk_f32 s14, s15, 0xcf800000, s14
	s_cvt_u32_f32 s15, s15
	s_wait_alu 0xfffe
	s_delay_alu instid0(SALU_CYCLE_1) | instskip(SKIP_1) | instid1(SALU_CYCLE_2)
	s_cvt_u32_f32 s14, s14
	s_wait_alu 0xfffe
	s_mul_u64 s[74:75], s[72:73], s[14:15]
	s_wait_alu 0xfffe
	s_mul_hi_u32 s77, s14, s75
	s_mul_i32 s76, s14, s75
	s_mul_hi_u32 s58, s14, s74
	s_mul_i32 s79, s15, s74
	s_wait_alu 0xfffe
	s_add_nc_u64 s[76:77], s[58:59], s[76:77]
	s_mul_hi_u32 s78, s15, s74
	s_mul_hi_u32 s80, s15, s75
	s_wait_alu 0xfffe
	s_add_co_u32 s58, s76, s79
	s_add_co_ci_u32 s58, s77, s78
	s_mul_i32 s74, s15, s75
	s_add_co_ci_u32 s75, s80, 0
	s_wait_alu 0xfffe
	s_add_nc_u64 s[74:75], s[58:59], s[74:75]
	s_wait_alu 0xfffe
	s_add_co_u32 s14, s14, s74
	s_cselect_b32 s58, -1, 0
	s_wait_alu 0xfffe
	s_cmp_lg_u32 s58, 0
	s_add_co_ci_u32 s15, s15, s75
	s_wait_alu 0xfffe
	s_mul_u64 s[72:73], s[72:73], s[14:15]
	s_wait_alu 0xfffe
	s_mul_hi_u32 s75, s14, s73
	s_mul_i32 s74, s14, s73
	s_mul_hi_u32 s58, s14, s72
	s_mul_i32 s77, s15, s72
	s_wait_alu 0xfffe
	s_add_nc_u64 s[74:75], s[58:59], s[74:75]
	s_mul_hi_u32 s76, s15, s72
	s_mul_hi_u32 s78, s15, s73
	s_wait_alu 0xfffe
	s_add_co_u32 s58, s74, s77
	s_add_co_ci_u32 s58, s75, s76
	s_mul_i32 s72, s15, s73
	s_add_co_ci_u32 s73, s78, 0
	s_wait_alu 0xfffe
	s_add_nc_u64 s[72:73], s[58:59], s[72:73]
	s_wait_alu 0xfffe
	s_add_co_u32 s76, s14, s72
	s_cselect_b32 s14, -1, 0
	s_wait_alu 0xfffe
	s_cmp_lg_u32 s14, 0
	s_add_co_ci_u32 s77, s15, s73
	s_ashr_i32 s14, s67, 31
	s_wait_alu 0xfffe
	s_mov_b32 s15, s14
	s_wait_alu 0xfffe
	s_add_nc_u64 s[72:73], s[66:67], s[14:15]
	s_wait_alu 0xfffe
	s_xor_b64 s[72:73], s[72:73], s[14:15]
	s_wait_alu 0xfffe
	s_mul_hi_u32 s75, s72, s77
	s_mul_i32 s74, s72, s77
	s_mul_hi_u32 s58, s72, s76
	s_mul_i32 s80, s73, s76
	s_wait_alu 0xfffe
	s_add_nc_u64 s[74:75], s[58:59], s[74:75]
	s_mul_hi_u32 s79, s73, s76
	s_mul_hi_u32 s78, s73, s77
	s_wait_alu 0xfffe
	s_add_co_u32 s58, s74, s80
	s_add_co_ci_u32 s58, s75, s79
	s_mul_i32 s76, s73, s77
	s_add_co_ci_u32 s77, s78, 0
	s_wait_alu 0xfffe
	s_add_nc_u64 s[74:75], s[58:59], s[76:77]
	s_wait_alu 0xfffe
	s_mul_u64 s[74:75], s[6:7], s[74:75]
	s_wait_alu 0xfffe
	s_sub_co_u32 s58, s72, s74
	s_cselect_b32 s72, -1, 0
	s_sub_co_i32 s74, s73, s75
	s_wait_alu 0xfffe
	s_cmp_lg_u32 s72, 0
	s_sub_co_ci_u32 s74, s74, s7
	s_sub_co_u32 s76, s58, s6
	s_cselect_b32 s77, -1, 0
	s_wait_alu 0xfffe
	s_cmp_lg_u32 s77, 0
	s_sub_co_ci_u32 s78, s74, 0
	s_wait_alu 0xfffe
	s_cmp_ge_u32 s78, s7
	s_cselect_b32 s79, -1, 0
	s_cmp_ge_u32 s76, s6
	s_cselect_b32 s80, -1, 0
	s_cmp_eq_u32 s78, s7
	s_wait_alu 0xfffe
	s_cselect_b32 s79, s80, s79
	s_cmp_lg_u32 s77, 0
	s_sub_co_ci_u32 s74, s74, s7
	s_sub_co_u32 s77, s76, s6
	s_cselect_b32 s80, -1, 0
	s_wait_alu 0xfffe
	s_cmp_lg_u32 s80, 0
	s_sub_co_ci_u32 s74, s74, 0
	s_cmp_lg_u32 s79, 0
	s_cselect_b32 s76, s77, s76
	s_wait_alu 0xfffe
	s_cselect_b32 s74, s74, s78
	s_cmp_lg_u32 s72, 0
	s_sub_co_ci_u32 s72, s73, s75
	s_wait_alu 0xfffe
	s_cmp_ge_u32 s72, s7
	s_cselect_b32 s73, -1, 0
	s_cmp_ge_u32 s58, s6
	s_cselect_b32 s6, -1, 0
	s_cmp_eq_u32 s72, s7
	s_wait_alu 0xfffe
	s_cselect_b32 s6, s6, s73
	s_wait_alu 0xfffe
	s_cmp_lg_u32 s6, 0
	s_cselect_b32 s7, s74, s72
	s_cselect_b32 s6, s76, s58
	s_wait_alu 0xfffe
	s_xor_b64 s[6:7], s[6:7], s[14:15]
	s_wait_alu 0xfffe
	s_sub_nc_u64 s[6:7], s[6:7], s[14:15]
	s_cbranch_execnz .LBB5_185
.LBB5_184:                              ;   in Loop: Header=BB5_16 Depth=1
	v_cvt_f32_u32_e32 v6, s56
	s_sub_co_i32 s7, 0, s56
	s_delay_alu instid0(VALU_DEP_1) | instskip(NEXT) | instid1(TRANS32_DEP_1)
	v_rcp_iflag_f32_e32 v6, v6
	v_mul_f32_e32 v6, 0x4f7ffffe, v6
	s_delay_alu instid0(VALU_DEP_1) | instskip(NEXT) | instid1(VALU_DEP_1)
	v_cvt_u32_f32_e32 v6, v6
	v_readfirstlane_b32 s6, v6
	s_wait_alu 0xfffe
	s_mul_i32 s7, s7, s6
	s_wait_alu 0xfffe
	s_mul_hi_u32 s7, s6, s7
	s_wait_alu 0xfffe
	s_add_co_i32 s6, s6, s7
	s_wait_alu 0xfffe
	s_mul_hi_u32 s6, s66, s6
	s_wait_alu 0xfffe
	s_mul_i32 s6, s6, s56
	s_wait_alu 0xfffe
	s_sub_co_i32 s6, s66, s6
	s_wait_alu 0xfffe
	s_sub_co_i32 s7, s6, s56
	s_cmp_ge_u32 s6, s56
	s_wait_alu 0xfffe
	s_cselect_b32 s6, s7, s6
	s_wait_alu 0xfffe
	s_sub_co_i32 s7, s6, s56
	s_cmp_ge_u32 s6, s56
	s_wait_alu 0xfffe
	s_cselect_b32 s58, s7, s6
	s_wait_alu 0xfffe
	s_mov_b64 s[6:7], s[58:59]
.LBB5_185:                              ;   in Loop: Header=BB5_16 Depth=1
	s_wait_alu 0xfffe
	s_sub_nc_u64 s[14:15], s[66:67], s[6:7]
	s_mov_b32 s7, 0
	s_mov_b32 s72, 0
	s_mov_b32 s58, exec_lo
                                        ; implicit-def: $vgpr44
	s_wait_alu 0xfffe
	v_cmpx_gt_i64_e64 s[14:15], v[0:1]
	s_cbranch_execz .LBB5_196
; %bb.186:                              ;   in Loop: Header=BB5_16 Depth=1
	v_dual_mov_b32 v6, v12 :: v_dual_mov_b32 v7, v13
	v_dual_mov_b32 v9, v1 :: v_dual_mov_b32 v8, v0
                                        ; implicit-def: $sgpr73
	s_branch .LBB5_189
.LBB5_187:                              ;   in Loop: Header=BB5_189 Depth=2
	s_wait_alu 0xfffe
	s_or_b32 exec_lo, exec_lo, s6
	s_wait_loadcnt_dscnt 0x0
	s_barrier_signal -1
	s_barrier_wait -1
	global_inv scope:SCOPE_SE
	ds_load_u16 v10, v3 offset:3072
	s_mov_b32 s6, -1
	s_mov_b32 s74, -1
	s_wait_loadcnt_dscnt 0x0
	s_barrier_signal -1
	s_barrier_wait -1
	global_inv scope:SCOPE_SE
	v_and_b32_e32 v11, 0xff, v10
	s_delay_alu instid0(VALU_DEP_1)
	v_cmp_ne_u32_e32 vcc_lo, 0, v11
	s_cbranch_vccz .LBB5_192
.LBB5_188:                              ;   in Loop: Header=BB5_189 Depth=2
	s_wait_alu 0xfffe
	s_and_b32 s6, exec_lo, s6
	s_wait_alu 0xfffe
	s_or_b32 s72, s6, s72
	s_and_not1_b32 s6, s73, exec_lo
	s_and_b32 s73, s74, exec_lo
	s_wait_alu 0xfffe
	s_or_b32 s73, s6, s73
	s_and_not1_b32 exec_lo, exec_lo, s72
	s_cbranch_execz .LBB5_195
.LBB5_189:                              ;   Parent Loop BB5_16 Depth=1
                                        ; =>  This Inner Loop Header: Depth=2
	s_mov_b32 s6, exec_lo
	s_delay_alu instid0(VALU_DEP_1)
	v_cmpx_gt_i64_e64 s[36:37], v[8:9]
	s_cbranch_execz .LBB5_187
; %bb.190:                              ;   in Loop: Header=BB5_189 Depth=2
	global_load_u8 v10, v[6:7], off
	s_wait_loadcnt 0x0
	v_and_b32_e32 v11, v10, v43
	s_delay_alu instid0(VALU_DEP_1) | instskip(NEXT) | instid1(VALU_DEP_1)
	v_and_b32_e32 v11, 0xff, v11
	v_cmp_eq_u32_e32 vcc_lo, v11, v22
	s_and_b32 exec_lo, exec_lo, vcc_lo
	s_cbranch_execz .LBB5_187
; %bb.191:                              ;   in Loop: Header=BB5_189 Depth=2
	v_lshlrev_b16 v10, 8, v10
	s_delay_alu instid0(VALU_DEP_1)
	v_or_b32_e32 v10, 1, v10
	ds_store_b16 v3, v10 offset:3072
	s_branch .LBB5_187
.LBB5_192:                              ;   in Loop: Header=BB5_189 Depth=2
	v_add_co_u32 v8, vcc_lo, v8, s56
	s_wait_alu 0xfffd
	v_add_co_ci_u32_e64 v9, null, 0, v9, vcc_lo
	v_add_co_u32 v6, s6, v6, s60
	s_wait_alu 0xf1fe
	v_add_co_ci_u32_e64 v7, null, s61, v7, s6
	s_delay_alu instid0(VALU_DEP_3)
	v_cmp_le_i64_e32 vcc_lo, s[14:15], v[8:9]
	s_mov_b32 s74, 0
	s_or_not1_b32 s6, vcc_lo, exec_lo
	s_branch .LBB5_188
.LBB5_193:                              ;   in Loop: Header=BB5_16 Depth=1
                                        ; implicit-def: $sgpr6_sgpr7
	s_branch .LBB5_138
.LBB5_194:                              ;   in Loop: Header=BB5_16 Depth=1
                                        ; implicit-def: $sgpr14_sgpr15
	s_branch .LBB5_154
.LBB5_195:                              ;   in Loop: Header=BB5_16 Depth=1
	s_or_b32 exec_lo, exec_lo, s72
	v_and_b32_e32 v6, 0xffff, v10
	s_wait_alu 0xfffe
	s_and_b32 s72, s73, exec_lo
	s_delay_alu instid0(VALU_DEP_1)
	v_lshrrev_b32_e32 v44, 8, v6
.LBB5_196:                              ;   in Loop: Header=BB5_16 Depth=1
	s_or_b32 exec_lo, exec_lo, s58
.LBB5_197:                              ;   in Loop: Header=BB5_16 Depth=1
	s_delay_alu instid0(SALU_CYCLE_1)
	s_and_b32 vcc_lo, exec_lo, s7
	s_wait_alu 0xfffe
	s_cbranch_vccz .LBB5_211
; %bb.198:                              ;   in Loop: Header=BB5_16 Depth=1
	s_add_nc_u64 s[6:7], s[12:13], s[64:65]
	s_mov_b32 s14, s59
	s_wait_alu 0xfffe
	s_mov_b32 s15, s7
	s_wait_alu 0xfffe
	s_cmp_lg_u64 s[14:15], 0
	s_cbranch_scc0 .LBB5_239
; %bb.199:                              ;   in Loop: Header=BB5_16 Depth=1
	s_add_nc_u64 s[14:15], s[56:57], 0
	s_wait_alu 0xfffe
	s_xor_b64 s[14:15], s[14:15], 0
	s_wait_alu 0xfffe
	s_cvt_f32_u32 s25, s14
	s_cvt_f32_u32 s29, s15
	s_sub_nc_u64 s[76:77], 0, s[14:15]
	s_wait_alu 0xfffe
	s_delay_alu instid0(SALU_CYCLE_1) | instskip(SKIP_1) | instid1(SALU_CYCLE_2)
	s_fmamk_f32 s25, s29, 0x4f800000, s25
	s_wait_alu 0xfffe
	v_s_rcp_f32 s25, s25
	s_delay_alu instid0(TRANS32_DEP_1) | instskip(SKIP_1) | instid1(SALU_CYCLE_2)
	s_mul_f32 s25, s25, 0x5f7ffffc
	s_wait_alu 0xfffe
	s_mul_f32 s29, s25, 0x2f800000
	s_wait_alu 0xfffe
	s_delay_alu instid0(SALU_CYCLE_2) | instskip(SKIP_1) | instid1(SALU_CYCLE_2)
	s_trunc_f32 s29, s29
	s_wait_alu 0xfffe
	s_fmamk_f32 s25, s29, 0xcf800000, s25
	s_cvt_u32_f32 s75, s29
	s_wait_alu 0xfffe
	s_delay_alu instid0(SALU_CYCLE_1) | instskip(SKIP_1) | instid1(SALU_CYCLE_2)
	s_cvt_u32_f32 s74, s25
	s_wait_alu 0xfffe
	s_mul_u64 s[78:79], s[76:77], s[74:75]
	s_wait_alu 0xfffe
	s_mul_hi_u32 s81, s74, s79
	s_mul_i32 s80, s74, s79
	s_mul_hi_u32 s58, s74, s78
	s_mul_i32 s29, s75, s78
	s_wait_alu 0xfffe
	s_add_nc_u64 s[80:81], s[58:59], s[80:81]
	s_mul_hi_u32 s25, s75, s78
	s_mul_hi_u32 s73, s75, s79
	s_wait_alu 0xfffe
	s_add_co_u32 s29, s80, s29
	s_add_co_ci_u32 s58, s81, s25
	s_mul_i32 s78, s75, s79
	s_add_co_ci_u32 s79, s73, 0
	s_wait_alu 0xfffe
	s_add_nc_u64 s[78:79], s[58:59], s[78:79]
	s_wait_alu 0xfffe
	s_add_co_u32 s74, s74, s78
	s_cselect_b32 s25, -1, 0
	s_wait_alu 0xfffe
	s_cmp_lg_u32 s25, 0
	s_add_co_ci_u32 s75, s75, s79
	s_wait_alu 0xfffe
	s_mul_u64 s[76:77], s[76:77], s[74:75]
	s_wait_alu 0xfffe
	s_mul_hi_u32 s79, s74, s77
	s_mul_i32 s78, s74, s77
	s_mul_hi_u32 s58, s74, s76
	s_mul_i32 s29, s75, s76
	s_wait_alu 0xfffe
	s_add_nc_u64 s[78:79], s[58:59], s[78:79]
	s_mul_hi_u32 s25, s75, s76
	s_mul_hi_u32 s73, s75, s77
	s_wait_alu 0xfffe
	s_add_co_u32 s29, s78, s29
	s_add_co_ci_u32 s58, s79, s25
	s_mul_i32 s76, s75, s77
	s_add_co_ci_u32 s77, s73, 0
	s_wait_alu 0xfffe
	s_add_nc_u64 s[76:77], s[58:59], s[76:77]
	s_wait_alu 0xfffe
	s_add_co_u32 s25, s74, s76
	s_cselect_b32 s29, -1, 0
	s_wait_alu 0xfffe
	s_cmp_lg_u32 s29, 0
	s_add_co_ci_u32 s29, s75, s77
	s_ashr_i32 s74, s7, 31
	s_wait_alu 0xfffe
	s_mov_b32 s75, s74
	s_wait_alu 0xfffe
	s_add_nc_u64 s[76:77], s[6:7], s[74:75]
	s_wait_alu 0xfffe
	s_xor_b64 s[76:77], s[76:77], s[74:75]
	s_wait_alu 0xfffe
	s_mul_hi_u32 s79, s76, s29
	s_mul_i32 s78, s76, s29
	s_mul_hi_u32 s58, s76, s25
	s_mul_hi_u32 s81, s77, s25
	s_mul_i32 s25, s77, s25
	s_wait_alu 0xfffe
	s_add_nc_u64 s[78:79], s[58:59], s[78:79]
	s_mul_hi_u32 s73, s77, s29
	s_wait_alu 0xfffe
	s_add_co_u32 s25, s78, s25
	s_add_co_ci_u32 s58, s79, s81
	s_mul_i32 s80, s77, s29
	s_add_co_ci_u32 s81, s73, 0
	s_wait_alu 0xfffe
	s_add_nc_u64 s[78:79], s[58:59], s[80:81]
	s_wait_alu 0xfffe
	s_mul_u64 s[78:79], s[14:15], s[78:79]
	s_wait_alu 0xfffe
	s_sub_co_u32 s25, s76, s78
	s_cselect_b32 s29, -1, 0
	s_sub_co_i32 s58, s77, s79
	s_wait_alu 0xfffe
	s_cmp_lg_u32 s29, 0
	s_sub_co_ci_u32 s58, s58, s15
	s_sub_co_u32 s73, s25, s14
	s_cselect_b32 s76, -1, 0
	s_wait_alu 0xfffe
	s_cmp_lg_u32 s76, 0
	s_sub_co_ci_u32 s78, s58, 0
	s_wait_alu 0xfffe
	s_cmp_ge_u32 s78, s15
	s_cselect_b32 s80, -1, 0
	s_cmp_ge_u32 s73, s14
	s_cselect_b32 s81, -1, 0
	s_cmp_eq_u32 s78, s15
	s_wait_alu 0xfffe
	s_cselect_b32 s80, s81, s80
	s_cmp_lg_u32 s76, 0
	s_sub_co_ci_u32 s58, s58, s15
	s_sub_co_u32 s76, s73, s14
	s_cselect_b32 s81, -1, 0
	s_wait_alu 0xfffe
	s_cmp_lg_u32 s81, 0
	s_sub_co_ci_u32 s58, s58, 0
	s_cmp_lg_u32 s80, 0
	s_cselect_b32 s73, s76, s73
	s_wait_alu 0xfffe
	s_cselect_b32 s58, s58, s78
	s_cmp_lg_u32 s29, 0
	s_sub_co_ci_u32 s29, s77, s79
	s_wait_alu 0xfffe
	s_cmp_ge_u32 s29, s15
	s_cselect_b32 s76, -1, 0
	s_cmp_ge_u32 s25, s14
	s_cselect_b32 s14, -1, 0
	s_cmp_eq_u32 s29, s15
	s_wait_alu 0xfffe
	s_cselect_b32 s14, s14, s76
	s_wait_alu 0xfffe
	s_cmp_lg_u32 s14, 0
	s_cselect_b32 s15, s58, s29
	s_cselect_b32 s14, s73, s25
	s_wait_alu 0xfffe
	s_xor_b64 s[14:15], s[14:15], s[74:75]
	s_wait_alu 0xfffe
	s_sub_nc_u64 s[14:15], s[14:15], s[74:75]
	s_cbranch_execnz .LBB5_201
.LBB5_200:                              ;   in Loop: Header=BB5_16 Depth=1
	v_cvt_f32_u32_e32 v6, s56
	s_sub_co_i32 s15, 0, s56
	s_delay_alu instid0(VALU_DEP_1) | instskip(NEXT) | instid1(TRANS32_DEP_1)
	v_rcp_iflag_f32_e32 v6, v6
	v_mul_f32_e32 v6, 0x4f7ffffe, v6
	s_delay_alu instid0(VALU_DEP_1) | instskip(NEXT) | instid1(VALU_DEP_1)
	v_cvt_u32_f32_e32 v6, v6
	v_readfirstlane_b32 s14, v6
	s_wait_alu 0xfffe
	s_mul_i32 s15, s15, s14
	s_wait_alu 0xfffe
	s_mul_hi_u32 s15, s14, s15
	s_wait_alu 0xfffe
	s_add_co_i32 s14, s14, s15
	s_wait_alu 0xfffe
	s_mul_hi_u32 s14, s6, s14
	s_wait_alu 0xfffe
	s_mul_i32 s14, s14, s56
	s_wait_alu 0xfffe
	s_sub_co_i32 s14, s6, s14
	s_wait_alu 0xfffe
	s_sub_co_i32 s15, s14, s56
	s_cmp_ge_u32 s14, s56
	s_wait_alu 0xfffe
	s_cselect_b32 s14, s15, s14
	s_wait_alu 0xfffe
	s_sub_co_i32 s15, s14, s56
	s_cmp_ge_u32 s14, s56
	s_wait_alu 0xfffe
	s_cselect_b32 s58, s15, s14
	s_wait_alu 0xfffe
	s_mov_b64 s[14:15], s[58:59]
.LBB5_201:                              ;   in Loop: Header=BB5_16 Depth=1
	s_wait_alu 0xfffe
	s_sub_nc_u64 s[6:7], s[6:7], s[14:15]
	s_mov_b32 s14, exec_lo
                                        ; implicit-def: $vgpr44
	s_wait_alu 0xfffe
	v_cmpx_gt_i64_e64 s[6:7], v[0:1]
	s_cbranch_execz .LBB5_210
; %bb.202:                              ;   in Loop: Header=BB5_16 Depth=1
	v_dual_mov_b32 v8, v0 :: v_dual_mov_b32 v7, v1
	v_mov_b32_e32 v6, v0
	s_mov_b32 s15, 0
                                        ; implicit-def: $sgpr25
	s_branch .LBB5_205
.LBB5_203:                              ;   in Loop: Header=BB5_205 Depth=2
	s_wait_alu 0xfffe
	s_or_b32 exec_lo, exec_lo, s29
	s_wait_loadcnt_dscnt 0x0
	s_barrier_signal -1
	s_barrier_wait -1
	global_inv scope:SCOPE_SE
	ds_load_u16 v9, v3 offset:3072
	s_mov_b32 s29, -1
	s_mov_b32 s58, -1
	s_wait_loadcnt_dscnt 0x0
	s_barrier_signal -1
	s_barrier_wait -1
	global_inv scope:SCOPE_SE
	v_and_b32_e32 v10, 0xff, v9
	s_delay_alu instid0(VALU_DEP_1)
	v_cmp_eq_u32_e32 vcc_lo, 0, v10
	s_cbranch_vccnz .LBB5_208
.LBB5_204:                              ;   in Loop: Header=BB5_205 Depth=2
	s_wait_alu 0xfffe
	s_and_b32 s29, exec_lo, s29
	s_wait_alu 0xfffe
	s_or_b32 s15, s29, s15
	s_and_not1_b32 s25, s25, exec_lo
	s_and_b32 s29, s58, exec_lo
	s_wait_alu 0xfffe
	s_or_b32 s25, s25, s29
	s_and_not1_b32 exec_lo, exec_lo, s15
	s_cbranch_execz .LBB5_209
.LBB5_205:                              ;   Parent Loop BB5_16 Depth=1
                                        ; =>  This Inner Loop Header: Depth=2
	s_mov_b32 s29, exec_lo
	s_delay_alu instid0(VALU_DEP_1)
	v_cmpx_gt_u64_e64 s[12:13], v[6:7]
	s_cbranch_execz .LBB5_203
; %bb.206:                              ;   in Loop: Header=BB5_205 Depth=2
	ds_load_u8 v9, v8
	s_wait_dscnt 0x0
	v_and_b32_e32 v10, v9, v43
	s_delay_alu instid0(VALU_DEP_1) | instskip(NEXT) | instid1(VALU_DEP_1)
	v_and_b32_e32 v10, 0xff, v10
	v_cmp_eq_u32_e32 vcc_lo, v10, v22
	s_and_b32 exec_lo, exec_lo, vcc_lo
	s_cbranch_execz .LBB5_203
; %bb.207:                              ;   in Loop: Header=BB5_205 Depth=2
	v_lshlrev_b16 v9, 8, v9
	s_delay_alu instid0(VALU_DEP_1)
	v_or_b32_e32 v9, 1, v9
	ds_store_b16 v3, v9 offset:3072
	s_branch .LBB5_203
.LBB5_208:                              ;   in Loop: Header=BB5_205 Depth=2
	v_add_co_u32 v6, vcc_lo, v6, s56
	s_wait_alu 0xfffd
	v_add_co_ci_u32_e64 v7, null, 0, v7, vcc_lo
	v_add_nc_u32_e32 v8, s56, v8
	s_mov_b32 s58, 0
	s_delay_alu instid0(VALU_DEP_2)
	v_cmp_le_i64_e32 vcc_lo, s[6:7], v[6:7]
	s_or_not1_b32 s29, vcc_lo, exec_lo
	s_branch .LBB5_204
.LBB5_209:                              ;   in Loop: Header=BB5_16 Depth=1
	s_or_b32 exec_lo, exec_lo, s15
	v_and_b32_e32 v6, 0xffff, v9
	s_and_not1_b32 s6, s72, exec_lo
	s_wait_alu 0xfffe
	s_and_b32 s7, s25, exec_lo
	s_wait_alu 0xfffe
	s_or_b32 s72, s6, s7
	v_lshrrev_b32_e32 v44, 8, v6
.LBB5_210:                              ;   in Loop: Header=BB5_16 Depth=1
	s_or_b32 exec_lo, exec_lo, s14
	s_mov_b32 s25, 0
	s_mov_b32 s29, -1
.LBB5_211:                              ;   in Loop: Header=BB5_16 Depth=1
	s_wait_alu 0xfffe
	s_or_not1_b32 s6, s72, exec_lo
.LBB5_212:                              ;   in Loop: Header=BB5_16 Depth=1
	s_wait_alu 0xfffe
	s_or_b32 exec_lo, exec_lo, s31
	s_mov_b32 s7, 0
	s_and_saveexec_b32 s14, s6
	s_cbranch_execz .LBB5_270
; %bb.213:                              ;   in Loop: Header=BB5_16 Depth=1
	v_mov_b32_e32 v6, 1
	v_dual_mov_b32 v7, 0 :: v_dual_mov_b32 v2, 1
	s_xor_b32 s12, s30, -1
	s_wait_alu 0xfffe
	s_and_saveexec_b32 s6, s12
	s_cbranch_execz .LBB5_222
; %bb.214:                              ;   in Loop: Header=BB5_16 Depth=1
	s_mov_b32 s7, exec_lo
	v_cmpx_ge_i64_e64 s[10:11], v[4:5]
	s_wait_alu 0xfffe
	s_xor_b32 s7, exec_lo, s7
	s_cbranch_execz .LBB5_219
; %bb.215:                              ;   in Loop: Header=BB5_16 Depth=1
	ds_load_b64 v[6:7], v3 offset:5120
	s_lshl_b32 s12, 2, s101
	v_or_b32_e32 v43, s16, v43
	s_wait_alu 0xfffe
	v_and_or_b32 v22, v22, s20, s12
	s_wait_dscnt 0x0
	v_cmp_ne_u64_e32 vcc_lo, 0, v[6:7]
	s_cbranch_vccnz .LBB5_219
; %bb.216:                              ;   in Loop: Header=BB5_16 Depth=1
	s_and_saveexec_b32 s12, s2
; %bb.217:                              ;   in Loop: Header=BB5_16 Depth=1
	v_dual_mov_b32 v6, s10 :: v_dual_mov_b32 v7, s11
	ds_store_b64 v3, v[6:7] offset:5128
; %bb.218:                              ;   in Loop: Header=BB5_16 Depth=1
	s_wait_alu 0xfffe
	s_or_b32 exec_lo, exec_lo, s12
	s_wait_loadcnt_dscnt 0x0
	s_barrier_signal -1
	s_barrier_wait -1
	global_inv scope:SCOPE_SE
.LBB5_219:                              ;   in Loop: Header=BB5_16 Depth=1
	s_wait_alu 0xfffe
	s_or_saveexec_b32 s7, s7
	v_mov_b32_e32 v2, 8
	s_mov_b32 s12, 0
	s_wait_alu 0xfffe
	s_xor_b32 exec_lo, exec_lo, s7
; %bb.220:                              ;   in Loop: Header=BB5_16 Depth=1
	v_sub_co_u32 v4, vcc_lo, v4, s10
	s_wait_alu 0xfffd
	v_subrev_co_ci_u32_e64 v5, null, s11, v5, vcc_lo
	v_mov_b32_e32 v2, 0
	s_mov_b32 s12, exec_lo
; %bb.221:                              ;   in Loop: Header=BB5_16 Depth=1
	s_or_b32 exec_lo, exec_lo, s7
	s_delay_alu instid0(VALU_DEP_2)
	v_dual_mov_b32 v7, v5 :: v_dual_mov_b32 v6, v4
	s_wait_alu 0xfffe
	s_and_b32 s7, s12, exec_lo
.LBB5_222:                              ;   in Loop: Header=BB5_16 Depth=1
	s_wait_alu 0xfffe
	s_or_b32 exec_lo, exec_lo, s6
	s_mov_b32 s6, -1
                                        ; implicit-def: $sgpr72
                                        ; implicit-def: $sgpr31
	s_and_saveexec_b32 s15, s7
	s_cbranch_execz .LBB5_269
; %bb.223:                              ;   in Loop: Header=BB5_16 Depth=1
	v_cmp_eq_u64_e32 vcc_lo, 1, v[6:7]
	s_cmp_eq_u64 s[8:9], 1
	s_mov_b32 s7, -1
	s_cselect_b32 s6, -1, 0
                                        ; implicit-def: $sgpr72
                                        ; implicit-def: $sgpr31
	s_wait_alu 0xfffe
	s_and_b32 s20, s6, vcc_lo
	s_wait_alu 0xfffe
	s_and_saveexec_b32 s30, s20
	s_cbranch_execz .LBB5_257
; %bb.224:                              ;   in Loop: Header=BB5_16 Depth=1
	ds_load_b64 v[4:5], v3 offset:5120
	s_wait_loadcnt_dscnt 0x0
	s_barrier_signal -1
	s_barrier_wait -1
	global_inv scope:SCOPE_SE
	v_readfirstlane_b32 s10, v4
	v_readfirstlane_b32 s11, v5
	s_and_saveexec_b32 s6, s3
; %bb.225:                              ;   in Loop: Header=BB5_16 Depth=1
	ds_store_b8 v0, v3 offset:3072
; %bb.226:                              ;   in Loop: Header=BB5_16 Depth=1
	s_wait_alu 0xfffe
	s_or_b32 exec_lo, exec_lo, s6
	v_cmp_gt_i64_e64 s6, s[10:11], 0
	v_or_b32_e32 v22, s16, v22
	v_or_b32_e32 v43, s16, v43
	s_mov_b32 s31, -1
	s_mov_b32 s72, 0
	s_mov_b32 s73, 0
	s_and_b32 vcc_lo, exec_lo, s6
	s_wait_loadcnt_dscnt 0x0
	s_barrier_signal -1
	s_barrier_wait -1
	global_inv scope:SCOPE_SE
                                        ; implicit-def: $vgpr44
	s_wait_alu 0xfffe
	s_cbranch_vccnz .LBB5_242
; %bb.227:                              ;   in Loop: Header=BB5_16 Depth=1
	s_mov_b32 s6, s59
	s_mov_b32 s7, s67
	s_wait_alu 0xfffe
	s_cmp_lg_u64 s[6:7], 0
	s_cbranch_scc0 .LBB5_276
; %bb.228:                              ;   in Loop: Header=BB5_16 Depth=1
	s_add_nc_u64 s[6:7], s[56:57], 0
	s_wait_alu 0xfffe
	s_xor_b64 s[6:7], s[6:7], 0
	s_wait_alu 0xfffe
	s_cvt_f32_u32 s12, s6
	s_cvt_f32_u32 s13, s7
	s_sub_nc_u64 s[74:75], 0, s[6:7]
	s_wait_alu 0xfffe
	s_delay_alu instid0(SALU_CYCLE_1) | instskip(SKIP_1) | instid1(SALU_CYCLE_2)
	s_fmamk_f32 s12, s13, 0x4f800000, s12
	s_wait_alu 0xfffe
	v_s_rcp_f32 s12, s12
	s_delay_alu instid0(TRANS32_DEP_1) | instskip(SKIP_1) | instid1(SALU_CYCLE_2)
	s_mul_f32 s12, s12, 0x5f7ffffc
	s_wait_alu 0xfffe
	s_mul_f32 s13, s12, 0x2f800000
	s_wait_alu 0xfffe
	s_delay_alu instid0(SALU_CYCLE_2) | instskip(SKIP_1) | instid1(SALU_CYCLE_2)
	s_trunc_f32 s13, s13
	s_wait_alu 0xfffe
	s_fmamk_f32 s12, s13, 0xcf800000, s12
	s_cvt_u32_f32 s13, s13
	s_wait_alu 0xfffe
	s_delay_alu instid0(SALU_CYCLE_1) | instskip(SKIP_1) | instid1(SALU_CYCLE_2)
	s_cvt_u32_f32 s12, s12
	s_wait_alu 0xfffe
	s_mul_u64 s[76:77], s[74:75], s[12:13]
	s_wait_alu 0xfffe
	s_mul_hi_u32 s79, s12, s77
	s_mul_i32 s78, s12, s77
	s_mul_hi_u32 s58, s12, s76
	s_mul_i32 s80, s13, s76
	s_wait_alu 0xfffe
	s_add_nc_u64 s[78:79], s[58:59], s[78:79]
	s_mul_hi_u32 s73, s13, s76
	s_mul_hi_u32 s81, s13, s77
	s_wait_alu 0xfffe
	s_add_co_u32 s58, s78, s80
	s_add_co_ci_u32 s58, s79, s73
	s_mul_i32 s76, s13, s77
	s_add_co_ci_u32 s77, s81, 0
	s_wait_alu 0xfffe
	s_add_nc_u64 s[76:77], s[58:59], s[76:77]
	s_wait_alu 0xfffe
	s_add_co_u32 s12, s12, s76
	s_cselect_b32 s58, -1, 0
	s_wait_alu 0xfffe
	s_cmp_lg_u32 s58, 0
	s_add_co_ci_u32 s13, s13, s77
	s_wait_alu 0xfffe
	s_mul_u64 s[74:75], s[74:75], s[12:13]
	s_wait_alu 0xfffe
	s_mul_hi_u32 s77, s12, s75
	s_mul_i32 s76, s12, s75
	s_mul_hi_u32 s58, s12, s74
	s_mul_i32 s78, s13, s74
	s_wait_alu 0xfffe
	s_add_nc_u64 s[76:77], s[58:59], s[76:77]
	s_mul_hi_u32 s73, s13, s74
	s_mul_hi_u32 s79, s13, s75
	s_wait_alu 0xfffe
	s_add_co_u32 s58, s76, s78
	s_add_co_ci_u32 s58, s77, s73
	s_mul_i32 s74, s13, s75
	s_add_co_ci_u32 s75, s79, 0
	s_wait_alu 0xfffe
	s_add_nc_u64 s[74:75], s[58:59], s[74:75]
	s_wait_alu 0xfffe
	s_add_co_u32 s73, s12, s74
	s_cselect_b32 s12, -1, 0
	s_wait_alu 0xfffe
	s_cmp_lg_u32 s12, 0
	s_add_co_ci_u32 s78, s13, s75
	s_ashr_i32 s12, s67, 31
	s_wait_alu 0xfffe
	s_mov_b32 s13, s12
	s_wait_alu 0xfffe
	s_add_nc_u64 s[74:75], s[66:67], s[12:13]
	s_wait_alu 0xfffe
	s_xor_b64 s[74:75], s[74:75], s[12:13]
	s_wait_alu 0xfffe
	s_mul_hi_u32 s77, s74, s78
	s_mul_i32 s76, s74, s78
	s_mul_hi_u32 s58, s74, s73
	s_mul_hi_u32 s80, s75, s73
	s_mul_i32 s73, s75, s73
	s_wait_alu 0xfffe
	s_add_nc_u64 s[76:77], s[58:59], s[76:77]
	s_mul_hi_u32 s79, s75, s78
	s_wait_alu 0xfffe
	s_add_co_u32 s58, s76, s73
	s_add_co_ci_u32 s58, s77, s80
	s_mul_i32 s78, s75, s78
	s_add_co_ci_u32 s79, s79, 0
	s_wait_alu 0xfffe
	s_add_nc_u64 s[76:77], s[58:59], s[78:79]
	s_wait_alu 0xfffe
	s_mul_u64 s[76:77], s[6:7], s[76:77]
	s_wait_alu 0xfffe
	s_sub_co_u32 s58, s74, s76
	s_cselect_b32 s73, -1, 0
	s_sub_co_i32 s74, s75, s77
	s_wait_alu 0xfffe
	s_cmp_lg_u32 s73, 0
	s_sub_co_ci_u32 s74, s74, s7
	s_sub_co_u32 s76, s58, s6
	s_cselect_b32 s78, -1, 0
	s_wait_alu 0xfffe
	s_cmp_lg_u32 s78, 0
	s_sub_co_ci_u32 s79, s74, 0
	s_wait_alu 0xfffe
	s_cmp_ge_u32 s79, s7
	s_cselect_b32 s80, -1, 0
	s_cmp_ge_u32 s76, s6
	s_cselect_b32 s81, -1, 0
	s_cmp_eq_u32 s79, s7
	s_wait_alu 0xfffe
	s_cselect_b32 s80, s81, s80
	s_cmp_lg_u32 s78, 0
	s_sub_co_ci_u32 s74, s74, s7
	s_sub_co_u32 s78, s76, s6
	s_cselect_b32 s81, -1, 0
	s_wait_alu 0xfffe
	s_cmp_lg_u32 s81, 0
	s_sub_co_ci_u32 s74, s74, 0
	s_cmp_lg_u32 s80, 0
	s_cselect_b32 s76, s78, s76
	s_wait_alu 0xfffe
	s_cselect_b32 s74, s74, s79
	s_cmp_lg_u32 s73, 0
	s_sub_co_ci_u32 s73, s75, s77
	s_wait_alu 0xfffe
	s_cmp_ge_u32 s73, s7
	s_cselect_b32 s75, -1, 0
	s_cmp_ge_u32 s58, s6
	s_cselect_b32 s6, -1, 0
	s_cmp_eq_u32 s73, s7
	s_wait_alu 0xfffe
	s_cselect_b32 s6, s6, s75
	s_wait_alu 0xfffe
	s_cmp_lg_u32 s6, 0
	s_cselect_b32 s7, s74, s73
	s_cselect_b32 s6, s76, s58
	s_wait_alu 0xfffe
	s_xor_b64 s[6:7], s[6:7], s[12:13]
	s_wait_alu 0xfffe
	s_sub_nc_u64 s[6:7], s[6:7], s[12:13]
	s_cbranch_execnz .LBB5_230
.LBB5_229:                              ;   in Loop: Header=BB5_16 Depth=1
	v_cvt_f32_u32_e32 v4, s56
	s_sub_co_i32 s7, 0, s56
	s_delay_alu instid0(VALU_DEP_1) | instskip(NEXT) | instid1(TRANS32_DEP_1)
	v_rcp_iflag_f32_e32 v4, v4
	v_mul_f32_e32 v4, 0x4f7ffffe, v4
	s_delay_alu instid0(VALU_DEP_1) | instskip(NEXT) | instid1(VALU_DEP_1)
	v_cvt_u32_f32_e32 v4, v4
	v_readfirstlane_b32 s6, v4
	s_wait_alu 0xfffe
	s_mul_i32 s7, s7, s6
	s_wait_alu 0xfffe
	s_mul_hi_u32 s7, s6, s7
	s_wait_alu 0xfffe
	s_add_co_i32 s6, s6, s7
	s_wait_alu 0xfffe
	s_mul_hi_u32 s6, s66, s6
	s_wait_alu 0xfffe
	s_mul_i32 s6, s6, s56
	s_wait_alu 0xfffe
	s_sub_co_i32 s6, s66, s6
	s_wait_alu 0xfffe
	s_sub_co_i32 s7, s6, s56
	s_cmp_ge_u32 s6, s56
	s_wait_alu 0xfffe
	s_cselect_b32 s6, s7, s6
	s_wait_alu 0xfffe
	s_sub_co_i32 s7, s6, s56
	s_cmp_ge_u32 s6, s56
	s_wait_alu 0xfffe
	s_cselect_b32 s58, s7, s6
	s_wait_alu 0xfffe
	s_mov_b64 s[6:7], s[58:59]
.LBB5_230:                              ;   in Loop: Header=BB5_16 Depth=1
	s_wait_alu 0xfffe
	s_sub_nc_u64 s[12:13], s[66:67], s[6:7]
	s_mov_b32 s7, 0
	s_mov_b32 s73, 0
	s_mov_b32 s58, exec_lo
                                        ; implicit-def: $vgpr44
	s_wait_alu 0xfffe
	v_cmpx_gt_i64_e64 s[12:13], v[0:1]
	s_cbranch_execz .LBB5_241
; %bb.231:                              ;   in Loop: Header=BB5_16 Depth=1
	v_dual_mov_b32 v4, v12 :: v_dual_mov_b32 v5, v13
	v_dual_mov_b32 v9, v1 :: v_dual_mov_b32 v8, v0
                                        ; implicit-def: $sgpr74
	s_branch .LBB5_234
.LBB5_232:                              ;   in Loop: Header=BB5_234 Depth=2
	s_wait_alu 0xfffe
	s_or_b32 exec_lo, exec_lo, s6
	s_wait_loadcnt_dscnt 0x0
	s_barrier_signal -1
	s_barrier_wait -1
	global_inv scope:SCOPE_SE
	ds_load_u16 v10, v3 offset:3072
	s_mov_b32 s6, -1
	s_mov_b32 s75, -1
	s_wait_loadcnt_dscnt 0x0
	s_barrier_signal -1
	s_barrier_wait -1
	global_inv scope:SCOPE_SE
	v_and_b32_e32 v11, 0xff, v10
	s_delay_alu instid0(VALU_DEP_1)
	v_cmp_ne_u32_e32 vcc_lo, 0, v11
	s_cbranch_vccz .LBB5_237
.LBB5_233:                              ;   in Loop: Header=BB5_234 Depth=2
	s_wait_alu 0xfffe
	s_and_b32 s6, exec_lo, s6
	s_wait_alu 0xfffe
	s_or_b32 s73, s6, s73
	s_and_not1_b32 s6, s74, exec_lo
	s_and_b32 s74, s75, exec_lo
	s_wait_alu 0xfffe
	s_or_b32 s74, s6, s74
	s_and_not1_b32 exec_lo, exec_lo, s73
	s_cbranch_execz .LBB5_240
.LBB5_234:                              ;   Parent Loop BB5_16 Depth=1
                                        ; =>  This Inner Loop Header: Depth=2
	s_mov_b32 s6, exec_lo
	s_delay_alu instid0(VALU_DEP_1)
	v_cmpx_gt_i64_e64 s[36:37], v[8:9]
	s_cbranch_execz .LBB5_232
; %bb.235:                              ;   in Loop: Header=BB5_234 Depth=2
	global_load_u8 v10, v[4:5], off
	s_wait_loadcnt 0x0
	v_and_b32_e32 v11, v10, v43
	s_delay_alu instid0(VALU_DEP_1) | instskip(NEXT) | instid1(VALU_DEP_1)
	v_and_b32_e32 v11, 0xff, v11
	v_cmp_eq_u32_e32 vcc_lo, v11, v22
	s_and_b32 exec_lo, exec_lo, vcc_lo
	s_cbranch_execz .LBB5_232
; %bb.236:                              ;   in Loop: Header=BB5_234 Depth=2
	v_lshlrev_b16 v10, 8, v10
	s_delay_alu instid0(VALU_DEP_1)
	v_or_b32_e32 v10, 1, v10
	ds_store_b16 v3, v10 offset:3072
	s_branch .LBB5_232
.LBB5_237:                              ;   in Loop: Header=BB5_234 Depth=2
	v_add_co_u32 v8, vcc_lo, v8, s56
	s_wait_alu 0xfffd
	v_add_co_ci_u32_e64 v9, null, 0, v9, vcc_lo
	v_add_co_u32 v4, s6, v4, s60
	s_wait_alu 0xf1fe
	v_add_co_ci_u32_e64 v5, null, s61, v5, s6
	s_delay_alu instid0(VALU_DEP_3)
	v_cmp_le_i64_e32 vcc_lo, s[12:13], v[8:9]
	s_mov_b32 s75, 0
	s_or_not1_b32 s6, vcc_lo, exec_lo
	s_branch .LBB5_233
.LBB5_238:                              ;   in Loop: Header=BB5_16 Depth=1
                                        ; implicit-def: $sgpr6_sgpr7
	s_branch .LBB5_184
.LBB5_239:                              ;   in Loop: Header=BB5_16 Depth=1
                                        ; implicit-def: $sgpr14_sgpr15
	s_branch .LBB5_200
.LBB5_240:                              ;   in Loop: Header=BB5_16 Depth=1
	s_or_b32 exec_lo, exec_lo, s73
	v_and_b32_e32 v4, 0xffff, v10
	s_wait_alu 0xfffe
	s_and_b32 s73, s74, exec_lo
	s_delay_alu instid0(VALU_DEP_1)
	v_lshrrev_b32_e32 v44, 8, v4
.LBB5_241:                              ;   in Loop: Header=BB5_16 Depth=1
	s_or_b32 exec_lo, exec_lo, s58
.LBB5_242:                              ;   in Loop: Header=BB5_16 Depth=1
	s_delay_alu instid0(SALU_CYCLE_1)
	s_and_b32 vcc_lo, exec_lo, s7
	s_wait_alu 0xfffe
	s_cbranch_vccz .LBB5_256
; %bb.243:                              ;   in Loop: Header=BB5_16 Depth=1
	s_add_nc_u64 s[6:7], s[10:11], s[64:65]
	s_mov_b32 s12, s59
	s_wait_alu 0xfffe
	s_mov_b32 s13, s7
	s_wait_alu 0xfffe
	s_cmp_lg_u64 s[12:13], 0
	s_cbranch_scc0 .LBB5_277
; %bb.244:                              ;   in Loop: Header=BB5_16 Depth=1
	s_add_nc_u64 s[12:13], s[56:57], 0
	s_wait_alu 0xfffe
	s_xor_b64 s[12:13], s[12:13], 0
	s_wait_alu 0xfffe
	s_cvt_f32_u32 s31, s12
	s_cvt_f32_u32 s58, s13
	s_sub_nc_u64 s[76:77], 0, s[12:13]
	s_wait_alu 0xfffe
	s_delay_alu instid0(SALU_CYCLE_1) | instskip(SKIP_1) | instid1(SALU_CYCLE_2)
	s_fmamk_f32 s31, s58, 0x4f800000, s31
	s_wait_alu 0xfffe
	v_s_rcp_f32 s31, s31
	s_delay_alu instid0(TRANS32_DEP_1) | instskip(SKIP_1) | instid1(SALU_CYCLE_2)
	s_mul_f32 s31, s31, 0x5f7ffffc
	s_wait_alu 0xfffe
	s_mul_f32 s58, s31, 0x2f800000
	s_wait_alu 0xfffe
	s_delay_alu instid0(SALU_CYCLE_2) | instskip(SKIP_1) | instid1(SALU_CYCLE_2)
	s_trunc_f32 s58, s58
	s_wait_alu 0xfffe
	s_fmamk_f32 s31, s58, 0xcf800000, s31
	s_cvt_u32_f32 s75, s58
	s_wait_alu 0xfffe
	s_delay_alu instid0(SALU_CYCLE_1) | instskip(SKIP_1) | instid1(SALU_CYCLE_2)
	s_cvt_u32_f32 s74, s31
	s_wait_alu 0xfffe
	s_mul_u64 s[78:79], s[76:77], s[74:75]
	s_wait_alu 0xfffe
	s_mul_hi_u32 s81, s74, s79
	s_mul_i32 s80, s74, s79
	s_mul_hi_u32 s58, s74, s78
	s_mul_i32 s72, s75, s78
	s_wait_alu 0xfffe
	s_add_nc_u64 s[80:81], s[58:59], s[80:81]
	s_mul_hi_u32 s31, s75, s78
	s_mul_hi_u32 s82, s75, s79
	s_wait_alu 0xfffe
	s_add_co_u32 s58, s80, s72
	s_add_co_ci_u32 s58, s81, s31
	s_mul_i32 s78, s75, s79
	s_add_co_ci_u32 s79, s82, 0
	s_wait_alu 0xfffe
	s_add_nc_u64 s[78:79], s[58:59], s[78:79]
	s_wait_alu 0xfffe
	s_add_co_u32 s74, s74, s78
	s_cselect_b32 s31, -1, 0
	s_wait_alu 0xfffe
	s_cmp_lg_u32 s31, 0
	s_add_co_ci_u32 s75, s75, s79
	s_wait_alu 0xfffe
	s_mul_u64 s[76:77], s[76:77], s[74:75]
	s_wait_alu 0xfffe
	s_mul_hi_u32 s79, s74, s77
	s_mul_i32 s78, s74, s77
	s_mul_hi_u32 s58, s74, s76
	s_mul_i32 s72, s75, s76
	s_wait_alu 0xfffe
	s_add_nc_u64 s[78:79], s[58:59], s[78:79]
	s_mul_hi_u32 s31, s75, s76
	s_mul_hi_u32 s80, s75, s77
	s_wait_alu 0xfffe
	s_add_co_u32 s58, s78, s72
	s_add_co_ci_u32 s58, s79, s31
	s_mul_i32 s76, s75, s77
	s_add_co_ci_u32 s77, s80, 0
	s_wait_alu 0xfffe
	s_add_nc_u64 s[76:77], s[58:59], s[76:77]
	s_wait_alu 0xfffe
	s_add_co_u32 s31, s74, s76
	s_cselect_b32 s58, -1, 0
	s_wait_alu 0xfffe
	s_cmp_lg_u32 s58, 0
	s_add_co_ci_u32 s72, s75, s77
	s_ashr_i32 s74, s7, 31
	s_wait_alu 0xfffe
	s_mov_b32 s75, s74
	s_wait_alu 0xfffe
	s_add_nc_u64 s[76:77], s[6:7], s[74:75]
	s_wait_alu 0xfffe
	s_xor_b64 s[76:77], s[76:77], s[74:75]
	s_wait_alu 0xfffe
	s_mul_hi_u32 s79, s76, s72
	s_mul_i32 s78, s76, s72
	s_mul_hi_u32 s58, s76, s31
	s_mul_hi_u32 s82, s77, s31
	s_mul_i32 s31, s77, s31
	s_wait_alu 0xfffe
	s_add_nc_u64 s[78:79], s[58:59], s[78:79]
	s_mul_hi_u32 s81, s77, s72
	s_wait_alu 0xfffe
	s_add_co_u32 s31, s78, s31
	s_add_co_ci_u32 s58, s79, s82
	s_mul_i32 s80, s77, s72
	s_add_co_ci_u32 s81, s81, 0
	s_wait_alu 0xfffe
	s_add_nc_u64 s[78:79], s[58:59], s[80:81]
	s_wait_alu 0xfffe
	s_mul_u64 s[78:79], s[12:13], s[78:79]
	s_wait_alu 0xfffe
	s_sub_co_u32 s31, s76, s78
	s_cselect_b32 s58, -1, 0
	s_sub_co_i32 s72, s77, s79
	s_wait_alu 0xfffe
	s_cmp_lg_u32 s58, 0
	s_sub_co_ci_u32 s72, s72, s13
	s_sub_co_u32 s76, s31, s12
	s_cselect_b32 s78, -1, 0
	s_wait_alu 0xfffe
	s_cmp_lg_u32 s78, 0
	s_sub_co_ci_u32 s80, s72, 0
	s_wait_alu 0xfffe
	s_cmp_ge_u32 s80, s13
	s_cselect_b32 s81, -1, 0
	s_cmp_ge_u32 s76, s12
	s_cselect_b32 s82, -1, 0
	s_cmp_eq_u32 s80, s13
	s_wait_alu 0xfffe
	s_cselect_b32 s81, s82, s81
	s_cmp_lg_u32 s78, 0
	s_sub_co_ci_u32 s72, s72, s13
	s_sub_co_u32 s78, s76, s12
	s_cselect_b32 s82, -1, 0
	s_wait_alu 0xfffe
	s_cmp_lg_u32 s82, 0
	s_sub_co_ci_u32 s72, s72, 0
	s_cmp_lg_u32 s81, 0
	s_cselect_b32 s76, s78, s76
	s_wait_alu 0xfffe
	s_cselect_b32 s72, s72, s80
	s_cmp_lg_u32 s58, 0
	s_sub_co_ci_u32 s58, s77, s79
	s_wait_alu 0xfffe
	s_cmp_ge_u32 s58, s13
	s_cselect_b32 s77, -1, 0
	s_cmp_ge_u32 s31, s12
	s_cselect_b32 s12, -1, 0
	s_cmp_eq_u32 s58, s13
	s_wait_alu 0xfffe
	s_cselect_b32 s12, s12, s77
	s_wait_alu 0xfffe
	s_cmp_lg_u32 s12, 0
	s_cselect_b32 s13, s72, s58
	s_cselect_b32 s12, s76, s31
	s_wait_alu 0xfffe
	s_xor_b64 s[12:13], s[12:13], s[74:75]
	s_wait_alu 0xfffe
	s_sub_nc_u64 s[12:13], s[12:13], s[74:75]
	s_cbranch_execnz .LBB5_246
.LBB5_245:                              ;   in Loop: Header=BB5_16 Depth=1
	v_cvt_f32_u32_e32 v4, s56
	s_sub_co_i32 s13, 0, s56
	s_delay_alu instid0(VALU_DEP_1) | instskip(NEXT) | instid1(TRANS32_DEP_1)
	v_rcp_iflag_f32_e32 v4, v4
	v_mul_f32_e32 v4, 0x4f7ffffe, v4
	s_delay_alu instid0(VALU_DEP_1) | instskip(NEXT) | instid1(VALU_DEP_1)
	v_cvt_u32_f32_e32 v4, v4
	v_readfirstlane_b32 s12, v4
	s_wait_alu 0xfffe
	s_mul_i32 s13, s13, s12
	s_wait_alu 0xfffe
	s_mul_hi_u32 s13, s12, s13
	s_wait_alu 0xfffe
	s_add_co_i32 s12, s12, s13
	s_wait_alu 0xfffe
	s_mul_hi_u32 s12, s6, s12
	s_wait_alu 0xfffe
	s_mul_i32 s12, s12, s56
	s_wait_alu 0xfffe
	s_sub_co_i32 s12, s6, s12
	s_wait_alu 0xfffe
	s_sub_co_i32 s13, s12, s56
	s_cmp_ge_u32 s12, s56
	s_wait_alu 0xfffe
	s_cselect_b32 s12, s13, s12
	s_wait_alu 0xfffe
	s_sub_co_i32 s13, s12, s56
	s_cmp_ge_u32 s12, s56
	s_wait_alu 0xfffe
	s_cselect_b32 s58, s13, s12
	s_wait_alu 0xfffe
	s_mov_b64 s[12:13], s[58:59]
.LBB5_246:                              ;   in Loop: Header=BB5_16 Depth=1
	s_wait_alu 0xfffe
	s_sub_nc_u64 s[6:7], s[6:7], s[12:13]
	s_mov_b32 s12, exec_lo
                                        ; implicit-def: $vgpr44
	s_wait_alu 0xfffe
	v_cmpx_gt_i64_e64 s[6:7], v[0:1]
	s_cbranch_execz .LBB5_255
; %bb.247:                              ;   in Loop: Header=BB5_16 Depth=1
	v_dual_mov_b32 v8, v0 :: v_dual_mov_b32 v5, v1
	v_mov_b32_e32 v4, v0
	s_mov_b32 s13, 0
                                        ; implicit-def: $sgpr31
	s_branch .LBB5_250
.LBB5_248:                              ;   in Loop: Header=BB5_250 Depth=2
	s_wait_alu 0xfffe
	s_or_b32 exec_lo, exec_lo, s58
	s_wait_loadcnt_dscnt 0x0
	s_barrier_signal -1
	s_barrier_wait -1
	global_inv scope:SCOPE_SE
	ds_load_u16 v9, v3 offset:3072
	s_mov_b32 s58, -1
	s_mov_b32 s72, -1
	s_wait_loadcnt_dscnt 0x0
	s_barrier_signal -1
	s_barrier_wait -1
	global_inv scope:SCOPE_SE
	v_and_b32_e32 v10, 0xff, v9
	s_delay_alu instid0(VALU_DEP_1)
	v_cmp_eq_u32_e32 vcc_lo, 0, v10
	s_cbranch_vccnz .LBB5_253
.LBB5_249:                              ;   in Loop: Header=BB5_250 Depth=2
	s_wait_alu 0xfffe
	s_and_b32 s58, exec_lo, s58
	s_wait_alu 0xfffe
	s_or_b32 s13, s58, s13
	s_and_not1_b32 s31, s31, exec_lo
	s_and_b32 s58, s72, exec_lo
	s_wait_alu 0xfffe
	s_or_b32 s31, s31, s58
	s_and_not1_b32 exec_lo, exec_lo, s13
	s_cbranch_execz .LBB5_254
.LBB5_250:                              ;   Parent Loop BB5_16 Depth=1
                                        ; =>  This Inner Loop Header: Depth=2
	s_mov_b32 s58, exec_lo
	s_delay_alu instid0(VALU_DEP_1)
	v_cmpx_gt_u64_e64 s[10:11], v[4:5]
	s_cbranch_execz .LBB5_248
; %bb.251:                              ;   in Loop: Header=BB5_250 Depth=2
	ds_load_u8 v9, v8
	s_wait_dscnt 0x0
	v_and_b32_e32 v10, v9, v43
	s_delay_alu instid0(VALU_DEP_1) | instskip(NEXT) | instid1(VALU_DEP_1)
	v_and_b32_e32 v10, 0xff, v10
	v_cmp_eq_u32_e32 vcc_lo, v10, v22
	s_and_b32 exec_lo, exec_lo, vcc_lo
	s_cbranch_execz .LBB5_248
; %bb.252:                              ;   in Loop: Header=BB5_250 Depth=2
	v_lshlrev_b16 v9, 8, v9
	s_delay_alu instid0(VALU_DEP_1)
	v_or_b32_e32 v9, 1, v9
	ds_store_b16 v3, v9 offset:3072
	s_branch .LBB5_248
.LBB5_253:                              ;   in Loop: Header=BB5_250 Depth=2
	v_add_co_u32 v4, vcc_lo, v4, s56
	s_wait_alu 0xfffd
	v_add_co_ci_u32_e64 v5, null, 0, v5, vcc_lo
	v_add_nc_u32_e32 v8, s56, v8
	s_mov_b32 s72, 0
	s_delay_alu instid0(VALU_DEP_2)
	v_cmp_le_i64_e32 vcc_lo, s[6:7], v[4:5]
	s_or_not1_b32 s58, vcc_lo, exec_lo
	s_branch .LBB5_249
.LBB5_254:                              ;   in Loop: Header=BB5_16 Depth=1
	s_or_b32 exec_lo, exec_lo, s13
	v_and_b32_e32 v4, 0xffff, v9
	s_and_not1_b32 s6, s73, exec_lo
	s_wait_alu 0xfffe
	s_and_b32 s7, s31, exec_lo
	s_wait_alu 0xfffe
	s_or_b32 s73, s6, s7
	v_lshrrev_b32_e32 v44, 8, v4
.LBB5_255:                              ;   in Loop: Header=BB5_16 Depth=1
	s_or_b32 exec_lo, exec_lo, s12
	s_mov_b32 s31, 0
	s_mov_b32 s72, -1
.LBB5_256:                              ;   in Loop: Header=BB5_16 Depth=1
	s_wait_alu 0xfffe
	s_or_not1_b32 s7, s73, exec_lo
.LBB5_257:                              ;   in Loop: Header=BB5_16 Depth=1
	s_wait_alu 0xfffe
	s_or_b32 exec_lo, exec_lo, s30
	s_mov_b32 s10, 0
	s_and_saveexec_b32 s6, s7
	s_cbranch_execz .LBB5_268
; %bb.258:                              ;   in Loop: Header=BB5_16 Depth=1
	v_mov_b32_e32 v4, 1
	v_dual_mov_b32 v5, 0 :: v_dual_mov_b32 v2, 1
	s_xor_b32 s10, s20, -1
	s_wait_alu 0xfffe
	s_and_saveexec_b32 s7, s10
	s_cbranch_execz .LBB5_267
; %bb.259:                              ;   in Loop: Header=BB5_16 Depth=1
	s_mov_b32 s10, exec_lo
	v_cmpx_ge_i64_e64 s[8:9], v[6:7]
	s_wait_alu 0xfffe
	s_xor_b32 s10, exec_lo, s10
	s_cbranch_execz .LBB5_264
; %bb.260:                              ;   in Loop: Header=BB5_16 Depth=1
	ds_load_b64 v[4:5], v3 offset:5120
	v_or_b32_e32 v22, s16, v22
	v_or_b32_e32 v43, s16, v43
	s_wait_dscnt 0x0
	v_cmp_ne_u64_e32 vcc_lo, 0, v[4:5]
	s_cbranch_vccnz .LBB5_264
; %bb.261:                              ;   in Loop: Header=BB5_16 Depth=1
	s_and_saveexec_b32 s11, s2
; %bb.262:                              ;   in Loop: Header=BB5_16 Depth=1
	v_dual_mov_b32 v4, s8 :: v_dual_mov_b32 v5, s9
	ds_store_b64 v3, v[4:5] offset:5128
; %bb.263:                              ;   in Loop: Header=BB5_16 Depth=1
	s_wait_alu 0xfffe
	s_or_b32 exec_lo, exec_lo, s11
	s_wait_loadcnt_dscnt 0x0
	s_barrier_signal -1
	s_barrier_wait -1
	global_inv scope:SCOPE_SE
.LBB5_264:                              ;   in Loop: Header=BB5_16 Depth=1
	s_wait_alu 0xfffe
	s_and_not1_saveexec_b32 s10, s10
; %bb.265:                              ;   in Loop: Header=BB5_16 Depth=1
	v_sub_co_u32 v6, vcc_lo, v6, s8
	s_wait_alu 0xfffd
	v_subrev_co_ci_u32_e64 v7, null, s9, v7, vcc_lo
; %bb.266:                              ;   in Loop: Header=BB5_16 Depth=1
	s_wait_alu 0xfffe
	s_or_b32 exec_lo, exec_lo, s10
	v_mov_b32_e32 v4, v6
	s_delay_alu instid0(VALU_DEP_2)
	v_dual_mov_b32 v2, 8 :: v_dual_mov_b32 v5, v7
.LBB5_267:                              ;   in Loop: Header=BB5_16 Depth=1
	s_wait_alu 0xfffe
	s_or_b32 exec_lo, exec_lo, s7
	s_delay_alu instid0(VALU_DEP_1)
	v_dual_mov_b32 v7, v5 :: v_dual_mov_b32 v6, v4
	s_mov_b32 s10, exec_lo
.LBB5_268:                              ;   in Loop: Header=BB5_16 Depth=1
	s_wait_alu 0xfffe
	s_or_b32 exec_lo, exec_lo, s6
	s_delay_alu instid0(SALU_CYCLE_1)
	s_or_not1_b32 s6, s10, exec_lo
.LBB5_269:                              ;   in Loop: Header=BB5_16 Depth=1
	s_wait_alu 0xfffe
	s_or_b32 exec_lo, exec_lo, s15
	v_dual_mov_b32 v4, v6 :: v_dual_mov_b32 v5, v7
	s_and_not1_b32 s7, s29, exec_lo
	s_and_b32 s8, s72, exec_lo
	s_and_not1_b32 s9, s25, exec_lo
	s_and_b32 s10, s31, exec_lo
	s_wait_alu 0xfffe
	s_or_b32 s29, s7, s8
	s_or_b32 s25, s9, s10
	s_and_b32 s7, s6, exec_lo
.LBB5_270:                              ;   in Loop: Header=BB5_16 Depth=1
	s_wait_alu 0xfffe
	s_or_b32 exec_lo, exec_lo, s14
	s_delay_alu instid0(SALU_CYCLE_1)
	s_or_not1_b32 s6, s7, exec_lo
.LBB5_271:                              ;   in Loop: Header=BB5_16 Depth=1
	s_wait_alu 0xfffe
	s_or_b32 exec_lo, exec_lo, s24
	v_dual_mov_b32 v9, v5 :: v_dual_mov_b32 v8, v4
	s_and_not1_b32 s7, s22, exec_lo
	s_and_b32 s8, s29, exec_lo
	s_and_not1_b32 s9, s21, exec_lo
	s_and_b32 s10, s25, exec_lo
	s_wait_alu 0xfffe
	s_or_b32 s22, s7, s8
	s_or_b32 s21, s9, s10
	s_and_b32 s7, s6, exec_lo
.LBB5_272:                              ;   in Loop: Header=BB5_16 Depth=1
	s_wait_alu 0xfffe
	s_or_b32 exec_lo, exec_lo, s23
	s_delay_alu instid0(SALU_CYCLE_1)
	s_or_not1_b32 s6, s7, exec_lo
.LBB5_273:                              ;   in Loop: Header=BB5_16 Depth=1
	s_wait_alu 0xfffe
	s_or_b32 exec_lo, exec_lo, s19
	s_mov_b32 s7, 0
	s_and_saveexec_b32 s8, s6
	s_wait_alu 0xfffe
	s_xor_b32 s6, exec_lo, s8
	s_cbranch_execz .LBB5_14
; %bb.274:                              ;   in Loop: Header=BB5_16 Depth=1
	v_and_b32_e32 v2, 7, v2
	s_mov_b32 s8, -1
	s_mov_b32 s7, -1
	s_mov_b32 s9, exec_lo
	s_delay_alu instid0(VALU_DEP_1)
	v_cmpx_eq_u32_e32 0, v2
	s_cbranch_execz .LBB5_13
; %bb.275:                              ;   in Loop: Header=BB5_16 Depth=1
	s_xor_b32 s104, s104, 1
	s_add_co_i32 s10, s101, -2
	s_cmp_eq_u32 s101, 0
	s_wait_alu 0xfffe
	s_mov_b32 s101, s10
	s_cselect_b32 s8, -1, 0
	s_xor_b32 s7, exec_lo, -1
	s_wait_alu 0xfffe
	s_or_not1_b32 s8, s8, exec_lo
	s_branch .LBB5_13
.LBB5_276:                              ;   in Loop: Header=BB5_16 Depth=1
                                        ; implicit-def: $sgpr6_sgpr7
	s_branch .LBB5_229
.LBB5_277:                              ;   in Loop: Header=BB5_16 Depth=1
                                        ; implicit-def: $sgpr12_sgpr13
	s_branch .LBB5_245
.LBB5_278:
	s_or_b32 exec_lo, exec_lo, s103
	s_wait_alu 0xfffe
	s_xor_b32 s5, s28, -1
	s_xor_b32 s1, s54, -1
	s_xor_b32 s4, vcc_hi, -1
	s_mov_b32 s3, 0
	s_wait_alu 0xfffe
	s_and_saveexec_b32 s6, s1
	s_wait_alu 0xfffe
	s_xor_b32 s1, exec_lo, s6
	s_cbranch_execnz .LBB5_283
; %bb.279:
	s_wait_alu 0xfffe
	s_and_not1_saveexec_b32 s0, s1
	s_cbranch_execnz .LBB5_308
.LBB5_280:
	s_wait_alu 0xfffe
	s_or_b32 exec_lo, exec_lo, s0
	s_and_saveexec_b32 s0, s3
.LBB5_281:
	; divergent unreachable
.LBB5_282:
	s_endpgm
.LBB5_283:
	s_and_saveexec_b32 s3, s5
	s_delay_alu instid0(SALU_CYCLE_1)
	s_xor_b32 s3, exec_lo, s3
	s_cbranch_execz .LBB5_306
; %bb.284:
	s_and_saveexec_b32 s5, s4
	s_wait_alu 0xfffe
	s_xor_b32 s4, exec_lo, s5
; %bb.285:
	v_mov_b32_e32 v44, v22
; %bb.286:
	s_wait_alu 0xfffe
	s_or_b32 exec_lo, exec_lo, s4
	s_and_saveexec_b32 s4, s2
; %bb.287:
	v_dual_mov_b32 v2, 0 :: v_dual_mov_b32 v3, s36
	ds_store_b32 v2, v3 offset:5140
; %bb.288:
	s_wait_alu 0xfffe
	s_or_b32 exec_lo, exec_lo, s4
	s_wait_loadcnt_dscnt 0x0
	s_barrier_signal -1
	s_barrier_wait -1
	global_inv scope:SCOPE_SE
	s_and_saveexec_b32 s4, s0
	s_cbranch_execz .LBB5_303
; %bb.289:
	v_mov_b32_e32 v2, 0
	v_and_b32_e32 v6, 0xff, v44
	s_mov_b32 s5, 0
                                        ; implicit-def: $sgpr6
                                        ; implicit-def: $sgpr7
                                        ; implicit-def: $sgpr8
	ds_load_b32 v4, v2 offset:5140
	s_wait_dscnt 0x0
	v_ashrrev_i32_e32 v5, 31, v4
	s_branch .LBB5_292
.LBB5_290:                              ;   in Loop: Header=BB5_292 Depth=1
	s_wait_alu 0xfffe
	s_or_b32 exec_lo, exec_lo, s11
	s_delay_alu instid0(SALU_CYCLE_1)
	s_and_not1_b32 s8, s8, exec_lo
	s_and_b32 s10, s10, exec_lo
	s_and_not1_b32 s7, s7, exec_lo
	s_and_b32 s0, s0, exec_lo
	s_wait_alu 0xfffe
	s_or_b32 s8, s8, s10
	s_or_b32 s7, s7, s0
.LBB5_291:                              ;   in Loop: Header=BB5_292 Depth=1
	s_wait_alu 0xfffe
	s_or_b32 exec_lo, exec_lo, s9
	s_delay_alu instid0(SALU_CYCLE_1)
	s_and_b32 s0, exec_lo, s7
	s_wait_alu 0xfffe
	s_or_b32 s5, s0, s5
	s_and_not1_b32 s0, s6, exec_lo
	s_and_b32 s6, s8, exec_lo
	s_wait_alu 0xfffe
	s_or_b32 s6, s0, s6
	s_and_not1_b32 exec_lo, exec_lo, s5
	s_cbranch_execz .LBB5_298
.LBB5_292:                              ; =>This Inner Loop Header: Depth=1
	v_dual_mov_b32 v3, v1 :: v_dual_mov_b32 v2, v0
	s_or_b32 s8, s8, exec_lo
	s_or_b32 s7, s7, exec_lo
	s_mov_b32 s9, exec_lo
                                        ; implicit-def: $vgpr0_vgpr1
	s_delay_alu instid0(VALU_DEP_1)
	v_cmpx_lt_i64_e64 v[2:3], v[4:5]
	s_cbranch_execz .LBB5_291
; %bb.293:                              ;   in Loop: Header=BB5_292 Depth=1
	global_load_u8 v0, v[12:13], off
	s_mov_b32 s0, -1
	s_mov_b32 s10, 0
	s_wait_loadcnt 0x0
	v_cmp_ne_u16_e32 vcc_lo, v0, v6
                                        ; implicit-def: $vgpr0_vgpr1
	s_and_saveexec_b32 s11, vcc_lo
	s_cbranch_execz .LBB5_290
; %bb.294:                              ;   in Loop: Header=BB5_292 Depth=1
	v_add_co_u32 v0, vcc_lo, v2, s56
	s_wait_alu 0xfffd
	v_add_co_ci_u32_e64 v1, null, 0, v3, vcc_lo
	v_add_co_u32 v12, s0, v12, s60
	s_wait_alu 0xf1fe
	v_add_co_ci_u32_e64 v13, null, s61, v13, s0
	s_delay_alu instid0(VALU_DEP_3)
	v_cmp_le_i64_e32 vcc_lo, s[36:37], v[0:1]
	s_mov_b32 s10, exec_lo
	s_or_not1_b32 s0, vcc_lo, exec_lo
	s_branch .LBB5_290
.LBB5_295:
                                        ; implicit-def: $sgpr12_sgpr13
	s_branch .LBB5_3
.LBB5_296:
                                        ; implicit-def: $sgpr48_sgpr49
	s_branch .LBB5_6
.LBB5_297:
                                        ; implicit-def: $sgpr50_sgpr51
	s_branch .LBB5_9
.LBB5_298:
	s_or_b32 exec_lo, exec_lo, s5
	s_wait_alu 0xfffe
	s_xor_b32 s0, s6, -1
	s_wait_alu 0xfffe
	s_and_saveexec_b32 s5, s0
	s_wait_alu 0xfffe
	s_xor_b32 s5, exec_lo, s5
	s_cbranch_execz .LBB5_303
; %bb.299:
	s_mov_b32 s5, exec_lo
	s_brev_b32 s0, -2
.LBB5_300:                              ; =>This Inner Loop Header: Depth=1
	s_wait_alu 0xfffe
	s_ctz_i32_b32 s6, s5
	s_wait_alu 0xfffe
	v_readlane_b32 s7, v2, s6
	s_lshl_b32 s6, 1, s6
	s_wait_alu 0xfffe
	s_and_not1_b32 s5, s5, s6
	s_min_i32 s0, s0, s7
	s_wait_alu 0xfffe
	s_cmp_lg_u32 s5, 0
	s_cbranch_scc1 .LBB5_300
; %bb.301:
	v_mbcnt_lo_u32_b32 v0, exec_lo, 0
	s_mov_b32 s5, exec_lo
	s_delay_alu instid0(VALU_DEP_1)
	v_cmpx_eq_u32_e32 0, v0
	s_wait_alu 0xfffe
	s_xor_b32 s5, exec_lo, s5
; %bb.302:
	v_dual_mov_b32 v0, 0 :: v_dual_mov_b32 v1, s0
	ds_min_i32 v0, v1 offset:5140
.LBB5_303:
	s_wait_alu 0xfffe
	s_or_b32 exec_lo, exec_lo, s4
	s_wait_loadcnt_dscnt 0x0
	s_barrier_signal -1
	s_barrier_wait -1
	global_inv scope:SCOPE_SE
	s_and_saveexec_b32 s0, s2
	s_cbranch_execz .LBB5_305
; %bb.304:
	v_mov_b32_e32 v2, 0
	v_readlane_b32 s12, v61, 0
	v_readlane_b32 s13, v61, 1
	s_mul_u64 s[6:7], s[48:49], s[44:45]
	v_readlane_b32 s14, v61, 2
	ds_load_b32 v0, v2 offset:5140
	v_readlane_b32 s15, v61, 3
	s_mul_u64 s[10:11], s[50:51], s[12:13]
	v_readlane_b32 s12, v61, 6
	v_readlane_b32 s13, v61, 7
	s_mul_u64 s[8:9], s[50:51], s[40:41]
	s_mul_u64 s[4:5], s[48:49], s[34:35]
	s_wait_alu 0xfffe
	s_sub_nc_u64 s[8:9], s[26:27], s[8:9]
	s_lshl_b64 s[10:11], s[10:11], 3
	s_add_nc_u64 s[6:7], s[12:13], s[6:7]
	v_readlane_b32 s12, v61, 4
	v_readlane_b32 s13, v61, 5
	s_wait_alu 0xfffe
	s_mul_u64 s[8:9], s[8:9], s[14:15]
	s_sub_nc_u64 s[4:5], s[26:27], s[4:5]
	s_wait_alu 0xfffe
	s_lshl_b64 s[8:9], s[8:9], 3
	s_mul_u64 s[4:5], s[4:5], s[46:47]
	s_add_nc_u64 s[10:11], s[12:13], s[10:11]
	s_wait_alu 0xfffe
	s_add_nc_u64 s[4:5], s[6:7], s[4:5]
	s_add_nc_u64 s[8:9], s[10:11], s[8:9]
	s_wait_dscnt 0x0
	v_ashrrev_i32_e32 v1, 31, v0
	s_clause 0x1
	global_store_b64 v2, v[0:1], s[8:9]
	global_store_b8 v2, v44, s[4:5]
.LBB5_305:
	s_wait_alu 0xfffe
	s_or_b32 exec_lo, exec_lo, s0
.LBB5_306:
	s_or_saveexec_b32 s0, s3
	s_mov_b32 s2, 0
	s_wait_alu 0xfffe
	s_xor_b32 exec_lo, exec_lo, s0
	s_cbranch_execnz .LBB5_309
.LBB5_307:
	s_or_b32 exec_lo, exec_lo, s0
	s_delay_alu instid0(SALU_CYCLE_1)
	s_and_b32 s3, s2, exec_lo
	s_and_not1_saveexec_b32 s0, s1
	s_cbranch_execz .LBB5_280
.LBB5_308:
	s_or_b32 s3, s3, exec_lo
	s_trap 2
	s_wait_alu 0xfffe
	s_or_b32 exec_lo, exec_lo, s0
	s_and_saveexec_b32 s0, s3
	s_cbranch_execnz .LBB5_281
	s_branch .LBB5_282
.LBB5_309:
	s_mov_b32 s2, exec_lo
	s_trap 2
	s_branch .LBB5_307
	.section	.rodata,"a",@progbits
	.p2align	6, 0x0
	.amdhsa_kernel _ZN2at6native12_GLOBAL__N_114gatherKthValueIhlLi2EEEvNS_4cuda6detail10TensorInfoIKT_T0_EES8_S8_S8_S8_NS5_IS6_S8_EENS5_IlS8_EE
		.amdhsa_group_segment_fixed_size 5144
		.amdhsa_private_segment_fixed_size 0
		.amdhsa_kernarg_size 1536
		.amdhsa_user_sgpr_count 2
		.amdhsa_user_sgpr_dispatch_ptr 0
		.amdhsa_user_sgpr_queue_ptr 0
		.amdhsa_user_sgpr_kernarg_segment_ptr 1
		.amdhsa_user_sgpr_dispatch_id 0
		.amdhsa_user_sgpr_private_segment_size 0
		.amdhsa_wavefront_size32 1
		.amdhsa_uses_dynamic_stack 0
		.amdhsa_enable_private_segment 0
		.amdhsa_system_sgpr_workgroup_id_x 1
		.amdhsa_system_sgpr_workgroup_id_y 1
		.amdhsa_system_sgpr_workgroup_id_z 1
		.amdhsa_system_sgpr_workgroup_info 0
		.amdhsa_system_vgpr_workitem_id 0
		.amdhsa_next_free_vgpr 62
		.amdhsa_next_free_sgpr 105
		.amdhsa_reserve_vcc 1
		.amdhsa_float_round_mode_32 0
		.amdhsa_float_round_mode_16_64 0
		.amdhsa_float_denorm_mode_32 3
		.amdhsa_float_denorm_mode_16_64 3
		.amdhsa_fp16_overflow 0
		.amdhsa_workgroup_processor_mode 1
		.amdhsa_memory_ordered 1
		.amdhsa_forward_progress 1
		.amdhsa_inst_pref_size 170
		.amdhsa_round_robin_scheduling 0
		.amdhsa_exception_fp_ieee_invalid_op 0
		.amdhsa_exception_fp_denorm_src 0
		.amdhsa_exception_fp_ieee_div_zero 0
		.amdhsa_exception_fp_ieee_overflow 0
		.amdhsa_exception_fp_ieee_underflow 0
		.amdhsa_exception_fp_ieee_inexact 0
		.amdhsa_exception_int_div_zero 0
	.end_amdhsa_kernel
	.section	.text._ZN2at6native12_GLOBAL__N_114gatherKthValueIhlLi2EEEvNS_4cuda6detail10TensorInfoIKT_T0_EES8_S8_S8_S8_NS5_IS6_S8_EENS5_IlS8_EE,"axG",@progbits,_ZN2at6native12_GLOBAL__N_114gatherKthValueIhlLi2EEEvNS_4cuda6detail10TensorInfoIKT_T0_EES8_S8_S8_S8_NS5_IS6_S8_EENS5_IlS8_EE,comdat
.Lfunc_end5:
	.size	_ZN2at6native12_GLOBAL__N_114gatherKthValueIhlLi2EEEvNS_4cuda6detail10TensorInfoIKT_T0_EES8_S8_S8_S8_NS5_IS6_S8_EENS5_IlS8_EE, .Lfunc_end5-_ZN2at6native12_GLOBAL__N_114gatherKthValueIhlLi2EEEvNS_4cuda6detail10TensorInfoIKT_T0_EES8_S8_S8_S8_NS5_IS6_S8_EENS5_IlS8_EE
                                        ; -- End function
	.set _ZN2at6native12_GLOBAL__N_114gatherKthValueIhlLi2EEEvNS_4cuda6detail10TensorInfoIKT_T0_EES8_S8_S8_S8_NS5_IS6_S8_EENS5_IlS8_EE.num_vgpr, 62
	.set _ZN2at6native12_GLOBAL__N_114gatherKthValueIhlLi2EEEvNS_4cuda6detail10TensorInfoIKT_T0_EES8_S8_S8_S8_NS5_IS6_S8_EENS5_IlS8_EE.num_agpr, 0
	.set _ZN2at6native12_GLOBAL__N_114gatherKthValueIhlLi2EEEvNS_4cuda6detail10TensorInfoIKT_T0_EES8_S8_S8_S8_NS5_IS6_S8_EENS5_IlS8_EE.numbered_sgpr, 105
	.set _ZN2at6native12_GLOBAL__N_114gatherKthValueIhlLi2EEEvNS_4cuda6detail10TensorInfoIKT_T0_EES8_S8_S8_S8_NS5_IS6_S8_EENS5_IlS8_EE.num_named_barrier, 0
	.set _ZN2at6native12_GLOBAL__N_114gatherKthValueIhlLi2EEEvNS_4cuda6detail10TensorInfoIKT_T0_EES8_S8_S8_S8_NS5_IS6_S8_EENS5_IlS8_EE.private_seg_size, 0
	.set _ZN2at6native12_GLOBAL__N_114gatherKthValueIhlLi2EEEvNS_4cuda6detail10TensorInfoIKT_T0_EES8_S8_S8_S8_NS5_IS6_S8_EENS5_IlS8_EE.uses_vcc, 1
	.set _ZN2at6native12_GLOBAL__N_114gatherKthValueIhlLi2EEEvNS_4cuda6detail10TensorInfoIKT_T0_EES8_S8_S8_S8_NS5_IS6_S8_EENS5_IlS8_EE.uses_flat_scratch, 0
	.set _ZN2at6native12_GLOBAL__N_114gatherKthValueIhlLi2EEEvNS_4cuda6detail10TensorInfoIKT_T0_EES8_S8_S8_S8_NS5_IS6_S8_EENS5_IlS8_EE.has_dyn_sized_stack, 0
	.set _ZN2at6native12_GLOBAL__N_114gatherKthValueIhlLi2EEEvNS_4cuda6detail10TensorInfoIKT_T0_EES8_S8_S8_S8_NS5_IS6_S8_EENS5_IlS8_EE.has_recursion, 0
	.set _ZN2at6native12_GLOBAL__N_114gatherKthValueIhlLi2EEEvNS_4cuda6detail10TensorInfoIKT_T0_EES8_S8_S8_S8_NS5_IS6_S8_EENS5_IlS8_EE.has_indirect_call, 0
	.section	.AMDGPU.csdata,"",@progbits
; Kernel info:
; codeLenInByte = 21744
; TotalNumSgprs: 107
; NumVgprs: 62
; ScratchSize: 0
; MemoryBound: 0
; FloatMode: 240
; IeeeMode: 1
; LDSByteSize: 5144 bytes/workgroup (compile time only)
; SGPRBlocks: 0
; VGPRBlocks: 7
; NumSGPRsForWavesPerEU: 107
; NumVGPRsForWavesPerEU: 62
; Occupancy: 16
; WaveLimiterHint : 1
; COMPUTE_PGM_RSRC2:SCRATCH_EN: 0
; COMPUTE_PGM_RSRC2:USER_SGPR: 2
; COMPUTE_PGM_RSRC2:TRAP_HANDLER: 0
; COMPUTE_PGM_RSRC2:TGID_X_EN: 1
; COMPUTE_PGM_RSRC2:TGID_Y_EN: 1
; COMPUTE_PGM_RSRC2:TGID_Z_EN: 1
; COMPUTE_PGM_RSRC2:TIDIG_COMP_CNT: 0
	.section	.text._ZN2at6native12_GLOBAL__N_114gatherKthValueIhlLi3EEEvNS_4cuda6detail10TensorInfoIKT_T0_EES8_S8_S8_S8_NS5_IS6_S8_EENS5_IlS8_EE,"axG",@progbits,_ZN2at6native12_GLOBAL__N_114gatherKthValueIhlLi3EEEvNS_4cuda6detail10TensorInfoIKT_T0_EES8_S8_S8_S8_NS5_IS6_S8_EENS5_IlS8_EE,comdat
	.globl	_ZN2at6native12_GLOBAL__N_114gatherKthValueIhlLi3EEEvNS_4cuda6detail10TensorInfoIKT_T0_EES8_S8_S8_S8_NS5_IS6_S8_EENS5_IlS8_EE ; -- Begin function _ZN2at6native12_GLOBAL__N_114gatherKthValueIhlLi3EEEvNS_4cuda6detail10TensorInfoIKT_T0_EES8_S8_S8_S8_NS5_IS6_S8_EENS5_IlS8_EE
	.p2align	8
	.type	_ZN2at6native12_GLOBAL__N_114gatherKthValueIhlLi3EEEvNS_4cuda6detail10TensorInfoIKT_T0_EES8_S8_S8_S8_NS5_IS6_S8_EENS5_IlS8_EE,@function
_ZN2at6native12_GLOBAL__N_114gatherKthValueIhlLi3EEEvNS_4cuda6detail10TensorInfoIKT_T0_EES8_S8_S8_S8_NS5_IS6_S8_EENS5_IlS8_EE: ; @_ZN2at6native12_GLOBAL__N_114gatherKthValueIhlLi3EEEvNS_4cuda6detail10TensorInfoIKT_T0_EES8_S8_S8_S8_NS5_IS6_S8_EENS5_IlS8_EE
; %bb.0:
	s_clause 0x1
	s_load_b64 s[12:13], s[0:1], 0x500
	s_load_b256 s[36:43], s[0:1], 0x1a0
	s_lshr_b32 s2, ttmp7, 16
	s_and_b32 s3, ttmp7, 0xffff
	s_mov_b32 s27, 0
	s_wait_kmcnt 0x0
	s_mul_i32 s2, s13, s2
	s_delay_alu instid0(SALU_CYCLE_1) | instskip(NEXT) | instid1(SALU_CYCLE_1)
	s_add_co_i32 s2, s2, s3
	s_mul_i32 s2, s2, s12
	s_delay_alu instid0(SALU_CYCLE_1) | instskip(NEXT) | instid1(SALU_CYCLE_1)
	s_add_co_i32 s26, s2, ttmp9
	v_cmp_le_i64_e64 s2, s[40:41], s[26:27]
	s_and_b32 vcc_lo, exec_lo, s2
	s_cbranch_vccnz .LBB6_298
; %bb.1:
	s_load_b128 s[4:7], s[0:1], 0x10
	s_mov_b32 s2, s27
	s_wait_kmcnt 0x0
	s_mov_b32 s3, s7
	s_delay_alu instid0(SALU_CYCLE_1)
	s_cmp_lg_u64 s[2:3], 0
	s_add_nc_u64 s[2:3], s[26:27], 0
	s_cbranch_scc0 .LBB6_18
; %bb.2:
	s_ashr_i32 s8, s7, 31
	s_mov_b32 s17, 0
	s_mov_b32 s9, s8
	s_delay_alu instid0(SALU_CYCLE_1) | instskip(NEXT) | instid1(SALU_CYCLE_1)
	s_add_nc_u64 s[10:11], s[6:7], s[8:9]
	s_xor_b64 s[10:11], s[10:11], s[8:9]
	s_delay_alu instid0(SALU_CYCLE_1) | instskip(SKIP_2) | instid1(SALU_CYCLE_2)
	s_cvt_f32_u32 s13, s10
	s_cvt_f32_u32 s14, s11
	s_sub_nc_u64 s[18:19], 0, s[10:11]
	s_fmamk_f32 s13, s14, 0x4f800000, s13
	s_delay_alu instid0(SALU_CYCLE_3) | instskip(NEXT) | instid1(TRANS32_DEP_1)
	v_s_rcp_f32 s13, s13
	s_mul_f32 s13, s13, 0x5f7ffffc
	s_wait_alu 0xfffe
	s_delay_alu instid0(SALU_CYCLE_2) | instskip(NEXT) | instid1(SALU_CYCLE_3)
	s_mul_f32 s14, s13, 0x2f800000
	s_trunc_f32 s14, s14
	s_delay_alu instid0(SALU_CYCLE_3) | instskip(SKIP_2) | instid1(SALU_CYCLE_1)
	s_fmamk_f32 s13, s14, 0xcf800000, s13
	s_cvt_u32_f32 s15, s14
	s_wait_alu 0xfffe
	s_cvt_u32_f32 s14, s13
	s_delay_alu instid0(SALU_CYCLE_3) | instskip(NEXT) | instid1(SALU_CYCLE_1)
	s_mul_u64 s[20:21], s[18:19], s[14:15]
	s_mul_hi_u32 s23, s14, s21
	s_mul_i32 s22, s14, s21
	s_mul_hi_u32 s16, s14, s20
	s_mul_i32 s24, s15, s20
	s_add_nc_u64 s[22:23], s[16:17], s[22:23]
	s_mul_hi_u32 s13, s15, s20
	s_mul_hi_u32 s25, s15, s21
	s_add_co_u32 s16, s22, s24
	s_wait_alu 0xfffe
	s_add_co_ci_u32 s16, s23, s13
	s_mul_i32 s20, s15, s21
	s_add_co_ci_u32 s21, s25, 0
	s_delay_alu instid0(SALU_CYCLE_1) | instskip(NEXT) | instid1(SALU_CYCLE_1)
	s_add_nc_u64 s[20:21], s[16:17], s[20:21]
	s_add_co_u32 s14, s14, s20
	s_cselect_b32 s13, -1, 0
	s_wait_alu 0xfffe
	s_cmp_lg_u32 s13, 0
	s_add_co_ci_u32 s15, s15, s21
	s_delay_alu instid0(SALU_CYCLE_1) | instskip(NEXT) | instid1(SALU_CYCLE_1)
	s_mul_u64 s[18:19], s[18:19], s[14:15]
	s_mul_hi_u32 s21, s14, s19
	s_mul_i32 s20, s14, s19
	s_mul_hi_u32 s16, s14, s18
	s_mul_i32 s22, s15, s18
	s_add_nc_u64 s[20:21], s[16:17], s[20:21]
	s_mul_hi_u32 s13, s15, s18
	s_mul_hi_u32 s23, s15, s19
	s_add_co_u32 s16, s20, s22
	s_wait_alu 0xfffe
	s_add_co_ci_u32 s16, s21, s13
	s_mul_i32 s18, s15, s19
	s_add_co_ci_u32 s19, s23, 0
	s_delay_alu instid0(SALU_CYCLE_1) | instskip(NEXT) | instid1(SALU_CYCLE_1)
	s_add_nc_u64 s[18:19], s[16:17], s[18:19]
	s_add_co_u32 s13, s14, s18
	s_cselect_b32 s14, -1, 0
	s_delay_alu instid0(SALU_CYCLE_1) | instskip(SKIP_2) | instid1(SALU_CYCLE_1)
	s_cmp_lg_u32 s14, 0
	s_add_co_ci_u32 s20, s15, s19
	s_xor_b64 s[14:15], s[2:3], 0
	s_mul_hi_u32 s19, s14, s20
	s_mul_i32 s18, s14, s20
	s_wait_alu 0xfffe
	s_mul_hi_u32 s16, s14, s13
	s_mul_hi_u32 s22, s15, s13
	s_mul_i32 s13, s15, s13
	s_add_nc_u64 s[18:19], s[16:17], s[18:19]
	s_mul_hi_u32 s21, s15, s20
	s_wait_alu 0xfffe
	s_add_co_u32 s13, s18, s13
	s_add_co_ci_u32 s16, s19, s22
	s_mul_i32 s20, s15, s20
	s_add_co_ci_u32 s21, s21, 0
	s_delay_alu instid0(SALU_CYCLE_1) | instskip(NEXT) | instid1(SALU_CYCLE_1)
	s_add_nc_u64 s[18:19], s[16:17], s[20:21]
	s_mul_u64 s[20:21], s[10:11], s[18:19]
	s_delay_alu instid0(SALU_CYCLE_1)
	s_sub_co_u32 s13, s14, s20
	s_cselect_b32 s14, -1, 0
	s_sub_co_i32 s16, s15, s21
	s_cmp_lg_u32 s14, 0
	s_sub_co_ci_u32 s16, s16, s11
	s_wait_alu 0xfffe
	s_sub_co_u32 s20, s13, s10
	s_cselect_b32 s22, -1, 0
	s_delay_alu instid0(SALU_CYCLE_1) | instskip(SKIP_2) | instid1(SALU_CYCLE_1)
	s_cmp_lg_u32 s22, 0
	s_add_nc_u64 s[22:23], s[18:19], 1
	s_sub_co_ci_u32 s16, s16, 0
	s_cmp_ge_u32 s16, s11
	s_cselect_b32 s24, -1, 0
	s_cmp_ge_u32 s20, s10
	s_cselect_b32 s20, -1, 0
	s_cmp_eq_u32 s16, s11
	s_cselect_b32 s16, s20, s24
	s_add_nc_u64 s[24:25], s[18:19], 2
	s_cmp_lg_u32 s16, 0
	s_cselect_b32 s16, s24, s22
	s_cselect_b32 s20, s25, s23
	s_cmp_lg_u32 s14, 0
	s_sub_co_ci_u32 s14, s15, s21
	s_delay_alu instid0(SALU_CYCLE_1)
	s_cmp_ge_u32 s14, s11
	s_cselect_b32 s15, -1, 0
	s_cmp_ge_u32 s13, s10
	s_cselect_b32 s10, -1, 0
	s_cmp_eq_u32 s14, s11
	s_cselect_b32 s10, s10, s15
	s_delay_alu instid0(SALU_CYCLE_1) | instskip(SKIP_3) | instid1(SALU_CYCLE_1)
	s_cmp_lg_u32 s10, 0
	s_cselect_b32 s11, s20, s19
	s_cselect_b32 s10, s16, s18
	s_xor_b64 s[8:9], 0, s[8:9]
	s_xor_b64 s[10:11], s[10:11], s[8:9]
	s_delay_alu instid0(SALU_CYCLE_1)
	s_sub_nc_u64 s[14:15], s[10:11], s[8:9]
	s_cbranch_execnz .LBB6_4
.LBB6_3:
	v_cvt_f32_u32_e32 v1, s6
	s_sub_co_i32 s9, 0, s6
	s_mov_b32 s15, 0
	s_delay_alu instid0(VALU_DEP_1) | instskip(NEXT) | instid1(TRANS32_DEP_1)
	v_rcp_iflag_f32_e32 v1, v1
	v_mul_f32_e32 v1, 0x4f7ffffe, v1
	s_delay_alu instid0(VALU_DEP_1) | instskip(NEXT) | instid1(VALU_DEP_1)
	v_cvt_u32_f32_e32 v1, v1
	v_readfirstlane_b32 s8, v1
	s_mul_i32 s9, s9, s8
	s_delay_alu instid0(SALU_CYCLE_1) | instskip(NEXT) | instid1(SALU_CYCLE_1)
	s_mul_hi_u32 s9, s8, s9
	s_add_co_i32 s8, s8, s9
	s_delay_alu instid0(SALU_CYCLE_1) | instskip(NEXT) | instid1(SALU_CYCLE_1)
	s_mul_hi_u32 s8, s26, s8
	s_mul_i32 s9, s8, s6
	s_add_co_i32 s10, s8, 1
	s_sub_co_i32 s9, s26, s9
	s_delay_alu instid0(SALU_CYCLE_1)
	s_sub_co_i32 s11, s9, s6
	s_cmp_ge_u32 s9, s6
	s_cselect_b32 s8, s10, s8
	s_cselect_b32 s9, s11, s9
	s_add_co_i32 s10, s8, 1
	s_cmp_ge_u32 s9, s6
	s_cselect_b32 s14, s10, s8
.LBB6_4:
	s_delay_alu instid0(SALU_CYCLE_1) | instskip(SKIP_1) | instid1(SALU_CYCLE_1)
	s_or_b64 s[8:9], s[14:15], s[4:5]
	s_mov_b32 s8, 0
	s_cmp_lg_u64 s[8:9], 0
	s_cbranch_scc0 .LBB6_19
; %bb.5:
	s_ashr_i32 s10, s5, 31
	s_mov_b32 s23, s8
	s_mov_b32 s11, s10
	;; [unrolled: 1-line block ×3, first 2 shown]
	s_add_nc_u64 s[16:17], s[4:5], s[10:11]
	s_delay_alu instid0(SALU_CYCLE_1) | instskip(NEXT) | instid1(SALU_CYCLE_1)
	s_xor_b64 s[16:17], s[16:17], s[10:11]
	s_cvt_f32_u32 s9, s16
	s_cvt_f32_u32 s13, s17
	s_sub_nc_u64 s[20:21], 0, s[16:17]
	s_wait_alu 0xfffe
	s_delay_alu instid0(SALU_CYCLE_1) | instskip(NEXT) | instid1(SALU_CYCLE_3)
	s_fmamk_f32 s9, s13, 0x4f800000, s9
	v_s_rcp_f32 s9, s9
	s_delay_alu instid0(TRANS32_DEP_1) | instskip(SKIP_1) | instid1(SALU_CYCLE_2)
	s_mul_f32 s9, s9, 0x5f7ffffc
	s_wait_alu 0xfffe
	s_mul_f32 s13, s9, 0x2f800000
	s_wait_alu 0xfffe
	s_delay_alu instid0(SALU_CYCLE_2) | instskip(SKIP_1) | instid1(SALU_CYCLE_2)
	s_trunc_f32 s13, s13
	s_wait_alu 0xfffe
	s_fmamk_f32 s9, s13, 0xcf800000, s9
	s_cvt_u32_f32 s19, s13
	s_wait_alu 0xfffe
	s_delay_alu instid0(SALU_CYCLE_1) | instskip(NEXT) | instid1(SALU_CYCLE_3)
	s_cvt_u32_f32 s18, s9
	s_mul_u64 s[24:25], s[20:21], s[18:19]
	s_delay_alu instid0(SALU_CYCLE_1)
	s_mul_hi_u32 s31, s18, s25
	s_mul_i32 s30, s18, s25
	s_mul_hi_u32 s22, s18, s24
	s_mul_i32 s13, s19, s24
	s_add_nc_u64 s[22:23], s[22:23], s[30:31]
	s_mul_hi_u32 s9, s19, s24
	s_mul_hi_u32 s33, s19, s25
	s_wait_alu 0xfffe
	s_add_co_u32 s13, s22, s13
	s_add_co_ci_u32 s28, s23, s9
	s_mul_i32 s24, s19, s25
	s_add_co_ci_u32 s25, s33, 0
	s_delay_alu instid0(SALU_CYCLE_1)
	s_add_nc_u64 s[22:23], s[28:29], s[24:25]
	s_mov_b32 s25, s8
	s_add_co_u32 s18, s18, s22
	s_cselect_b32 s9, -1, 0
	s_wait_alu 0xfffe
	s_cmp_lg_u32 s9, 0
	s_add_co_ci_u32 s19, s19, s23
	s_mov_b32 s23, s8
	s_mul_u64 s[20:21], s[20:21], s[18:19]
	s_delay_alu instid0(SALU_CYCLE_1)
	s_mul_hi_u32 s29, s18, s21
	s_mul_i32 s28, s18, s21
	s_mul_hi_u32 s22, s18, s20
	s_mul_i32 s13, s19, s20
	s_add_nc_u64 s[22:23], s[22:23], s[28:29]
	s_mul_hi_u32 s9, s19, s20
	s_mul_hi_u32 s30, s19, s21
	s_wait_alu 0xfffe
	s_add_co_u32 s13, s22, s13
	s_add_co_ci_u32 s24, s23, s9
	s_mul_i32 s20, s19, s21
	s_add_co_ci_u32 s21, s30, 0
	s_mov_b32 s23, s8
	s_add_nc_u64 s[20:21], s[24:25], s[20:21]
	s_delay_alu instid0(SALU_CYCLE_1)
	s_add_co_u32 s9, s18, s20
	s_cselect_b32 s13, -1, 0
	s_wait_alu 0xfffe
	s_cmp_lg_u32 s13, 0
	s_add_co_ci_u32 s13, s19, s21
	s_ashr_i32 s18, s15, 31
	s_delay_alu instid0(SALU_CYCLE_1) | instskip(NEXT) | instid1(SALU_CYCLE_1)
	s_mov_b32 s19, s18
	s_add_nc_u64 s[20:21], s[14:15], s[18:19]
	s_delay_alu instid0(SALU_CYCLE_1)
	s_xor_b64 s[20:21], s[20:21], s[18:19]
	s_wait_alu 0xfffe
	s_mul_hi_u32 s29, s20, s13
	s_mul_i32 s28, s20, s13
	s_mul_hi_u32 s22, s20, s9
	s_mul_hi_u32 s24, s21, s9
	s_mul_i32 s9, s21, s9
	s_add_nc_u64 s[22:23], s[22:23], s[28:29]
	s_mul_hi_u32 s30, s21, s13
	s_wait_alu 0xfffe
	s_add_co_u32 s9, s22, s9
	s_add_co_ci_u32 s24, s23, s24
	s_mul_i32 s28, s21, s13
	s_add_co_ci_u32 s29, s30, 0
	s_delay_alu instid0(SALU_CYCLE_1) | instskip(NEXT) | instid1(SALU_CYCLE_1)
	s_add_nc_u64 s[22:23], s[24:25], s[28:29]
	s_mul_u64 s[24:25], s[16:17], s[22:23]
	s_delay_alu instid0(SALU_CYCLE_1)
	s_sub_co_u32 s9, s20, s24
	s_cselect_b32 s13, -1, 0
	s_sub_co_i32 s20, s21, s25
	s_wait_alu 0xfffe
	s_cmp_lg_u32 s13, 0
	s_sub_co_ci_u32 s20, s20, s17
	s_sub_co_u32 s24, s9, s16
	s_cselect_b32 s28, -1, 0
	s_delay_alu instid0(SALU_CYCLE_1) | instskip(SKIP_2) | instid1(SALU_CYCLE_1)
	s_cmp_lg_u32 s28, 0
	s_add_nc_u64 s[28:29], s[22:23], 1
	s_sub_co_ci_u32 s20, s20, 0
	s_cmp_ge_u32 s20, s17
	s_cselect_b32 s30, -1, 0
	s_cmp_ge_u32 s24, s16
	s_cselect_b32 s24, -1, 0
	s_cmp_eq_u32 s20, s17
	s_cselect_b32 s20, s24, s30
	s_add_nc_u64 s[30:31], s[22:23], 2
	s_cmp_lg_u32 s20, 0
	s_cselect_b32 s20, s30, s28
	s_cselect_b32 s24, s31, s29
	s_cmp_lg_u32 s13, 0
	s_sub_co_ci_u32 s13, s21, s25
	s_wait_alu 0xfffe
	s_cmp_ge_u32 s13, s17
	s_cselect_b32 s21, -1, 0
	s_cmp_ge_u32 s9, s16
	s_cselect_b32 s9, -1, 0
	s_cmp_eq_u32 s13, s17
	s_wait_alu 0xfffe
	s_cselect_b32 s9, s9, s21
	s_wait_alu 0xfffe
	s_cmp_lg_u32 s9, 0
	s_cselect_b32 s17, s24, s23
	s_cselect_b32 s16, s20, s22
	s_xor_b64 s[10:11], s[18:19], s[10:11]
	s_delay_alu instid0(SALU_CYCLE_1) | instskip(NEXT) | instid1(SALU_CYCLE_1)
	s_xor_b64 s[16:17], s[16:17], s[10:11]
	s_sub_nc_u64 s[16:17], s[16:17], s[10:11]
	s_load_b128 s[28:31], s[0:1], 0x1d0
	s_and_not1_b32 vcc_lo, exec_lo, s8
	s_cbranch_vccnz .LBB6_7
.LBB6_6:
	v_cvt_f32_u32_e32 v1, s4
	s_sub_co_i32 s9, 0, s4
	s_mov_b32 s17, 0
	s_delay_alu instid0(VALU_DEP_1) | instskip(NEXT) | instid1(TRANS32_DEP_1)
	v_rcp_iflag_f32_e32 v1, v1
	v_mul_f32_e32 v1, 0x4f7ffffe, v1
	s_delay_alu instid0(VALU_DEP_1) | instskip(NEXT) | instid1(VALU_DEP_1)
	v_cvt_u32_f32_e32 v1, v1
	v_readfirstlane_b32 s8, v1
	s_wait_alu 0xfffe
	s_mul_i32 s9, s9, s8
	s_wait_alu 0xfffe
	s_mul_hi_u32 s9, s8, s9
	s_wait_alu 0xfffe
	s_add_co_i32 s8, s8, s9
	s_wait_alu 0xfffe
	s_mul_hi_u32 s8, s14, s8
	s_wait_alu 0xfffe
	s_mul_i32 s9, s8, s4
	s_add_co_i32 s10, s8, 1
	s_wait_alu 0xfffe
	s_sub_co_i32 s9, s14, s9
	s_wait_alu 0xfffe
	s_sub_co_i32 s11, s9, s4
	s_cmp_ge_u32 s9, s4
	s_cselect_b32 s8, s10, s8
	s_cselect_b32 s9, s11, s9
	s_wait_alu 0xfffe
	s_add_co_i32 s10, s8, 1
	s_cmp_ge_u32 s9, s4
	s_cselect_b32 s16, s10, s8
.LBB6_7:
	s_mov_b32 s8, 0
	s_wait_kmcnt 0x0
	s_mov_b32 s9, s31
	s_wait_alu 0xfffe
	s_cmp_lg_u64 s[8:9], 0
	s_cbranch_scc0 .LBB6_20
; %bb.8:
	s_ashr_i32 s10, s31, 31
	s_mov_b32 s25, s8
	s_mov_b32 s11, s10
	;; [unrolled: 1-line block ×3, first 2 shown]
	s_add_nc_u64 s[18:19], s[30:31], s[10:11]
	s_delay_alu instid0(SALU_CYCLE_1) | instskip(NEXT) | instid1(SALU_CYCLE_1)
	s_xor_b64 s[18:19], s[18:19], s[10:11]
	s_cvt_f32_u32 s9, s18
	s_cvt_f32_u32 s13, s19
	s_sub_nc_u64 s[22:23], 0, s[18:19]
	s_wait_alu 0xfffe
	s_delay_alu instid0(SALU_CYCLE_1) | instskip(SKIP_1) | instid1(SALU_CYCLE_2)
	s_fmamk_f32 s9, s13, 0x4f800000, s9
	s_wait_alu 0xfffe
	v_s_rcp_f32 s9, s9
	s_delay_alu instid0(TRANS32_DEP_1) | instskip(SKIP_1) | instid1(SALU_CYCLE_2)
	s_mul_f32 s9, s9, 0x5f7ffffc
	s_wait_alu 0xfffe
	s_mul_f32 s13, s9, 0x2f800000
	s_wait_alu 0xfffe
	s_delay_alu instid0(SALU_CYCLE_2) | instskip(SKIP_1) | instid1(SALU_CYCLE_2)
	s_trunc_f32 s13, s13
	s_wait_alu 0xfffe
	s_fmamk_f32 s9, s13, 0xcf800000, s9
	s_cvt_u32_f32 s21, s13
	s_wait_alu 0xfffe
	s_delay_alu instid0(SALU_CYCLE_1) | instskip(NEXT) | instid1(SALU_CYCLE_3)
	s_cvt_u32_f32 s20, s9
	s_mul_u64 s[34:35], s[22:23], s[20:21]
	s_delay_alu instid0(SALU_CYCLE_1)
	s_mul_hi_u32 s45, s20, s35
	s_mul_i32 s44, s20, s35
	s_mul_hi_u32 s24, s20, s34
	s_mul_i32 s13, s21, s34
	s_add_nc_u64 s[24:25], s[24:25], s[44:45]
	s_mul_hi_u32 s9, s21, s34
	s_mul_hi_u32 s33, s21, s35
	s_wait_alu 0xfffe
	s_add_co_u32 s13, s24, s13
	s_add_co_ci_u32 s40, s25, s9
	s_mul_i32 s34, s21, s35
	s_add_co_ci_u32 s35, s33, 0
	s_wait_alu 0xfffe
	s_add_nc_u64 s[24:25], s[40:41], s[34:35]
	s_mov_b32 s35, s8
	s_add_co_u32 s20, s20, s24
	s_cselect_b32 s9, -1, 0
	s_wait_alu 0xfffe
	s_cmp_lg_u32 s9, 0
	s_add_co_ci_u32 s21, s21, s25
	s_mov_b32 s25, s8
	s_mul_u64 s[22:23], s[22:23], s[20:21]
	s_delay_alu instid0(SALU_CYCLE_1)
	s_mul_hi_u32 s41, s20, s23
	s_mul_i32 s40, s20, s23
	s_mul_hi_u32 s24, s20, s22
	s_mul_i32 s13, s21, s22
	s_wait_alu 0xfffe
	s_add_nc_u64 s[24:25], s[24:25], s[40:41]
	s_mul_hi_u32 s9, s21, s22
	s_mul_hi_u32 s33, s21, s23
	s_add_co_u32 s13, s24, s13
	s_wait_alu 0xfffe
	s_add_co_ci_u32 s34, s25, s9
	s_mul_i32 s22, s21, s23
	s_add_co_ci_u32 s23, s33, 0
	s_mov_b32 s25, s8
	s_add_nc_u64 s[22:23], s[34:35], s[22:23]
	s_delay_alu instid0(SALU_CYCLE_1)
	s_add_co_u32 s9, s20, s22
	s_cselect_b32 s13, -1, 0
	s_wait_alu 0xfffe
	s_cmp_lg_u32 s13, 0
	s_add_co_ci_u32 s13, s21, s23
	s_xor_b64 s[20:21], s[2:3], 0
	s_mov_b32 s23, s8
	s_wait_alu 0xfffe
	s_mul_hi_u32 s35, s20, s13
	s_mul_i32 s34, s20, s13
	s_mul_hi_u32 s24, s20, s9
	s_mul_hi_u32 s22, s21, s9
	s_mul_i32 s9, s21, s9
	s_add_nc_u64 s[24:25], s[24:25], s[34:35]
	s_mul_hi_u32 s33, s21, s13
	s_wait_alu 0xfffe
	s_add_co_u32 s9, s24, s9
	s_add_co_ci_u32 s22, s25, s22
	s_mul_i32 s34, s21, s13
	s_add_co_ci_u32 s35, s33, 0
	s_delay_alu instid0(SALU_CYCLE_1) | instskip(NEXT) | instid1(SALU_CYCLE_1)
	s_add_nc_u64 s[22:23], s[22:23], s[34:35]
	s_mul_u64 s[24:25], s[18:19], s[22:23]
	s_add_nc_u64 s[34:35], s[22:23], 1
	s_sub_co_u32 s9, s20, s24
	s_cselect_b32 s13, -1, 0
	s_sub_co_i32 s20, s21, s25
	s_wait_alu 0xfffe
	s_cmp_lg_u32 s13, 0
	s_add_nc_u64 s[40:41], s[22:23], 2
	s_sub_co_ci_u32 s20, s20, s19
	s_sub_co_u32 s24, s9, s18
	s_cselect_b32 s33, -1, 0
	s_delay_alu instid0(SALU_CYCLE_1) | instskip(SKIP_1) | instid1(SALU_CYCLE_1)
	s_cmp_lg_u32 s33, 0
	s_sub_co_ci_u32 s20, s20, 0
	s_cmp_ge_u32 s20, s19
	s_cselect_b32 s33, -1, 0
	s_cmp_ge_u32 s24, s18
	s_cselect_b32 s24, -1, 0
	s_cmp_eq_u32 s20, s19
	s_cselect_b32 s20, s24, s33
	s_delay_alu instid0(SALU_CYCLE_1)
	s_cmp_lg_u32 s20, 0
	s_wait_alu 0xfffe
	s_cselect_b32 s20, s40, s34
	s_cselect_b32 s24, s41, s35
	s_cmp_lg_u32 s13, 0
	s_sub_co_ci_u32 s13, s21, s25
	s_wait_alu 0xfffe
	s_cmp_ge_u32 s13, s19
	s_cselect_b32 s21, -1, 0
	s_cmp_ge_u32 s9, s18
	s_cselect_b32 s9, -1, 0
	s_cmp_eq_u32 s13, s19
	s_wait_alu 0xfffe
	s_cselect_b32 s9, s9, s21
	s_wait_alu 0xfffe
	s_cmp_lg_u32 s9, 0
	s_cselect_b32 s19, s24, s23
	s_cselect_b32 s18, s20, s22
	s_xor_b64 s[10:11], 0, s[10:11]
	s_delay_alu instid0(SALU_CYCLE_1) | instskip(NEXT) | instid1(SALU_CYCLE_1)
	s_xor_b64 s[18:19], s[18:19], s[10:11]
	s_sub_nc_u64 s[34:35], s[18:19], s[10:11]
	s_and_not1_b32 vcc_lo, exec_lo, s8
	s_cbranch_vccnz .LBB6_10
.LBB6_9:
	v_cvt_f32_u32_e32 v1, s30
	s_sub_co_i32 s9, 0, s30
	s_mov_b32 s35, 0
	s_delay_alu instid0(VALU_DEP_1) | instskip(NEXT) | instid1(TRANS32_DEP_1)
	v_rcp_iflag_f32_e32 v1, v1
	v_mul_f32_e32 v1, 0x4f7ffffe, v1
	s_delay_alu instid0(VALU_DEP_1) | instskip(NEXT) | instid1(VALU_DEP_1)
	v_cvt_u32_f32_e32 v1, v1
	v_readfirstlane_b32 s8, v1
	s_wait_alu 0xfffe
	s_mul_i32 s9, s9, s8
	s_wait_alu 0xfffe
	s_mul_hi_u32 s9, s8, s9
	s_wait_alu 0xfffe
	s_add_co_i32 s8, s8, s9
	s_wait_alu 0xfffe
	s_mul_hi_u32 s8, s26, s8
	s_wait_alu 0xfffe
	s_mul_i32 s9, s8, s30
	s_add_co_i32 s10, s8, 1
	s_wait_alu 0xfffe
	s_sub_co_i32 s9, s26, s9
	s_wait_alu 0xfffe
	s_sub_co_i32 s11, s9, s30
	s_cmp_ge_u32 s9, s30
	s_cselect_b32 s8, s10, s8
	s_cselect_b32 s9, s11, s9
	s_wait_alu 0xfffe
	s_add_co_i32 s10, s8, 1
	s_cmp_ge_u32 s9, s30
	s_cselect_b32 s34, s10, s8
.LBB6_10:
	s_delay_alu instid0(SALU_CYCLE_1)
	s_or_b64 s[8:9], s[34:35], s[28:29]
	s_mov_b32 s8, 0
	s_wait_alu 0xfffe
	s_cmp_lg_u64 s[8:9], 0
	s_cbranch_scc0 .LBB6_21
; %bb.11:
	s_ashr_i32 s10, s29, 31
	s_mov_b32 s25, s8
	s_mov_b32 s11, s10
	;; [unrolled: 1-line block ×3, first 2 shown]
	s_add_nc_u64 s[18:19], s[28:29], s[10:11]
	s_delay_alu instid0(SALU_CYCLE_1) | instskip(NEXT) | instid1(SALU_CYCLE_1)
	s_xor_b64 s[18:19], s[18:19], s[10:11]
	s_cvt_f32_u32 s9, s18
	s_cvt_f32_u32 s13, s19
	s_sub_nc_u64 s[22:23], 0, s[18:19]
	s_wait_alu 0xfffe
	s_delay_alu instid0(SALU_CYCLE_1) | instskip(SKIP_1) | instid1(SALU_CYCLE_2)
	s_fmamk_f32 s9, s13, 0x4f800000, s9
	s_wait_alu 0xfffe
	v_s_rcp_f32 s9, s9
	s_delay_alu instid0(TRANS32_DEP_1) | instskip(SKIP_1) | instid1(SALU_CYCLE_2)
	s_mul_f32 s9, s9, 0x5f7ffffc
	s_wait_alu 0xfffe
	s_mul_f32 s13, s9, 0x2f800000
	s_wait_alu 0xfffe
	s_delay_alu instid0(SALU_CYCLE_2) | instskip(SKIP_1) | instid1(SALU_CYCLE_2)
	s_trunc_f32 s13, s13
	s_wait_alu 0xfffe
	s_fmamk_f32 s9, s13, 0xcf800000, s9
	s_cvt_u32_f32 s21, s13
	s_wait_alu 0xfffe
	s_delay_alu instid0(SALU_CYCLE_1) | instskip(NEXT) | instid1(SALU_CYCLE_3)
	s_cvt_u32_f32 s20, s9
	s_mul_u64 s[40:41], s[22:23], s[20:21]
	s_wait_alu 0xfffe
	s_mul_hi_u32 s47, s20, s41
	s_mul_i32 s46, s20, s41
	s_mul_hi_u32 s24, s20, s40
	s_mul_i32 s13, s21, s40
	s_add_nc_u64 s[24:25], s[24:25], s[46:47]
	s_mul_hi_u32 s9, s21, s40
	s_mul_hi_u32 s33, s21, s41
	s_wait_alu 0xfffe
	s_add_co_u32 s13, s24, s13
	s_add_co_ci_u32 s44, s25, s9
	s_mul_i32 s40, s21, s41
	s_add_co_ci_u32 s41, s33, 0
	s_wait_alu 0xfffe
	s_add_nc_u64 s[24:25], s[44:45], s[40:41]
	s_mov_b32 s41, s8
	s_add_co_u32 s20, s20, s24
	s_cselect_b32 s9, -1, 0
	s_wait_alu 0xfffe
	s_cmp_lg_u32 s9, 0
	s_add_co_ci_u32 s21, s21, s25
	s_mov_b32 s25, s8
	s_mul_u64 s[22:23], s[22:23], s[20:21]
	s_delay_alu instid0(SALU_CYCLE_1)
	s_mul_hi_u32 s45, s20, s23
	s_mul_i32 s44, s20, s23
	s_mul_hi_u32 s24, s20, s22
	s_mul_i32 s13, s21, s22
	s_add_nc_u64 s[24:25], s[24:25], s[44:45]
	s_mul_hi_u32 s9, s21, s22
	s_mul_hi_u32 s33, s21, s23
	s_wait_alu 0xfffe
	s_add_co_u32 s13, s24, s13
	s_add_co_ci_u32 s40, s25, s9
	s_mul_i32 s22, s21, s23
	s_add_co_ci_u32 s23, s33, 0
	s_mov_b32 s25, s8
	s_wait_alu 0xfffe
	s_add_nc_u64 s[22:23], s[40:41], s[22:23]
	s_delay_alu instid0(SALU_CYCLE_1)
	s_add_co_u32 s9, s20, s22
	s_cselect_b32 s13, -1, 0
	s_wait_alu 0xfffe
	s_cmp_lg_u32 s13, 0
	s_add_co_ci_u32 s13, s21, s23
	s_ashr_i32 s20, s35, 31
	s_delay_alu instid0(SALU_CYCLE_1) | instskip(NEXT) | instid1(SALU_CYCLE_1)
	s_mov_b32 s21, s20
	s_add_nc_u64 s[22:23], s[34:35], s[20:21]
	s_delay_alu instid0(SALU_CYCLE_1)
	s_xor_b64 s[22:23], s[22:23], s[20:21]
	s_wait_alu 0xfffe
	s_mul_hi_u32 s45, s22, s13
	s_mul_i32 s44, s22, s13
	s_mul_hi_u32 s24, s22, s9
	s_mul_hi_u32 s40, s23, s9
	s_mul_i32 s9, s23, s9
	s_add_nc_u64 s[24:25], s[24:25], s[44:45]
	s_mul_hi_u32 s33, s23, s13
	s_wait_alu 0xfffe
	s_add_co_u32 s9, s24, s9
	s_add_co_ci_u32 s40, s25, s40
	s_mul_i32 s44, s23, s13
	s_add_co_ci_u32 s45, s33, 0
	s_wait_alu 0xfffe
	s_add_nc_u64 s[24:25], s[40:41], s[44:45]
	s_delay_alu instid0(SALU_CYCLE_1)
	s_mul_u64 s[40:41], s[18:19], s[24:25]
	s_add_nc_u64 s[44:45], s[24:25], 1
	s_wait_alu 0xfffe
	s_sub_co_u32 s9, s22, s40
	s_cselect_b32 s13, -1, 0
	s_sub_co_i32 s22, s23, s41
	s_wait_alu 0xfffe
	s_cmp_lg_u32 s13, 0
	s_add_nc_u64 s[46:47], s[24:25], 2
	s_sub_co_ci_u32 s22, s22, s19
	s_sub_co_u32 s33, s9, s18
	s_cselect_b32 s40, -1, 0
	s_wait_alu 0xfffe
	s_cmp_lg_u32 s40, 0
	s_sub_co_ci_u32 s22, s22, 0
	s_delay_alu instid0(SALU_CYCLE_1)
	s_cmp_ge_u32 s22, s19
	s_cselect_b32 s40, -1, 0
	s_cmp_ge_u32 s33, s18
	s_cselect_b32 s33, -1, 0
	s_cmp_eq_u32 s22, s19
	s_wait_alu 0xfffe
	s_cselect_b32 s22, s33, s40
	s_delay_alu instid0(SALU_CYCLE_1)
	s_cmp_lg_u32 s22, 0
	s_cselect_b32 s22, s46, s44
	s_cselect_b32 s33, s47, s45
	s_cmp_lg_u32 s13, 0
	s_sub_co_ci_u32 s13, s23, s41
	s_wait_alu 0xfffe
	s_cmp_ge_u32 s13, s19
	s_cselect_b32 s23, -1, 0
	s_cmp_ge_u32 s9, s18
	s_cselect_b32 s9, -1, 0
	s_cmp_eq_u32 s13, s19
	s_wait_alu 0xfffe
	s_cselect_b32 s9, s9, s23
	s_wait_alu 0xfffe
	s_cmp_lg_u32 s9, 0
	s_cselect_b32 s19, s33, s25
	s_cselect_b32 s18, s22, s24
	s_xor_b64 s[10:11], s[20:21], s[10:11]
	s_delay_alu instid0(SALU_CYCLE_1) | instskip(NEXT) | instid1(SALU_CYCLE_1)
	s_xor_b64 s[18:19], s[18:19], s[10:11]
	s_sub_nc_u64 s[40:41], s[18:19], s[10:11]
	s_load_b128 s[44:47], s[0:1], 0x370
	s_and_not1_b32 vcc_lo, exec_lo, s8
	s_cbranch_vccnz .LBB6_13
.LBB6_12:
	v_cvt_f32_u32_e32 v1, s28
	s_sub_co_i32 s9, 0, s28
	s_mov_b32 s41, 0
	s_delay_alu instid0(VALU_DEP_1) | instskip(NEXT) | instid1(TRANS32_DEP_1)
	v_rcp_iflag_f32_e32 v1, v1
	v_mul_f32_e32 v1, 0x4f7ffffe, v1
	s_delay_alu instid0(VALU_DEP_1) | instskip(NEXT) | instid1(VALU_DEP_1)
	v_cvt_u32_f32_e32 v1, v1
	v_readfirstlane_b32 s8, v1
	s_wait_alu 0xfffe
	s_mul_i32 s9, s9, s8
	s_wait_alu 0xfffe
	s_mul_hi_u32 s9, s8, s9
	s_wait_alu 0xfffe
	s_add_co_i32 s8, s8, s9
	s_wait_alu 0xfffe
	s_mul_hi_u32 s8, s34, s8
	s_wait_alu 0xfffe
	s_mul_i32 s9, s8, s28
	s_add_co_i32 s10, s8, 1
	s_wait_alu 0xfffe
	s_sub_co_i32 s9, s34, s9
	s_wait_alu 0xfffe
	s_sub_co_i32 s11, s9, s28
	s_cmp_ge_u32 s9, s28
	s_cselect_b32 s8, s10, s8
	s_cselect_b32 s9, s11, s9
	s_wait_alu 0xfffe
	s_add_co_i32 s10, s8, 1
	s_cmp_ge_u32 s9, s28
	s_cselect_b32 s40, s10, s8
.LBB6_13:
	s_mov_b32 s8, 0
	s_wait_kmcnt 0x0
	s_mov_b32 s9, s47
	s_wait_alu 0xfffe
	s_cmp_lg_u64 s[8:9], 0
	s_cbranch_scc0 .LBB6_22
; %bb.14:
	s_ashr_i32 s10, s47, 31
	s_mov_b32 s25, s8
	s_mov_b32 s11, s10
	;; [unrolled: 1-line block ×3, first 2 shown]
	s_add_nc_u64 s[18:19], s[46:47], s[10:11]
	s_delay_alu instid0(SALU_CYCLE_1) | instskip(NEXT) | instid1(SALU_CYCLE_1)
	s_xor_b64 s[18:19], s[18:19], s[10:11]
	s_cvt_f32_u32 s9, s18
	s_cvt_f32_u32 s13, s19
	s_sub_nc_u64 s[22:23], 0, s[18:19]
	s_wait_alu 0xfffe
	s_delay_alu instid0(SALU_CYCLE_1) | instskip(SKIP_1) | instid1(SALU_CYCLE_2)
	s_fmamk_f32 s9, s13, 0x4f800000, s9
	s_wait_alu 0xfffe
	v_s_rcp_f32 s9, s9
	s_delay_alu instid0(TRANS32_DEP_1) | instskip(SKIP_1) | instid1(SALU_CYCLE_2)
	s_mul_f32 s9, s9, 0x5f7ffffc
	s_wait_alu 0xfffe
	s_mul_f32 s13, s9, 0x2f800000
	s_wait_alu 0xfffe
	s_delay_alu instid0(SALU_CYCLE_2) | instskip(SKIP_1) | instid1(SALU_CYCLE_2)
	s_trunc_f32 s13, s13
	s_wait_alu 0xfffe
	s_fmamk_f32 s9, s13, 0xcf800000, s9
	s_cvt_u32_f32 s21, s13
	s_wait_alu 0xfffe
	s_delay_alu instid0(SALU_CYCLE_1) | instskip(NEXT) | instid1(SALU_CYCLE_3)
	s_cvt_u32_f32 s20, s9
	s_mul_u64 s[48:49], s[22:23], s[20:21]
	s_delay_alu instid0(SALU_CYCLE_1)
	s_mul_hi_u32 s53, s20, s49
	s_mul_i32 s52, s20, s49
	s_mul_hi_u32 s24, s20, s48
	s_mul_i32 s13, s21, s48
	s_add_nc_u64 s[24:25], s[24:25], s[52:53]
	s_mul_hi_u32 s9, s21, s48
	s_mul_hi_u32 s33, s21, s49
	s_wait_alu 0xfffe
	s_add_co_u32 s13, s24, s13
	s_add_co_ci_u32 s50, s25, s9
	s_mul_i32 s48, s21, s49
	s_add_co_ci_u32 s49, s33, 0
	s_delay_alu instid0(SALU_CYCLE_1)
	s_add_nc_u64 s[24:25], s[50:51], s[48:49]
	s_mov_b32 s49, s8
	s_add_co_u32 s20, s20, s24
	s_cselect_b32 s9, -1, 0
	s_wait_alu 0xfffe
	s_cmp_lg_u32 s9, 0
	s_add_co_ci_u32 s21, s21, s25
	s_mov_b32 s25, s8
	s_mul_u64 s[22:23], s[22:23], s[20:21]
	s_delay_alu instid0(SALU_CYCLE_1)
	s_mul_hi_u32 s51, s20, s23
	s_mul_i32 s50, s20, s23
	s_mul_hi_u32 s24, s20, s22
	s_mul_i32 s13, s21, s22
	s_add_nc_u64 s[24:25], s[24:25], s[50:51]
	s_mul_hi_u32 s9, s21, s22
	s_mul_hi_u32 s33, s21, s23
	s_wait_alu 0xfffe
	s_add_co_u32 s13, s24, s13
	s_add_co_ci_u32 s48, s25, s9
	s_mul_i32 s22, s21, s23
	s_add_co_ci_u32 s23, s33, 0
	s_mov_b32 s25, s8
	s_add_nc_u64 s[22:23], s[48:49], s[22:23]
	s_delay_alu instid0(SALU_CYCLE_1)
	s_add_co_u32 s9, s20, s22
	s_cselect_b32 s13, -1, 0
	s_wait_alu 0xfffe
	s_cmp_lg_u32 s13, 0
	s_add_co_ci_u32 s13, s21, s23
	s_xor_b64 s[2:3], s[2:3], 0
	s_mov_b32 s21, s8
	s_wait_alu 0xfffe
	s_mul_hi_u32 s23, s2, s13
	s_mul_i32 s22, s2, s13
	s_mul_hi_u32 s24, s2, s9
	s_mul_hi_u32 s20, s3, s9
	s_mul_i32 s9, s3, s9
	s_add_nc_u64 s[22:23], s[24:25], s[22:23]
	s_mul_hi_u32 s33, s3, s13
	s_wait_alu 0xfffe
	s_add_co_u32 s9, s22, s9
	s_add_co_ci_u32 s20, s23, s20
	s_mul_i32 s24, s3, s13
	s_add_co_ci_u32 s25, s33, 0
	s_delay_alu instid0(SALU_CYCLE_1) | instskip(NEXT) | instid1(SALU_CYCLE_1)
	s_add_nc_u64 s[20:21], s[20:21], s[24:25]
	s_mul_u64 s[22:23], s[18:19], s[20:21]
	s_add_nc_u64 s[48:49], s[20:21], 2
	s_sub_co_u32 s2, s2, s22
	s_cselect_b32 s9, -1, 0
	s_sub_co_i32 s13, s3, s23
	s_wait_alu 0xfffe
	s_cmp_lg_u32 s9, 0
	s_sub_co_ci_u32 s13, s13, s19
	s_sub_co_u32 s22, s2, s18
	s_cselect_b32 s24, -1, 0
	s_delay_alu instid0(SALU_CYCLE_1)
	s_cmp_lg_u32 s24, 0
	s_add_nc_u64 s[24:25], s[20:21], 1
	s_wait_alu 0xfffe
	s_sub_co_ci_u32 s13, s13, 0
	s_wait_alu 0xfffe
	s_cmp_ge_u32 s13, s19
	s_cselect_b32 s33, -1, 0
	s_cmp_ge_u32 s22, s18
	s_cselect_b32 s22, -1, 0
	s_cmp_eq_u32 s13, s19
	s_cselect_b32 s13, s22, s33
	s_wait_alu 0xfffe
	s_cmp_lg_u32 s13, 0
	s_cselect_b32 s13, s48, s24
	s_cselect_b32 s22, s49, s25
	s_cmp_lg_u32 s9, 0
	s_sub_co_ci_u32 s3, s3, s23
	s_delay_alu instid0(SALU_CYCLE_1)
	s_cmp_ge_u32 s3, s19
	s_cselect_b32 s9, -1, 0
	s_cmp_ge_u32 s2, s18
	s_cselect_b32 s2, -1, 0
	s_cmp_eq_u32 s3, s19
	s_wait_alu 0xfffe
	s_cselect_b32 s2, s2, s9
	s_delay_alu instid0(SALU_CYCLE_1) | instskip(SKIP_3) | instid1(SALU_CYCLE_1)
	s_cmp_lg_u32 s2, 0
	s_cselect_b32 s3, s22, s21
	s_cselect_b32 s2, s13, s20
	s_xor_b64 s[10:11], 0, s[10:11]
	s_xor_b64 s[2:3], s[2:3], s[10:11]
	s_delay_alu instid0(SALU_CYCLE_1)
	s_sub_nc_u64 s[56:57], s[2:3], s[10:11]
	s_and_not1_b32 vcc_lo, exec_lo, s8
	s_cbranch_vccnz .LBB6_16
.LBB6_15:
	v_cvt_f32_u32_e32 v1, s46
	s_sub_co_i32 s3, 0, s46
	s_mov_b32 s57, 0
	s_delay_alu instid0(VALU_DEP_1) | instskip(NEXT) | instid1(TRANS32_DEP_1)
	v_rcp_iflag_f32_e32 v1, v1
	v_mul_f32_e32 v1, 0x4f7ffffe, v1
	s_delay_alu instid0(VALU_DEP_1) | instskip(NEXT) | instid1(VALU_DEP_1)
	v_cvt_u32_f32_e32 v1, v1
	v_readfirstlane_b32 s2, v1
	s_mul_i32 s3, s3, s2
	s_delay_alu instid0(SALU_CYCLE_1) | instskip(NEXT) | instid1(SALU_CYCLE_1)
	s_mul_hi_u32 s3, s2, s3
	s_add_co_i32 s2, s2, s3
	s_delay_alu instid0(SALU_CYCLE_1) | instskip(NEXT) | instid1(SALU_CYCLE_1)
	s_mul_hi_u32 s2, s26, s2
	s_mul_i32 s3, s2, s46
	s_add_co_i32 s8, s2, 1
	s_sub_co_i32 s3, s26, s3
	s_delay_alu instid0(SALU_CYCLE_1)
	s_sub_co_i32 s9, s3, s46
	s_cmp_ge_u32 s3, s46
	s_wait_alu 0xfffe
	s_cselect_b32 s2, s8, s2
	s_cselect_b32 s3, s9, s3
	s_add_co_i32 s8, s2, 1
	s_cmp_ge_u32 s3, s46
	s_wait_alu 0xfffe
	s_cselect_b32 s56, s8, s2
.LBB6_16:
	s_clause 0x1
	s_load_b64 s[18:19], s[0:1], 0xe0
	s_load_b128 s[8:11], s[0:1], 0xd0
	s_or_b64 s[2:3], s[56:57], s[44:45]
	s_mov_b32 s2, 0
	s_delay_alu instid0(SALU_CYCLE_1)
	s_cmp_lg_u64 s[2:3], 0
	s_cbranch_scc0 .LBB6_23
; %bb.17:
	s_ashr_i32 s20, s45, 31
	s_mov_b32 s51, s2
	s_mov_b32 s21, s20
	s_mov_b32 s55, s2
	s_add_nc_u64 s[22:23], s[44:45], s[20:21]
	s_delay_alu instid0(SALU_CYCLE_1) | instskip(NEXT) | instid1(SALU_CYCLE_1)
	s_xor_b64 s[22:23], s[22:23], s[20:21]
	s_cvt_f32_u32 s3, s22
	s_cvt_f32_u32 s13, s23
	s_sub_nc_u64 s[48:49], 0, s[22:23]
	s_wait_alu 0xfffe
	s_delay_alu instid0(SALU_CYCLE_1) | instskip(NEXT) | instid1(SALU_CYCLE_3)
	s_fmamk_f32 s3, s13, 0x4f800000, s3
	v_s_rcp_f32 s3, s3
	s_delay_alu instid0(TRANS32_DEP_1) | instskip(SKIP_1) | instid1(SALU_CYCLE_2)
	s_mul_f32 s3, s3, 0x5f7ffffc
	s_wait_alu 0xfffe
	s_mul_f32 s13, s3, 0x2f800000
	s_wait_alu 0xfffe
	s_delay_alu instid0(SALU_CYCLE_2) | instskip(SKIP_1) | instid1(SALU_CYCLE_2)
	s_trunc_f32 s13, s13
	s_wait_alu 0xfffe
	s_fmamk_f32 s3, s13, 0xcf800000, s3
	s_cvt_u32_f32 s25, s13
	s_wait_alu 0xfffe
	s_delay_alu instid0(SALU_CYCLE_1) | instskip(NEXT) | instid1(SALU_CYCLE_3)
	s_cvt_u32_f32 s24, s3
	s_mul_u64 s[52:53], s[48:49], s[24:25]
	s_delay_alu instid0(SALU_CYCLE_1)
	s_mul_hi_u32 s59, s24, s53
	s_mul_i32 s58, s24, s53
	s_mul_hi_u32 s50, s24, s52
	s_mul_i32 s13, s25, s52
	s_add_nc_u64 s[50:51], s[50:51], s[58:59]
	s_mul_hi_u32 s3, s25, s52
	s_mul_hi_u32 s33, s25, s53
	s_wait_alu 0xfffe
	s_add_co_u32 s13, s50, s13
	s_add_co_ci_u32 s54, s51, s3
	s_mul_i32 s52, s25, s53
	s_add_co_ci_u32 s53, s33, 0
	s_delay_alu instid0(SALU_CYCLE_1)
	s_add_nc_u64 s[50:51], s[54:55], s[52:53]
	s_mov_b32 s53, s2
	s_add_co_u32 s24, s24, s50
	s_cselect_b32 s3, -1, 0
	s_wait_alu 0xfffe
	s_cmp_lg_u32 s3, 0
	s_add_co_ci_u32 s25, s25, s51
	s_mov_b32 s51, s2
	s_mul_u64 s[48:49], s[48:49], s[24:25]
	s_delay_alu instid0(SALU_CYCLE_1)
	s_mul_hi_u32 s55, s24, s49
	s_mul_i32 s54, s24, s49
	s_mul_hi_u32 s50, s24, s48
	s_mul_i32 s13, s25, s48
	s_add_nc_u64 s[50:51], s[50:51], s[54:55]
	s_mul_hi_u32 s3, s25, s48
	s_mul_hi_u32 s33, s25, s49
	s_wait_alu 0xfffe
	s_add_co_u32 s13, s50, s13
	s_add_co_ci_u32 s52, s51, s3
	s_mul_i32 s48, s25, s49
	s_add_co_ci_u32 s49, s33, 0
	s_mov_b32 s51, s2
	s_add_nc_u64 s[48:49], s[52:53], s[48:49]
	s_delay_alu instid0(SALU_CYCLE_1)
	s_add_co_u32 s3, s24, s48
	s_cselect_b32 s13, -1, 0
	s_wait_alu 0xfffe
	s_cmp_lg_u32 s13, 0
	s_add_co_ci_u32 s13, s25, s49
	s_ashr_i32 s24, s57, 31
	s_delay_alu instid0(SALU_CYCLE_1) | instskip(NEXT) | instid1(SALU_CYCLE_1)
	s_mov_b32 s25, s24
	s_add_nc_u64 s[48:49], s[56:57], s[24:25]
	s_delay_alu instid0(SALU_CYCLE_1)
	s_xor_b64 s[48:49], s[48:49], s[24:25]
	s_wait_alu 0xfffe
	s_mul_hi_u32 s55, s48, s13
	s_mul_i32 s54, s48, s13
	s_mul_hi_u32 s50, s48, s3
	s_mul_hi_u32 s52, s49, s3
	s_mul_i32 s3, s49, s3
	s_add_nc_u64 s[50:51], s[50:51], s[54:55]
	s_mul_hi_u32 s33, s49, s13
	s_wait_alu 0xfffe
	s_add_co_u32 s3, s50, s3
	s_add_co_ci_u32 s52, s51, s52
	s_mul_i32 s54, s49, s13
	s_add_co_ci_u32 s55, s33, 0
	s_delay_alu instid0(SALU_CYCLE_1) | instskip(NEXT) | instid1(SALU_CYCLE_1)
	s_add_nc_u64 s[50:51], s[52:53], s[54:55]
	s_mul_u64 s[52:53], s[22:23], s[50:51]
	s_add_nc_u64 s[54:55], s[50:51], 1
	s_sub_co_u32 s3, s48, s52
	s_cselect_b32 s13, -1, 0
	s_sub_co_i32 s33, s49, s53
	s_wait_alu 0xfffe
	s_cmp_lg_u32 s13, 0
	s_add_nc_u64 s[58:59], s[50:51], 2
	s_sub_co_ci_u32 s33, s33, s23
	s_sub_co_u32 s48, s3, s22
	s_cselect_b32 s52, -1, 0
	s_delay_alu instid0(SALU_CYCLE_1) | instskip(SKIP_1) | instid1(SALU_CYCLE_1)
	s_cmp_lg_u32 s52, 0
	s_sub_co_ci_u32 s33, s33, 0
	s_cmp_ge_u32 s33, s23
	s_cselect_b32 s52, -1, 0
	s_cmp_ge_u32 s48, s22
	s_cselect_b32 s48, -1, 0
	s_cmp_eq_u32 s33, s23
	s_cselect_b32 s33, s48, s52
	s_delay_alu instid0(SALU_CYCLE_1)
	s_cmp_lg_u32 s33, 0
	s_cselect_b32 s33, s58, s54
	s_cselect_b32 s48, s59, s55
	s_cmp_lg_u32 s13, 0
	s_sub_co_ci_u32 s13, s49, s53
	s_wait_alu 0xfffe
	s_cmp_ge_u32 s13, s23
	s_cselect_b32 s49, -1, 0
	s_cmp_ge_u32 s3, s22
	s_cselect_b32 s3, -1, 0
	s_cmp_eq_u32 s13, s23
	s_wait_alu 0xfffe
	s_cselect_b32 s3, s3, s49
	s_wait_alu 0xfffe
	s_cmp_lg_u32 s3, 0
	s_cselect_b32 s23, s48, s51
	s_cselect_b32 s22, s33, s50
	s_xor_b64 s[20:21], s[24:25], s[20:21]
	s_delay_alu instid0(SALU_CYCLE_1) | instskip(NEXT) | instid1(SALU_CYCLE_1)
	s_xor_b64 s[22:23], s[22:23], s[20:21]
	s_sub_nc_u64 s[62:63], s[22:23], s[20:21]
	s_branch .LBB6_24
.LBB6_18:
                                        ; implicit-def: $sgpr14_sgpr15
	s_branch .LBB6_3
.LBB6_19:
                                        ; implicit-def: $sgpr16_sgpr17
	s_load_b128 s[28:31], s[0:1], 0x1d0
	s_branch .LBB6_6
.LBB6_20:
                                        ; implicit-def: $sgpr34_sgpr35
	s_branch .LBB6_9
.LBB6_21:
                                        ; implicit-def: $sgpr40_sgpr41
	s_load_b128 s[44:47], s[0:1], 0x370
	s_branch .LBB6_12
.LBB6_22:
                                        ; implicit-def: $sgpr56_sgpr57
	s_branch .LBB6_15
.LBB6_23:
	s_mov_b32 s2, -1
                                        ; implicit-def: $sgpr62_sgpr63
.LBB6_24:
	s_load_b64 s[20:21], s[0:1], 0x440
                                        ; implicit-def: $vgpr61 : SGPR spill to VGPR lane
	s_and_not1_b32 vcc_lo, exec_lo, s2
	s_wait_kmcnt 0x0
	v_writelane_b32 v61, s20, 0
	v_writelane_b32 v61, s21, 1
	s_load_b128 s[20:23], s[0:1], 0x430
	s_wait_kmcnt 0x0
	v_writelane_b32 v61, s20, 2
	v_writelane_b32 v61, s21, 3
	;; [unrolled: 1-line block ×4, first 2 shown]
	s_load_b64 s[20:21], s[0:1], 0x2a0
	s_wait_kmcnt 0x0
	v_writelane_b32 v61, s20, 6
	v_writelane_b32 v61, s21, 7
	s_load_b128 s[20:23], s[0:1], 0x290
	s_wait_kmcnt 0x0
	v_writelane_b32 v61, s20, 8
	v_writelane_b32 v61, s21, 9
	;; [unrolled: 1-line block ×4, first 2 shown]
	s_cbranch_vccnz .LBB6_26
; %bb.25:
	v_cvt_f32_u32_e32 v1, s44
	s_sub_co_i32 s3, 0, s44
	s_mov_b32 s63, 0
	s_delay_alu instid0(VALU_DEP_1) | instskip(NEXT) | instid1(TRANS32_DEP_1)
	v_rcp_iflag_f32_e32 v1, v1
	v_mul_f32_e32 v1, 0x4f7ffffe, v1
	s_delay_alu instid0(VALU_DEP_1) | instskip(NEXT) | instid1(VALU_DEP_1)
	v_cvt_u32_f32_e32 v1, v1
	v_readfirstlane_b32 s2, v1
	s_wait_alu 0xfffe
	s_mul_i32 s3, s3, s2
	s_wait_alu 0xfffe
	s_mul_hi_u32 s3, s2, s3
	s_wait_alu 0xfffe
	s_add_co_i32 s2, s2, s3
	s_wait_alu 0xfffe
	s_mul_hi_u32 s2, s56, s2
	s_wait_alu 0xfffe
	s_mul_i32 s3, s2, s44
	s_add_co_i32 s13, s2, 1
	s_wait_alu 0xfffe
	s_sub_co_i32 s3, s56, s3
	s_wait_alu 0xfffe
	s_sub_co_i32 s20, s3, s44
	s_cmp_ge_u32 s3, s44
	s_cselect_b32 s2, s13, s2
	s_wait_alu 0xfffe
	s_cselect_b32 s3, s20, s3
	s_add_co_i32 s13, s2, 1
	s_wait_alu 0xfffe
	s_cmp_ge_u32 s3, s44
	s_cselect_b32 s62, s13, s2
.LBB6_26:
	s_load_b64 s[22:23], s[0:1], 0x0
	v_cmp_eq_u32_e64 s2, 0, v0
	s_add_nc_u64 s[20:21], s[0:1], 0x500
	s_mov_b32 s71, 0
	s_and_saveexec_b32 s3, s2
	s_cbranch_execz .LBB6_28
; %bb.27:
	v_dual_mov_b32 v1, 0 :: v_dual_mov_b32 v4, s37
	s_delay_alu instid0(VALU_DEP_1)
	v_dual_mov_b32 v3, s36 :: v_dual_mov_b32 v2, v1
	ds_store_b32 v1, v1 offset:5136
	ds_store_b128 v1, v[1:4] offset:5120
.LBB6_28:
	s_wait_alu 0xfffe
	s_or_b32 exec_lo, exec_lo, s3
	s_clause 0x1
	s_load_b64 s[24:25], s[0:1], 0x360
	s_load_b64 s[0:1], s[0:1], 0x1c0
	v_mad_co_u64_u32 v[4:5], null, s42, v0, 0
	s_mul_u64 s[4:5], s[16:17], s[4:5]
	v_mbcnt_lo_u32_b32 v34, -1, 0
	s_wait_alu 0xfffe
	s_sub_nc_u64 s[4:5], s[14:15], s[4:5]
	v_cmp_gt_u32_e32 vcc_lo, 32, v0
	s_wait_alu 0xfffe
	s_mul_u64 s[10:11], s[4:5], s[10:11]
	v_dual_mov_b32 v3, 0 :: v_dual_lshlrev_b32 v16, 2, v0
	v_mov_b32_e32 v1, v5
	s_wait_dscnt 0x0
	s_barrier_signal -1
	s_barrier_wait -1
	global_inv scope:SCOPE_SE
	v_mad_co_u64_u32 v[6:7], null, s43, v0, v[1:2]
	v_add_nc_u32_e32 v2, 2, v0
	v_lshlrev_b64_e64 v[7:8], v34, -1
	s_wait_kmcnt 0x0
	v_writelane_b32 v61, s24, 12
	s_load_b32 s13, s[20:21], 0xc
	v_or_b32_e32 v9, 3, v16
	v_or_b32_e32 v11, 2, v16
	v_mad_co_u64_u32 v[25:26], null, s42, v16, s[42:43]
	v_writelane_b32 v61, s25, 13
	v_not_b32_e32 v35, v7
	v_not_b32_e32 v7, v0
	v_mad_co_u64_u32 v[21:22], null, s42, v9, 0
	v_writelane_b32 v61, s0, 14
	v_mov_b32_e32 v5, v6
	v_mad_co_u64_u32 v[23:24], null, s42, v11, 0
	v_mov_b32_e32 v17, v3
	v_writelane_b32 v61, s1, 15
	s_mul_u64 s[0:1], s[14:15], s[6:7]
	s_mul_u64 s[6:7], s[16:17], s[8:9]
	s_wait_alu 0xfffe
	s_sub_nc_u64 s[0:1], s[26:27], s[0:1]
	s_add_nc_u64 s[4:5], s[22:23], s[6:7]
	s_wait_alu 0xfffe
	s_mul_u64 s[8:9], s[0:1], s[18:19]
	v_cmp_gt_i32_e64 s0, 4, v34
	s_add_nc_u64 s[4:5], s[4:5], s[10:11]
	s_wait_kmcnt 0x0
	s_and_b32 s68, s13, 0xffff
	s_wait_alu 0xfffe
	s_add_nc_u64 s[74:75], s[4:5], s[8:9]
	s_bfe_u32 s5, s13, 0xb0005
	s_and_b32 s33, vcc_lo, s0
	v_add_co_u32 v14, vcc_lo, s74, v4
	s_delay_alu instid0(VALU_DEP_1)
	v_add_co_ci_u32_e64 v15, null, s75, v6, vcc_lo
	v_cmp_gt_i64_e32 vcc_lo, s[36:37], v[2:3]
	s_cmp_gt_u32 s68, 31
	s_movk_i32 s4, 0x3e0
	s_cselect_b32 s101, -1, 0
	s_cmp_lt_u32 ttmp9, s12
	s_wait_alu 0xfffe
	v_and_or_b32 v36, v0, s4, 0xc00
	s_wait_alu 0xfffd
	v_cndmask_b32_e64 v2, v2, s36, vcc_lo
	v_cndmask_b32_e64 v8, 0, s37, vcc_lo
	s_cselect_b32 s70, 12, 18
	s_add_nc_u64 s[6:7], s[6:7], s[8:9]
	s_bfe_u32 s65, s68, 0x30005
	v_add_co_u32 v7, vcc_lo, v2, v7
	v_mov_b32_e32 v1, v3
	s_wait_alu 0xfffd
	v_add_co_ci_u32_e64 v8, null, -1, v8, vcc_lo
	s_delay_alu instid0(VALU_DEP_3)
	v_and_b32_e32 v18, -4, v7
	s_wait_alu 0xfffe
	s_add_nc_u64 s[6:7], s[6:7], s[10:11]
	v_mul_lo_u32 v42, 0, s42
	v_cmp_lt_u64_e64 s4, 3, v[7:8]
	s_wait_alu 0xfffe
	s_add_nc_u64 s[80:81], s[22:23], s[6:7]
	v_add_co_u32 v20, vcc_lo, v18, v0
	s_wait_alu 0xfffd
	v_add_co_ci_u32_e64 v2, null, 0, v8, vcc_lo
	v_mov_b32_e32 v2, v22
	v_add_co_u32 v12, vcc_lo, s80, v4
	v_mov_b32_e32 v28, s38
	v_cmp_lt_i64_e64 s100, 0xc00, s[36:37]
	s_delay_alu instid0(VALU_DEP_4)
	v_mad_co_u64_u32 v[9:10], null, s43, v9, v[2:3]
	v_mov_b32_e32 v19, v8
	v_cmp_gt_i64_e64 s0, s[36:37], v[0:1]
	s_mov_b32 s69, s71
	v_cmp_eq_u32_e64 s1, 0, v34
	v_cmp_gt_u32_e64 s3, 2, v0
	v_cmp_ne_u64_e64 s12, v[7:8], v[18:19]
	v_dual_mov_b32 v7, v24 :: v_dual_mov_b32 v8, v26
	v_lshlrev_b64_e32 v[26:27], 2, v[4:5]
	v_mov_b32_e32 v24, v9
	v_lshl_or_b32 v41, v34, 3, 0xc00
	s_wait_alu 0xf1ff
	v_writelane_b32 v61, s12, 16
	s_add_co_i32 s12, s5, -1
	v_mad_co_u64_u32 v[10:11], null, s43, v11, v[7:8]
	v_mad_co_u64_u32 v[7:8], null, s43, v16, v[8:9]
	s_wait_alu 0xfffe
	s_and_b32 s12, s12, 0xffff
	s_wait_alu 0xfffd
	v_add_co_ci_u32_e64 v13, null, s81, v6, vcc_lo
	s_wait_alu 0xfffe
	s_cmp_gt_u32 s12, 6
	v_mov_b32_e32 v37, v10
	s_cselect_b32 vcc_hi, -1, 0
	s_and_b32 s66, s5, 0x7f8
	v_add_co_u32 v39, s5, s36, v0
	v_mov_b32_e32 v38, v7
	s_wait_alu 0xf1ff
	v_add_co_ci_u32_e64 v40, null, s37, 0, s5
	v_dual_mov_b32 v29, s39 :: v_dual_mov_b32 v44, 0
	v_dual_mov_b32 v22, 0 :: v_dual_mov_b32 v43, 0
	s_add_nc_u64 s[76:77], s[68:69], -1
	s_cmp_lg_u32 s65, 0
	s_add_nc_u64 s[78:79], s[76:77], s[36:37]
	s_mov_b32 s102, s42
	s_mov_b32 s103, s43
	;; [unrolled: 1-line block ×9, first 2 shown]
	s_cselect_b32 s48, -1, 0
	s_lshl_b64 s[82:83], s[42:43], 2
	s_mul_u64 s[72:73], s[42:43], s[68:69]
	s_add_nc_u64 s[38:39], s[20:21], s[70:71]
	s_mov_b32 s49, 0
	s_mov_b32 s50, 0
                                        ; implicit-def: $sgpr54
                                        ; implicit-def: $sgpr5
                                        ; implicit-def: $sgpr51
                                        ; implicit-def: $sgpr53
                                        ; implicit-def: $sgpr55
                                        ; implicit-def: $sgpr52
	s_branch .LBB6_32
.LBB6_29:                               ;   in Loop: Header=BB6_32 Depth=1
	s_wait_alu 0xfffe
	s_or_b32 exec_lo, exec_lo, s9
	s_delay_alu instid0(SALU_CYCLE_1)
	s_and_b32 s7, s7, exec_lo
	s_and_not1_b32 s22, s22, exec_lo
	s_and_not1_b32 s21, s21, exec_lo
	s_or_not1_b32 s18, s8, exec_lo
.LBB6_30:                               ;   in Loop: Header=BB6_32 Depth=1
	s_wait_alu 0xfffe
	s_or_b32 exec_lo, exec_lo, s6
	s_delay_alu instid0(SALU_CYCLE_1)
	s_and_not1_b32 s6, s52, exec_lo
	s_and_b32 s7, s7, exec_lo
	s_and_not1_b32 s8, s53, exec_lo
	s_wait_alu 0xfffe
	s_or_b32 s52, s6, s7
	s_and_not1_b32 s6, s55, exec_lo
	s_and_b32 s7, s22, exec_lo
	s_and_b32 s9, s21, exec_lo
	s_wait_alu 0xfffe
	s_or_b32 s55, s6, s7
	s_or_b32 s53, s8, s9
	s_or_not1_b32 s18, s18, exec_lo
.LBB6_31:                               ;   in Loop: Header=BB6_32 Depth=1
	s_wait_alu 0xfffe
	s_or_b32 exec_lo, exec_lo, s17
	s_delay_alu instid0(SALU_CYCLE_1)
	s_and_b32 s6, exec_lo, s18
	v_dual_mov_b32 v29, v9 :: v_dual_mov_b32 v28, v8
	s_wait_alu 0xfffe
	s_or_b32 s49, s6, s49
	s_and_not1_b32 s6, s51, exec_lo
	s_and_b32 s7, s52, exec_lo
	s_and_not1_b32 s5, s5, exec_lo
	s_wait_alu 0xfffe
	s_or_b32 s51, s6, s7
	s_and_b32 s6, s55, exec_lo
	s_and_not1_b32 s7, s54, exec_lo
	s_and_b32 s8, s53, exec_lo
	s_wait_alu 0xfffe
	s_or_b32 s5, s5, s6
	s_or_b32 s54, s7, s8
	s_and_not1_b32 exec_lo, exec_lo, s49
	s_cbranch_execz .LBB6_294
.LBB6_32:                               ; =>This Loop Header: Depth=1
                                        ;     Child Loop BB6_37 Depth 2
                                        ;     Child Loop BB6_51 Depth 2
	;; [unrolled: 1-line block ×17, first 2 shown]
	ds_load_b128 v[4:7], v3 offset:5120
	s_wait_dscnt 0x0
	v_readfirstlane_b32 s85, v5
	v_readfirstlane_b32 s84, v4
	s_wait_alu 0xf1ff
	s_delay_alu instid0(VALU_DEP_1)
	v_cmp_gt_i64_e64 s6, s[84:85], 0
	s_and_b32 vcc_lo, exec_lo, s6
	s_wait_alu 0xfffe
	s_cbranch_vccnz .LBB6_64
; %bb.33:                               ;   in Loop: Header=BB6_32 Depth=1
	s_and_b32 vcc_lo, exec_lo, s100
	s_wait_alu 0xfffe
	s_cbranch_vccz .LBB6_45
; %bb.34:                               ;   in Loop: Header=BB6_32 Depth=1
	v_cmp_gt_i64_e32 vcc_lo, 0xc01, v[6:7]
	s_mov_b32 s8, 0
	s_mov_b32 s6, 0
	s_cbranch_vccz .LBB6_46
; %bb.35:                               ;   in Loop: Header=BB6_32 Depth=1
	global_load_u16 v2, v3, s[38:39]
	global_load_u8 v8, v[14:15], off
	s_mov_b32 s9, 0
	s_wait_loadcnt 0x1
	v_and_b32_e32 v2, 0xffff, v2
	s_delay_alu instid0(VALU_DEP_1) | instskip(SKIP_3) | instid1(VALU_DEP_3)
	v_add_co_u32 v4, s6, v0, v2
	s_wait_alu 0xf1fe
	v_add_co_ci_u32_e64 v5, null, 0, 0, s6
	v_mul_lo_u32 v6, v2, s43
	v_mul_lo_u32 v10, s43, v4
	v_mul_hi_u32 v11, v2, s42
	s_delay_alu instid0(VALU_DEP_4) | instskip(SKIP_2) | instid1(VALU_DEP_2)
	v_mul_lo_u32 v7, s42, v5
	v_mad_co_u64_u32 v[4:5], null, s42, v4, s[80:81]
	v_add_nc_u32_e32 v6, v6, v42
	v_add3_u32 v5, v10, v5, v7
	s_delay_alu instid0(VALU_DEP_2)
	v_dual_mov_b32 v7, v1 :: v_dual_add_nc_u32 v10, v6, v11
	v_mul_lo_u32 v9, v2, s42
	v_mov_b32_e32 v6, v0
	s_branch .LBB6_37
.LBB6_36:                               ;   in Loop: Header=BB6_37 Depth=2
	s_wait_alu 0xfffe
	s_or_b32 exec_lo, exec_lo, s7
	v_add_co_u32 v4, vcc_lo, v4, v9
	s_wait_alu 0xfffd
	v_add_co_ci_u32_e64 v5, null, v5, v10, vcc_lo
	v_mov_b32_e32 v8, v11
	s_and_not1_b32 exec_lo, exec_lo, s9
	s_cbranch_execz .LBB6_98
.LBB6_37:                               ;   Parent Loop BB6_32 Depth=1
                                        ; =>  This Inner Loop Header: Depth=2
	s_delay_alu instid0(VALU_DEP_1)
	v_add_co_u32 v6, vcc_lo, v6, v2
	s_wait_alu 0xfffd
	v_add_co_ci_u32_e64 v7, null, 0, v7, vcc_lo
	s_wait_dscnt 0x0
	v_dual_mov_b32 v30, 0 :: v_dual_mov_b32 v11, 0
	s_mov_b32 s7, exec_lo
	s_delay_alu instid0(VALU_DEP_2)
	v_cmp_le_i64_e32 vcc_lo, s[36:37], v[6:7]
	v_cmpx_gt_i64_e64 s[36:37], v[6:7]
	s_cbranch_execz .LBB6_39
; %bb.38:                               ;   in Loop: Header=BB6_37 Depth=2
	global_load_u8 v11, v[4:5], off
.LBB6_39:                               ;   in Loop: Header=BB6_37 Depth=2
	s_wait_alu 0xfffe
	s_or_b32 exec_lo, exec_lo, s7
	s_wait_loadcnt 0x0
	v_and_b32_e32 v31, v8, v43
	s_delay_alu instid0(VALU_DEP_1) | instskip(NEXT) | instid1(VALU_DEP_1)
	v_and_b32_e32 v31, 0xff, v31
	v_cmp_eq_u32_e64 s6, v31, v22
	s_cmp_lg_u32 s6, 0
	s_cselect_b32 s7, -1, 0
	s_wait_alu 0xfffe
	s_and_b32 s7, s1, s7
	s_wait_alu 0xfffe
	s_and_saveexec_b32 s10, s7
	s_cbranch_execz .LBB6_43
; %bb.40:                               ;   in Loop: Header=BB6_37 Depth=2
	s_mov_b32 s13, exec_lo
	s_bcnt1_i32_b32 s11, s6
	s_wait_alu 0xfffe
	v_mbcnt_lo_u32_b32 v30, s13, 0
	s_mov_b32 s12, exec_lo
                                        ; implicit-def: $vgpr31
	s_delay_alu instid0(VALU_DEP_1)
	v_cmpx_eq_u32_e32 0, v30
; %bb.41:                               ;   in Loop: Header=BB6_37 Depth=2
	s_bcnt1_i32_b32 s7, s13
	s_wait_alu 0xfffe
	s_mul_i32 s7, s11, s7
	s_wait_alu 0xfffe
	v_mov_b32_e32 v31, s7
	ds_add_rtn_u32 v31, v3, v31 offset:5136
; %bb.42:                               ;   in Loop: Header=BB6_37 Depth=2
	s_or_b32 exec_lo, exec_lo, s12
	s_wait_dscnt 0x0
	v_readfirstlane_b32 s7, v31
	s_wait_alu 0xf1ff
	s_delay_alu instid0(VALU_DEP_1)
	v_mad_u32_u24 v30, s11, v30, s7
.LBB6_43:                               ;   in Loop: Header=BB6_37 Depth=2
	s_wait_alu 0xfffe
	s_or_b32 exec_lo, exec_lo, s10
	ds_bpermute_b32 v30, v3, v30
	s_and_b32 s7, exec_lo, vcc_lo
	s_wait_alu 0xfffe
	s_or_b32 s9, s7, s9
	s_and_saveexec_b32 s7, s6
	s_cbranch_execz .LBB6_36
; %bb.44:                               ;   in Loop: Header=BB6_37 Depth=2
	v_and_b32_e32 v31, s6, v35
	s_wait_dscnt 0x0
	s_delay_alu instid0(VALU_DEP_1)
	v_bcnt_u32_b32 v30, v31, v30
	ds_store_b8 v30, v8
	s_branch .LBB6_36
.LBB6_45:                               ;   in Loop: Header=BB6_32 Depth=1
	s_mov_b32 s8, -1
	s_mov_b32 s6, 0
.LBB6_46:                               ;   in Loop: Header=BB6_32 Depth=1
	s_wait_alu 0xfffe
	s_and_b32 vcc_lo, exec_lo, s8
	s_wait_alu 0xfffe
	s_cbranch_vccz .LBB6_62
.LBB6_47:                               ;   in Loop: Header=BB6_32 Depth=1
	s_and_saveexec_b32 s12, s0
	s_cbranch_execz .LBB6_59
; %bb.48:                               ;   in Loop: Header=BB6_32 Depth=1
	global_load_u16 v4, v3, s[38:39]
	global_load_u8 v32, v[14:15], off
	v_mov_b32_e32 v8, v0
	s_mov_b32 s13, exec_lo
	s_wait_loadcnt 0x1
	v_and_b32_e32 v2, 0xffff, v4
	v_readfirstlane_b32 s6, v4
	s_delay_alu instid0(VALU_DEP_2) | instskip(NEXT) | instid1(VALU_DEP_1)
	v_add_nc_u32_e32 v2, v2, v0
	v_cmpx_gt_i64_e64 s[36:37], v[2:3]
	s_cbranch_execz .LBB6_58
; %bb.49:                               ;   in Loop: Header=BB6_32 Depth=1
	s_and_b32 s70, s6, 0xffff
	v_dual_mov_b32 v7, v1 :: v_dual_mov_b32 v6, v0
	s_wait_alu 0xfffe
	s_cmp_eq_u32 s70, 1
	v_dual_mov_b32 v5, v3 :: v_dual_mov_b32 v4, v2
	s_cselect_b32 s6, -1, 0
                                        ; implicit-def: $vgpr8_vgpr9
	s_wait_alu 0xfffe
	s_and_b32 s7, s4, s6
	s_mov_b32 s6, -1
	s_wait_alu 0xfffe
	s_and_saveexec_b32 s8, s7
	s_cbranch_execz .LBB6_53
; %bb.50:                               ;   in Loop: Header=BB6_32 Depth=1
	v_add_co_u32 v8, s6, v2, 3
	s_wait_alu 0xf1ff
	v_add_co_ci_u32_e64 v9, null, 0, 0, s6
	v_add_co_u32 v6, s6, v2, 2
	s_wait_alu 0xf1ff
	v_add_co_ci_u32_e64 v7, null, 0, 0, s6
	v_add_co_u32 v4, s6, v2, 1
	s_wait_alu 0xf1ff
	v_add_co_ci_u32_e64 v5, null, 0, 0, s6
	v_mov_b32_e32 v11, v9
	v_dual_mov_b32 v31, v19 :: v_dual_mov_b32 v10, v8
	s_wait_loadcnt 0x0
	v_dual_mov_b32 v30, v18 :: v_dual_lshlrev_b32 v45, 24, v32
	v_mov_b32_e32 v9, v7
	v_dual_mov_b32 v33, v0 :: v_dual_mov_b32 v8, v6
	v_mov_b32_e32 v7, v5
	v_mov_b32_e32 v6, v4
	;; [unrolled: 1-line block ×4, first 2 shown]
	s_mov_b32 s9, 0
.LBB6_51:                               ;   Parent Loop BB6_32 Depth=1
                                        ; =>  This Inner Loop Header: Depth=2
	v_mul_lo_u32 v55, v7, s104
	v_mul_lo_u32 v56, v6, s58
	v_mad_co_u64_u32 v[48:49], null, v6, s104, 0
	v_mul_lo_u32 v32, v9, s59
	v_mul_lo_u32 v54, v8, s60
	v_mad_co_u64_u32 v[46:47], null, v8, s59, 0
	;; [unrolled: 3-line block ×3, first 2 shown]
	v_mad_co_u64_u32 v[52:53], null, v10, s61, s[74:75]
	v_mul_lo_u32 v59, v10, s64
	v_mul_lo_u32 v60, v11, s61
	v_add3_u32 v55, v49, v56, v55
	v_add3_u32 v32, v47, v54, v32
	;; [unrolled: 1-line block ×3, first 2 shown]
	v_add_co_u32 v54, s7, s74, v48
	v_add_co_u32 v49, s6, s74, v46
	v_add3_u32 v53, v60, v53, v59
	v_add_co_u32 v47, vcc_lo, s74, v50
	s_wait_alu 0xf1ff
	v_add_co_ci_u32_e64 v55, null, s75, v55, s7
	v_add_co_ci_u32_e64 v50, null, s75, v32, s6
	s_wait_alu 0xfffd
	v_add_co_ci_u32_e64 v48, null, s75, v51, vcc_lo
	s_clause 0x3
	global_load_u8 v32, v[52:53], off
	global_load_u8 v46, v[54:55], off
	;; [unrolled: 1-line block ×4, first 2 shown]
	v_add_co_u32 v10, vcc_lo, v10, 4
	s_wait_alu 0xfffd
	v_add_co_ci_u32_e64 v11, null, 0, v11, vcc_lo
	v_add_co_u32 v8, vcc_lo, v8, 4
	s_wait_alu 0xfffd
	v_add_co_ci_u32_e64 v9, null, 0, v9, vcc_lo
	;; [unrolled: 3-line block ×3, first 2 shown]
	v_add_co_u32 v30, vcc_lo, v30, -4
	s_wait_alu 0xfffd
	v_add_co_ci_u32_e64 v31, null, -1, v31, vcc_lo
	v_add_co_u32 v4, vcc_lo, v4, 4
	s_wait_alu 0xfffd
	v_add_co_ci_u32_e64 v5, null, 0, v5, vcc_lo
	s_delay_alu instid0(VALU_DEP_3)
	v_cmp_eq_u64_e64 s6, 0, v[30:31]
	s_wait_alu 0xfffe
	s_or_b32 s9, s6, s9
	s_wait_loadcnt 0x0
	v_perm_b32 v48, v47, v46, 0xc0c0004
	v_perm_b32 v46, v46, v49, 0xc0c0004
	;; [unrolled: 1-line block ×4, first 2 shown]
	s_delay_alu instid0(VALU_DEP_2) | instskip(NEXT) | instid1(VALU_DEP_2)
	v_lshl_or_b32 v45, v46, 16, v45
	v_lshl_or_b32 v46, v47, 16, v48
	ds_store_b32 v33, v45
	v_add_nc_u32_e32 v33, 4, v33
	v_mov_b32_e32 v45, v46
	s_wait_alu 0xfffe
	s_and_not1_b32 exec_lo, exec_lo, s9
	s_cbranch_execnz .LBB6_51
; %bb.52:                               ;   in Loop: Header=BB6_32 Depth=1
	s_or_b32 exec_lo, exec_lo, s9
	v_add_co_u32 v4, vcc_lo, v2, v18
	v_readlane_b32 s6, v61, 16
	s_wait_alu 0xfffd
	v_add_co_ci_u32_e64 v5, null, 0, v19, vcc_lo
	s_delay_alu instid0(VALU_DEP_3)
	v_add_co_u32 v8, vcc_lo, v4, -1
	v_dual_mov_b32 v6, v20 :: v_dual_mov_b32 v7, v21
	s_or_not1_b32 s6, s6, exec_lo
	s_wait_alu 0xfffd
	v_add_co_ci_u32_e64 v2, null, -1, v5, vcc_lo
.LBB6_53:                               ;   in Loop: Header=BB6_32 Depth=1
	s_wait_alu 0xfffe
	s_or_b32 exec_lo, exec_lo, s8
	s_and_saveexec_b32 s7, s6
	s_cbranch_execz .LBB6_57
; %bb.54:                               ;   in Loop: Header=BB6_32 Depth=1
	v_mad_co_u64_u32 v[9:10], null, s42, v4, s[80:81]
	v_mul_lo_u32 v2, s42, v5
	v_mul_lo_u32 v7, s43, v4
	s_sub_nc_u64 s[8:9], 0, s[70:71]
	s_mul_u64 s[10:11], s[42:43], s[70:71]
	s_mov_b32 s14, 0
	s_delay_alu instid0(VALU_DEP_1)
	v_add3_u32 v10, v7, v10, v2
.LBB6_55:                               ;   Parent Loop BB6_32 Depth=1
                                        ; =>  This Inner Loop Header: Depth=2
	global_load_u8 v2, v[9:10], off
	v_dual_mov_b32 v8, v5 :: v_dual_mov_b32 v7, v4
	s_wait_alu 0xfffe
	v_add_co_u32 v9, vcc_lo, v9, s10
	s_wait_alu 0xfffd
	v_add_co_ci_u32_e64 v10, null, s11, v10, vcc_lo
	v_add_co_u32 v4, s6, v7, s70
	s_wait_alu 0xf1ff
	v_add_co_ci_u32_e64 v5, null, 0, v8, s6
	s_wait_loadcnt 0x1
	ds_store_b8 v6, v32
	v_mov_b32_e32 v6, v7
	v_mov_b32_e32 v7, v8
	v_cmp_le_i64_e32 vcc_lo, s[36:37], v[4:5]
	v_add_co_u32 v8, s6, s8, v4
	s_wait_alu 0xf1ff
	v_add_co_ci_u32_e64 v7, null, s9, v5, s6
	s_or_b32 s14, vcc_lo, s14
	s_wait_loadcnt 0x0
	v_mov_b32_e32 v32, v2
	s_wait_alu 0xfffe
	s_and_not1_b32 exec_lo, exec_lo, s14
	s_cbranch_execnz .LBB6_55
; %bb.56:                               ;   in Loop: Header=BB6_32 Depth=1
	s_or_b32 exec_lo, exec_lo, s14
	v_mov_b32_e32 v32, v2
.LBB6_57:                               ;   in Loop: Header=BB6_32 Depth=1
	s_wait_alu 0xfffe
	s_or_b32 exec_lo, exec_lo, s7
.LBB6_58:                               ;   in Loop: Header=BB6_32 Depth=1
	s_wait_alu 0xfffe
	s_or_b32 exec_lo, exec_lo, s13
	s_wait_loadcnt 0x0
	ds_store_b8 v8, v32
.LBB6_59:                               ;   in Loop: Header=BB6_32 Depth=1
	s_wait_alu 0xfffe
	s_or_b32 exec_lo, exec_lo, s12
	s_wait_loadcnt_dscnt 0x0
	s_barrier_signal -1
	s_barrier_wait -1
	global_inv scope:SCOPE_SE
	s_and_saveexec_b32 s6, s2
; %bb.60:                               ;   in Loop: Header=BB6_32 Depth=1
	v_dual_mov_b32 v4, s36 :: v_dual_mov_b32 v5, s37
	ds_store_b64 v3, v[4:5] offset:5120
; %bb.61:                               ;   in Loop: Header=BB6_32 Depth=1
	s_wait_alu 0xfffe
	s_or_b32 exec_lo, exec_lo, s6
	s_mov_b32 s6, -1
	s_wait_loadcnt_dscnt 0x0
	s_barrier_signal -1
	s_barrier_wait -1
.LBB6_62:                               ;   in Loop: Header=BB6_32 Depth=1
	s_wait_alu 0xfffe
	s_and_b32 vcc_lo, exec_lo, s6
	s_wait_alu 0xfffe
	s_cbranch_vccz .LBB6_64
; %bb.63:                               ;   in Loop: Header=BB6_32 Depth=1
	s_wait_loadcnt 0x0
	global_inv scope:SCOPE_SE
	ds_load_b64 v[4:5], v3 offset:5120
	s_wait_dscnt 0x0
	v_readfirstlane_b32 s84, v4
.LBB6_64:                               ;   in Loop: Header=BB6_32 Depth=1
	s_delay_alu instid0(VALU_DEP_1)
	s_cmp_lt_i32 s84, 1
	s_mov_b32 s6, -1
                                        ; implicit-def: $vgpr10_vgpr11
                                        ; implicit-def: $vgpr6_vgpr7
	s_cbranch_scc1 .LBB6_74
; %bb.65:                               ;   in Loop: Header=BB6_32 Depth=1
	s_wait_alu 0xfffe
	s_and_b32 vcc_lo, exec_lo, s6
	s_wait_alu 0xfffe
	s_cbranch_vccnz .LBB6_88
.LBB6_66:                               ;   in Loop: Header=BB6_32 Depth=1
	s_lshl_b32 s6, s50, 7
	s_and_saveexec_b32 s7, s1
	s_cbranch_execz .LBB6_68
.LBB6_67:                               ;   in Loop: Header=BB6_32 Depth=1
	s_wait_alu 0xfffe
	v_lshl_add_u32 v2, s6, 3, v36
	ds_store_b128 v2, v[4:7]
	ds_store_b128 v2, v[8:11] offset:16
.LBB6_68:                               ;   in Loop: Header=BB6_32 Depth=1
	s_wait_alu 0xfffe
	s_or_b32 exec_lo, exec_lo, s7
	s_wait_loadcnt_dscnt 0x0
	s_barrier_signal -1
	s_barrier_wait -1
	global_inv scope:SCOPE_SE
	s_and_saveexec_b32 s7, s33
	s_cbranch_execz .LBB6_105
; %bb.69:                               ;   in Loop: Header=BB6_32 Depth=1
	v_mov_b32_e32 v4, 0
	v_mov_b32_e32 v5, 0
	s_and_not1_b32 vcc_lo, exec_lo, s101
	s_wait_alu 0xfffe
	s_cbranch_vccnz .LBB6_104
; %bb.70:                               ;   in Loop: Header=BB6_32 Depth=1
	v_mov_b32_e32 v4, 0
	v_mov_b32_e32 v5, 0
	s_and_not1_b32 vcc_lo, exec_lo, vcc_hi
	s_wait_alu 0xfffe
	s_cbranch_vccnz .LBB6_101
; %bb.71:                               ;   in Loop: Header=BB6_32 Depth=1
	v_lshl_add_u32 v2, s50, 10, v41
	s_mov_b32 s8, 0
.LBB6_72:                               ;   Parent Loop BB6_32 Depth=1
                                        ; =>  This Inner Loop Header: Depth=2
	ds_load_2addr_b64 v[6:9], v2 offset1:4
	ds_load_2addr_b64 v[30:33], v2 offset0:8 offset1:12
	ds_load_2addr_b64 v[45:48], v2 offset0:16 offset1:20
	s_wait_alu 0xfffe
	s_add_co_i32 s8, s8, 8
	s_wait_alu 0xfffe
	s_cmp_eq_u32 s66, s8
	s_wait_dscnt 0x2
	v_add_co_u32 v4, vcc_lo, v6, v4
	s_wait_alu 0xfffd
	v_add_co_ci_u32_e64 v5, null, v7, v5, vcc_lo
	s_delay_alu instid0(VALU_DEP_2) | instskip(SKIP_1) | instid1(VALU_DEP_2)
	v_add_co_u32 v8, vcc_lo, v8, v4
	s_wait_alu 0xfffd
	v_add_co_ci_u32_e64 v9, null, v9, v5, vcc_lo
	ds_load_2addr_b64 v[4:7], v2 offset0:24 offset1:28
	s_wait_dscnt 0x2
	v_add_co_u32 v8, vcc_lo, v30, v8
	s_wait_alu 0xfffd
	v_add_co_ci_u32_e64 v9, null, v31, v9, vcc_lo
	v_add_nc_u32_e32 v2, 0x100, v2
	s_delay_alu instid0(VALU_DEP_3) | instskip(SKIP_1) | instid1(VALU_DEP_3)
	v_add_co_u32 v8, vcc_lo, v32, v8
	s_wait_alu 0xfffd
	v_add_co_ci_u32_e64 v9, null, v33, v9, vcc_lo
	s_wait_dscnt 0x1
	s_delay_alu instid0(VALU_DEP_2) | instskip(SKIP_1) | instid1(VALU_DEP_2)
	v_add_co_u32 v8, vcc_lo, v45, v8
	s_wait_alu 0xfffd
	v_add_co_ci_u32_e64 v9, null, v46, v9, vcc_lo
	s_delay_alu instid0(VALU_DEP_2) | instskip(SKIP_1) | instid1(VALU_DEP_2)
	v_add_co_u32 v8, vcc_lo, v47, v8
	s_wait_alu 0xfffd
	v_add_co_ci_u32_e64 v9, null, v48, v9, vcc_lo
	s_wait_dscnt 0x0
	s_delay_alu instid0(VALU_DEP_2) | instskip(SKIP_1) | instid1(VALU_DEP_2)
	v_add_co_u32 v4, vcc_lo, v4, v8
	s_wait_alu 0xfffd
	v_add_co_ci_u32_e64 v5, null, v5, v9, vcc_lo
	s_delay_alu instid0(VALU_DEP_2) | instskip(SKIP_1) | instid1(VALU_DEP_2)
	v_add_co_u32 v4, vcc_lo, v6, v4
	s_wait_alu 0xfffd
	v_add_co_ci_u32_e64 v5, null, v7, v5, vcc_lo
	s_cbranch_scc0 .LBB6_72
; %bb.73:                               ;   in Loop: Header=BB6_32 Depth=1
	s_mov_b32 s8, s66
	s_and_not1_b32 vcc_lo, exec_lo, s48
	s_wait_alu 0xfffe
	s_cbranch_vccz .LBB6_102
	s_branch .LBB6_104
.LBB6_74:                               ;   in Loop: Header=BB6_32 Depth=1
	global_load_u16 v2, v3, s[38:39]
	s_mov_b32 s7, s37
	s_wait_loadcnt 0x0
	v_readfirstlane_b32 s6, v2
	s_wait_alu 0xfffe
	s_and_b32 s8, 0xffff, s6
	s_mov_b32 s6, s71
	s_wait_alu 0xfffe
	s_lshl_b32 s86, s8, 2
	s_cmp_lg_u64 s[6:7], 0
	s_cbranch_scc0 .LBB6_97
; %bb.75:                               ;   in Loop: Header=BB6_32 Depth=1
	s_mov_b32 s87, s71
	s_wait_alu 0xfffe
	s_add_nc_u64 s[6:7], s[86:87], 0
	s_wait_alu 0xfffe
	s_xor_b64 s[6:7], s[6:7], 0
	s_wait_alu 0xfffe
	s_cvt_f32_u32 s8, s6
	s_cvt_f32_u32 s9, s7
	s_sub_nc_u64 s[10:11], 0, s[6:7]
	s_wait_alu 0xfffe
	s_delay_alu instid0(SALU_CYCLE_1) | instskip(SKIP_1) | instid1(SALU_CYCLE_2)
	s_fmamk_f32 s8, s9, 0x4f800000, s8
	s_wait_alu 0xfffe
	v_s_rcp_f32 s8, s8
	s_delay_alu instid0(TRANS32_DEP_1) | instskip(SKIP_1) | instid1(SALU_CYCLE_2)
	s_mul_f32 s8, s8, 0x5f7ffffc
	s_wait_alu 0xfffe
	s_mul_f32 s9, s8, 0x2f800000
	s_wait_alu 0xfffe
	s_delay_alu instid0(SALU_CYCLE_2) | instskip(SKIP_1) | instid1(SALU_CYCLE_2)
	s_trunc_f32 s9, s9
	s_wait_alu 0xfffe
	s_fmamk_f32 s8, s9, 0xcf800000, s8
	s_cvt_u32_f32 s9, s9
	s_wait_alu 0xfffe
	s_delay_alu instid0(SALU_CYCLE_1) | instskip(SKIP_1) | instid1(SALU_CYCLE_2)
	s_cvt_u32_f32 s8, s8
	s_wait_alu 0xfffe
	s_mul_u64 s[12:13], s[10:11], s[8:9]
	s_wait_alu 0xfffe
	s_mul_hi_u32 s15, s8, s13
	s_mul_i32 s14, s8, s13
	s_mul_hi_u32 s70, s8, s12
	s_mul_i32 s17, s9, s12
	s_wait_alu 0xfffe
	s_add_nc_u64 s[14:15], s[70:71], s[14:15]
	s_mul_hi_u32 s16, s9, s12
	s_mul_hi_u32 s18, s9, s13
	s_mul_i32 s12, s9, s13
	s_wait_alu 0xfffe
	s_add_co_u32 s13, s14, s17
	s_add_co_ci_u32 s70, s15, s16
	s_add_co_ci_u32 s13, s18, 0
	s_wait_alu 0xfffe
	s_add_nc_u64 s[12:13], s[70:71], s[12:13]
	s_wait_alu 0xfffe
	s_add_co_u32 s8, s8, s12
	s_cselect_b32 s12, -1, 0
	s_wait_alu 0xfffe
	s_cmp_lg_u32 s12, 0
	s_add_co_ci_u32 s9, s9, s13
	s_wait_alu 0xfffe
	s_mul_u64 s[10:11], s[10:11], s[8:9]
	s_wait_alu 0xfffe
	s_mul_hi_u32 s13, s8, s11
	s_mul_i32 s12, s8, s11
	s_mul_hi_u32 s70, s8, s10
	s_mul_i32 s15, s9, s10
	s_wait_alu 0xfffe
	s_add_nc_u64 s[12:13], s[70:71], s[12:13]
	s_mul_hi_u32 s14, s9, s10
	s_mul_hi_u32 s16, s9, s11
	s_mul_i32 s10, s9, s11
	s_wait_alu 0xfffe
	s_add_co_u32 s11, s12, s15
	s_add_co_ci_u32 s70, s13, s14
	s_add_co_ci_u32 s11, s16, 0
	s_wait_alu 0xfffe
	s_add_nc_u64 s[10:11], s[70:71], s[10:11]
	s_wait_alu 0xfffe
	s_add_co_u32 s14, s8, s10
	s_cselect_b32 s8, -1, 0
	s_wait_alu 0xfffe
	s_cmp_lg_u32 s8, 0
	s_add_co_ci_u32 s15, s9, s11
	s_ashr_i32 s8, s37, 31
	s_wait_alu 0xfffe
	s_mov_b32 s9, s8
	s_wait_alu 0xfffe
	s_add_nc_u64 s[10:11], s[36:37], s[8:9]
	s_wait_alu 0xfffe
	s_xor_b64 s[10:11], s[10:11], s[8:9]
	s_wait_alu 0xfffe
	s_mul_hi_u32 s13, s10, s15
	s_mul_i32 s12, s10, s15
	s_mul_hi_u32 s70, s10, s14
	s_mul_i32 s18, s11, s14
	s_wait_alu 0xfffe
	s_add_nc_u64 s[12:13], s[70:71], s[12:13]
	s_mul_hi_u32 s17, s11, s14
	s_mul_hi_u32 s16, s11, s15
	s_wait_alu 0xfffe
	s_add_co_u32 s12, s12, s18
	s_add_co_ci_u32 s70, s13, s17
	s_mul_i32 s14, s11, s15
	s_add_co_ci_u32 s15, s16, 0
	s_wait_alu 0xfffe
	s_add_nc_u64 s[12:13], s[70:71], s[14:15]
	s_wait_alu 0xfffe
	s_mul_u64 s[12:13], s[6:7], s[12:13]
	s_wait_alu 0xfffe
	s_sub_co_u32 s10, s10, s12
	s_cselect_b32 s12, -1, 0
	s_sub_co_i32 s14, s11, s13
	s_wait_alu 0xfffe
	s_cmp_lg_u32 s12, 0
	s_sub_co_ci_u32 s14, s14, s7
	s_sub_co_u32 s15, s10, s6
	s_cselect_b32 s16, -1, 0
	s_wait_alu 0xfffe
	s_cmp_lg_u32 s16, 0
	s_sub_co_ci_u32 s17, s14, 0
	s_wait_alu 0xfffe
	s_cmp_ge_u32 s17, s7
	s_cselect_b32 s18, -1, 0
	s_cmp_ge_u32 s15, s6
	s_cselect_b32 s19, -1, 0
	s_cmp_eq_u32 s17, s7
	s_wait_alu 0xfffe
	s_cselect_b32 s18, s19, s18
	s_cmp_lg_u32 s16, 0
	s_sub_co_ci_u32 s14, s14, s7
	s_sub_co_u32 s16, s15, s6
	s_cselect_b32 s19, -1, 0
	s_wait_alu 0xfffe
	s_cmp_lg_u32 s19, 0
	s_sub_co_ci_u32 s14, s14, 0
	s_cmp_lg_u32 s18, 0
	s_cselect_b32 s15, s16, s15
	s_wait_alu 0xfffe
	s_cselect_b32 s14, s14, s17
	s_cmp_lg_u32 s12, 0
	s_sub_co_ci_u32 s11, s11, s13
	s_wait_alu 0xfffe
	s_cmp_ge_u32 s11, s7
	s_cselect_b32 s12, -1, 0
	s_cmp_ge_u32 s10, s6
	s_cselect_b32 s6, -1, 0
	s_cmp_eq_u32 s11, s7
	s_wait_alu 0xfffe
	s_cselect_b32 s6, s6, s12
	s_wait_alu 0xfffe
	s_cmp_lg_u32 s6, 0
	s_cselect_b32 s7, s14, s11
	s_cselect_b32 s6, s15, s10
	s_wait_alu 0xfffe
	s_xor_b64 s[6:7], s[6:7], s[8:9]
	s_wait_alu 0xfffe
	s_sub_nc_u64 s[88:89], s[6:7], s[8:9]
	s_cbranch_execnz .LBB6_77
.LBB6_76:                               ;   in Loop: Header=BB6_32 Depth=1
	s_wait_alu 0xfffe
	v_cvt_f32_u32_e32 v4, s86
	s_sub_co_i32 s7, 0, s86
	s_delay_alu instid0(VALU_DEP_1) | instskip(NEXT) | instid1(TRANS32_DEP_1)
	v_rcp_iflag_f32_e32 v4, v4
	v_mul_f32_e32 v4, 0x4f7ffffe, v4
	s_delay_alu instid0(VALU_DEP_1) | instskip(NEXT) | instid1(VALU_DEP_1)
	v_cvt_u32_f32_e32 v4, v4
	v_readfirstlane_b32 s6, v4
	s_wait_alu 0xfffe
	s_mul_i32 s7, s7, s6
	s_wait_alu 0xfffe
	s_mul_hi_u32 s7, s6, s7
	s_wait_alu 0xfffe
	s_add_co_i32 s6, s6, s7
	s_wait_alu 0xfffe
	s_mul_hi_u32 s6, s36, s6
	s_wait_alu 0xfffe
	s_mul_i32 s6, s6, s86
	s_wait_alu 0xfffe
	s_sub_co_i32 s6, s36, s6
	s_wait_alu 0xfffe
	s_sub_co_i32 s7, s6, s86
	s_cmp_ge_u32 s6, s86
	s_wait_alu 0xfffe
	s_cselect_b32 s6, s7, s6
	s_wait_alu 0xfffe
	s_sub_co_i32 s7, s6, s86
	s_cmp_ge_u32 s6, s86
	s_wait_alu 0xfffe
	s_cselect_b32 s70, s7, s6
	s_wait_alu 0xfffe
	s_mov_b64 s[88:89], s[70:71]
.LBB6_77:                               ;   in Loop: Header=BB6_32 Depth=1
	v_mov_b32_e32 v4, 0
	v_dual_mov_b32 v8, 0 :: v_dual_mov_b32 v5, 0
	v_dual_mov_b32 v6, 0 :: v_dual_mov_b32 v9, 0
	;; [unrolled: 1-line block ×3, first 2 shown]
	v_dual_mov_b32 v11, 0 :: v_dual_and_b32 v2, 0xffff, v2
	s_wait_alu 0xfffe
	s_sub_nc_u64 s[90:91], s[36:37], s[88:89]
	s_mov_b32 s25, exec_lo
	s_wait_alu 0xfffe
	v_cmpx_gt_i64_e64 s[90:91], v[16:17]
	s_cbranch_execz .LBB6_81
; %bb.78:                               ;   in Loop: Header=BB6_32 Depth=1
	v_mul_lo_u32 v4, v2, s83
	v_mul_lo_u32 v5, 0, s82
	v_mul_hi_u32 v6, v2, s82
	v_mul_lo_u32 v45, v2, s82
	v_dual_mov_b32 v30, s74 :: v_dual_mov_b32 v33, v17
	v_mov_b32_e32 v32, v16
	s_mov_b64 s[92:93], 0
	v_dual_mov_b32 v31, s75 :: v_dual_add_nc_u32 v4, v4, v5
	s_mov_b32 s85, 0
	s_mov_b64 s[94:95], 0
	s_mov_b64 s[96:97], 0
	s_mov_b64 s[98:99], 0
	v_add_nc_u32_e32 v46, v4, v6
.LBB6_79:                               ;   Parent Loop BB6_32 Depth=1
                                        ; =>  This Inner Loop Header: Depth=2
	v_add_co_u32 v4, vcc_lo, v30, v26
	s_wait_alu 0xfffd
	v_add_co_ci_u32_e64 v5, null, v31, v27, vcc_lo
	global_load_u8 v6, v[4:5], off
	v_add_co_u32 v4, vcc_lo, v30, v25
	s_wait_alu 0xfffd
	v_add_co_ci_u32_e64 v5, null, v31, v38, vcc_lo
	global_load_u8 v7, v[4:5], off
	;; [unrolled: 4-line block ×4, first 2 shown]
	s_wait_loadcnt 0x3
	v_and_b32_e32 v5, v43, v6
	s_delay_alu instid0(VALU_DEP_1) | instskip(SKIP_2) | instid1(VALU_DEP_1)
	v_cmp_eq_u32_e32 vcc_lo, v5, v22
	s_wait_loadcnt 0x2
	v_and_b32_e32 v5, v43, v7
	v_cmp_eq_u32_e64 s6, v5, v22
	s_wait_loadcnt 0x1
	v_and_b32_e32 v5, v43, v8
	s_delay_alu instid0(VALU_DEP_1) | instskip(SKIP_3) | instid1(VALU_DEP_2)
	v_cmp_eq_u32_e64 s7, v5, v22
	s_wait_loadcnt 0x0
	v_and_b32_e32 v5, v43, v4
	v_bfe_u32 v4, v4, s67, 2
	v_cmp_eq_u32_e64 s8, v5, v22
	v_bfe_u32 v5, v6, s67, 2
	s_delay_alu instid0(VALU_DEP_3)
	v_cmp_eq_u32_e64 s21, 0, v4
	v_cmp_eq_u32_e64 s22, 1, v4
	;; [unrolled: 1-line block ×8, first 2 shown]
	v_bfe_u32 v5, v7, s67, 2
	s_and_b32 s9, vcc_lo, s9
	s_and_b32 s21, s8, s21
	s_wait_alu 0xfffe
	v_cndmask_b32_e64 v4, 0, 1, s9
	s_and_b32 s10, vcc_lo, s10
	v_cmp_eq_u32_e64 s13, 0, v5
	v_cmp_eq_u32_e64 s14, 1, v5
	v_cmp_eq_u32_e64 s15, 2, v5
	v_cmp_eq_u32_e64 s16, 3, v5
	v_bfe_u32 v5, v8, s67, 2
	s_and_b32 s13, s6, s13
	v_cmp_ne_u32_e64 s9, 0, v4
	s_wait_alu 0xfffe
	v_cndmask_b32_e64 v4, 0, 1, s13
	s_and_b32 s14, s6, s14
	v_cmp_eq_u32_e64 s17, 0, v5
	v_cmp_eq_u32_e64 s18, 1, v5
	s_and_b32 s22, s8, s22
	v_cmp_ne_u32_e64 s13, 0, v4
	s_and_b32 s11, vcc_lo, s11
	s_and_b32 s17, s7, s17
	s_and_b32 s18, s7, s18
	s_wait_alu 0xfffe
	v_cndmask_b32_e64 v4, 0, 1, s17
	v_cmp_eq_u32_e64 s19, 2, v5
	s_and_b32 s15, s6, s15
	s_and_b32 s23, s8, s23
	s_and_b32 s12, vcc_lo, s12
	v_cmp_ne_u32_e64 s17, 0, v4
	v_cndmask_b32_e64 v4, 0, 1, s21
	s_and_b32 s19, s7, s19
	v_cmp_eq_u32_e64 s20, 3, v5
	s_and_b32 s6, s6, s16
	s_and_b32 s8, s8, s24
	v_cmp_ne_u32_e64 s21, 0, v4
	v_cndmask_b32_e64 v4, 0, 1, s10
	s_and_b32 s7, s7, s20
	v_add_co_u32 v30, s16, v30, v45
	s_bcnt1_i32_b32 s9, s9
	v_cmp_ne_u32_e64 s10, 0, v4
	v_cndmask_b32_e64 v4, 0, 1, s14
	s_bcnt1_i32_b32 s13, s13
	v_add_co_ci_u32_e64 v31, null, v31, v46, s16
	s_bcnt1_i32_b32 s16, s17
	v_cmp_ne_u32_e64 s14, 0, v4
	v_cndmask_b32_e64 v4, 0, 1, s18
	s_bcnt1_i32_b32 s10, s10
	s_wait_alu 0xfffe
	s_add_co_i32 s9, s13, s9
	s_bcnt1_i32_b32 s17, s21
	s_bcnt1_i32_b32 s14, s14
	v_cmp_ne_u32_e64 s18, 0, v4
	v_cndmask_b32_e64 v4, 0, 1, s22
	s_wait_alu 0xfffe
	s_add_co_i32 s10, s14, s10
	s_add_co_i32 s9, s9, s16
	s_bcnt1_i32_b32 s18, s18
	v_cmp_ne_u32_e64 s22, 0, v4
	v_cndmask_b32_e64 v4, 0, 1, s11
	s_wait_alu 0xfffe
	s_add_co_i32 s10, s10, s18
	s_add_co_i32 s70, s9, s17
	s_bcnt1_i32_b32 s20, s22
	v_cmp_ne_u32_e64 s11, 0, v4
	v_cndmask_b32_e64 v4, 0, 1, s15
	s_wait_alu 0xfffe
	s_add_nc_u64 s[98:99], s[98:99], s[70:71]
	s_add_co_i32 s70, s10, s20
	s_bcnt1_i32_b32 s11, s11
	v_cmp_ne_u32_e64 s15, 0, v4
	v_cndmask_b32_e64 v4, 0, 1, s19
	s_wait_alu 0xfffe
	s_add_nc_u64 s[96:97], s[96:97], s[70:71]
	s_wait_alu 0xfffe
	v_mov_b32_e32 v6, s96
	s_bcnt1_i32_b32 s15, s15
	v_cmp_ne_u32_e64 s19, 0, v4
	v_cndmask_b32_e64 v4, 0, 1, s23
	s_wait_alu 0xfffe
	s_add_co_i32 s11, s15, s11
	v_mov_b32_e32 v7, s97
	s_bcnt1_i32_b32 s19, s19
	v_cmp_ne_u32_e64 s23, 0, v4
	v_cndmask_b32_e64 v4, 0, 1, s12
	v_add_co_u32 v32, s12, v32, s86
	s_wait_alu 0xfffe
	s_add_co_i32 s11, s11, s19
	s_bcnt1_i32_b32 s21, s23
	v_cmp_ne_u32_e32 vcc_lo, 0, v4
	v_cndmask_b32_e64 v4, 0, 1, s6
	v_add_co_ci_u32_e64 v33, null, 0, v33, s12
	s_wait_alu 0xfffe
	s_add_co_i32 s70, s11, s21
	s_bcnt1_i32_b32 s22, vcc_lo
	v_cmp_ne_u32_e64 s6, 0, v4
	v_cndmask_b32_e64 v4, 0, 1, s7
	s_wait_alu 0xfffe
	s_add_nc_u64 s[94:95], s[94:95], s[70:71]
	v_cmp_le_i64_e64 s12, s[90:91], v[32:33]
	s_wait_alu 0xfffe
	v_mov_b32_e32 v8, s94
	s_bcnt1_i32_b32 s6, s6
	v_cmp_ne_u32_e64 s7, 0, v4
	v_cndmask_b32_e64 v4, 0, 1, s8
	s_wait_alu 0xfffe
	s_add_co_i32 s6, s6, s22
	v_mov_b32_e32 v9, s95
	s_bcnt1_i32_b32 s7, s7
	v_cmp_ne_u32_e64 s8, 0, v4
	s_wait_alu 0xfffe
	s_add_co_i32 s6, s6, s7
	v_dual_mov_b32 v4, s98 :: v_dual_mov_b32 v5, s99
	s_bcnt1_i32_b32 s8, s8
	s_wait_alu 0xfffe
	s_add_co_i32 s70, s6, s8
	s_or_b32 s85, s12, s85
	s_wait_alu 0xfffe
	s_add_nc_u64 s[92:93], s[92:93], s[70:71]
	s_wait_alu 0xfffe
	v_dual_mov_b32 v10, s92 :: v_dual_mov_b32 v11, s93
	s_and_not1_b32 exec_lo, exec_lo, s85
	s_cbranch_execnz .LBB6_79
; %bb.80:                               ;   in Loop: Header=BB6_32 Depth=1
	s_or_b32 exec_lo, exec_lo, s85
.LBB6_81:                               ;   in Loop: Header=BB6_32 Depth=1
	s_wait_alu 0xfffe
	s_or_b32 exec_lo, exec_lo, s25
	v_add_co_u32 v30, s6, s90, v0
	s_wait_alu 0xf1ff
	v_add_co_ci_u32_e64 v31, null, s91, 0, s6
	s_mov_b32 s9, exec_lo
	v_cmpx_gt_i64_e64 s[36:37], v[30:31]
	s_cbranch_execz .LBB6_87
; %bb.82:                               ;   in Loop: Header=BB6_32 Depth=1
	v_mad_co_u64_u32 v[32:33], null, v30, s42, s[74:75]
	v_mul_lo_u32 v45, v30, s43
	v_mul_lo_u32 v46, v31, s42
	v_mul_hi_u32 v49, v2, s42
	s_mov_b32 s10, 0
	s_delay_alu instid0(VALU_DEP_2)
	v_add3_u32 v33, v46, v33, v45
	v_mul_lo_u32 v45, v2, s43
	global_load_u8 v48, v[32:33], off
	v_add_co_u32 v32, vcc_lo, v39, v2
	s_wait_alu 0xfffd
	v_add_co_ci_u32_e64 v33, null, 0, v40, vcc_lo
	v_add_nc_u32_e32 v50, v45, v42
	s_delay_alu instid0(VALU_DEP_3) | instskip(SKIP_1) | instid1(VALU_DEP_3)
	v_sub_co_u32 v32, vcc_lo, v32, s88
	s_wait_alu 0xfffd
	v_subrev_co_ci_u32_e64 v33, null, s89, v33, vcc_lo
	v_mul_lo_u32 v45, v2, s42
	s_delay_alu instid0(VALU_DEP_3) | instskip(NEXT) | instid1(VALU_DEP_3)
	v_mul_lo_u32 v47, s43, v32
	v_mul_lo_u32 v46, s42, v33
	v_mad_co_u64_u32 v[32:33], null, s42, v32, s[80:81]
	s_delay_alu instid0(VALU_DEP_1)
	v_add3_u32 v33, v47, v33, v46
	v_add_nc_u32_e32 v46, v50, v49
	s_branch .LBB6_84
.LBB6_83:                               ;   in Loop: Header=BB6_84 Depth=2
	s_wait_alu 0xfffe
	s_or_b32 exec_lo, exec_lo, s7
	s_wait_loadcnt 0x0
	v_and_b32_e32 v48, 0xff, v48
	s_and_b32 s8, exec_lo, vcc_lo
	s_wait_alu 0xfffe
	s_or_b32 s10, s8, s10
	s_delay_alu instid0(VALU_DEP_1) | instskip(SKIP_1) | instid1(VALU_DEP_2)
	v_and_b32_e32 v49, v43, v48
	v_bfe_u32 v48, v48, s67, 2
	v_cmp_eq_u32_e64 s6, v49, v22
	s_delay_alu instid0(VALU_DEP_2)
	v_cmp_eq_u32_e64 s7, 0, v48
	v_cmp_eq_u32_e32 vcc_lo, 1, v48
	v_cmp_eq_u32_e64 s8, 2, v48
	s_and_b32 s7, s6, s7
	s_wait_alu 0xfffe
	v_cndmask_b32_e64 v49, 0, 1, s7
	s_and_b32 s7, s6, vcc_lo
	v_cmp_eq_u32_e32 vcc_lo, 3, v48
	s_wait_alu 0xfffe
	v_cndmask_b32_e64 v50, 0, 1, s7
	s_and_b32 s7, s6, s8
	s_wait_alu 0xfffe
	v_cndmask_b32_e64 v48, 0, 1, s7
	v_cmp_ne_u32_e64 s7, 0, v49
	v_cmp_ne_u32_e64 s8, 0, v50
	s_and_b32 s6, s6, vcc_lo
	s_wait_alu 0xfffe
	v_cndmask_b32_e64 v49, 0, 1, s6
	s_bcnt1_i32_b32 s6, s7
	v_cmp_ne_u32_e32 vcc_lo, 0, v48
	s_bcnt1_i32_b32 s7, s8
	s_wait_alu 0xfffe
	v_add_co_u32 v4, s6, v4, s6
	s_wait_alu 0xf1ff
	v_add_co_ci_u32_e64 v5, null, 0, v5, s6
	v_add_co_u32 v6, s6, v6, s7
	s_wait_alu 0xf1ff
	v_add_co_ci_u32_e64 v7, null, 0, v7, s6
	s_bcnt1_i32_b32 s6, vcc_lo
	v_cmp_ne_u32_e32 vcc_lo, 0, v49
	s_wait_alu 0xfffe
	v_add_co_u32 v8, s6, v8, s6
	s_wait_alu 0xf1ff
	v_add_co_ci_u32_e64 v9, null, 0, v9, s6
	s_bcnt1_i32_b32 s6, vcc_lo
	v_mov_b32_e32 v48, v47
	s_wait_alu 0xfffe
	v_add_co_u32 v10, vcc_lo, v10, s6
	s_wait_alu 0xfffd
	v_add_co_ci_u32_e64 v11, null, 0, v11, vcc_lo
	v_add_co_u32 v32, vcc_lo, v32, v45
	s_wait_alu 0xfffd
	v_add_co_ci_u32_e64 v33, null, v33, v46, vcc_lo
	s_and_not1_b32 exec_lo, exec_lo, s10
	s_cbranch_execz .LBB6_86
.LBB6_84:                               ;   Parent Loop BB6_32 Depth=1
                                        ; =>  This Inner Loop Header: Depth=2
	v_add_co_u32 v30, vcc_lo, v30, v2
	s_wait_alu 0xfffd
	v_add_co_ci_u32_e64 v31, null, 0, v31, vcc_lo
	v_mov_b32_e32 v47, 0
	s_mov_b32 s7, exec_lo
	s_delay_alu instid0(VALU_DEP_2)
	v_cmp_le_i64_e32 vcc_lo, s[36:37], v[30:31]
	v_cmpx_gt_i64_e64 s[36:37], v[30:31]
	s_cbranch_execz .LBB6_83
; %bb.85:                               ;   in Loop: Header=BB6_84 Depth=2
	global_load_u8 v47, v[32:33], off
	s_branch .LBB6_83
.LBB6_86:                               ;   in Loop: Header=BB6_32 Depth=1
	s_or_b32 exec_lo, exec_lo, s10
.LBB6_87:                               ;   in Loop: Header=BB6_32 Depth=1
	s_wait_alu 0xfffe
	s_or_b32 exec_lo, exec_lo, s9
	s_branch .LBB6_66
.LBB6_88:                               ;   in Loop: Header=BB6_32 Depth=1
	global_load_u16 v2, v3, s[38:39]
	v_mov_b32_e32 v6, 0
	v_mov_b32_e32 v8, 0
	v_dual_mov_b32 v10, 0 :: v_dual_mov_b32 v9, 0
	v_mov_b32_e32 v11, 0
	s_mov_b32 s96, exec_lo
	v_mov_b32_e32 v7, 0
	s_wait_loadcnt 0x0
	v_readfirstlane_b32 s6, v2
	v_and_b32_e32 v2, 0xffff, v2
	s_and_b32 s85, 0xffff, s6
	s_wait_alu 0xfffe
	s_lshl_b32 s95, s85, 2
	s_wait_alu 0xfffe
	s_cvt_f32_u32 s6, s95
	s_sub_co_i32 s7, 0, s95
	s_wait_alu 0xfffe
	s_delay_alu instid0(SALU_CYCLE_1) | instskip(NEXT) | instid1(TRANS32_DEP_1)
	v_rcp_iflag_f32_e32 v4, s6
	v_readfirstlane_b32 s6, v4
	s_mul_f32 s6, s6, 0x4f7ffffe
	s_wait_alu 0xfffe
	s_delay_alu instid0(SALU_CYCLE_2) | instskip(SKIP_1) | instid1(SALU_CYCLE_2)
	s_cvt_u32_f32 s6, s6
	s_wait_alu 0xfffe
	s_mul_i32 s7, s7, s6
	s_wait_alu 0xfffe
	s_mul_hi_u32 s7, s6, s7
	s_wait_alu 0xfffe
	s_add_co_i32 s6, s6, s7
	s_wait_alu 0xfffe
	s_mul_hi_u32 s6, s84, s6
	s_wait_alu 0xfffe
	s_mul_i32 s7, s6, s95
	s_add_co_i32 s8, s6, 1
	s_wait_alu 0xfffe
	s_sub_co_i32 s7, s84, s7
	s_wait_alu 0xfffe
	s_sub_co_i32 s9, s7, s95
	s_cmp_ge_u32 s7, s95
	s_cselect_b32 s6, s8, s6
	s_wait_alu 0xfffe
	s_cselect_b32 s7, s9, s7
	s_add_co_i32 s8, s6, 1
	s_wait_alu 0xfffe
	s_cmp_ge_u32 s7, s95
	s_cselect_b32 s94, s8, s6
	s_wait_alu 0xfffe
	v_mul_hi_u32 v5, s94, v2
	v_mul_lo_u32 v4, s94, v2
	s_delay_alu instid0(VALU_DEP_1) | instskip(SKIP_2) | instid1(VALU_DEP_3)
	v_lshlrev_b64_e32 v[30:31], 2, v[4:5]
	v_mov_b32_e32 v4, 0
	v_mov_b32_e32 v5, 0
	v_cmpx_gt_u64_e64 v[30:31], v[16:17]
	s_cbranch_execz .LBB6_92
; %bb.89:                               ;   in Loop: Header=BB6_32 Depth=1
	v_mov_b32_e32 v33, v17
	v_dual_mov_b32 v45, v16 :: v_dual_mov_b32 v32, v16
	s_mov_b64 s[86:87], 0
	s_mov_b32 s97, 0
	s_mov_b64 s[88:89], 0
	s_mov_b64 s[90:91], 0
	;; [unrolled: 1-line block ×3, first 2 shown]
.LBB6_90:                               ;   Parent Loop BB6_32 Depth=1
                                        ; =>  This Inner Loop Header: Depth=2
	ds_load_b32 v4, v45
	v_add_co_u32 v32, vcc_lo, v32, s95
	s_wait_alu 0xfffd
	v_add_co_ci_u32_e64 v33, null, 0, v33, vcc_lo
	s_delay_alu instid0(VALU_DEP_1)
	v_cmp_ge_u64_e32 vcc_lo, v[32:33], v[30:31]
	s_wait_dscnt 0x0
	v_and_b32_e32 v5, 0xff, v4
	v_bfe_u32 v6, v4, 8, 8
	v_bfe_u32 v7, v4, 16, 8
	v_lshrrev_b32_e32 v4, 24, v4
	s_delay_alu instid0(VALU_DEP_4) | instskip(NEXT) | instid1(VALU_DEP_4)
	v_and_b32_e32 v8, v43, v5
	v_and_b32_e32 v9, v43, v6
	v_bfe_u32 v5, v5, s67, 2
	v_bfe_u32 v6, v6, s67, 2
	s_delay_alu instid0(VALU_DEP_4)
	v_cmp_eq_u32_e64 s6, v8, v22
	v_and_b32_e32 v8, v43, v7
	v_bfe_u32 v7, v7, s67, 2
	v_cmp_eq_u32_e64 s7, v9, v22
	v_and_b32_e32 v9, v43, v4
	v_bfe_u32 v4, v4, s67, 2
	v_cmp_eq_u32_e64 s10, 0, v5
	v_cmp_eq_u32_e64 s11, 0, v6
	;; [unrolled: 1-line block ×9, first 2 shown]
	s_and_b32 s10, s6, s10
	s_and_b32 s11, s7, s11
	v_cmp_eq_u32_e64 s15, 1, v6
	v_cmp_eq_u32_e64 s18, 2, v5
	;; [unrolled: 1-line block ×7, first 2 shown]
	s_and_b32 s12, s8, s12
	s_wait_alu 0xfffe
	v_cndmask_b32_e64 v4, 0, 1, s10
	v_cndmask_b32_e64 v5, 0, 1, s11
	s_and_b32 s13, s9, s13
	v_cmp_eq_u32_e64 s20, 2, v7
	v_cmp_eq_u32_e64 s24, 3, v7
	v_cndmask_b32_e64 v6, 0, 1, s12
	s_and_b32 s14, s6, s14
	s_and_b32 s16, s8, s16
	;; [unrolled: 1-line block ×3, first 2 shown]
	s_wait_alu 0xfffe
	v_cndmask_b32_e64 v7, 0, 1, s13
	s_and_b32 s15, s7, s15
	s_and_b32 s18, s6, s18
	;; [unrolled: 1-line block ×5, first 2 shown]
	v_cndmask_b32_e64 v8, 0, 1, s14
	v_cmp_ne_u32_e64 s6, 0, v4
	v_cndmask_b32_e64 v4, 0, 1, s16
	v_cmp_ne_u32_e64 s7, 0, v5
	v_cndmask_b32_e64 v5, 0, 1, s17
	s_wait_alu 0xfffe
	v_cndmask_b32_e64 v9, 0, 1, s15
	s_and_b32 s20, s8, s20
	s_and_b32 s24, s8, s24
	v_cmp_ne_u32_e64 s8, 0, v6
	v_cndmask_b32_e64 v6, 0, 1, s18
	s_and_b32 s21, s9, s21
	s_and_b32 s25, s9, s25
	v_cmp_ne_u32_e64 s9, 0, v7
	v_cndmask_b32_e64 v7, 0, 1, s19
	v_cmp_ne_u32_e64 s10, 0, v8
	s_wait_alu 0xfffe
	v_cndmask_b32_e64 v8, 0, 1, s20
	v_cmp_ne_u32_e64 s12, 0, v4
	v_cndmask_b32_e64 v4, 0, 1, s22
	v_cmp_ne_u32_e64 s13, 0, v5
	;; [unrolled: 2-line block ×5, first 2 shown]
	v_cndmask_b32_e64 v7, 0, 1, s25
	s_bcnt1_i32_b32 s6, s6
	s_bcnt1_i32_b32 s7, s7
	v_cmp_ne_u32_e64 s16, 0, v8
	v_cmp_ne_u32_e64 s18, 0, v4
	;; [unrolled: 1-line block ×3, first 2 shown]
	s_bcnt1_i32_b32 s8, s8
	s_bcnt1_i32_b32 s10, s10
	;; [unrolled: 1-line block ×3, first 2 shown]
	s_wait_alu 0xfffe
	s_add_co_i32 s6, s7, s6
	v_cmp_ne_u32_e64 s17, 0, v9
	v_cmp_ne_u32_e64 s20, 0, v6
	s_bcnt1_i32_b32 s9, s9
	s_bcnt1_i32_b32 s12, s12
	;; [unrolled: 1-line block ×4, first 2 shown]
	s_add_co_i32 s7, s11, s10
	s_wait_alu 0xfffe
	s_add_co_i32 s6, s6, s8
	v_cmp_ne_u32_e64 s21, 0, v7
	s_bcnt1_i32_b32 s13, s13
	s_bcnt1_i32_b32 s16, s16
	;; [unrolled: 1-line block ×4, first 2 shown]
	s_add_co_i32 s10, s15, s14
	s_add_co_i32 s7, s7, s12
	s_wait_alu 0xfffe
	s_add_co_i32 s70, s6, s9
	s_bcnt1_i32_b32 s17, s17
	s_bcnt1_i32_b32 s20, s20
	s_add_co_i32 s11, s19, s18
	s_add_co_i32 s8, s10, s16
	s_wait_alu 0xfffe
	s_add_nc_u64 s[92:93], s[92:93], s[70:71]
	s_add_co_i32 s70, s7, s13
	s_bcnt1_i32_b32 s21, s21
	s_add_co_i32 s10, s11, s20
	s_wait_alu 0xfffe
	s_add_nc_u64 s[90:91], s[90:91], s[70:71]
	s_add_co_i32 s70, s8, s17
	v_dual_mov_b32 v4, s92 :: v_dual_add_nc_u32 v45, s95, v45
	s_wait_alu 0xfffe
	s_add_nc_u64 s[88:89], s[88:89], s[70:71]
	s_add_co_i32 s70, s10, s21
	v_mov_b32_e32 v6, s90
	s_wait_alu 0xfffe
	s_add_nc_u64 s[86:87], s[86:87], s[70:71]
	s_wait_alu 0xfffe
	v_dual_mov_b32 v5, s93 :: v_dual_mov_b32 v10, s86
	v_dual_mov_b32 v7, s91 :: v_dual_mov_b32 v8, s88
	v_mov_b32_e32 v9, s89
	v_mov_b32_e32 v11, s87
	s_or_b32 s97, vcc_lo, s97
	s_wait_alu 0xfffe
	s_and_not1_b32 exec_lo, exec_lo, s97
	s_cbranch_execnz .LBB6_90
; %bb.91:                               ;   in Loop: Header=BB6_32 Depth=1
	s_or_b32 exec_lo, exec_lo, s97
.LBB6_92:                               ;   in Loop: Header=BB6_32 Depth=1
	s_delay_alu instid0(SALU_CYCLE_1)
	s_or_b32 exec_lo, exec_lo, s96
	v_add_co_u32 v30, vcc_lo, v30, v0
	s_wait_alu 0xfffd
	v_add_co_ci_u32_e64 v31, null, 0, v31, vcc_lo
	s_and_b32 s70, s84, 0x7fffffff
	s_mov_b32 s11, exec_lo
	s_wait_alu 0xfffe
	v_cmpx_gt_u64_e64 s[70:71], v[30:31]
	s_cbranch_execz .LBB6_96
; %bb.93:                               ;   in Loop: Header=BB6_32 Depth=1
	s_mul_i32 s94, s94, s85
	s_mov_b32 s12, 0
	s_wait_alu 0xfffe
	v_lshl_add_u32 v32, s94, 2, v0
.LBB6_94:                               ;   Parent Loop BB6_32 Depth=1
                                        ; =>  This Inner Loop Header: Depth=2
	ds_load_u8 v33, v32
	v_add_co_u32 v30, vcc_lo, v30, v2
	s_wait_alu 0xfffd
	v_add_co_ci_u32_e64 v31, null, 0, v31, vcc_lo
	v_add_nc_u32_e32 v32, s85, v32
	s_delay_alu instid0(VALU_DEP_2) | instskip(SKIP_3) | instid1(VALU_DEP_2)
	v_cmp_le_u64_e32 vcc_lo, s[70:71], v[30:31]
	s_wait_dscnt 0x0
	v_and_b32_e32 v45, v43, v33
	v_bfe_u32 v33, v33, s67, 2
	v_cmp_eq_u32_e64 s6, v45, v22
	s_delay_alu instid0(VALU_DEP_2)
	v_cmp_eq_u32_e64 s7, 0, v33
	v_cmp_eq_u32_e64 s8, 1, v33
	;; [unrolled: 1-line block ×4, first 2 shown]
	s_and_b32 s7, s6, s7
	s_wait_alu 0xfffe
	v_cndmask_b32_e64 v33, 0, 1, s7
	s_and_b32 s7, s6, s8
	s_wait_alu 0xfffe
	v_cndmask_b32_e64 v45, 0, 1, s7
	s_and_b32 s7, s6, s9
	s_and_b32 s6, s6, s10
	s_wait_alu 0xfffe
	v_cndmask_b32_e64 v46, 0, 1, s7
	v_cndmask_b32_e64 v47, 0, 1, s6
	v_cmp_ne_u32_e64 s6, 0, v33
	v_cmp_ne_u32_e64 s7, 0, v45
	s_delay_alu instid0(VALU_DEP_4) | instskip(NEXT) | instid1(VALU_DEP_4)
	v_cmp_ne_u32_e64 s8, 0, v46
	v_cmp_ne_u32_e64 s9, 0, v47
	s_bcnt1_i32_b32 s6, s6
	s_bcnt1_i32_b32 s7, s7
	s_wait_alu 0xfffe
	v_add_co_u32 v4, s6, v4, s6
	s_bcnt1_i32_b32 s8, s8
	v_add_co_ci_u32_e64 v5, null, 0, v5, s6
	v_add_co_u32 v6, s6, v6, s7
	s_bcnt1_i32_b32 s9, s9
	v_add_co_ci_u32_e64 v7, null, 0, v7, s6
	s_wait_alu 0xfffe
	v_add_co_u32 v8, s6, v8, s8
	s_wait_alu 0xf1ff
	v_add_co_ci_u32_e64 v9, null, 0, v9, s6
	v_add_co_u32 v10, s6, v10, s9
	s_wait_alu 0xf1ff
	v_add_co_ci_u32_e64 v11, null, 0, v11, s6
	s_or_b32 s12, vcc_lo, s12
	s_wait_alu 0xfffe
	s_and_not1_b32 exec_lo, exec_lo, s12
	s_cbranch_execnz .LBB6_94
; %bb.95:                               ;   in Loop: Header=BB6_32 Depth=1
	s_or_b32 exec_lo, exec_lo, s12
.LBB6_96:                               ;   in Loop: Header=BB6_32 Depth=1
	s_delay_alu instid0(SALU_CYCLE_1)
	s_or_b32 exec_lo, exec_lo, s11
	s_lshl_b32 s6, s50, 7
	s_and_saveexec_b32 s7, s1
	s_cbranch_execnz .LBB6_67
	s_branch .LBB6_68
.LBB6_97:                               ;   in Loop: Header=BB6_32 Depth=1
                                        ; implicit-def: $sgpr88_sgpr89
	s_branch .LBB6_76
.LBB6_98:                               ;   in Loop: Header=BB6_32 Depth=1
	s_or_b32 exec_lo, exec_lo, s9
	s_wait_dscnt 0x0
	s_barrier_signal -1
	s_barrier_wait -1
	global_inv scope:SCOPE_SE
	s_and_saveexec_b32 s6, s2
	s_cbranch_execz .LBB6_100
; %bb.99:                               ;   in Loop: Header=BB6_32 Depth=1
	ds_load_b32 v4, v3 offset:5136
	s_wait_dscnt 0x0
	v_ashrrev_i32_e32 v5, 31, v4
	ds_store_b64 v3, v[4:5] offset:5120
.LBB6_100:                              ;   in Loop: Header=BB6_32 Depth=1
	s_wait_alu 0xfffe
	s_or_b32 exec_lo, exec_lo, s6
	s_wait_loadcnt_dscnt 0x0
	s_barrier_signal -1
	s_mov_b32 s6, -1
	s_barrier_wait -1
	s_and_b32 vcc_lo, exec_lo, s8
	s_wait_alu 0xfffe
	s_cbranch_vccnz .LBB6_47
	s_branch .LBB6_62
.LBB6_101:                              ;   in Loop: Header=BB6_32 Depth=1
	s_mov_b32 s8, 0
	s_and_not1_b32 vcc_lo, exec_lo, s48
	s_wait_alu 0xfffe
	s_cbranch_vccnz .LBB6_104
.LBB6_102:                              ;   in Loop: Header=BB6_32 Depth=1
	s_lshl_b32 s9, s50, 10
	s_lshl_b32 s8, s8, 5
	s_wait_alu 0xfffe
	v_add3_u32 v2, s9, s8, v41
	s_mov_b32 s8, s65
.LBB6_103:                              ;   Parent Loop BB6_32 Depth=1
                                        ; =>  This Inner Loop Header: Depth=2
	ds_load_b64 v[6:7], v2
	v_add_nc_u32_e32 v2, 32, v2
	s_wait_alu 0xfffe
	s_add_co_i32 s8, s8, -1
	s_wait_alu 0xfffe
	s_cmp_lg_u32 s8, 0
	s_wait_dscnt 0x0
	v_add_co_u32 v4, vcc_lo, v6, v4
	s_wait_alu 0xfffd
	v_add_co_ci_u32_e64 v5, null, v7, v5, vcc_lo
	s_cbranch_scc1 .LBB6_103
.LBB6_104:                              ;   in Loop: Header=BB6_32 Depth=1
	v_add_lshl_u32 v2, s6, v34, 3
	ds_store_b64 v2, v[4:5] offset:3072
.LBB6_105:                              ;   in Loop: Header=BB6_32 Depth=1
	s_wait_alu 0xfffe
	s_or_b32 exec_lo, exec_lo, s7
	s_lshl_b32 s6, s6, 3
	s_wait_loadcnt_dscnt 0x0
	s_wait_alu 0xfffe
	v_mov_b32_e32 v2, s6
	s_barrier_signal -1
	s_barrier_wait -1
	global_inv scope:SCOPE_SE
	v_cmp_eq_u64_e32 vcc_lo, 1, v[28:29]
	ds_load_b128 v[4:7], v2 offset:3072
	ds_load_b128 v[8:11], v2 offset:3088
	s_lshl_b32 s16, 3, s67
	s_mov_b32 s18, -1
	s_wait_alu 0xfffe
	s_not_b32 s20, s16
                                        ; implicit-def: $sgpr22
                                        ; implicit-def: $sgpr21
	s_wait_dscnt 0x1
	v_cmp_eq_u64_e64 s6, 1, v[4:5]
	s_wait_dscnt 0x0
	v_readfirstlane_b32 s10, v8
	v_readfirstlane_b32 s11, v9
	;; [unrolled: 1-line block ×4, first 2 shown]
	s_and_b32 s19, s6, vcc_lo
	s_mov_b32 s6, -1
	s_wait_alu 0xfffe
	s_and_saveexec_b32 s17, s19
	s_cbranch_execz .LBB6_137
; %bb.106:                              ;   in Loop: Header=BB6_32 Depth=1
	ds_load_b64 v[8:9], v3 offset:5120
	s_wait_loadcnt_dscnt 0x0
	s_barrier_signal -1
	s_barrier_wait -1
	global_inv scope:SCOPE_SE
	v_readfirstlane_b32 s12, v8
	v_readfirstlane_b32 s13, v9
	s_and_saveexec_b32 s6, s3
; %bb.107:                              ;   in Loop: Header=BB6_32 Depth=1
	ds_store_b8 v0, v3 offset:3072
; %bb.108:                              ;   in Loop: Header=BB6_32 Depth=1
	s_wait_alu 0xfffe
	s_or_b32 exec_lo, exec_lo, s6
	v_cmp_lt_i64_e64 s6, s[12:13], 1
	v_and_b32_e32 v22, s20, v22
	v_or_b32_e32 v43, s16, v43
	s_mov_b32 s21, -1
	s_mov_b32 s22, 0
	s_mov_b32 s23, 0
	s_and_b32 vcc_lo, exec_lo, s6
	s_mov_b32 s7, -1
	s_wait_loadcnt_dscnt 0x0
	s_barrier_signal -1
	s_barrier_wait -1
	global_inv scope:SCOPE_SE
                                        ; implicit-def: $vgpr44
	s_wait_alu 0xfffe
	s_cbranch_vccz .LBB6_122
; %bb.109:                              ;   in Loop: Header=BB6_32 Depth=1
	s_mov_b32 s6, s71
	s_mov_b32 s7, s79
	s_wait_alu 0xfffe
	s_cmp_lg_u64 s[6:7], 0
	s_cbranch_scc0 .LBB6_163
; %bb.110:                              ;   in Loop: Header=BB6_32 Depth=1
	s_add_nc_u64 s[6:7], s[68:69], 0
	s_wait_alu 0xfffe
	s_xor_b64 s[6:7], s[6:7], 0
	s_wait_alu 0xfffe
	s_cvt_f32_u32 s14, s6
	s_cvt_f32_u32 s15, s7
	s_sub_nc_u64 s[24:25], 0, s[6:7]
	s_wait_alu 0xfffe
	s_delay_alu instid0(SALU_CYCLE_1) | instskip(SKIP_1) | instid1(SALU_CYCLE_2)
	s_fmamk_f32 s14, s15, 0x4f800000, s14
	s_wait_alu 0xfffe
	v_s_rcp_f32 s14, s14
	s_delay_alu instid0(TRANS32_DEP_1) | instskip(SKIP_1) | instid1(SALU_CYCLE_2)
	s_mul_f32 s14, s14, 0x5f7ffffc
	s_wait_alu 0xfffe
	s_mul_f32 s15, s14, 0x2f800000
	s_wait_alu 0xfffe
	s_delay_alu instid0(SALU_CYCLE_2) | instskip(SKIP_1) | instid1(SALU_CYCLE_2)
	s_trunc_f32 s15, s15
	s_wait_alu 0xfffe
	s_fmamk_f32 s14, s15, 0xcf800000, s14
	s_cvt_u32_f32 s15, s15
	s_wait_alu 0xfffe
	s_delay_alu instid0(SALU_CYCLE_1) | instskip(SKIP_1) | instid1(SALU_CYCLE_2)
	s_cvt_u32_f32 s14, s14
	s_wait_alu 0xfffe
	s_mul_u64 s[84:85], s[24:25], s[14:15]
	s_wait_alu 0xfffe
	s_mul_hi_u32 s87, s14, s85
	s_mul_i32 s86, s14, s85
	s_mul_hi_u32 s70, s14, s84
	s_mul_i32 s88, s15, s84
	s_wait_alu 0xfffe
	s_add_nc_u64 s[86:87], s[70:71], s[86:87]
	s_mul_hi_u32 s23, s15, s84
	s_mul_hi_u32 s89, s15, s85
	s_wait_alu 0xfffe
	s_add_co_u32 s70, s86, s88
	s_add_co_ci_u32 s70, s87, s23
	s_mul_i32 s84, s15, s85
	s_add_co_ci_u32 s85, s89, 0
	s_wait_alu 0xfffe
	s_add_nc_u64 s[84:85], s[70:71], s[84:85]
	s_wait_alu 0xfffe
	s_add_co_u32 s14, s14, s84
	s_cselect_b32 s23, -1, 0
	s_wait_alu 0xfffe
	s_cmp_lg_u32 s23, 0
	s_add_co_ci_u32 s15, s15, s85
	s_wait_alu 0xfffe
	s_mul_u64 s[24:25], s[24:25], s[14:15]
	s_wait_alu 0xfffe
	s_mul_hi_u32 s85, s14, s25
	s_mul_i32 s84, s14, s25
	s_mul_hi_u32 s70, s14, s24
	s_mul_i32 s86, s15, s24
	s_wait_alu 0xfffe
	s_add_nc_u64 s[84:85], s[70:71], s[84:85]
	s_mul_hi_u32 s23, s15, s24
	s_mul_hi_u32 s87, s15, s25
	s_mul_i32 s24, s15, s25
	s_wait_alu 0xfffe
	s_add_co_u32 s25, s84, s86
	s_add_co_ci_u32 s70, s85, s23
	s_add_co_ci_u32 s25, s87, 0
	s_wait_alu 0xfffe
	s_add_nc_u64 s[24:25], s[70:71], s[24:25]
	s_wait_alu 0xfffe
	s_add_co_u32 s23, s14, s24
	s_cselect_b32 s14, -1, 0
	s_wait_alu 0xfffe
	s_cmp_lg_u32 s14, 0
	s_add_co_ci_u32 s86, s15, s25
	s_ashr_i32 s14, s79, 31
	s_wait_alu 0xfffe
	s_mov_b32 s15, s14
	s_wait_alu 0xfffe
	s_add_nc_u64 s[24:25], s[78:79], s[14:15]
	s_wait_alu 0xfffe
	s_xor_b64 s[24:25], s[24:25], s[14:15]
	s_wait_alu 0xfffe
	s_mul_hi_u32 s85, s24, s86
	s_mul_i32 s84, s24, s86
	s_mul_hi_u32 s70, s24, s23
	s_mul_hi_u32 s88, s25, s23
	s_mul_i32 s23, s25, s23
	s_wait_alu 0xfffe
	s_add_nc_u64 s[84:85], s[70:71], s[84:85]
	s_mul_hi_u32 s87, s25, s86
	s_wait_alu 0xfffe
	s_add_co_u32 s23, s84, s23
	s_add_co_ci_u32 s70, s85, s88
	s_mul_i32 s86, s25, s86
	s_add_co_ci_u32 s87, s87, 0
	s_wait_alu 0xfffe
	s_add_nc_u64 s[84:85], s[70:71], s[86:87]
	s_wait_alu 0xfffe
	s_mul_u64 s[84:85], s[6:7], s[84:85]
	s_wait_alu 0xfffe
	s_sub_co_u32 s23, s24, s84
	s_cselect_b32 s24, -1, 0
	s_sub_co_i32 s70, s25, s85
	s_wait_alu 0xfffe
	s_cmp_lg_u32 s24, 0
	s_sub_co_ci_u32 s70, s70, s7
	s_sub_co_u32 s84, s23, s6
	s_cselect_b32 s86, -1, 0
	s_wait_alu 0xfffe
	s_cmp_lg_u32 s86, 0
	s_sub_co_ci_u32 s87, s70, 0
	s_wait_alu 0xfffe
	s_cmp_ge_u32 s87, s7
	s_cselect_b32 s88, -1, 0
	s_cmp_ge_u32 s84, s6
	s_cselect_b32 s89, -1, 0
	s_cmp_eq_u32 s87, s7
	s_wait_alu 0xfffe
	s_cselect_b32 s88, s89, s88
	s_cmp_lg_u32 s86, 0
	s_sub_co_ci_u32 s70, s70, s7
	s_sub_co_u32 s86, s84, s6
	s_cselect_b32 s89, -1, 0
	s_wait_alu 0xfffe
	s_cmp_lg_u32 s89, 0
	s_sub_co_ci_u32 s70, s70, 0
	s_cmp_lg_u32 s88, 0
	s_cselect_b32 s84, s86, s84
	s_wait_alu 0xfffe
	s_cselect_b32 s70, s70, s87
	s_cmp_lg_u32 s24, 0
	s_sub_co_ci_u32 s24, s25, s85
	s_wait_alu 0xfffe
	s_cmp_ge_u32 s24, s7
	s_cselect_b32 s25, -1, 0
	s_cmp_ge_u32 s23, s6
	s_cselect_b32 s6, -1, 0
	s_cmp_eq_u32 s24, s7
	s_wait_alu 0xfffe
	s_cselect_b32 s6, s6, s25
	s_wait_alu 0xfffe
	s_cmp_lg_u32 s6, 0
	s_cselect_b32 s7, s70, s24
	s_cselect_b32 s6, s84, s23
	s_wait_alu 0xfffe
	s_xor_b64 s[6:7], s[6:7], s[14:15]
	s_wait_alu 0xfffe
	s_sub_nc_u64 s[6:7], s[6:7], s[14:15]
	s_cbranch_execnz .LBB6_112
.LBB6_111:                              ;   in Loop: Header=BB6_32 Depth=1
	v_cvt_f32_u32_e32 v2, s68
	s_sub_co_i32 s7, 0, s68
	s_delay_alu instid0(VALU_DEP_1) | instskip(NEXT) | instid1(TRANS32_DEP_1)
	v_rcp_iflag_f32_e32 v2, v2
	v_mul_f32_e32 v2, 0x4f7ffffe, v2
	s_delay_alu instid0(VALU_DEP_1) | instskip(NEXT) | instid1(VALU_DEP_1)
	v_cvt_u32_f32_e32 v2, v2
	v_readfirstlane_b32 s6, v2
	s_wait_alu 0xfffe
	s_mul_i32 s7, s7, s6
	s_wait_alu 0xfffe
	s_mul_hi_u32 s7, s6, s7
	s_wait_alu 0xfffe
	s_add_co_i32 s6, s6, s7
	s_wait_alu 0xfffe
	s_mul_hi_u32 s6, s78, s6
	s_wait_alu 0xfffe
	s_mul_i32 s6, s6, s68
	s_wait_alu 0xfffe
	s_sub_co_i32 s6, s78, s6
	s_wait_alu 0xfffe
	s_sub_co_i32 s7, s6, s68
	s_cmp_ge_u32 s6, s68
	s_wait_alu 0xfffe
	s_cselect_b32 s6, s7, s6
	s_wait_alu 0xfffe
	s_sub_co_i32 s7, s6, s68
	s_cmp_ge_u32 s6, s68
	s_wait_alu 0xfffe
	s_cselect_b32 s70, s7, s6
	s_wait_alu 0xfffe
	s_mov_b64 s[6:7], s[70:71]
.LBB6_112:                              ;   in Loop: Header=BB6_32 Depth=1
	s_wait_alu 0xfffe
	s_sub_nc_u64 s[14:15], s[78:79], s[6:7]
	s_mov_b32 s7, 0
	s_mov_b32 s23, 0
	s_mov_b32 s24, exec_lo
                                        ; implicit-def: $vgpr44
	s_wait_alu 0xfffe
	v_cmpx_gt_i64_e64 s[14:15], v[0:1]
	s_cbranch_execz .LBB6_121
; %bb.113:                              ;   in Loop: Header=BB6_32 Depth=1
	v_dual_mov_b32 v8, v12 :: v_dual_mov_b32 v9, v13
	v_dual_mov_b32 v11, v1 :: v_dual_mov_b32 v10, v0
                                        ; implicit-def: $sgpr25
	s_branch .LBB6_116
.LBB6_114:                              ;   in Loop: Header=BB6_116 Depth=2
	s_wait_alu 0xfffe
	s_or_b32 exec_lo, exec_lo, s6
	s_wait_loadcnt_dscnt 0x0
	s_barrier_signal -1
	s_barrier_wait -1
	global_inv scope:SCOPE_SE
	ds_load_u16 v2, v3 offset:3072
	s_mov_b32 s6, -1
	s_mov_b32 s70, -1
	s_wait_loadcnt_dscnt 0x0
	s_barrier_signal -1
	s_barrier_wait -1
	global_inv scope:SCOPE_SE
	v_and_b32_e32 v30, 0xff, v2
	s_delay_alu instid0(VALU_DEP_1)
	v_cmp_ne_u32_e32 vcc_lo, 0, v30
	s_cbranch_vccz .LBB6_119
.LBB6_115:                              ;   in Loop: Header=BB6_116 Depth=2
	s_wait_alu 0xfffe
	s_and_b32 s6, exec_lo, s6
	s_wait_alu 0xfffe
	s_or_b32 s23, s6, s23
	s_and_not1_b32 s6, s25, exec_lo
	s_and_b32 s25, s70, exec_lo
	s_wait_alu 0xfffe
	s_or_b32 s25, s6, s25
	s_and_not1_b32 exec_lo, exec_lo, s23
	s_cbranch_execz .LBB6_120
.LBB6_116:                              ;   Parent Loop BB6_32 Depth=1
                                        ; =>  This Inner Loop Header: Depth=2
	s_mov_b32 s6, exec_lo
	s_delay_alu instid0(VALU_DEP_1)
	v_cmpx_gt_i64_e64 s[36:37], v[10:11]
	s_cbranch_execz .LBB6_114
; %bb.117:                              ;   in Loop: Header=BB6_116 Depth=2
	global_load_u8 v2, v[8:9], off
	s_wait_loadcnt 0x0
	v_and_b32_e32 v30, v2, v43
	s_delay_alu instid0(VALU_DEP_1) | instskip(NEXT) | instid1(VALU_DEP_1)
	v_and_b32_e32 v30, 0xff, v30
	v_cmp_eq_u32_e32 vcc_lo, v30, v22
	s_and_b32 exec_lo, exec_lo, vcc_lo
	s_cbranch_execz .LBB6_114
; %bb.118:                              ;   in Loop: Header=BB6_116 Depth=2
	v_lshlrev_b16 v2, 8, v2
	s_delay_alu instid0(VALU_DEP_1)
	v_or_b32_e32 v2, 1, v2
	ds_store_b16 v3, v2 offset:3072
	s_branch .LBB6_114
.LBB6_119:                              ;   in Loop: Header=BB6_116 Depth=2
	v_add_co_u32 v10, vcc_lo, v10, s68
	s_wait_alu 0xfffd
	v_add_co_ci_u32_e64 v11, null, 0, v11, vcc_lo
	v_add_co_u32 v8, s6, v8, s72
	s_wait_alu 0xf1fe
	v_add_co_ci_u32_e64 v9, null, s73, v9, s6
	s_delay_alu instid0(VALU_DEP_3)
	v_cmp_le_i64_e32 vcc_lo, s[14:15], v[10:11]
	s_mov_b32 s70, 0
	s_or_not1_b32 s6, vcc_lo, exec_lo
	s_branch .LBB6_115
.LBB6_120:                              ;   in Loop: Header=BB6_32 Depth=1
	s_or_b32 exec_lo, exec_lo, s23
	v_and_b32_e32 v2, 0xffff, v2
	s_wait_alu 0xfffe
	s_and_b32 s23, s25, exec_lo
	s_delay_alu instid0(VALU_DEP_1)
	v_lshrrev_b32_e32 v44, 8, v2
.LBB6_121:                              ;   in Loop: Header=BB6_32 Depth=1
	s_or_b32 exec_lo, exec_lo, s24
.LBB6_122:                              ;   in Loop: Header=BB6_32 Depth=1
	s_delay_alu instid0(SALU_CYCLE_1)
	s_and_b32 vcc_lo, exec_lo, s7
	s_wait_alu 0xfffe
	s_cbranch_vccz .LBB6_136
; %bb.123:                              ;   in Loop: Header=BB6_32 Depth=1
	s_add_nc_u64 s[6:7], s[12:13], s[76:77]
	s_mov_b32 s14, s71
	s_wait_alu 0xfffe
	s_mov_b32 s15, s7
	s_wait_alu 0xfffe
	s_cmp_lg_u64 s[14:15], 0
	s_cbranch_scc0 .LBB6_164
; %bb.124:                              ;   in Loop: Header=BB6_32 Depth=1
	s_add_nc_u64 s[14:15], s[68:69], 0
	s_wait_alu 0xfffe
	s_xor_b64 s[14:15], s[14:15], 0
	s_wait_alu 0xfffe
	s_cvt_f32_u32 s21, s14
	s_cvt_f32_u32 s22, s15
	s_sub_nc_u64 s[84:85], 0, s[14:15]
	s_wait_alu 0xfffe
	s_delay_alu instid0(SALU_CYCLE_1) | instskip(SKIP_1) | instid1(SALU_CYCLE_2)
	s_fmamk_f32 s21, s22, 0x4f800000, s21
	s_wait_alu 0xfffe
	v_s_rcp_f32 s21, s21
	s_delay_alu instid0(TRANS32_DEP_1) | instskip(SKIP_1) | instid1(SALU_CYCLE_2)
	s_mul_f32 s21, s21, 0x5f7ffffc
	s_wait_alu 0xfffe
	s_mul_f32 s22, s21, 0x2f800000
	s_wait_alu 0xfffe
	s_delay_alu instid0(SALU_CYCLE_2) | instskip(SKIP_1) | instid1(SALU_CYCLE_2)
	s_trunc_f32 s22, s22
	s_wait_alu 0xfffe
	s_fmamk_f32 s21, s22, 0xcf800000, s21
	s_cvt_u32_f32 s25, s22
	s_wait_alu 0xfffe
	s_delay_alu instid0(SALU_CYCLE_1) | instskip(SKIP_1) | instid1(SALU_CYCLE_2)
	s_cvt_u32_f32 s24, s21
	s_wait_alu 0xfffe
	s_mul_u64 s[86:87], s[84:85], s[24:25]
	s_wait_alu 0xfffe
	s_mul_hi_u32 s89, s24, s87
	s_mul_i32 s88, s24, s87
	s_mul_hi_u32 s70, s24, s86
	s_mul_i32 s22, s25, s86
	s_wait_alu 0xfffe
	s_add_nc_u64 s[88:89], s[70:71], s[88:89]
	s_mul_hi_u32 s21, s25, s86
	s_mul_hi_u32 s90, s25, s87
	s_wait_alu 0xfffe
	s_add_co_u32 s22, s88, s22
	s_add_co_ci_u32 s70, s89, s21
	s_mul_i32 s86, s25, s87
	s_add_co_ci_u32 s87, s90, 0
	s_wait_alu 0xfffe
	s_add_nc_u64 s[86:87], s[70:71], s[86:87]
	s_wait_alu 0xfffe
	s_add_co_u32 s24, s24, s86
	s_cselect_b32 s21, -1, 0
	s_wait_alu 0xfffe
	s_cmp_lg_u32 s21, 0
	s_add_co_ci_u32 s25, s25, s87
	s_wait_alu 0xfffe
	s_mul_u64 s[84:85], s[84:85], s[24:25]
	s_wait_alu 0xfffe
	s_mul_hi_u32 s87, s24, s85
	s_mul_i32 s86, s24, s85
	s_mul_hi_u32 s70, s24, s84
	s_mul_i32 s22, s25, s84
	s_wait_alu 0xfffe
	s_add_nc_u64 s[86:87], s[70:71], s[86:87]
	s_mul_hi_u32 s21, s25, s84
	s_mul_hi_u32 s88, s25, s85
	s_wait_alu 0xfffe
	s_add_co_u32 s22, s86, s22
	s_add_co_ci_u32 s70, s87, s21
	s_mul_i32 s84, s25, s85
	s_add_co_ci_u32 s85, s88, 0
	s_wait_alu 0xfffe
	s_add_nc_u64 s[84:85], s[70:71], s[84:85]
	s_wait_alu 0xfffe
	s_add_co_u32 s21, s24, s84
	s_cselect_b32 s22, -1, 0
	s_wait_alu 0xfffe
	s_cmp_lg_u32 s22, 0
	s_add_co_ci_u32 s22, s25, s85
	s_ashr_i32 s24, s7, 31
	s_wait_alu 0xfffe
	s_mov_b32 s25, s24
	s_wait_alu 0xfffe
	s_add_nc_u64 s[84:85], s[6:7], s[24:25]
	s_wait_alu 0xfffe
	s_xor_b64 s[84:85], s[84:85], s[24:25]
	s_wait_alu 0xfffe
	s_mul_hi_u32 s87, s84, s22
	s_mul_i32 s86, s84, s22
	s_mul_hi_u32 s70, s84, s21
	s_mul_hi_u32 s90, s85, s21
	s_mul_i32 s21, s85, s21
	s_wait_alu 0xfffe
	s_add_nc_u64 s[86:87], s[70:71], s[86:87]
	s_mul_hi_u32 s89, s85, s22
	s_wait_alu 0xfffe
	s_add_co_u32 s21, s86, s21
	s_add_co_ci_u32 s70, s87, s90
	s_mul_i32 s88, s85, s22
	s_add_co_ci_u32 s89, s89, 0
	s_wait_alu 0xfffe
	s_add_nc_u64 s[86:87], s[70:71], s[88:89]
	s_wait_alu 0xfffe
	s_mul_u64 s[86:87], s[14:15], s[86:87]
	s_wait_alu 0xfffe
	s_sub_co_u32 s21, s84, s86
	s_cselect_b32 s22, -1, 0
	s_sub_co_i32 s70, s85, s87
	s_wait_alu 0xfffe
	s_cmp_lg_u32 s22, 0
	s_sub_co_ci_u32 s70, s70, s15
	s_sub_co_u32 s84, s21, s14
	s_cselect_b32 s86, -1, 0
	s_wait_alu 0xfffe
	s_cmp_lg_u32 s86, 0
	s_sub_co_ci_u32 s88, s70, 0
	s_wait_alu 0xfffe
	s_cmp_ge_u32 s88, s15
	s_cselect_b32 s89, -1, 0
	s_cmp_ge_u32 s84, s14
	s_cselect_b32 s90, -1, 0
	s_cmp_eq_u32 s88, s15
	s_wait_alu 0xfffe
	s_cselect_b32 s89, s90, s89
	s_cmp_lg_u32 s86, 0
	s_sub_co_ci_u32 s70, s70, s15
	s_sub_co_u32 s86, s84, s14
	s_cselect_b32 s90, -1, 0
	s_wait_alu 0xfffe
	s_cmp_lg_u32 s90, 0
	s_sub_co_ci_u32 s70, s70, 0
	s_cmp_lg_u32 s89, 0
	s_cselect_b32 s84, s86, s84
	s_wait_alu 0xfffe
	s_cselect_b32 s70, s70, s88
	s_cmp_lg_u32 s22, 0
	s_sub_co_ci_u32 s22, s85, s87
	s_wait_alu 0xfffe
	s_cmp_ge_u32 s22, s15
	s_cselect_b32 s85, -1, 0
	s_cmp_ge_u32 s21, s14
	s_cselect_b32 s14, -1, 0
	s_cmp_eq_u32 s22, s15
	s_wait_alu 0xfffe
	s_cselect_b32 s14, s14, s85
	s_wait_alu 0xfffe
	s_cmp_lg_u32 s14, 0
	s_cselect_b32 s15, s70, s22
	s_cselect_b32 s14, s84, s21
	s_wait_alu 0xfffe
	s_xor_b64 s[14:15], s[14:15], s[24:25]
	s_wait_alu 0xfffe
	s_sub_nc_u64 s[14:15], s[14:15], s[24:25]
	s_cbranch_execnz .LBB6_126
.LBB6_125:                              ;   in Loop: Header=BB6_32 Depth=1
	v_cvt_f32_u32_e32 v2, s68
	s_sub_co_i32 s15, 0, s68
	s_delay_alu instid0(VALU_DEP_1) | instskip(NEXT) | instid1(TRANS32_DEP_1)
	v_rcp_iflag_f32_e32 v2, v2
	v_mul_f32_e32 v2, 0x4f7ffffe, v2
	s_delay_alu instid0(VALU_DEP_1) | instskip(NEXT) | instid1(VALU_DEP_1)
	v_cvt_u32_f32_e32 v2, v2
	v_readfirstlane_b32 s14, v2
	s_wait_alu 0xfffe
	s_mul_i32 s15, s15, s14
	s_wait_alu 0xfffe
	s_mul_hi_u32 s15, s14, s15
	s_wait_alu 0xfffe
	s_add_co_i32 s14, s14, s15
	s_wait_alu 0xfffe
	s_mul_hi_u32 s14, s6, s14
	s_wait_alu 0xfffe
	s_mul_i32 s14, s14, s68
	s_wait_alu 0xfffe
	s_sub_co_i32 s14, s6, s14
	s_wait_alu 0xfffe
	s_sub_co_i32 s15, s14, s68
	s_cmp_ge_u32 s14, s68
	s_wait_alu 0xfffe
	s_cselect_b32 s14, s15, s14
	s_wait_alu 0xfffe
	s_sub_co_i32 s15, s14, s68
	s_cmp_ge_u32 s14, s68
	s_wait_alu 0xfffe
	s_cselect_b32 s70, s15, s14
	s_wait_alu 0xfffe
	s_mov_b64 s[14:15], s[70:71]
.LBB6_126:                              ;   in Loop: Header=BB6_32 Depth=1
	s_wait_alu 0xfffe
	s_sub_nc_u64 s[6:7], s[6:7], s[14:15]
	s_mov_b32 s14, exec_lo
                                        ; implicit-def: $vgpr44
	s_wait_alu 0xfffe
	v_cmpx_gt_i64_e64 s[6:7], v[0:1]
	s_cbranch_execz .LBB6_135
; %bb.127:                              ;   in Loop: Header=BB6_32 Depth=1
	v_dual_mov_b32 v2, v0 :: v_dual_mov_b32 v9, v1
	v_mov_b32_e32 v8, v0
	s_mov_b32 s21, 0
                                        ; implicit-def: $sgpr15
	s_branch .LBB6_130
.LBB6_128:                              ;   in Loop: Header=BB6_130 Depth=2
	s_wait_alu 0xfffe
	s_or_b32 exec_lo, exec_lo, s22
	s_wait_loadcnt_dscnt 0x0
	s_barrier_signal -1
	s_barrier_wait -1
	global_inv scope:SCOPE_SE
	ds_load_u16 v10, v3 offset:3072
	s_mov_b32 s22, -1
	s_mov_b32 s24, -1
	s_wait_loadcnt_dscnt 0x0
	s_barrier_signal -1
	s_barrier_wait -1
	global_inv scope:SCOPE_SE
	v_and_b32_e32 v11, 0xff, v10
	s_delay_alu instid0(VALU_DEP_1)
	v_cmp_ne_u32_e32 vcc_lo, 0, v11
	s_cbranch_vccz .LBB6_133
.LBB6_129:                              ;   in Loop: Header=BB6_130 Depth=2
	s_wait_alu 0xfffe
	s_and_b32 s22, exec_lo, s22
	s_wait_alu 0xfffe
	s_or_b32 s21, s22, s21
	s_and_not1_b32 s15, s15, exec_lo
	s_and_b32 s22, s24, exec_lo
	s_wait_alu 0xfffe
	s_or_b32 s15, s15, s22
	s_and_not1_b32 exec_lo, exec_lo, s21
	s_cbranch_execz .LBB6_134
.LBB6_130:                              ;   Parent Loop BB6_32 Depth=1
                                        ; =>  This Inner Loop Header: Depth=2
	s_mov_b32 s22, exec_lo
	s_delay_alu instid0(VALU_DEP_1)
	v_cmpx_gt_u64_e64 s[12:13], v[8:9]
	s_cbranch_execz .LBB6_128
; %bb.131:                              ;   in Loop: Header=BB6_130 Depth=2
	ds_load_u8 v10, v2
	s_wait_dscnt 0x0
	v_and_b32_e32 v11, v10, v43
	s_delay_alu instid0(VALU_DEP_1) | instskip(NEXT) | instid1(VALU_DEP_1)
	v_and_b32_e32 v11, 0xff, v11
	v_cmp_eq_u32_e32 vcc_lo, v11, v22
	s_and_b32 exec_lo, exec_lo, vcc_lo
	s_cbranch_execz .LBB6_128
; %bb.132:                              ;   in Loop: Header=BB6_130 Depth=2
	v_lshlrev_b16 v10, 8, v10
	s_delay_alu instid0(VALU_DEP_1)
	v_or_b32_e32 v10, 1, v10
	ds_store_b16 v3, v10 offset:3072
	s_branch .LBB6_128
.LBB6_133:                              ;   in Loop: Header=BB6_130 Depth=2
	v_add_co_u32 v8, vcc_lo, v8, s68
	s_wait_alu 0xfffd
	v_add_co_ci_u32_e64 v9, null, 0, v9, vcc_lo
	v_add_nc_u32_e32 v2, s68, v2
	s_mov_b32 s24, 0
	s_delay_alu instid0(VALU_DEP_2)
	v_cmp_le_i64_e32 vcc_lo, s[6:7], v[8:9]
	s_or_not1_b32 s22, vcc_lo, exec_lo
	s_branch .LBB6_129
.LBB6_134:                              ;   in Loop: Header=BB6_32 Depth=1
	s_or_b32 exec_lo, exec_lo, s21
	v_and_b32_e32 v2, 0xffff, v10
	s_and_not1_b32 s6, s23, exec_lo
	s_wait_alu 0xfffe
	s_and_b32 s7, s15, exec_lo
	s_wait_alu 0xfffe
	s_or_b32 s23, s6, s7
	v_lshrrev_b32_e32 v44, 8, v2
.LBB6_135:                              ;   in Loop: Header=BB6_32 Depth=1
	s_or_b32 exec_lo, exec_lo, s14
	s_mov_b32 s21, 0
	s_mov_b32 s22, -1
.LBB6_136:                              ;   in Loop: Header=BB6_32 Depth=1
	s_wait_alu 0xfffe
	s_or_not1_b32 s6, s23, exec_lo
.LBB6_137:                              ;   in Loop: Header=BB6_32 Depth=1
	s_wait_alu 0xfffe
	s_or_b32 exec_lo, exec_lo, s17
	s_delay_alu instid0(SALU_CYCLE_1)
	s_and_not1_b32 s7, s55, exec_lo
	s_and_b32 s12, s22, exec_lo
	s_and_not1_b32 s13, s53, exec_lo
	s_and_b32 s14, s21, exec_lo
	s_and_not1_b32 s52, s52, exec_lo
	s_wait_alu 0xfffe
	s_or_b32 s55, s7, s12
	s_or_b32 s53, s13, s14
                                        ; implicit-def: $vgpr8_vgpr9
	s_and_saveexec_b32 s17, s6
	s_cbranch_execz .LBB6_31
; %bb.138:                              ;   in Loop: Header=BB6_32 Depth=1
	v_mov_b32_e32 v8, 1
	v_dual_mov_b32 v9, 0 :: v_dual_mov_b32 v2, 1
	s_xor_b32 s12, s19, -1
	s_mov_b32 s7, 0
	s_wait_alu 0xfffe
	s_and_saveexec_b32 s6, s12
	s_cbranch_execz .LBB6_147
; %bb.139:                              ;   in Loop: Header=BB6_32 Depth=1
	s_mov_b32 s7, exec_lo
	v_cmpx_le_i64_e64 v[28:29], v[4:5]
	s_wait_alu 0xfffe
	s_xor_b32 s7, exec_lo, s7
	s_cbranch_execz .LBB6_144
; %bb.140:                              ;   in Loop: Header=BB6_32 Depth=1
	ds_load_b64 v[8:9], v3 offset:5120
	v_and_b32_e32 v22, s20, v22
	v_or_b32_e32 v43, s16, v43
	s_wait_dscnt 0x0
	v_cmp_ne_u64_e32 vcc_lo, 0, v[8:9]
	s_cbranch_vccnz .LBB6_144
; %bb.141:                              ;   in Loop: Header=BB6_32 Depth=1
	s_and_saveexec_b32 s12, s2
; %bb.142:                              ;   in Loop: Header=BB6_32 Depth=1
	ds_store_b64 v3, v[4:5] offset:5128
; %bb.143:                              ;   in Loop: Header=BB6_32 Depth=1
	s_wait_alu 0xfffe
	s_or_b32 exec_lo, exec_lo, s12
	s_wait_loadcnt_dscnt 0x0
	s_barrier_signal -1
	s_barrier_wait -1
	global_inv scope:SCOPE_SE
.LBB6_144:                              ;   in Loop: Header=BB6_32 Depth=1
	s_wait_alu 0xfffe
	s_or_saveexec_b32 s7, s7
	v_mov_b32_e32 v2, 8
	s_mov_b32 s12, 0
	s_wait_alu 0xfffe
	s_xor_b32 exec_lo, exec_lo, s7
; %bb.145:                              ;   in Loop: Header=BB6_32 Depth=1
	v_sub_co_u32 v28, vcc_lo, v28, v4
	s_wait_alu 0xfffd
	v_sub_co_ci_u32_e64 v29, null, v29, v5, vcc_lo
	v_mov_b32_e32 v2, 0
	s_mov_b32 s12, exec_lo
; %bb.146:                              ;   in Loop: Header=BB6_32 Depth=1
	s_or_b32 exec_lo, exec_lo, s7
	s_delay_alu instid0(VALU_DEP_2)
	v_dual_mov_b32 v8, v28 :: v_dual_mov_b32 v9, v29
	s_wait_alu 0xfffe
	s_and_b32 s7, s12, exec_lo
.LBB6_147:                              ;   in Loop: Header=BB6_32 Depth=1
	s_wait_alu 0xfffe
	s_or_b32 exec_lo, exec_lo, s6
	s_mov_b32 s18, -1
	s_mov_b32 s6, -1
                                        ; implicit-def: $sgpr21
                                        ; implicit-def: $sgpr22
	s_and_saveexec_b32 s12, s7
	s_wait_alu 0xfffe
	s_xor_b32 s19, exec_lo, s12
	s_cbranch_execz .LBB6_289
; %bb.148:                              ;   in Loop: Header=BB6_32 Depth=1
	v_cmp_eq_u64_e32 vcc_lo, 1, v[6:7]
	v_cmp_eq_u64_e64 s6, 1, v[8:9]
                                        ; implicit-def: $sgpr22
                                        ; implicit-def: $sgpr21
	s_and_b32 s24, vcc_lo, s6
	s_mov_b32 s6, -1
	s_wait_alu 0xfffe
	s_and_saveexec_b32 s23, s24
	s_cbranch_execz .LBB6_182
; %bb.149:                              ;   in Loop: Header=BB6_32 Depth=1
	ds_load_b64 v[4:5], v3 offset:5120
	s_wait_loadcnt_dscnt 0x0
	s_barrier_signal -1
	s_barrier_wait -1
	global_inv scope:SCOPE_SE
	v_readfirstlane_b32 s12, v4
	v_readfirstlane_b32 s13, v5
	s_and_saveexec_b32 s6, s3
; %bb.150:                              ;   in Loop: Header=BB6_32 Depth=1
	ds_store_b8 v0, v3 offset:3072
; %bb.151:                              ;   in Loop: Header=BB6_32 Depth=1
	s_wait_alu 0xfffe
	s_or_b32 exec_lo, exec_lo, s6
	s_lshl_b32 s6, 1, s67
	v_or_b32_e32 v43, s16, v43
	s_wait_alu 0xfffe
	v_and_or_b32 v22, v22, s20, s6
	v_cmp_gt_i64_e64 s6, s[12:13], 0
	s_mov_b32 s21, -1
	s_mov_b32 s22, 0
	s_mov_b32 s25, 0
	s_mov_b32 s7, -1
	s_wait_loadcnt_dscnt 0x0
	s_and_b32 vcc_lo, exec_lo, s6
	s_barrier_signal -1
	s_barrier_wait -1
	global_inv scope:SCOPE_SE
                                        ; implicit-def: $vgpr44
	s_wait_alu 0xfffe
	s_cbranch_vccnz .LBB6_167
; %bb.152:                              ;   in Loop: Header=BB6_32 Depth=1
	s_mov_b32 s6, s71
	s_mov_b32 s7, s79
	s_wait_alu 0xfffe
	s_cmp_lg_u64 s[6:7], 0
	s_cbranch_scc0 .LBB6_209
; %bb.153:                              ;   in Loop: Header=BB6_32 Depth=1
	s_add_nc_u64 s[6:7], s[68:69], 0
	s_wait_alu 0xfffe
	s_xor_b64 s[6:7], s[6:7], 0
	s_wait_alu 0xfffe
	s_cvt_f32_u32 s14, s6
	s_cvt_f32_u32 s15, s7
	s_sub_nc_u64 s[84:85], 0, s[6:7]
	s_wait_alu 0xfffe
	s_delay_alu instid0(SALU_CYCLE_1) | instskip(SKIP_1) | instid1(SALU_CYCLE_2)
	s_fmamk_f32 s14, s15, 0x4f800000, s14
	s_wait_alu 0xfffe
	v_s_rcp_f32 s14, s14
	s_delay_alu instid0(TRANS32_DEP_1) | instskip(SKIP_1) | instid1(SALU_CYCLE_2)
	s_mul_f32 s14, s14, 0x5f7ffffc
	s_wait_alu 0xfffe
	s_mul_f32 s15, s14, 0x2f800000
	s_wait_alu 0xfffe
	s_delay_alu instid0(SALU_CYCLE_2) | instskip(SKIP_1) | instid1(SALU_CYCLE_2)
	s_trunc_f32 s15, s15
	s_wait_alu 0xfffe
	s_fmamk_f32 s14, s15, 0xcf800000, s14
	s_cvt_u32_f32 s15, s15
	s_wait_alu 0xfffe
	s_delay_alu instid0(SALU_CYCLE_1) | instskip(SKIP_1) | instid1(SALU_CYCLE_2)
	s_cvt_u32_f32 s14, s14
	s_wait_alu 0xfffe
	s_mul_u64 s[86:87], s[84:85], s[14:15]
	s_wait_alu 0xfffe
	s_mul_hi_u32 s89, s14, s87
	s_mul_i32 s88, s14, s87
	s_mul_hi_u32 s70, s14, s86
	s_mul_i32 s90, s15, s86
	s_wait_alu 0xfffe
	s_add_nc_u64 s[88:89], s[70:71], s[88:89]
	s_mul_hi_u32 s25, s15, s86
	s_mul_hi_u32 s91, s15, s87
	s_wait_alu 0xfffe
	s_add_co_u32 s70, s88, s90
	s_add_co_ci_u32 s70, s89, s25
	s_mul_i32 s86, s15, s87
	s_add_co_ci_u32 s87, s91, 0
	s_wait_alu 0xfffe
	s_add_nc_u64 s[86:87], s[70:71], s[86:87]
	s_wait_alu 0xfffe
	s_add_co_u32 s14, s14, s86
	s_cselect_b32 s25, -1, 0
	s_wait_alu 0xfffe
	s_cmp_lg_u32 s25, 0
	s_add_co_ci_u32 s15, s15, s87
	s_wait_alu 0xfffe
	s_mul_u64 s[84:85], s[84:85], s[14:15]
	s_wait_alu 0xfffe
	s_mul_hi_u32 s87, s14, s85
	s_mul_i32 s86, s14, s85
	s_mul_hi_u32 s70, s14, s84
	s_mul_i32 s88, s15, s84
	s_wait_alu 0xfffe
	s_add_nc_u64 s[86:87], s[70:71], s[86:87]
	s_mul_hi_u32 s25, s15, s84
	s_mul_hi_u32 s89, s15, s85
	s_wait_alu 0xfffe
	s_add_co_u32 s70, s86, s88
	s_add_co_ci_u32 s70, s87, s25
	s_mul_i32 s84, s15, s85
	s_add_co_ci_u32 s85, s89, 0
	s_wait_alu 0xfffe
	s_add_nc_u64 s[84:85], s[70:71], s[84:85]
	s_wait_alu 0xfffe
	s_add_co_u32 s25, s14, s84
	s_cselect_b32 s14, -1, 0
	s_wait_alu 0xfffe
	s_cmp_lg_u32 s14, 0
	s_add_co_ci_u32 s88, s15, s85
	s_ashr_i32 s14, s79, 31
	s_wait_alu 0xfffe
	s_mov_b32 s15, s14
	s_wait_alu 0xfffe
	s_add_nc_u64 s[84:85], s[78:79], s[14:15]
	s_wait_alu 0xfffe
	s_xor_b64 s[84:85], s[84:85], s[14:15]
	s_wait_alu 0xfffe
	s_mul_hi_u32 s87, s84, s88
	s_mul_i32 s86, s84, s88
	s_mul_hi_u32 s70, s84, s25
	s_mul_hi_u32 s90, s85, s25
	s_mul_i32 s25, s85, s25
	s_wait_alu 0xfffe
	s_add_nc_u64 s[86:87], s[70:71], s[86:87]
	s_mul_hi_u32 s89, s85, s88
	s_wait_alu 0xfffe
	s_add_co_u32 s25, s86, s25
	s_add_co_ci_u32 s70, s87, s90
	s_mul_i32 s88, s85, s88
	s_add_co_ci_u32 s89, s89, 0
	s_wait_alu 0xfffe
	s_add_nc_u64 s[86:87], s[70:71], s[88:89]
	s_wait_alu 0xfffe
	s_mul_u64 s[86:87], s[6:7], s[86:87]
	s_wait_alu 0xfffe
	s_sub_co_u32 s25, s84, s86
	s_cselect_b32 s70, -1, 0
	s_sub_co_i32 s84, s85, s87
	s_wait_alu 0xfffe
	s_cmp_lg_u32 s70, 0
	s_sub_co_ci_u32 s84, s84, s7
	s_sub_co_u32 s86, s25, s6
	s_cselect_b32 s88, -1, 0
	s_wait_alu 0xfffe
	s_cmp_lg_u32 s88, 0
	s_sub_co_ci_u32 s89, s84, 0
	s_wait_alu 0xfffe
	s_cmp_ge_u32 s89, s7
	s_cselect_b32 s90, -1, 0
	s_cmp_ge_u32 s86, s6
	s_cselect_b32 s91, -1, 0
	s_cmp_eq_u32 s89, s7
	s_wait_alu 0xfffe
	s_cselect_b32 s90, s91, s90
	s_cmp_lg_u32 s88, 0
	s_sub_co_ci_u32 s84, s84, s7
	s_sub_co_u32 s88, s86, s6
	s_cselect_b32 s91, -1, 0
	s_wait_alu 0xfffe
	s_cmp_lg_u32 s91, 0
	s_sub_co_ci_u32 s84, s84, 0
	s_cmp_lg_u32 s90, 0
	s_cselect_b32 s86, s88, s86
	s_wait_alu 0xfffe
	s_cselect_b32 s84, s84, s89
	s_cmp_lg_u32 s70, 0
	s_sub_co_ci_u32 s70, s85, s87
	s_wait_alu 0xfffe
	s_cmp_ge_u32 s70, s7
	s_cselect_b32 s85, -1, 0
	s_cmp_ge_u32 s25, s6
	s_cselect_b32 s6, -1, 0
	s_cmp_eq_u32 s70, s7
	s_wait_alu 0xfffe
	s_cselect_b32 s6, s6, s85
	s_wait_alu 0xfffe
	s_cmp_lg_u32 s6, 0
	s_cselect_b32 s7, s84, s70
	s_cselect_b32 s6, s86, s25
	s_wait_alu 0xfffe
	s_xor_b64 s[6:7], s[6:7], s[14:15]
	s_wait_alu 0xfffe
	s_sub_nc_u64 s[6:7], s[6:7], s[14:15]
	s_cbranch_execnz .LBB6_155
.LBB6_154:                              ;   in Loop: Header=BB6_32 Depth=1
	v_cvt_f32_u32_e32 v4, s68
	s_sub_co_i32 s7, 0, s68
	s_delay_alu instid0(VALU_DEP_1) | instskip(NEXT) | instid1(TRANS32_DEP_1)
	v_rcp_iflag_f32_e32 v4, v4
	v_mul_f32_e32 v4, 0x4f7ffffe, v4
	s_delay_alu instid0(VALU_DEP_1) | instskip(NEXT) | instid1(VALU_DEP_1)
	v_cvt_u32_f32_e32 v4, v4
	v_readfirstlane_b32 s6, v4
	s_wait_alu 0xfffe
	s_mul_i32 s7, s7, s6
	s_wait_alu 0xfffe
	s_mul_hi_u32 s7, s6, s7
	s_wait_alu 0xfffe
	s_add_co_i32 s6, s6, s7
	s_wait_alu 0xfffe
	s_mul_hi_u32 s6, s78, s6
	s_wait_alu 0xfffe
	s_mul_i32 s6, s6, s68
	s_wait_alu 0xfffe
	s_sub_co_i32 s6, s78, s6
	s_wait_alu 0xfffe
	s_sub_co_i32 s7, s6, s68
	s_cmp_ge_u32 s6, s68
	s_wait_alu 0xfffe
	s_cselect_b32 s6, s7, s6
	s_wait_alu 0xfffe
	s_sub_co_i32 s7, s6, s68
	s_cmp_ge_u32 s6, s68
	s_wait_alu 0xfffe
	s_cselect_b32 s70, s7, s6
	s_wait_alu 0xfffe
	s_mov_b64 s[6:7], s[70:71]
.LBB6_155:                              ;   in Loop: Header=BB6_32 Depth=1
	s_wait_alu 0xfffe
	s_sub_nc_u64 s[14:15], s[78:79], s[6:7]
	s_mov_b32 s7, 0
	s_mov_b32 s25, 0
	s_mov_b32 s70, exec_lo
                                        ; implicit-def: $vgpr44
	s_wait_alu 0xfffe
	v_cmpx_gt_i64_e64 s[14:15], v[0:1]
	s_cbranch_execz .LBB6_166
; %bb.156:                              ;   in Loop: Header=BB6_32 Depth=1
	v_dual_mov_b32 v4, v12 :: v_dual_mov_b32 v5, v13
	v_dual_mov_b32 v11, v1 :: v_dual_mov_b32 v10, v0
                                        ; implicit-def: $sgpr84
	s_branch .LBB6_159
.LBB6_157:                              ;   in Loop: Header=BB6_159 Depth=2
	s_wait_alu 0xfffe
	s_or_b32 exec_lo, exec_lo, s6
	s_wait_loadcnt_dscnt 0x0
	s_barrier_signal -1
	s_barrier_wait -1
	global_inv scope:SCOPE_SE
	ds_load_u16 v28, v3 offset:3072
	s_mov_b32 s6, -1
	s_mov_b32 s85, -1
	s_wait_loadcnt_dscnt 0x0
	s_barrier_signal -1
	s_barrier_wait -1
	global_inv scope:SCOPE_SE
	v_and_b32_e32 v29, 0xff, v28
	s_delay_alu instid0(VALU_DEP_1)
	v_cmp_ne_u32_e32 vcc_lo, 0, v29
	s_cbranch_vccz .LBB6_162
.LBB6_158:                              ;   in Loop: Header=BB6_159 Depth=2
	s_wait_alu 0xfffe
	s_and_b32 s6, exec_lo, s6
	s_wait_alu 0xfffe
	s_or_b32 s25, s6, s25
	s_and_not1_b32 s6, s84, exec_lo
	s_and_b32 s84, s85, exec_lo
	s_wait_alu 0xfffe
	s_or_b32 s84, s6, s84
	s_and_not1_b32 exec_lo, exec_lo, s25
	s_cbranch_execz .LBB6_165
.LBB6_159:                              ;   Parent Loop BB6_32 Depth=1
                                        ; =>  This Inner Loop Header: Depth=2
	s_mov_b32 s6, exec_lo
	s_delay_alu instid0(VALU_DEP_1)
	v_cmpx_gt_i64_e64 s[36:37], v[10:11]
	s_cbranch_execz .LBB6_157
; %bb.160:                              ;   in Loop: Header=BB6_159 Depth=2
	global_load_u8 v28, v[4:5], off
	s_wait_loadcnt 0x0
	v_and_b32_e32 v29, v28, v43
	s_delay_alu instid0(VALU_DEP_1) | instskip(NEXT) | instid1(VALU_DEP_1)
	v_and_b32_e32 v29, 0xff, v29
	v_cmp_eq_u32_e32 vcc_lo, v29, v22
	s_and_b32 exec_lo, exec_lo, vcc_lo
	s_cbranch_execz .LBB6_157
; %bb.161:                              ;   in Loop: Header=BB6_159 Depth=2
	v_lshlrev_b16 v28, 8, v28
	s_delay_alu instid0(VALU_DEP_1)
	v_or_b32_e32 v28, 1, v28
	ds_store_b16 v3, v28 offset:3072
	s_branch .LBB6_157
.LBB6_162:                              ;   in Loop: Header=BB6_159 Depth=2
	v_add_co_u32 v10, vcc_lo, v10, s68
	s_wait_alu 0xfffd
	v_add_co_ci_u32_e64 v11, null, 0, v11, vcc_lo
	v_add_co_u32 v4, s6, v4, s72
	s_wait_alu 0xf1fe
	v_add_co_ci_u32_e64 v5, null, s73, v5, s6
	s_delay_alu instid0(VALU_DEP_3)
	v_cmp_le_i64_e32 vcc_lo, s[14:15], v[10:11]
	s_mov_b32 s85, 0
	s_or_not1_b32 s6, vcc_lo, exec_lo
	s_branch .LBB6_158
.LBB6_163:                              ;   in Loop: Header=BB6_32 Depth=1
                                        ; implicit-def: $sgpr6_sgpr7
	s_branch .LBB6_111
.LBB6_164:                              ;   in Loop: Header=BB6_32 Depth=1
                                        ; implicit-def: $sgpr14_sgpr15
	s_branch .LBB6_125
.LBB6_165:                              ;   in Loop: Header=BB6_32 Depth=1
	s_or_b32 exec_lo, exec_lo, s25
	v_and_b32_e32 v4, 0xffff, v28
	s_wait_alu 0xfffe
	s_and_b32 s25, s84, exec_lo
	s_delay_alu instid0(VALU_DEP_1)
	v_lshrrev_b32_e32 v44, 8, v4
.LBB6_166:                              ;   in Loop: Header=BB6_32 Depth=1
	s_or_b32 exec_lo, exec_lo, s70
.LBB6_167:                              ;   in Loop: Header=BB6_32 Depth=1
	s_delay_alu instid0(SALU_CYCLE_1)
	s_and_b32 vcc_lo, exec_lo, s7
	s_wait_alu 0xfffe
	s_cbranch_vccz .LBB6_181
; %bb.168:                              ;   in Loop: Header=BB6_32 Depth=1
	s_add_nc_u64 s[6:7], s[12:13], s[76:77]
	s_mov_b32 s14, s71
	s_wait_alu 0xfffe
	s_mov_b32 s15, s7
	s_wait_alu 0xfffe
	s_cmp_lg_u64 s[14:15], 0
	s_cbranch_scc0 .LBB6_210
; %bb.169:                              ;   in Loop: Header=BB6_32 Depth=1
	s_add_nc_u64 s[14:15], s[68:69], 0
	s_wait_alu 0xfffe
	s_xor_b64 s[14:15], s[14:15], 0
	s_wait_alu 0xfffe
	s_cvt_f32_u32 s21, s14
	s_cvt_f32_u32 s22, s15
	s_sub_nc_u64 s[86:87], 0, s[14:15]
	s_wait_alu 0xfffe
	s_delay_alu instid0(SALU_CYCLE_1) | instskip(SKIP_1) | instid1(SALU_CYCLE_2)
	s_fmamk_f32 s21, s22, 0x4f800000, s21
	s_wait_alu 0xfffe
	v_s_rcp_f32 s21, s21
	s_delay_alu instid0(TRANS32_DEP_1) | instskip(SKIP_1) | instid1(SALU_CYCLE_2)
	s_mul_f32 s21, s21, 0x5f7ffffc
	s_wait_alu 0xfffe
	s_mul_f32 s22, s21, 0x2f800000
	s_wait_alu 0xfffe
	s_delay_alu instid0(SALU_CYCLE_2) | instskip(SKIP_1) | instid1(SALU_CYCLE_2)
	s_trunc_f32 s22, s22
	s_wait_alu 0xfffe
	s_fmamk_f32 s21, s22, 0xcf800000, s21
	s_cvt_u32_f32 s85, s22
	s_wait_alu 0xfffe
	s_delay_alu instid0(SALU_CYCLE_1) | instskip(SKIP_1) | instid1(SALU_CYCLE_2)
	s_cvt_u32_f32 s84, s21
	s_wait_alu 0xfffe
	s_mul_u64 s[88:89], s[86:87], s[84:85]
	s_wait_alu 0xfffe
	s_mul_hi_u32 s91, s84, s89
	s_mul_i32 s90, s84, s89
	s_mul_hi_u32 s70, s84, s88
	s_mul_i32 s22, s85, s88
	s_wait_alu 0xfffe
	s_add_nc_u64 s[90:91], s[70:71], s[90:91]
	s_mul_hi_u32 s21, s85, s88
	s_mul_hi_u32 s92, s85, s89
	s_wait_alu 0xfffe
	s_add_co_u32 s22, s90, s22
	s_add_co_ci_u32 s70, s91, s21
	s_mul_i32 s88, s85, s89
	s_add_co_ci_u32 s89, s92, 0
	s_wait_alu 0xfffe
	s_add_nc_u64 s[88:89], s[70:71], s[88:89]
	s_wait_alu 0xfffe
	s_add_co_u32 s84, s84, s88
	s_cselect_b32 s21, -1, 0
	s_wait_alu 0xfffe
	s_cmp_lg_u32 s21, 0
	s_add_co_ci_u32 s85, s85, s89
	s_wait_alu 0xfffe
	s_mul_u64 s[86:87], s[86:87], s[84:85]
	s_wait_alu 0xfffe
	s_mul_hi_u32 s89, s84, s87
	s_mul_i32 s88, s84, s87
	s_mul_hi_u32 s70, s84, s86
	s_mul_i32 s22, s85, s86
	s_wait_alu 0xfffe
	s_add_nc_u64 s[88:89], s[70:71], s[88:89]
	s_mul_hi_u32 s21, s85, s86
	s_mul_hi_u32 s90, s85, s87
	s_wait_alu 0xfffe
	s_add_co_u32 s22, s88, s22
	s_add_co_ci_u32 s70, s89, s21
	s_mul_i32 s86, s85, s87
	s_add_co_ci_u32 s87, s90, 0
	s_wait_alu 0xfffe
	s_add_nc_u64 s[86:87], s[70:71], s[86:87]
	s_wait_alu 0xfffe
	s_add_co_u32 s21, s84, s86
	s_cselect_b32 s22, -1, 0
	s_wait_alu 0xfffe
	s_cmp_lg_u32 s22, 0
	s_add_co_ci_u32 s22, s85, s87
	s_ashr_i32 s84, s7, 31
	s_wait_alu 0xfffe
	s_mov_b32 s85, s84
	s_wait_alu 0xfffe
	s_add_nc_u64 s[86:87], s[6:7], s[84:85]
	s_wait_alu 0xfffe
	s_xor_b64 s[86:87], s[86:87], s[84:85]
	s_wait_alu 0xfffe
	s_mul_hi_u32 s89, s86, s22
	s_mul_i32 s88, s86, s22
	s_mul_hi_u32 s70, s86, s21
	s_mul_hi_u32 s92, s87, s21
	s_mul_i32 s21, s87, s21
	s_wait_alu 0xfffe
	s_add_nc_u64 s[88:89], s[70:71], s[88:89]
	s_mul_hi_u32 s91, s87, s22
	s_wait_alu 0xfffe
	s_add_co_u32 s21, s88, s21
	s_add_co_ci_u32 s70, s89, s92
	s_mul_i32 s90, s87, s22
	s_add_co_ci_u32 s91, s91, 0
	s_wait_alu 0xfffe
	s_add_nc_u64 s[88:89], s[70:71], s[90:91]
	s_wait_alu 0xfffe
	s_mul_u64 s[88:89], s[14:15], s[88:89]
	s_wait_alu 0xfffe
	s_sub_co_u32 s21, s86, s88
	s_cselect_b32 s22, -1, 0
	s_sub_co_i32 s70, s87, s89
	s_wait_alu 0xfffe
	s_cmp_lg_u32 s22, 0
	s_sub_co_ci_u32 s70, s70, s15
	s_sub_co_u32 s86, s21, s14
	s_cselect_b32 s88, -1, 0
	s_wait_alu 0xfffe
	s_cmp_lg_u32 s88, 0
	s_sub_co_ci_u32 s90, s70, 0
	s_wait_alu 0xfffe
	s_cmp_ge_u32 s90, s15
	s_cselect_b32 s91, -1, 0
	s_cmp_ge_u32 s86, s14
	s_cselect_b32 s92, -1, 0
	s_cmp_eq_u32 s90, s15
	s_wait_alu 0xfffe
	s_cselect_b32 s91, s92, s91
	s_cmp_lg_u32 s88, 0
	s_sub_co_ci_u32 s70, s70, s15
	s_sub_co_u32 s88, s86, s14
	s_cselect_b32 s92, -1, 0
	s_wait_alu 0xfffe
	s_cmp_lg_u32 s92, 0
	s_sub_co_ci_u32 s70, s70, 0
	s_cmp_lg_u32 s91, 0
	s_cselect_b32 s86, s88, s86
	s_wait_alu 0xfffe
	s_cselect_b32 s70, s70, s90
	s_cmp_lg_u32 s22, 0
	s_sub_co_ci_u32 s22, s87, s89
	s_wait_alu 0xfffe
	s_cmp_ge_u32 s22, s15
	s_cselect_b32 s87, -1, 0
	s_cmp_ge_u32 s21, s14
	s_cselect_b32 s14, -1, 0
	s_cmp_eq_u32 s22, s15
	s_wait_alu 0xfffe
	s_cselect_b32 s14, s14, s87
	s_wait_alu 0xfffe
	s_cmp_lg_u32 s14, 0
	s_cselect_b32 s15, s70, s22
	s_cselect_b32 s14, s86, s21
	s_wait_alu 0xfffe
	s_xor_b64 s[14:15], s[14:15], s[84:85]
	s_wait_alu 0xfffe
	s_sub_nc_u64 s[14:15], s[14:15], s[84:85]
	s_cbranch_execnz .LBB6_171
.LBB6_170:                              ;   in Loop: Header=BB6_32 Depth=1
	v_cvt_f32_u32_e32 v4, s68
	s_sub_co_i32 s15, 0, s68
	s_delay_alu instid0(VALU_DEP_1) | instskip(NEXT) | instid1(TRANS32_DEP_1)
	v_rcp_iflag_f32_e32 v4, v4
	v_mul_f32_e32 v4, 0x4f7ffffe, v4
	s_delay_alu instid0(VALU_DEP_1) | instskip(NEXT) | instid1(VALU_DEP_1)
	v_cvt_u32_f32_e32 v4, v4
	v_readfirstlane_b32 s14, v4
	s_wait_alu 0xfffe
	s_mul_i32 s15, s15, s14
	s_wait_alu 0xfffe
	s_mul_hi_u32 s15, s14, s15
	s_wait_alu 0xfffe
	s_add_co_i32 s14, s14, s15
	s_wait_alu 0xfffe
	s_mul_hi_u32 s14, s6, s14
	s_wait_alu 0xfffe
	s_mul_i32 s14, s14, s68
	s_wait_alu 0xfffe
	s_sub_co_i32 s14, s6, s14
	s_wait_alu 0xfffe
	s_sub_co_i32 s15, s14, s68
	s_cmp_ge_u32 s14, s68
	s_wait_alu 0xfffe
	s_cselect_b32 s14, s15, s14
	s_wait_alu 0xfffe
	s_sub_co_i32 s15, s14, s68
	s_cmp_ge_u32 s14, s68
	s_wait_alu 0xfffe
	s_cselect_b32 s70, s15, s14
	s_wait_alu 0xfffe
	s_mov_b64 s[14:15], s[70:71]
.LBB6_171:                              ;   in Loop: Header=BB6_32 Depth=1
	s_wait_alu 0xfffe
	s_sub_nc_u64 s[6:7], s[6:7], s[14:15]
	s_mov_b32 s14, exec_lo
                                        ; implicit-def: $vgpr44
	s_wait_alu 0xfffe
	v_cmpx_gt_i64_e64 s[6:7], v[0:1]
	s_cbranch_execz .LBB6_180
; %bb.172:                              ;   in Loop: Header=BB6_32 Depth=1
	v_dual_mov_b32 v10, v0 :: v_dual_mov_b32 v5, v1
	v_mov_b32_e32 v4, v0
	s_mov_b32 s15, 0
                                        ; implicit-def: $sgpr21
	s_branch .LBB6_175
.LBB6_173:                              ;   in Loop: Header=BB6_175 Depth=2
	s_wait_alu 0xfffe
	s_or_b32 exec_lo, exec_lo, s22
	s_wait_loadcnt_dscnt 0x0
	s_barrier_signal -1
	s_barrier_wait -1
	global_inv scope:SCOPE_SE
	ds_load_u16 v11, v3 offset:3072
	s_mov_b32 s22, -1
	s_mov_b32 s70, -1
	s_wait_loadcnt_dscnt 0x0
	s_barrier_signal -1
	s_barrier_wait -1
	global_inv scope:SCOPE_SE
	v_and_b32_e32 v28, 0xff, v11
	s_delay_alu instid0(VALU_DEP_1)
	v_cmp_eq_u32_e32 vcc_lo, 0, v28
	s_cbranch_vccnz .LBB6_178
.LBB6_174:                              ;   in Loop: Header=BB6_175 Depth=2
	s_wait_alu 0xfffe
	s_and_b32 s22, exec_lo, s22
	s_wait_alu 0xfffe
	s_or_b32 s15, s22, s15
	s_and_not1_b32 s21, s21, exec_lo
	s_and_b32 s22, s70, exec_lo
	s_wait_alu 0xfffe
	s_or_b32 s21, s21, s22
	s_and_not1_b32 exec_lo, exec_lo, s15
	s_cbranch_execz .LBB6_179
.LBB6_175:                              ;   Parent Loop BB6_32 Depth=1
                                        ; =>  This Inner Loop Header: Depth=2
	s_mov_b32 s22, exec_lo
	s_delay_alu instid0(VALU_DEP_1)
	v_cmpx_gt_u64_e64 s[12:13], v[4:5]
	s_cbranch_execz .LBB6_173
; %bb.176:                              ;   in Loop: Header=BB6_175 Depth=2
	ds_load_u8 v11, v10
	s_wait_dscnt 0x0
	v_and_b32_e32 v28, v11, v43
	s_delay_alu instid0(VALU_DEP_1) | instskip(NEXT) | instid1(VALU_DEP_1)
	v_and_b32_e32 v28, 0xff, v28
	v_cmp_eq_u32_e32 vcc_lo, v28, v22
	s_and_b32 exec_lo, exec_lo, vcc_lo
	s_cbranch_execz .LBB6_173
; %bb.177:                              ;   in Loop: Header=BB6_175 Depth=2
	v_lshlrev_b16 v11, 8, v11
	s_delay_alu instid0(VALU_DEP_1)
	v_or_b32_e32 v11, 1, v11
	ds_store_b16 v3, v11 offset:3072
	s_branch .LBB6_173
.LBB6_178:                              ;   in Loop: Header=BB6_175 Depth=2
	v_add_co_u32 v4, vcc_lo, v4, s68
	s_wait_alu 0xfffd
	v_add_co_ci_u32_e64 v5, null, 0, v5, vcc_lo
	v_add_nc_u32_e32 v10, s68, v10
	s_mov_b32 s70, 0
	s_delay_alu instid0(VALU_DEP_2)
	v_cmp_le_i64_e32 vcc_lo, s[6:7], v[4:5]
	s_or_not1_b32 s22, vcc_lo, exec_lo
	s_branch .LBB6_174
.LBB6_179:                              ;   in Loop: Header=BB6_32 Depth=1
	s_or_b32 exec_lo, exec_lo, s15
	v_and_b32_e32 v4, 0xffff, v11
	s_and_not1_b32 s6, s25, exec_lo
	s_wait_alu 0xfffe
	s_and_b32 s7, s21, exec_lo
	s_wait_alu 0xfffe
	s_or_b32 s25, s6, s7
	v_lshrrev_b32_e32 v44, 8, v4
.LBB6_180:                              ;   in Loop: Header=BB6_32 Depth=1
	s_or_b32 exec_lo, exec_lo, s14
	s_mov_b32 s21, 0
	s_mov_b32 s22, -1
.LBB6_181:                              ;   in Loop: Header=BB6_32 Depth=1
	s_wait_alu 0xfffe
	s_or_not1_b32 s6, s25, exec_lo
.LBB6_182:                              ;   in Loop: Header=BB6_32 Depth=1
	s_wait_alu 0xfffe
	s_or_b32 exec_lo, exec_lo, s23
	s_mov_b32 s7, 0
	s_and_saveexec_b32 s23, s6
	s_cbranch_execz .LBB6_288
; %bb.183:                              ;   in Loop: Header=BB6_32 Depth=1
	v_mov_b32_e32 v4, 1
	v_dual_mov_b32 v5, 0 :: v_dual_mov_b32 v2, 1
	s_xor_b32 s12, s24, -1
	s_wait_alu 0xfffe
	s_and_saveexec_b32 s6, s12
	s_cbranch_execz .LBB6_193
; %bb.184:                              ;   in Loop: Header=BB6_32 Depth=1
	s_mov_b32 s7, exec_lo
	v_cmpx_le_i64_e64 v[8:9], v[6:7]
	s_wait_alu 0xfffe
	s_xor_b32 s7, exec_lo, s7
	s_cbranch_execz .LBB6_190
; %bb.185:                              ;   in Loop: Header=BB6_32 Depth=1
	ds_load_b64 v[4:5], v3 offset:5120
	s_lshl_b32 s12, 1, s67
	v_or_b32_e32 v43, s16, v43
	s_wait_alu 0xfffe
	v_and_or_b32 v22, v22, s20, s12
	s_wait_dscnt 0x0
	v_cmp_ne_u64_e32 vcc_lo, 0, v[4:5]
	s_cbranch_vccnz .LBB6_189
; %bb.186:                              ;   in Loop: Header=BB6_32 Depth=1
	s_and_saveexec_b32 s12, s2
; %bb.187:                              ;   in Loop: Header=BB6_32 Depth=1
	ds_store_b64 v3, v[6:7] offset:5128
; %bb.188:                              ;   in Loop: Header=BB6_32 Depth=1
	s_wait_alu 0xfffe
	s_or_b32 exec_lo, exec_lo, s12
	s_wait_loadcnt_dscnt 0x0
	s_barrier_signal -1
	s_barrier_wait -1
	global_inv scope:SCOPE_SE
.LBB6_189:                              ;   in Loop: Header=BB6_32 Depth=1
                                        ; implicit-def: $vgpr4_vgpr5_vgpr6_vgpr7
.LBB6_190:                              ;   in Loop: Header=BB6_32 Depth=1
	s_wait_alu 0xfffe
	s_or_saveexec_b32 s7, s7
	v_mov_b32_e32 v2, 8
	s_mov_b32 s12, 0
	s_wait_alu 0xfffe
	s_xor_b32 exec_lo, exec_lo, s7
; %bb.191:                              ;   in Loop: Header=BB6_32 Depth=1
	v_sub_co_u32 v8, vcc_lo, v8, v6
	s_wait_alu 0xfffd
	v_sub_co_ci_u32_e64 v9, null, v9, v7, vcc_lo
	v_mov_b32_e32 v2, 0
	s_mov_b32 s12, exec_lo
; %bb.192:                              ;   in Loop: Header=BB6_32 Depth=1
	s_or_b32 exec_lo, exec_lo, s7
	s_delay_alu instid0(VALU_DEP_2)
	v_dual_mov_b32 v4, v8 :: v_dual_mov_b32 v5, v9
	s_wait_alu 0xfffe
	s_and_b32 s7, s12, exec_lo
.LBB6_193:                              ;   in Loop: Header=BB6_32 Depth=1
	s_wait_alu 0xfffe
	s_or_b32 exec_lo, exec_lo, s6
	s_mov_b32 s6, -1
                                        ; implicit-def: $sgpr25
                                        ; implicit-def: $sgpr84
	s_and_saveexec_b32 s24, s7
	s_cbranch_execz .LBB6_287
; %bb.194:                              ;   in Loop: Header=BB6_32 Depth=1
	v_cmp_eq_u64_e32 vcc_lo, 1, v[4:5]
	s_cmp_eq_u64 s[10:11], 1
                                        ; implicit-def: $sgpr84
                                        ; implicit-def: $sgpr25
	s_cselect_b32 s6, -1, 0
	s_wait_alu 0xfffe
	s_and_b32 s85, s6, vcc_lo
	s_mov_b32 s6, -1
	s_wait_alu 0xfffe
	s_and_saveexec_b32 s86, s85
	s_cbranch_execz .LBB6_228
; %bb.195:                              ;   in Loop: Header=BB6_32 Depth=1
	ds_load_b64 v[6:7], v3 offset:5120
	s_wait_loadcnt_dscnt 0x0
	s_barrier_signal -1
	s_barrier_wait -1
	global_inv scope:SCOPE_SE
	v_readfirstlane_b32 s12, v6
	v_readfirstlane_b32 s13, v7
	s_and_saveexec_b32 s6, s3
; %bb.196:                              ;   in Loop: Header=BB6_32 Depth=1
	ds_store_b8 v0, v3 offset:3072
; %bb.197:                              ;   in Loop: Header=BB6_32 Depth=1
	s_wait_alu 0xfffe
	s_or_b32 exec_lo, exec_lo, s6
	s_lshl_b32 s6, 2, s67
	v_or_b32_e32 v43, s16, v43
	s_wait_alu 0xfffe
	v_and_or_b32 v22, v22, s20, s6
	v_cmp_gt_i64_e64 s6, s[12:13], 0
	s_mov_b32 s25, -1
	s_mov_b32 s84, 0
	s_mov_b32 s87, 0
	s_mov_b32 s7, -1
	s_wait_loadcnt_dscnt 0x0
	s_and_b32 vcc_lo, exec_lo, s6
	s_barrier_signal -1
	s_barrier_wait -1
	global_inv scope:SCOPE_SE
                                        ; implicit-def: $vgpr44
	s_wait_alu 0xfffe
	s_cbranch_vccnz .LBB6_213
; %bb.198:                              ;   in Loop: Header=BB6_32 Depth=1
	s_mov_b32 s6, s71
	s_mov_b32 s7, s79
	s_wait_alu 0xfffe
	s_cmp_lg_u64 s[6:7], 0
	s_cbranch_scc0 .LBB6_254
; %bb.199:                              ;   in Loop: Header=BB6_32 Depth=1
	s_add_nc_u64 s[6:7], s[68:69], 0
	s_wait_alu 0xfffe
	s_xor_b64 s[6:7], s[6:7], 0
	s_wait_alu 0xfffe
	s_cvt_f32_u32 s14, s6
	s_cvt_f32_u32 s15, s7
	s_sub_nc_u64 s[88:89], 0, s[6:7]
	s_wait_alu 0xfffe
	s_delay_alu instid0(SALU_CYCLE_1) | instskip(SKIP_1) | instid1(SALU_CYCLE_2)
	s_fmamk_f32 s14, s15, 0x4f800000, s14
	s_wait_alu 0xfffe
	v_s_rcp_f32 s14, s14
	s_delay_alu instid0(TRANS32_DEP_1) | instskip(SKIP_1) | instid1(SALU_CYCLE_2)
	s_mul_f32 s14, s14, 0x5f7ffffc
	s_wait_alu 0xfffe
	s_mul_f32 s15, s14, 0x2f800000
	s_wait_alu 0xfffe
	s_delay_alu instid0(SALU_CYCLE_2) | instskip(SKIP_1) | instid1(SALU_CYCLE_2)
	s_trunc_f32 s15, s15
	s_wait_alu 0xfffe
	s_fmamk_f32 s14, s15, 0xcf800000, s14
	s_cvt_u32_f32 s15, s15
	s_wait_alu 0xfffe
	s_delay_alu instid0(SALU_CYCLE_1) | instskip(SKIP_1) | instid1(SALU_CYCLE_2)
	s_cvt_u32_f32 s14, s14
	s_wait_alu 0xfffe
	s_mul_u64 s[90:91], s[88:89], s[14:15]
	s_wait_alu 0xfffe
	s_mul_hi_u32 s93, s14, s91
	s_mul_i32 s92, s14, s91
	s_mul_hi_u32 s70, s14, s90
	s_mul_i32 s94, s15, s90
	s_wait_alu 0xfffe
	s_add_nc_u64 s[92:93], s[70:71], s[92:93]
	s_mul_hi_u32 s87, s15, s90
	s_mul_hi_u32 s95, s15, s91
	s_wait_alu 0xfffe
	s_add_co_u32 s70, s92, s94
	s_add_co_ci_u32 s70, s93, s87
	s_mul_i32 s90, s15, s91
	s_add_co_ci_u32 s91, s95, 0
	s_wait_alu 0xfffe
	s_add_nc_u64 s[90:91], s[70:71], s[90:91]
	s_wait_alu 0xfffe
	s_add_co_u32 s14, s14, s90
	s_cselect_b32 s70, -1, 0
	s_wait_alu 0xfffe
	s_cmp_lg_u32 s70, 0
	s_add_co_ci_u32 s15, s15, s91
	s_wait_alu 0xfffe
	s_mul_u64 s[88:89], s[88:89], s[14:15]
	s_wait_alu 0xfffe
	s_mul_hi_u32 s91, s14, s89
	s_mul_i32 s90, s14, s89
	s_mul_hi_u32 s70, s14, s88
	s_mul_i32 s92, s15, s88
	s_wait_alu 0xfffe
	s_add_nc_u64 s[90:91], s[70:71], s[90:91]
	s_mul_hi_u32 s87, s15, s88
	s_mul_hi_u32 s93, s15, s89
	s_wait_alu 0xfffe
	s_add_co_u32 s70, s90, s92
	s_add_co_ci_u32 s70, s91, s87
	s_mul_i32 s88, s15, s89
	s_add_co_ci_u32 s89, s93, 0
	s_wait_alu 0xfffe
	s_add_nc_u64 s[88:89], s[70:71], s[88:89]
	s_wait_alu 0xfffe
	s_add_co_u32 s87, s14, s88
	s_cselect_b32 s14, -1, 0
	s_wait_alu 0xfffe
	s_cmp_lg_u32 s14, 0
	s_add_co_ci_u32 s92, s15, s89
	s_ashr_i32 s14, s79, 31
	s_wait_alu 0xfffe
	s_mov_b32 s15, s14
	s_wait_alu 0xfffe
	s_add_nc_u64 s[88:89], s[78:79], s[14:15]
	s_wait_alu 0xfffe
	s_xor_b64 s[88:89], s[88:89], s[14:15]
	s_wait_alu 0xfffe
	s_mul_hi_u32 s91, s88, s92
	s_mul_i32 s90, s88, s92
	s_mul_hi_u32 s70, s88, s87
	s_mul_hi_u32 s94, s89, s87
	s_mul_i32 s87, s89, s87
	s_wait_alu 0xfffe
	s_add_nc_u64 s[90:91], s[70:71], s[90:91]
	s_mul_hi_u32 s93, s89, s92
	s_wait_alu 0xfffe
	s_add_co_u32 s70, s90, s87
	s_add_co_ci_u32 s70, s91, s94
	s_mul_i32 s92, s89, s92
	s_add_co_ci_u32 s93, s93, 0
	s_wait_alu 0xfffe
	s_add_nc_u64 s[90:91], s[70:71], s[92:93]
	s_wait_alu 0xfffe
	s_mul_u64 s[90:91], s[6:7], s[90:91]
	s_wait_alu 0xfffe
	s_sub_co_u32 s70, s88, s90
	s_cselect_b32 s87, -1, 0
	s_sub_co_i32 s88, s89, s91
	s_wait_alu 0xfffe
	s_cmp_lg_u32 s87, 0
	s_sub_co_ci_u32 s88, s88, s7
	s_sub_co_u32 s90, s70, s6
	s_cselect_b32 s92, -1, 0
	s_wait_alu 0xfffe
	s_cmp_lg_u32 s92, 0
	s_sub_co_ci_u32 s93, s88, 0
	s_wait_alu 0xfffe
	s_cmp_ge_u32 s93, s7
	s_cselect_b32 s94, -1, 0
	s_cmp_ge_u32 s90, s6
	s_cselect_b32 s95, -1, 0
	s_cmp_eq_u32 s93, s7
	s_wait_alu 0xfffe
	s_cselect_b32 s94, s95, s94
	s_cmp_lg_u32 s92, 0
	s_sub_co_ci_u32 s88, s88, s7
	s_sub_co_u32 s92, s90, s6
	s_cselect_b32 s95, -1, 0
	s_wait_alu 0xfffe
	s_cmp_lg_u32 s95, 0
	s_sub_co_ci_u32 s88, s88, 0
	s_cmp_lg_u32 s94, 0
	s_cselect_b32 s90, s92, s90
	s_wait_alu 0xfffe
	s_cselect_b32 s88, s88, s93
	s_cmp_lg_u32 s87, 0
	s_sub_co_ci_u32 s87, s89, s91
	s_wait_alu 0xfffe
	s_cmp_ge_u32 s87, s7
	s_cselect_b32 s89, -1, 0
	s_cmp_ge_u32 s70, s6
	s_cselect_b32 s6, -1, 0
	s_cmp_eq_u32 s87, s7
	s_wait_alu 0xfffe
	s_cselect_b32 s6, s6, s89
	s_wait_alu 0xfffe
	s_cmp_lg_u32 s6, 0
	s_cselect_b32 s7, s88, s87
	s_cselect_b32 s6, s90, s70
	s_wait_alu 0xfffe
	s_xor_b64 s[6:7], s[6:7], s[14:15]
	s_wait_alu 0xfffe
	s_sub_nc_u64 s[6:7], s[6:7], s[14:15]
	s_cbranch_execnz .LBB6_201
.LBB6_200:                              ;   in Loop: Header=BB6_32 Depth=1
	v_cvt_f32_u32_e32 v6, s68
	s_sub_co_i32 s7, 0, s68
	s_delay_alu instid0(VALU_DEP_1) | instskip(NEXT) | instid1(TRANS32_DEP_1)
	v_rcp_iflag_f32_e32 v6, v6
	v_mul_f32_e32 v6, 0x4f7ffffe, v6
	s_delay_alu instid0(VALU_DEP_1) | instskip(NEXT) | instid1(VALU_DEP_1)
	v_cvt_u32_f32_e32 v6, v6
	v_readfirstlane_b32 s6, v6
	s_wait_alu 0xfffe
	s_mul_i32 s7, s7, s6
	s_wait_alu 0xfffe
	s_mul_hi_u32 s7, s6, s7
	s_wait_alu 0xfffe
	s_add_co_i32 s6, s6, s7
	s_wait_alu 0xfffe
	s_mul_hi_u32 s6, s78, s6
	s_wait_alu 0xfffe
	s_mul_i32 s6, s6, s68
	s_wait_alu 0xfffe
	s_sub_co_i32 s6, s78, s6
	s_wait_alu 0xfffe
	s_sub_co_i32 s7, s6, s68
	s_cmp_ge_u32 s6, s68
	s_wait_alu 0xfffe
	s_cselect_b32 s6, s7, s6
	s_wait_alu 0xfffe
	s_sub_co_i32 s7, s6, s68
	s_cmp_ge_u32 s6, s68
	s_wait_alu 0xfffe
	s_cselect_b32 s70, s7, s6
	s_wait_alu 0xfffe
	s_mov_b64 s[6:7], s[70:71]
.LBB6_201:                              ;   in Loop: Header=BB6_32 Depth=1
	s_wait_alu 0xfffe
	s_sub_nc_u64 s[14:15], s[78:79], s[6:7]
	s_mov_b32 s7, 0
	s_mov_b32 s87, 0
	s_mov_b32 s70, exec_lo
                                        ; implicit-def: $vgpr44
	s_wait_alu 0xfffe
	v_cmpx_gt_i64_e64 s[14:15], v[0:1]
	s_cbranch_execz .LBB6_212
; %bb.202:                              ;   in Loop: Header=BB6_32 Depth=1
	v_dual_mov_b32 v6, v12 :: v_dual_mov_b32 v7, v13
	v_dual_mov_b32 v9, v1 :: v_dual_mov_b32 v8, v0
                                        ; implicit-def: $sgpr88
	s_branch .LBB6_205
.LBB6_203:                              ;   in Loop: Header=BB6_205 Depth=2
	s_wait_alu 0xfffe
	s_or_b32 exec_lo, exec_lo, s6
	s_wait_loadcnt_dscnt 0x0
	s_barrier_signal -1
	s_barrier_wait -1
	global_inv scope:SCOPE_SE
	ds_load_u16 v10, v3 offset:3072
	s_mov_b32 s6, -1
	s_mov_b32 s89, -1
	s_wait_loadcnt_dscnt 0x0
	s_barrier_signal -1
	s_barrier_wait -1
	global_inv scope:SCOPE_SE
	v_and_b32_e32 v11, 0xff, v10
	s_delay_alu instid0(VALU_DEP_1)
	v_cmp_ne_u32_e32 vcc_lo, 0, v11
	s_cbranch_vccz .LBB6_208
.LBB6_204:                              ;   in Loop: Header=BB6_205 Depth=2
	s_wait_alu 0xfffe
	s_and_b32 s6, exec_lo, s6
	s_wait_alu 0xfffe
	s_or_b32 s87, s6, s87
	s_and_not1_b32 s6, s88, exec_lo
	s_and_b32 s88, s89, exec_lo
	s_wait_alu 0xfffe
	s_or_b32 s88, s6, s88
	s_and_not1_b32 exec_lo, exec_lo, s87
	s_cbranch_execz .LBB6_211
.LBB6_205:                              ;   Parent Loop BB6_32 Depth=1
                                        ; =>  This Inner Loop Header: Depth=2
	s_mov_b32 s6, exec_lo
	s_delay_alu instid0(VALU_DEP_1)
	v_cmpx_gt_i64_e64 s[36:37], v[8:9]
	s_cbranch_execz .LBB6_203
; %bb.206:                              ;   in Loop: Header=BB6_205 Depth=2
	global_load_u8 v10, v[6:7], off
	s_wait_loadcnt 0x0
	v_and_b32_e32 v11, v10, v43
	s_delay_alu instid0(VALU_DEP_1) | instskip(NEXT) | instid1(VALU_DEP_1)
	v_and_b32_e32 v11, 0xff, v11
	v_cmp_eq_u32_e32 vcc_lo, v11, v22
	s_and_b32 exec_lo, exec_lo, vcc_lo
	s_cbranch_execz .LBB6_203
; %bb.207:                              ;   in Loop: Header=BB6_205 Depth=2
	v_lshlrev_b16 v10, 8, v10
	s_delay_alu instid0(VALU_DEP_1)
	v_or_b32_e32 v10, 1, v10
	ds_store_b16 v3, v10 offset:3072
	s_branch .LBB6_203
.LBB6_208:                              ;   in Loop: Header=BB6_205 Depth=2
	v_add_co_u32 v8, vcc_lo, v8, s68
	s_wait_alu 0xfffd
	v_add_co_ci_u32_e64 v9, null, 0, v9, vcc_lo
	v_add_co_u32 v6, s6, v6, s72
	s_wait_alu 0xf1fe
	v_add_co_ci_u32_e64 v7, null, s73, v7, s6
	s_delay_alu instid0(VALU_DEP_3)
	v_cmp_le_i64_e32 vcc_lo, s[14:15], v[8:9]
	s_mov_b32 s89, 0
	s_or_not1_b32 s6, vcc_lo, exec_lo
	s_branch .LBB6_204
.LBB6_209:                              ;   in Loop: Header=BB6_32 Depth=1
                                        ; implicit-def: $sgpr6_sgpr7
	s_branch .LBB6_154
.LBB6_210:                              ;   in Loop: Header=BB6_32 Depth=1
                                        ; implicit-def: $sgpr14_sgpr15
	s_branch .LBB6_170
.LBB6_211:                              ;   in Loop: Header=BB6_32 Depth=1
	s_or_b32 exec_lo, exec_lo, s87
	v_and_b32_e32 v6, 0xffff, v10
	s_wait_alu 0xfffe
	s_and_b32 s87, s88, exec_lo
	s_delay_alu instid0(VALU_DEP_1)
	v_lshrrev_b32_e32 v44, 8, v6
.LBB6_212:                              ;   in Loop: Header=BB6_32 Depth=1
	s_or_b32 exec_lo, exec_lo, s70
.LBB6_213:                              ;   in Loop: Header=BB6_32 Depth=1
	s_delay_alu instid0(SALU_CYCLE_1)
	s_and_b32 vcc_lo, exec_lo, s7
	s_wait_alu 0xfffe
	s_cbranch_vccz .LBB6_227
; %bb.214:                              ;   in Loop: Header=BB6_32 Depth=1
	s_add_nc_u64 s[6:7], s[12:13], s[76:77]
	s_mov_b32 s14, s71
	s_wait_alu 0xfffe
	s_mov_b32 s15, s7
	s_wait_alu 0xfffe
	s_cmp_lg_u64 s[14:15], 0
	s_cbranch_scc0 .LBB6_255
; %bb.215:                              ;   in Loop: Header=BB6_32 Depth=1
	s_add_nc_u64 s[14:15], s[68:69], 0
	s_wait_alu 0xfffe
	s_xor_b64 s[14:15], s[14:15], 0
	s_wait_alu 0xfffe
	s_cvt_f32_u32 s25, s14
	s_cvt_f32_u32 s70, s15
	s_sub_nc_u64 s[90:91], 0, s[14:15]
	s_wait_alu 0xfffe
	s_delay_alu instid0(SALU_CYCLE_1) | instskip(SKIP_1) | instid1(SALU_CYCLE_2)
	s_fmamk_f32 s25, s70, 0x4f800000, s25
	s_wait_alu 0xfffe
	v_s_rcp_f32 s25, s25
	s_delay_alu instid0(TRANS32_DEP_1) | instskip(SKIP_1) | instid1(SALU_CYCLE_2)
	s_mul_f32 s25, s25, 0x5f7ffffc
	s_wait_alu 0xfffe
	s_mul_f32 s70, s25, 0x2f800000
	s_wait_alu 0xfffe
	s_delay_alu instid0(SALU_CYCLE_2) | instskip(SKIP_1) | instid1(SALU_CYCLE_2)
	s_trunc_f32 s70, s70
	s_wait_alu 0xfffe
	s_fmamk_f32 s25, s70, 0xcf800000, s25
	s_cvt_u32_f32 s89, s70
	s_wait_alu 0xfffe
	s_delay_alu instid0(SALU_CYCLE_1) | instskip(SKIP_1) | instid1(SALU_CYCLE_2)
	s_cvt_u32_f32 s88, s25
	s_wait_alu 0xfffe
	s_mul_u64 s[92:93], s[90:91], s[88:89]
	s_wait_alu 0xfffe
	s_mul_hi_u32 s95, s88, s93
	s_mul_i32 s94, s88, s93
	s_mul_hi_u32 s70, s88, s92
	s_mul_i32 s84, s89, s92
	s_wait_alu 0xfffe
	s_add_nc_u64 s[94:95], s[70:71], s[94:95]
	s_mul_hi_u32 s25, s89, s92
	s_mul_hi_u32 s96, s89, s93
	s_wait_alu 0xfffe
	s_add_co_u32 s70, s94, s84
	s_add_co_ci_u32 s70, s95, s25
	s_mul_i32 s92, s89, s93
	s_add_co_ci_u32 s93, s96, 0
	s_wait_alu 0xfffe
	s_add_nc_u64 s[92:93], s[70:71], s[92:93]
	s_wait_alu 0xfffe
	s_add_co_u32 s88, s88, s92
	s_cselect_b32 s25, -1, 0
	s_wait_alu 0xfffe
	s_cmp_lg_u32 s25, 0
	s_add_co_ci_u32 s89, s89, s93
	s_wait_alu 0xfffe
	s_mul_u64 s[90:91], s[90:91], s[88:89]
	s_wait_alu 0xfffe
	s_mul_hi_u32 s93, s88, s91
	s_mul_i32 s92, s88, s91
	s_mul_hi_u32 s70, s88, s90
	s_mul_i32 s84, s89, s90
	s_wait_alu 0xfffe
	s_add_nc_u64 s[92:93], s[70:71], s[92:93]
	s_mul_hi_u32 s25, s89, s90
	s_mul_hi_u32 s94, s89, s91
	s_wait_alu 0xfffe
	s_add_co_u32 s70, s92, s84
	s_add_co_ci_u32 s70, s93, s25
	s_mul_i32 s90, s89, s91
	s_add_co_ci_u32 s91, s94, 0
	s_wait_alu 0xfffe
	s_add_nc_u64 s[90:91], s[70:71], s[90:91]
	s_wait_alu 0xfffe
	s_add_co_u32 s25, s88, s90
	s_cselect_b32 s70, -1, 0
	s_wait_alu 0xfffe
	s_cmp_lg_u32 s70, 0
	s_add_co_ci_u32 s84, s89, s91
	s_ashr_i32 s88, s7, 31
	s_wait_alu 0xfffe
	s_mov_b32 s89, s88
	s_wait_alu 0xfffe
	s_add_nc_u64 s[90:91], s[6:7], s[88:89]
	s_wait_alu 0xfffe
	s_xor_b64 s[90:91], s[90:91], s[88:89]
	s_wait_alu 0xfffe
	s_mul_hi_u32 s93, s90, s84
	s_mul_i32 s92, s90, s84
	s_mul_hi_u32 s70, s90, s25
	s_mul_hi_u32 s96, s91, s25
	s_mul_i32 s25, s91, s25
	s_wait_alu 0xfffe
	s_add_nc_u64 s[92:93], s[70:71], s[92:93]
	s_mul_hi_u32 s95, s91, s84
	s_wait_alu 0xfffe
	s_add_co_u32 s25, s92, s25
	s_add_co_ci_u32 s70, s93, s96
	s_mul_i32 s94, s91, s84
	s_add_co_ci_u32 s95, s95, 0
	s_wait_alu 0xfffe
	s_add_nc_u64 s[92:93], s[70:71], s[94:95]
	s_wait_alu 0xfffe
	s_mul_u64 s[92:93], s[14:15], s[92:93]
	s_wait_alu 0xfffe
	s_sub_co_u32 s25, s90, s92
	s_cselect_b32 s70, -1, 0
	s_sub_co_i32 s84, s91, s93
	s_wait_alu 0xfffe
	s_cmp_lg_u32 s70, 0
	s_sub_co_ci_u32 s84, s84, s15
	s_sub_co_u32 s90, s25, s14
	s_cselect_b32 s92, -1, 0
	s_wait_alu 0xfffe
	s_cmp_lg_u32 s92, 0
	s_sub_co_ci_u32 s94, s84, 0
	s_wait_alu 0xfffe
	s_cmp_ge_u32 s94, s15
	s_cselect_b32 s95, -1, 0
	s_cmp_ge_u32 s90, s14
	s_cselect_b32 s96, -1, 0
	s_cmp_eq_u32 s94, s15
	s_wait_alu 0xfffe
	s_cselect_b32 s95, s96, s95
	s_cmp_lg_u32 s92, 0
	s_sub_co_ci_u32 s84, s84, s15
	s_sub_co_u32 s92, s90, s14
	s_cselect_b32 s96, -1, 0
	s_wait_alu 0xfffe
	s_cmp_lg_u32 s96, 0
	s_sub_co_ci_u32 s84, s84, 0
	s_cmp_lg_u32 s95, 0
	s_cselect_b32 s90, s92, s90
	s_wait_alu 0xfffe
	s_cselect_b32 s84, s84, s94
	s_cmp_lg_u32 s70, 0
	s_sub_co_ci_u32 s70, s91, s93
	s_wait_alu 0xfffe
	s_cmp_ge_u32 s70, s15
	s_cselect_b32 s91, -1, 0
	s_cmp_ge_u32 s25, s14
	s_cselect_b32 s14, -1, 0
	s_cmp_eq_u32 s70, s15
	s_wait_alu 0xfffe
	s_cselect_b32 s14, s14, s91
	s_wait_alu 0xfffe
	s_cmp_lg_u32 s14, 0
	s_cselect_b32 s15, s84, s70
	s_cselect_b32 s14, s90, s25
	s_wait_alu 0xfffe
	s_xor_b64 s[14:15], s[14:15], s[88:89]
	s_wait_alu 0xfffe
	s_sub_nc_u64 s[14:15], s[14:15], s[88:89]
	s_cbranch_execnz .LBB6_217
.LBB6_216:                              ;   in Loop: Header=BB6_32 Depth=1
	v_cvt_f32_u32_e32 v6, s68
	s_sub_co_i32 s15, 0, s68
	s_delay_alu instid0(VALU_DEP_1) | instskip(NEXT) | instid1(TRANS32_DEP_1)
	v_rcp_iflag_f32_e32 v6, v6
	v_mul_f32_e32 v6, 0x4f7ffffe, v6
	s_delay_alu instid0(VALU_DEP_1) | instskip(NEXT) | instid1(VALU_DEP_1)
	v_cvt_u32_f32_e32 v6, v6
	v_readfirstlane_b32 s14, v6
	s_wait_alu 0xfffe
	s_mul_i32 s15, s15, s14
	s_wait_alu 0xfffe
	s_mul_hi_u32 s15, s14, s15
	s_wait_alu 0xfffe
	s_add_co_i32 s14, s14, s15
	s_wait_alu 0xfffe
	s_mul_hi_u32 s14, s6, s14
	s_wait_alu 0xfffe
	s_mul_i32 s14, s14, s68
	s_wait_alu 0xfffe
	s_sub_co_i32 s14, s6, s14
	s_wait_alu 0xfffe
	s_sub_co_i32 s15, s14, s68
	s_cmp_ge_u32 s14, s68
	s_wait_alu 0xfffe
	s_cselect_b32 s14, s15, s14
	s_wait_alu 0xfffe
	s_sub_co_i32 s15, s14, s68
	s_cmp_ge_u32 s14, s68
	s_wait_alu 0xfffe
	s_cselect_b32 s70, s15, s14
	s_wait_alu 0xfffe
	s_mov_b64 s[14:15], s[70:71]
.LBB6_217:                              ;   in Loop: Header=BB6_32 Depth=1
	s_wait_alu 0xfffe
	s_sub_nc_u64 s[6:7], s[6:7], s[14:15]
	s_mov_b32 s14, exec_lo
                                        ; implicit-def: $vgpr44
	s_wait_alu 0xfffe
	v_cmpx_gt_i64_e64 s[6:7], v[0:1]
	s_cbranch_execz .LBB6_226
; %bb.218:                              ;   in Loop: Header=BB6_32 Depth=1
	v_dual_mov_b32 v8, v0 :: v_dual_mov_b32 v7, v1
	v_mov_b32_e32 v6, v0
	s_mov_b32 s15, 0
                                        ; implicit-def: $sgpr25
	s_branch .LBB6_221
.LBB6_219:                              ;   in Loop: Header=BB6_221 Depth=2
	s_wait_alu 0xfffe
	s_or_b32 exec_lo, exec_lo, s70
	s_wait_loadcnt_dscnt 0x0
	s_barrier_signal -1
	s_barrier_wait -1
	global_inv scope:SCOPE_SE
	ds_load_u16 v9, v3 offset:3072
	s_mov_b32 s70, -1
	s_mov_b32 s84, -1
	s_wait_loadcnt_dscnt 0x0
	s_barrier_signal -1
	s_barrier_wait -1
	global_inv scope:SCOPE_SE
	v_and_b32_e32 v10, 0xff, v9
	s_delay_alu instid0(VALU_DEP_1)
	v_cmp_eq_u32_e32 vcc_lo, 0, v10
	s_cbranch_vccnz .LBB6_224
.LBB6_220:                              ;   in Loop: Header=BB6_221 Depth=2
	s_wait_alu 0xfffe
	s_and_b32 s70, exec_lo, s70
	s_wait_alu 0xfffe
	s_or_b32 s15, s70, s15
	s_and_not1_b32 s25, s25, exec_lo
	s_and_b32 s70, s84, exec_lo
	s_wait_alu 0xfffe
	s_or_b32 s25, s25, s70
	s_and_not1_b32 exec_lo, exec_lo, s15
	s_cbranch_execz .LBB6_225
.LBB6_221:                              ;   Parent Loop BB6_32 Depth=1
                                        ; =>  This Inner Loop Header: Depth=2
	s_mov_b32 s70, exec_lo
	s_delay_alu instid0(VALU_DEP_1)
	v_cmpx_gt_u64_e64 s[12:13], v[6:7]
	s_cbranch_execz .LBB6_219
; %bb.222:                              ;   in Loop: Header=BB6_221 Depth=2
	ds_load_u8 v9, v8
	s_wait_dscnt 0x0
	v_and_b32_e32 v10, v9, v43
	s_delay_alu instid0(VALU_DEP_1) | instskip(NEXT) | instid1(VALU_DEP_1)
	v_and_b32_e32 v10, 0xff, v10
	v_cmp_eq_u32_e32 vcc_lo, v10, v22
	s_and_b32 exec_lo, exec_lo, vcc_lo
	s_cbranch_execz .LBB6_219
; %bb.223:                              ;   in Loop: Header=BB6_221 Depth=2
	v_lshlrev_b16 v9, 8, v9
	s_delay_alu instid0(VALU_DEP_1)
	v_or_b32_e32 v9, 1, v9
	ds_store_b16 v3, v9 offset:3072
	s_branch .LBB6_219
.LBB6_224:                              ;   in Loop: Header=BB6_221 Depth=2
	v_add_co_u32 v6, vcc_lo, v6, s68
	s_wait_alu 0xfffd
	v_add_co_ci_u32_e64 v7, null, 0, v7, vcc_lo
	v_add_nc_u32_e32 v8, s68, v8
	s_mov_b32 s84, 0
	s_delay_alu instid0(VALU_DEP_2)
	v_cmp_le_i64_e32 vcc_lo, s[6:7], v[6:7]
	s_or_not1_b32 s70, vcc_lo, exec_lo
	s_branch .LBB6_220
.LBB6_225:                              ;   in Loop: Header=BB6_32 Depth=1
	s_or_b32 exec_lo, exec_lo, s15
	v_and_b32_e32 v6, 0xffff, v9
	s_and_not1_b32 s6, s87, exec_lo
	s_wait_alu 0xfffe
	s_and_b32 s7, s25, exec_lo
	s_wait_alu 0xfffe
	s_or_b32 s87, s6, s7
	v_lshrrev_b32_e32 v44, 8, v6
.LBB6_226:                              ;   in Loop: Header=BB6_32 Depth=1
	s_or_b32 exec_lo, exec_lo, s14
	s_mov_b32 s25, 0
	s_mov_b32 s84, -1
.LBB6_227:                              ;   in Loop: Header=BB6_32 Depth=1
	s_wait_alu 0xfffe
	s_or_not1_b32 s6, s87, exec_lo
.LBB6_228:                              ;   in Loop: Header=BB6_32 Depth=1
	s_wait_alu 0xfffe
	s_or_b32 exec_lo, exec_lo, s86
	s_mov_b32 s7, 0
	s_and_saveexec_b32 s14, s6
	s_cbranch_execz .LBB6_286
; %bb.229:                              ;   in Loop: Header=BB6_32 Depth=1
	v_mov_b32_e32 v6, 1
	v_dual_mov_b32 v7, 0 :: v_dual_mov_b32 v2, 1
	s_xor_b32 s12, s85, -1
	s_wait_alu 0xfffe
	s_and_saveexec_b32 s6, s12
	s_cbranch_execz .LBB6_238
; %bb.230:                              ;   in Loop: Header=BB6_32 Depth=1
	s_mov_b32 s7, exec_lo
	v_cmpx_ge_i64_e64 s[10:11], v[4:5]
	s_wait_alu 0xfffe
	s_xor_b32 s7, exec_lo, s7
	s_cbranch_execz .LBB6_235
; %bb.231:                              ;   in Loop: Header=BB6_32 Depth=1
	ds_load_b64 v[6:7], v3 offset:5120
	s_lshl_b32 s12, 2, s67
	v_or_b32_e32 v43, s16, v43
	s_wait_alu 0xfffe
	v_and_or_b32 v22, v22, s20, s12
	s_wait_dscnt 0x0
	v_cmp_ne_u64_e32 vcc_lo, 0, v[6:7]
	s_cbranch_vccnz .LBB6_235
; %bb.232:                              ;   in Loop: Header=BB6_32 Depth=1
	s_and_saveexec_b32 s12, s2
; %bb.233:                              ;   in Loop: Header=BB6_32 Depth=1
	v_dual_mov_b32 v6, s10 :: v_dual_mov_b32 v7, s11
	ds_store_b64 v3, v[6:7] offset:5128
; %bb.234:                              ;   in Loop: Header=BB6_32 Depth=1
	s_wait_alu 0xfffe
	s_or_b32 exec_lo, exec_lo, s12
	s_wait_loadcnt_dscnt 0x0
	s_barrier_signal -1
	s_barrier_wait -1
	global_inv scope:SCOPE_SE
.LBB6_235:                              ;   in Loop: Header=BB6_32 Depth=1
	s_wait_alu 0xfffe
	s_or_saveexec_b32 s7, s7
	v_mov_b32_e32 v2, 8
	s_mov_b32 s12, 0
	s_wait_alu 0xfffe
	s_xor_b32 exec_lo, exec_lo, s7
; %bb.236:                              ;   in Loop: Header=BB6_32 Depth=1
	v_sub_co_u32 v4, vcc_lo, v4, s10
	s_wait_alu 0xfffd
	v_subrev_co_ci_u32_e64 v5, null, s11, v5, vcc_lo
	v_mov_b32_e32 v2, 0
	s_mov_b32 s12, exec_lo
; %bb.237:                              ;   in Loop: Header=BB6_32 Depth=1
	s_or_b32 exec_lo, exec_lo, s7
	s_delay_alu instid0(VALU_DEP_2)
	v_dual_mov_b32 v7, v5 :: v_dual_mov_b32 v6, v4
	s_wait_alu 0xfffe
	s_and_b32 s7, s12, exec_lo
.LBB6_238:                              ;   in Loop: Header=BB6_32 Depth=1
	s_wait_alu 0xfffe
	s_or_b32 exec_lo, exec_lo, s6
	s_mov_b32 s6, -1
                                        ; implicit-def: $sgpr87
                                        ; implicit-def: $sgpr86
	s_and_saveexec_b32 s15, s7
	s_cbranch_execz .LBB6_285
; %bb.239:                              ;   in Loop: Header=BB6_32 Depth=1
	v_cmp_eq_u64_e32 vcc_lo, 1, v[6:7]
	s_cmp_eq_u64 s[8:9], 1
	s_mov_b32 s7, -1
	s_cselect_b32 s6, -1, 0
                                        ; implicit-def: $sgpr87
                                        ; implicit-def: $sgpr86
	s_wait_alu 0xfffe
	s_and_b32 s20, s6, vcc_lo
	s_wait_alu 0xfffe
	s_and_saveexec_b32 s85, s20
	s_cbranch_execz .LBB6_273
; %bb.240:                              ;   in Loop: Header=BB6_32 Depth=1
	ds_load_b64 v[4:5], v3 offset:5120
	s_wait_loadcnt_dscnt 0x0
	s_barrier_signal -1
	s_barrier_wait -1
	global_inv scope:SCOPE_SE
	v_readfirstlane_b32 s10, v4
	v_readfirstlane_b32 s11, v5
	s_and_saveexec_b32 s6, s3
; %bb.241:                              ;   in Loop: Header=BB6_32 Depth=1
	ds_store_b8 v0, v3 offset:3072
; %bb.242:                              ;   in Loop: Header=BB6_32 Depth=1
	s_wait_alu 0xfffe
	s_or_b32 exec_lo, exec_lo, s6
	v_cmp_gt_i64_e64 s6, s[10:11], 0
	v_or_b32_e32 v22, s16, v22
	v_or_b32_e32 v43, s16, v43
	s_mov_b32 s86, -1
	s_mov_b32 s87, 0
	s_mov_b32 s88, 0
	s_and_b32 vcc_lo, exec_lo, s6
	s_wait_loadcnt_dscnt 0x0
	s_barrier_signal -1
	s_barrier_wait -1
	global_inv scope:SCOPE_SE
                                        ; implicit-def: $vgpr44
	s_wait_alu 0xfffe
	s_cbranch_vccnz .LBB6_258
; %bb.243:                              ;   in Loop: Header=BB6_32 Depth=1
	s_mov_b32 s6, s71
	s_mov_b32 s7, s79
	s_wait_alu 0xfffe
	s_cmp_lg_u64 s[6:7], 0
	s_cbranch_scc0 .LBB6_292
; %bb.244:                              ;   in Loop: Header=BB6_32 Depth=1
	s_add_nc_u64 s[6:7], s[68:69], 0
	s_wait_alu 0xfffe
	s_xor_b64 s[6:7], s[6:7], 0
	s_wait_alu 0xfffe
	s_cvt_f32_u32 s12, s6
	s_cvt_f32_u32 s13, s7
	s_sub_nc_u64 s[88:89], 0, s[6:7]
	s_wait_alu 0xfffe
	s_delay_alu instid0(SALU_CYCLE_1) | instskip(SKIP_1) | instid1(SALU_CYCLE_2)
	s_fmamk_f32 s12, s13, 0x4f800000, s12
	s_wait_alu 0xfffe
	v_s_rcp_f32 s12, s12
	s_delay_alu instid0(TRANS32_DEP_1) | instskip(SKIP_1) | instid1(SALU_CYCLE_2)
	s_mul_f32 s12, s12, 0x5f7ffffc
	s_wait_alu 0xfffe
	s_mul_f32 s13, s12, 0x2f800000
	s_wait_alu 0xfffe
	s_delay_alu instid0(SALU_CYCLE_2) | instskip(SKIP_1) | instid1(SALU_CYCLE_2)
	s_trunc_f32 s13, s13
	s_wait_alu 0xfffe
	s_fmamk_f32 s12, s13, 0xcf800000, s12
	s_cvt_u32_f32 s13, s13
	s_wait_alu 0xfffe
	s_delay_alu instid0(SALU_CYCLE_1) | instskip(SKIP_1) | instid1(SALU_CYCLE_2)
	s_cvt_u32_f32 s12, s12
	s_wait_alu 0xfffe
	s_mul_u64 s[90:91], s[88:89], s[12:13]
	s_wait_alu 0xfffe
	s_mul_hi_u32 s93, s12, s91
	s_mul_i32 s92, s12, s91
	s_mul_hi_u32 s70, s12, s90
	s_mul_i32 s95, s13, s90
	s_wait_alu 0xfffe
	s_add_nc_u64 s[92:93], s[70:71], s[92:93]
	s_mul_hi_u32 s94, s13, s90
	s_mul_hi_u32 s96, s13, s91
	s_wait_alu 0xfffe
	s_add_co_u32 s70, s92, s95
	s_add_co_ci_u32 s70, s93, s94
	s_mul_i32 s90, s13, s91
	s_add_co_ci_u32 s91, s96, 0
	s_wait_alu 0xfffe
	s_add_nc_u64 s[90:91], s[70:71], s[90:91]
	s_wait_alu 0xfffe
	s_add_co_u32 s12, s12, s90
	s_cselect_b32 s70, -1, 0
	s_wait_alu 0xfffe
	s_cmp_lg_u32 s70, 0
	s_add_co_ci_u32 s13, s13, s91
	s_wait_alu 0xfffe
	s_mul_u64 s[88:89], s[88:89], s[12:13]
	s_wait_alu 0xfffe
	s_mul_hi_u32 s91, s12, s89
	s_mul_i32 s90, s12, s89
	s_mul_hi_u32 s70, s12, s88
	s_mul_i32 s93, s13, s88
	s_wait_alu 0xfffe
	s_add_nc_u64 s[90:91], s[70:71], s[90:91]
	s_mul_hi_u32 s92, s13, s88
	s_mul_hi_u32 s94, s13, s89
	s_wait_alu 0xfffe
	s_add_co_u32 s70, s90, s93
	s_add_co_ci_u32 s70, s91, s92
	s_mul_i32 s88, s13, s89
	s_add_co_ci_u32 s89, s94, 0
	s_wait_alu 0xfffe
	s_add_nc_u64 s[88:89], s[70:71], s[88:89]
	s_wait_alu 0xfffe
	s_add_co_u32 s92, s12, s88
	s_cselect_b32 s12, -1, 0
	s_wait_alu 0xfffe
	s_cmp_lg_u32 s12, 0
	s_add_co_ci_u32 s93, s13, s89
	s_ashr_i32 s12, s79, 31
	s_wait_alu 0xfffe
	s_mov_b32 s13, s12
	s_wait_alu 0xfffe
	s_add_nc_u64 s[88:89], s[78:79], s[12:13]
	s_wait_alu 0xfffe
	s_xor_b64 s[88:89], s[88:89], s[12:13]
	s_wait_alu 0xfffe
	s_mul_hi_u32 s91, s88, s93
	s_mul_i32 s90, s88, s93
	s_mul_hi_u32 s70, s88, s92
	s_mul_i32 s96, s89, s92
	s_wait_alu 0xfffe
	s_add_nc_u64 s[90:91], s[70:71], s[90:91]
	s_mul_hi_u32 s95, s89, s92
	s_mul_hi_u32 s94, s89, s93
	s_wait_alu 0xfffe
	s_add_co_u32 s70, s90, s96
	s_add_co_ci_u32 s70, s91, s95
	s_mul_i32 s92, s89, s93
	s_add_co_ci_u32 s93, s94, 0
	s_wait_alu 0xfffe
	s_add_nc_u64 s[90:91], s[70:71], s[92:93]
	s_wait_alu 0xfffe
	s_mul_u64 s[90:91], s[6:7], s[90:91]
	s_wait_alu 0xfffe
	s_sub_co_u32 s70, s88, s90
	s_cselect_b32 s88, -1, 0
	s_sub_co_i32 s90, s89, s91
	s_wait_alu 0xfffe
	s_cmp_lg_u32 s88, 0
	s_sub_co_ci_u32 s90, s90, s7
	s_sub_co_u32 s92, s70, s6
	s_cselect_b32 s93, -1, 0
	s_wait_alu 0xfffe
	s_cmp_lg_u32 s93, 0
	s_sub_co_ci_u32 s94, s90, 0
	s_wait_alu 0xfffe
	s_cmp_ge_u32 s94, s7
	s_cselect_b32 s95, -1, 0
	s_cmp_ge_u32 s92, s6
	s_cselect_b32 s96, -1, 0
	s_cmp_eq_u32 s94, s7
	s_wait_alu 0xfffe
	s_cselect_b32 s95, s96, s95
	s_cmp_lg_u32 s93, 0
	s_sub_co_ci_u32 s90, s90, s7
	s_sub_co_u32 s93, s92, s6
	s_cselect_b32 s96, -1, 0
	s_wait_alu 0xfffe
	s_cmp_lg_u32 s96, 0
	s_sub_co_ci_u32 s90, s90, 0
	s_cmp_lg_u32 s95, 0
	s_cselect_b32 s92, s93, s92
	s_wait_alu 0xfffe
	s_cselect_b32 s90, s90, s94
	s_cmp_lg_u32 s88, 0
	s_sub_co_ci_u32 s88, s89, s91
	s_wait_alu 0xfffe
	s_cmp_ge_u32 s88, s7
	s_cselect_b32 s89, -1, 0
	s_cmp_ge_u32 s70, s6
	s_cselect_b32 s6, -1, 0
	s_cmp_eq_u32 s88, s7
	s_wait_alu 0xfffe
	s_cselect_b32 s6, s6, s89
	s_wait_alu 0xfffe
	s_cmp_lg_u32 s6, 0
	s_cselect_b32 s7, s90, s88
	s_cselect_b32 s6, s92, s70
	s_wait_alu 0xfffe
	s_xor_b64 s[6:7], s[6:7], s[12:13]
	s_wait_alu 0xfffe
	s_sub_nc_u64 s[6:7], s[6:7], s[12:13]
	s_cbranch_execnz .LBB6_246
.LBB6_245:                              ;   in Loop: Header=BB6_32 Depth=1
	v_cvt_f32_u32_e32 v4, s68
	s_sub_co_i32 s7, 0, s68
	s_delay_alu instid0(VALU_DEP_1) | instskip(NEXT) | instid1(TRANS32_DEP_1)
	v_rcp_iflag_f32_e32 v4, v4
	v_mul_f32_e32 v4, 0x4f7ffffe, v4
	s_delay_alu instid0(VALU_DEP_1) | instskip(NEXT) | instid1(VALU_DEP_1)
	v_cvt_u32_f32_e32 v4, v4
	v_readfirstlane_b32 s6, v4
	s_wait_alu 0xfffe
	s_mul_i32 s7, s7, s6
	s_wait_alu 0xfffe
	s_mul_hi_u32 s7, s6, s7
	s_wait_alu 0xfffe
	s_add_co_i32 s6, s6, s7
	s_wait_alu 0xfffe
	s_mul_hi_u32 s6, s78, s6
	s_wait_alu 0xfffe
	s_mul_i32 s6, s6, s68
	s_wait_alu 0xfffe
	s_sub_co_i32 s6, s78, s6
	s_wait_alu 0xfffe
	s_sub_co_i32 s7, s6, s68
	s_cmp_ge_u32 s6, s68
	s_wait_alu 0xfffe
	s_cselect_b32 s6, s7, s6
	s_wait_alu 0xfffe
	s_sub_co_i32 s7, s6, s68
	s_cmp_ge_u32 s6, s68
	s_wait_alu 0xfffe
	s_cselect_b32 s70, s7, s6
	s_wait_alu 0xfffe
	s_mov_b64 s[6:7], s[70:71]
.LBB6_246:                              ;   in Loop: Header=BB6_32 Depth=1
	s_wait_alu 0xfffe
	s_sub_nc_u64 s[12:13], s[78:79], s[6:7]
	s_mov_b32 s7, 0
	s_mov_b32 s88, 0
	s_mov_b32 s70, exec_lo
                                        ; implicit-def: $vgpr44
	s_wait_alu 0xfffe
	v_cmpx_gt_i64_e64 s[12:13], v[0:1]
	s_cbranch_execz .LBB6_257
; %bb.247:                              ;   in Loop: Header=BB6_32 Depth=1
	v_dual_mov_b32 v4, v12 :: v_dual_mov_b32 v5, v13
	v_dual_mov_b32 v9, v1 :: v_dual_mov_b32 v8, v0
                                        ; implicit-def: $sgpr89
	s_branch .LBB6_250
.LBB6_248:                              ;   in Loop: Header=BB6_250 Depth=2
	s_wait_alu 0xfffe
	s_or_b32 exec_lo, exec_lo, s6
	s_wait_loadcnt_dscnt 0x0
	s_barrier_signal -1
	s_barrier_wait -1
	global_inv scope:SCOPE_SE
	ds_load_u16 v10, v3 offset:3072
	s_mov_b32 s6, -1
	s_mov_b32 s90, -1
	s_wait_loadcnt_dscnt 0x0
	s_barrier_signal -1
	s_barrier_wait -1
	global_inv scope:SCOPE_SE
	v_and_b32_e32 v11, 0xff, v10
	s_delay_alu instid0(VALU_DEP_1)
	v_cmp_ne_u32_e32 vcc_lo, 0, v11
	s_cbranch_vccz .LBB6_253
.LBB6_249:                              ;   in Loop: Header=BB6_250 Depth=2
	s_wait_alu 0xfffe
	s_and_b32 s6, exec_lo, s6
	s_wait_alu 0xfffe
	s_or_b32 s88, s6, s88
	s_and_not1_b32 s6, s89, exec_lo
	s_and_b32 s89, s90, exec_lo
	s_wait_alu 0xfffe
	s_or_b32 s89, s6, s89
	s_and_not1_b32 exec_lo, exec_lo, s88
	s_cbranch_execz .LBB6_256
.LBB6_250:                              ;   Parent Loop BB6_32 Depth=1
                                        ; =>  This Inner Loop Header: Depth=2
	s_mov_b32 s6, exec_lo
	s_delay_alu instid0(VALU_DEP_1)
	v_cmpx_gt_i64_e64 s[36:37], v[8:9]
	s_cbranch_execz .LBB6_248
; %bb.251:                              ;   in Loop: Header=BB6_250 Depth=2
	global_load_u8 v10, v[4:5], off
	s_wait_loadcnt 0x0
	v_and_b32_e32 v11, v10, v43
	s_delay_alu instid0(VALU_DEP_1) | instskip(NEXT) | instid1(VALU_DEP_1)
	v_and_b32_e32 v11, 0xff, v11
	v_cmp_eq_u32_e32 vcc_lo, v11, v22
	s_and_b32 exec_lo, exec_lo, vcc_lo
	s_cbranch_execz .LBB6_248
; %bb.252:                              ;   in Loop: Header=BB6_250 Depth=2
	v_lshlrev_b16 v10, 8, v10
	s_delay_alu instid0(VALU_DEP_1)
	v_or_b32_e32 v10, 1, v10
	ds_store_b16 v3, v10 offset:3072
	s_branch .LBB6_248
.LBB6_253:                              ;   in Loop: Header=BB6_250 Depth=2
	v_add_co_u32 v8, vcc_lo, v8, s68
	s_wait_alu 0xfffd
	v_add_co_ci_u32_e64 v9, null, 0, v9, vcc_lo
	v_add_co_u32 v4, s6, v4, s72
	s_wait_alu 0xf1fe
	v_add_co_ci_u32_e64 v5, null, s73, v5, s6
	s_delay_alu instid0(VALU_DEP_3)
	v_cmp_le_i64_e32 vcc_lo, s[12:13], v[8:9]
	s_mov_b32 s90, 0
	s_or_not1_b32 s6, vcc_lo, exec_lo
	s_branch .LBB6_249
.LBB6_254:                              ;   in Loop: Header=BB6_32 Depth=1
                                        ; implicit-def: $sgpr6_sgpr7
	s_branch .LBB6_200
.LBB6_255:                              ;   in Loop: Header=BB6_32 Depth=1
                                        ; implicit-def: $sgpr14_sgpr15
	s_branch .LBB6_216
.LBB6_256:                              ;   in Loop: Header=BB6_32 Depth=1
	s_or_b32 exec_lo, exec_lo, s88
	v_and_b32_e32 v4, 0xffff, v10
	s_wait_alu 0xfffe
	s_and_b32 s88, s89, exec_lo
	s_delay_alu instid0(VALU_DEP_1)
	v_lshrrev_b32_e32 v44, 8, v4
.LBB6_257:                              ;   in Loop: Header=BB6_32 Depth=1
	s_or_b32 exec_lo, exec_lo, s70
.LBB6_258:                              ;   in Loop: Header=BB6_32 Depth=1
	s_delay_alu instid0(SALU_CYCLE_1)
	s_and_b32 vcc_lo, exec_lo, s7
	s_wait_alu 0xfffe
	s_cbranch_vccz .LBB6_272
; %bb.259:                              ;   in Loop: Header=BB6_32 Depth=1
	s_add_nc_u64 s[6:7], s[10:11], s[76:77]
	s_mov_b32 s12, s71
	s_wait_alu 0xfffe
	s_mov_b32 s13, s7
	s_wait_alu 0xfffe
	s_cmp_lg_u64 s[12:13], 0
	s_cbranch_scc0 .LBB6_293
; %bb.260:                              ;   in Loop: Header=BB6_32 Depth=1
	s_add_nc_u64 s[12:13], s[68:69], 0
	s_wait_alu 0xfffe
	s_xor_b64 s[12:13], s[12:13], 0
	s_wait_alu 0xfffe
	s_cvt_f32_u32 s70, s12
	s_cvt_f32_u32 s86, s13
	s_sub_nc_u64 s[90:91], 0, s[12:13]
	s_wait_alu 0xfffe
	s_delay_alu instid0(SALU_CYCLE_1) | instskip(SKIP_1) | instid1(SALU_CYCLE_2)
	s_fmamk_f32 s70, s86, 0x4f800000, s70
	s_wait_alu 0xfffe
	v_s_rcp_f32 s70, s70
	s_delay_alu instid0(TRANS32_DEP_1) | instskip(SKIP_1) | instid1(SALU_CYCLE_2)
	s_mul_f32 s70, s70, 0x5f7ffffc
	s_wait_alu 0xfffe
	s_mul_f32 s86, s70, 0x2f800000
	s_wait_alu 0xfffe
	s_delay_alu instid0(SALU_CYCLE_2) | instskip(SKIP_1) | instid1(SALU_CYCLE_2)
	s_trunc_f32 s86, s86
	s_wait_alu 0xfffe
	s_fmamk_f32 s70, s86, 0xcf800000, s70
	s_cvt_u32_f32 s87, s86
	s_wait_alu 0xfffe
	s_delay_alu instid0(SALU_CYCLE_1) | instskip(SKIP_1) | instid1(SALU_CYCLE_2)
	s_cvt_u32_f32 s86, s70
	s_wait_alu 0xfffe
	s_mul_u64 s[92:93], s[90:91], s[86:87]
	s_wait_alu 0xfffe
	s_mul_hi_u32 s95, s86, s93
	s_mul_i32 s94, s86, s93
	s_mul_hi_u32 s70, s86, s92
	s_mul_i32 s96, s87, s92
	s_wait_alu 0xfffe
	s_add_nc_u64 s[94:95], s[70:71], s[94:95]
	s_mul_hi_u32 s89, s87, s92
	s_mul_hi_u32 s97, s87, s93
	s_wait_alu 0xfffe
	s_add_co_u32 s70, s94, s96
	s_add_co_ci_u32 s70, s95, s89
	s_mul_i32 s92, s87, s93
	s_add_co_ci_u32 s93, s97, 0
	s_wait_alu 0xfffe
	s_add_nc_u64 s[92:93], s[70:71], s[92:93]
	s_wait_alu 0xfffe
	s_add_co_u32 s86, s86, s92
	s_cselect_b32 s70, -1, 0
	s_wait_alu 0xfffe
	s_cmp_lg_u32 s70, 0
	s_add_co_ci_u32 s87, s87, s93
	s_wait_alu 0xfffe
	s_mul_u64 s[90:91], s[90:91], s[86:87]
	s_wait_alu 0xfffe
	s_mul_hi_u32 s93, s86, s91
	s_mul_i32 s92, s86, s91
	s_mul_hi_u32 s70, s86, s90
	s_mul_i32 s94, s87, s90
	s_wait_alu 0xfffe
	s_add_nc_u64 s[92:93], s[70:71], s[92:93]
	s_mul_hi_u32 s89, s87, s90
	s_mul_hi_u32 s95, s87, s91
	s_wait_alu 0xfffe
	s_add_co_u32 s70, s92, s94
	s_add_co_ci_u32 s70, s93, s89
	s_mul_i32 s90, s87, s91
	s_add_co_ci_u32 s91, s95, 0
	s_wait_alu 0xfffe
	s_add_nc_u64 s[90:91], s[70:71], s[90:91]
	s_wait_alu 0xfffe
	s_add_co_u32 s89, s86, s90
	s_cselect_b32 s70, -1, 0
	s_wait_alu 0xfffe
	s_cmp_lg_u32 s70, 0
	s_add_co_ci_u32 s94, s87, s91
	s_ashr_i32 s86, s7, 31
	s_wait_alu 0xfffe
	s_mov_b32 s87, s86
	s_wait_alu 0xfffe
	s_add_nc_u64 s[90:91], s[6:7], s[86:87]
	s_wait_alu 0xfffe
	s_xor_b64 s[90:91], s[90:91], s[86:87]
	s_wait_alu 0xfffe
	s_mul_hi_u32 s93, s90, s94
	s_mul_i32 s92, s90, s94
	s_mul_hi_u32 s70, s90, s89
	s_mul_hi_u32 s96, s91, s89
	s_mul_i32 s89, s91, s89
	s_wait_alu 0xfffe
	s_add_nc_u64 s[92:93], s[70:71], s[92:93]
	s_mul_hi_u32 s95, s91, s94
	s_wait_alu 0xfffe
	s_add_co_u32 s70, s92, s89
	s_add_co_ci_u32 s70, s93, s96
	s_mul_i32 s94, s91, s94
	s_add_co_ci_u32 s95, s95, 0
	s_wait_alu 0xfffe
	s_add_nc_u64 s[92:93], s[70:71], s[94:95]
	s_wait_alu 0xfffe
	s_mul_u64 s[92:93], s[12:13], s[92:93]
	s_wait_alu 0xfffe
	s_sub_co_u32 s70, s90, s92
	s_cselect_b32 s89, -1, 0
	s_sub_co_i32 s90, s91, s93
	s_wait_alu 0xfffe
	s_cmp_lg_u32 s89, 0
	s_sub_co_ci_u32 s90, s90, s13
	s_sub_co_u32 s92, s70, s12
	s_cselect_b32 s94, -1, 0
	s_wait_alu 0xfffe
	s_cmp_lg_u32 s94, 0
	s_sub_co_ci_u32 s95, s90, 0
	s_wait_alu 0xfffe
	s_cmp_ge_u32 s95, s13
	s_cselect_b32 s96, -1, 0
	s_cmp_ge_u32 s92, s12
	s_cselect_b32 s97, -1, 0
	s_cmp_eq_u32 s95, s13
	s_wait_alu 0xfffe
	s_cselect_b32 s96, s97, s96
	s_cmp_lg_u32 s94, 0
	s_sub_co_ci_u32 s90, s90, s13
	s_sub_co_u32 s94, s92, s12
	s_cselect_b32 s97, -1, 0
	s_wait_alu 0xfffe
	s_cmp_lg_u32 s97, 0
	s_sub_co_ci_u32 s90, s90, 0
	s_cmp_lg_u32 s96, 0
	s_cselect_b32 s92, s94, s92
	s_wait_alu 0xfffe
	s_cselect_b32 s90, s90, s95
	s_cmp_lg_u32 s89, 0
	s_sub_co_ci_u32 s89, s91, s93
	s_wait_alu 0xfffe
	s_cmp_ge_u32 s89, s13
	s_cselect_b32 s91, -1, 0
	s_cmp_ge_u32 s70, s12
	s_cselect_b32 s12, -1, 0
	s_cmp_eq_u32 s89, s13
	s_wait_alu 0xfffe
	s_cselect_b32 s12, s12, s91
	s_wait_alu 0xfffe
	s_cmp_lg_u32 s12, 0
	s_cselect_b32 s13, s90, s89
	s_cselect_b32 s12, s92, s70
	s_wait_alu 0xfffe
	s_xor_b64 s[12:13], s[12:13], s[86:87]
	s_wait_alu 0xfffe
	s_sub_nc_u64 s[12:13], s[12:13], s[86:87]
	s_cbranch_execnz .LBB6_262
.LBB6_261:                              ;   in Loop: Header=BB6_32 Depth=1
	v_cvt_f32_u32_e32 v4, s68
	s_sub_co_i32 s13, 0, s68
	s_delay_alu instid0(VALU_DEP_1) | instskip(NEXT) | instid1(TRANS32_DEP_1)
	v_rcp_iflag_f32_e32 v4, v4
	v_mul_f32_e32 v4, 0x4f7ffffe, v4
	s_delay_alu instid0(VALU_DEP_1) | instskip(NEXT) | instid1(VALU_DEP_1)
	v_cvt_u32_f32_e32 v4, v4
	v_readfirstlane_b32 s12, v4
	s_wait_alu 0xfffe
	s_mul_i32 s13, s13, s12
	s_wait_alu 0xfffe
	s_mul_hi_u32 s13, s12, s13
	s_wait_alu 0xfffe
	s_add_co_i32 s12, s12, s13
	s_wait_alu 0xfffe
	s_mul_hi_u32 s12, s6, s12
	s_wait_alu 0xfffe
	s_mul_i32 s12, s12, s68
	s_wait_alu 0xfffe
	s_sub_co_i32 s12, s6, s12
	s_wait_alu 0xfffe
	s_sub_co_i32 s13, s12, s68
	s_cmp_ge_u32 s12, s68
	s_wait_alu 0xfffe
	s_cselect_b32 s12, s13, s12
	s_wait_alu 0xfffe
	s_sub_co_i32 s13, s12, s68
	s_cmp_ge_u32 s12, s68
	s_wait_alu 0xfffe
	s_cselect_b32 s70, s13, s12
	s_wait_alu 0xfffe
	s_mov_b64 s[12:13], s[70:71]
.LBB6_262:                              ;   in Loop: Header=BB6_32 Depth=1
	s_wait_alu 0xfffe
	s_sub_nc_u64 s[6:7], s[6:7], s[12:13]
	s_mov_b32 s12, exec_lo
                                        ; implicit-def: $vgpr44
	s_wait_alu 0xfffe
	v_cmpx_gt_i64_e64 s[6:7], v[0:1]
	s_cbranch_execz .LBB6_271
; %bb.263:                              ;   in Loop: Header=BB6_32 Depth=1
	v_dual_mov_b32 v8, v0 :: v_dual_mov_b32 v5, v1
	v_mov_b32_e32 v4, v0
	s_mov_b32 s13, 0
                                        ; implicit-def: $sgpr70
	s_branch .LBB6_266
.LBB6_264:                              ;   in Loop: Header=BB6_266 Depth=2
	s_wait_alu 0xfffe
	s_or_b32 exec_lo, exec_lo, s86
	s_wait_loadcnt_dscnt 0x0
	s_barrier_signal -1
	s_barrier_wait -1
	global_inv scope:SCOPE_SE
	ds_load_u16 v9, v3 offset:3072
	s_mov_b32 s86, -1
	s_mov_b32 s87, -1
	s_wait_loadcnt_dscnt 0x0
	s_barrier_signal -1
	s_barrier_wait -1
	global_inv scope:SCOPE_SE
	v_and_b32_e32 v10, 0xff, v9
	s_delay_alu instid0(VALU_DEP_1)
	v_cmp_eq_u32_e32 vcc_lo, 0, v10
	s_cbranch_vccnz .LBB6_269
.LBB6_265:                              ;   in Loop: Header=BB6_266 Depth=2
	s_wait_alu 0xfffe
	s_and_b32 s86, exec_lo, s86
	s_wait_alu 0xfffe
	s_or_b32 s13, s86, s13
	s_and_not1_b32 s70, s70, exec_lo
	s_and_b32 s86, s87, exec_lo
	s_wait_alu 0xfffe
	s_or_b32 s70, s70, s86
	s_and_not1_b32 exec_lo, exec_lo, s13
	s_cbranch_execz .LBB6_270
.LBB6_266:                              ;   Parent Loop BB6_32 Depth=1
                                        ; =>  This Inner Loop Header: Depth=2
	s_mov_b32 s86, exec_lo
	s_delay_alu instid0(VALU_DEP_1)
	v_cmpx_gt_u64_e64 s[10:11], v[4:5]
	s_cbranch_execz .LBB6_264
; %bb.267:                              ;   in Loop: Header=BB6_266 Depth=2
	ds_load_u8 v9, v8
	s_wait_dscnt 0x0
	v_and_b32_e32 v10, v9, v43
	s_delay_alu instid0(VALU_DEP_1) | instskip(NEXT) | instid1(VALU_DEP_1)
	v_and_b32_e32 v10, 0xff, v10
	v_cmp_eq_u32_e32 vcc_lo, v10, v22
	s_and_b32 exec_lo, exec_lo, vcc_lo
	s_cbranch_execz .LBB6_264
; %bb.268:                              ;   in Loop: Header=BB6_266 Depth=2
	v_lshlrev_b16 v9, 8, v9
	s_delay_alu instid0(VALU_DEP_1)
	v_or_b32_e32 v9, 1, v9
	ds_store_b16 v3, v9 offset:3072
	s_branch .LBB6_264
.LBB6_269:                              ;   in Loop: Header=BB6_266 Depth=2
	v_add_co_u32 v4, vcc_lo, v4, s68
	s_wait_alu 0xfffd
	v_add_co_ci_u32_e64 v5, null, 0, v5, vcc_lo
	v_add_nc_u32_e32 v8, s68, v8
	s_mov_b32 s87, 0
	s_delay_alu instid0(VALU_DEP_2)
	v_cmp_le_i64_e32 vcc_lo, s[6:7], v[4:5]
	s_or_not1_b32 s86, vcc_lo, exec_lo
	s_branch .LBB6_265
.LBB6_270:                              ;   in Loop: Header=BB6_32 Depth=1
	s_or_b32 exec_lo, exec_lo, s13
	v_and_b32_e32 v4, 0xffff, v9
	s_and_not1_b32 s6, s88, exec_lo
	s_wait_alu 0xfffe
	s_and_b32 s7, s70, exec_lo
	s_wait_alu 0xfffe
	s_or_b32 s88, s6, s7
	v_lshrrev_b32_e32 v44, 8, v4
.LBB6_271:                              ;   in Loop: Header=BB6_32 Depth=1
	s_or_b32 exec_lo, exec_lo, s12
	s_mov_b32 s86, 0
	s_mov_b32 s87, -1
.LBB6_272:                              ;   in Loop: Header=BB6_32 Depth=1
	s_wait_alu 0xfffe
	s_or_not1_b32 s7, s88, exec_lo
.LBB6_273:                              ;   in Loop: Header=BB6_32 Depth=1
	s_wait_alu 0xfffe
	s_or_b32 exec_lo, exec_lo, s85
	s_mov_b32 s10, 0
	s_and_saveexec_b32 s6, s7
	s_cbranch_execz .LBB6_284
; %bb.274:                              ;   in Loop: Header=BB6_32 Depth=1
	v_mov_b32_e32 v4, 1
	v_dual_mov_b32 v5, 0 :: v_dual_mov_b32 v2, 1
	s_xor_b32 s10, s20, -1
	s_wait_alu 0xfffe
	s_and_saveexec_b32 s7, s10
	s_cbranch_execz .LBB6_283
; %bb.275:                              ;   in Loop: Header=BB6_32 Depth=1
	s_mov_b32 s10, exec_lo
	v_cmpx_ge_i64_e64 s[8:9], v[6:7]
	s_wait_alu 0xfffe
	s_xor_b32 s10, exec_lo, s10
	s_cbranch_execz .LBB6_280
; %bb.276:                              ;   in Loop: Header=BB6_32 Depth=1
	ds_load_b64 v[4:5], v3 offset:5120
	v_or_b32_e32 v22, s16, v22
	v_or_b32_e32 v43, s16, v43
	s_wait_dscnt 0x0
	v_cmp_ne_u64_e32 vcc_lo, 0, v[4:5]
	s_cbranch_vccnz .LBB6_280
; %bb.277:                              ;   in Loop: Header=BB6_32 Depth=1
	s_and_saveexec_b32 s11, s2
; %bb.278:                              ;   in Loop: Header=BB6_32 Depth=1
	v_dual_mov_b32 v4, s8 :: v_dual_mov_b32 v5, s9
	ds_store_b64 v3, v[4:5] offset:5128
; %bb.279:                              ;   in Loop: Header=BB6_32 Depth=1
	s_wait_alu 0xfffe
	s_or_b32 exec_lo, exec_lo, s11
	s_wait_loadcnt_dscnt 0x0
	s_barrier_signal -1
	s_barrier_wait -1
	global_inv scope:SCOPE_SE
.LBB6_280:                              ;   in Loop: Header=BB6_32 Depth=1
	s_wait_alu 0xfffe
	s_and_not1_saveexec_b32 s10, s10
; %bb.281:                              ;   in Loop: Header=BB6_32 Depth=1
	v_sub_co_u32 v6, vcc_lo, v6, s8
	s_wait_alu 0xfffd
	v_subrev_co_ci_u32_e64 v7, null, s9, v7, vcc_lo
; %bb.282:                              ;   in Loop: Header=BB6_32 Depth=1
	s_wait_alu 0xfffe
	s_or_b32 exec_lo, exec_lo, s10
	v_mov_b32_e32 v4, v6
	s_delay_alu instid0(VALU_DEP_2)
	v_dual_mov_b32 v2, 8 :: v_dual_mov_b32 v5, v7
.LBB6_283:                              ;   in Loop: Header=BB6_32 Depth=1
	s_wait_alu 0xfffe
	s_or_b32 exec_lo, exec_lo, s7
	s_delay_alu instid0(VALU_DEP_1)
	v_dual_mov_b32 v7, v5 :: v_dual_mov_b32 v6, v4
	s_mov_b32 s10, exec_lo
.LBB6_284:                              ;   in Loop: Header=BB6_32 Depth=1
	s_wait_alu 0xfffe
	s_or_b32 exec_lo, exec_lo, s6
	s_delay_alu instid0(SALU_CYCLE_1)
	s_or_not1_b32 s6, s10, exec_lo
.LBB6_285:                              ;   in Loop: Header=BB6_32 Depth=1
	s_wait_alu 0xfffe
	s_or_b32 exec_lo, exec_lo, s15
	v_dual_mov_b32 v4, v6 :: v_dual_mov_b32 v5, v7
	s_and_not1_b32 s7, s84, exec_lo
	s_and_b32 s8, s87, exec_lo
	s_and_not1_b32 s9, s25, exec_lo
	s_and_b32 s10, s86, exec_lo
	s_wait_alu 0xfffe
	s_or_b32 s84, s7, s8
	s_or_b32 s25, s9, s10
	s_and_b32 s7, s6, exec_lo
.LBB6_286:                              ;   in Loop: Header=BB6_32 Depth=1
	s_wait_alu 0xfffe
	s_or_b32 exec_lo, exec_lo, s14
	s_delay_alu instid0(SALU_CYCLE_1)
	s_or_not1_b32 s6, s7, exec_lo
.LBB6_287:                              ;   in Loop: Header=BB6_32 Depth=1
	s_wait_alu 0xfffe
	s_or_b32 exec_lo, exec_lo, s24
	v_dual_mov_b32 v9, v5 :: v_dual_mov_b32 v8, v4
	s_and_not1_b32 s7, s22, exec_lo
	s_and_b32 s8, s84, exec_lo
	s_and_not1_b32 s9, s21, exec_lo
	s_and_b32 s10, s25, exec_lo
	s_wait_alu 0xfffe
	s_or_b32 s22, s7, s8
	s_or_b32 s21, s9, s10
	s_and_b32 s7, s6, exec_lo
.LBB6_288:                              ;   in Loop: Header=BB6_32 Depth=1
	s_wait_alu 0xfffe
	s_or_b32 exec_lo, exec_lo, s23
	s_delay_alu instid0(SALU_CYCLE_1)
	s_or_not1_b32 s6, s7, exec_lo
.LBB6_289:                              ;   in Loop: Header=BB6_32 Depth=1
	s_wait_alu 0xfffe
	s_or_b32 exec_lo, exec_lo, s19
	s_mov_b32 s7, 0
	s_and_saveexec_b32 s8, s6
	s_wait_alu 0xfffe
	s_xor_b32 s6, exec_lo, s8
	s_cbranch_execz .LBB6_30
; %bb.290:                              ;   in Loop: Header=BB6_32 Depth=1
	v_and_b32_e32 v2, 7, v2
	s_mov_b32 s8, -1
	s_mov_b32 s7, -1
	s_mov_b32 s9, exec_lo
	s_delay_alu instid0(VALU_DEP_1)
	v_cmpx_eq_u32_e32 0, v2
	s_cbranch_execz .LBB6_29
; %bb.291:                              ;   in Loop: Header=BB6_32 Depth=1
	s_xor_b32 s50, s50, 1
	s_add_co_i32 s10, s67, -2
	s_cmp_eq_u32 s67, 0
	s_wait_alu 0xfffe
	s_mov_b32 s67, s10
	s_cselect_b32 s8, -1, 0
	s_xor_b32 s7, exec_lo, -1
	s_wait_alu 0xfffe
	s_or_not1_b32 s8, s8, exec_lo
	s_branch .LBB6_29
.LBB6_292:                              ;   in Loop: Header=BB6_32 Depth=1
                                        ; implicit-def: $sgpr6_sgpr7
	s_branch .LBB6_245
.LBB6_293:                              ;   in Loop: Header=BB6_32 Depth=1
                                        ; implicit-def: $sgpr12_sgpr13
	s_branch .LBB6_261
.LBB6_294:
	s_or_b32 exec_lo, exec_lo, s49
	s_wait_alu 0xfffe
	s_xor_b32 s5, s5, -1
	s_xor_b32 s1, s54, -1
	;; [unrolled: 1-line block ×3, first 2 shown]
	s_mov_b32 s3, 0
	s_wait_alu 0xfffe
	s_and_saveexec_b32 s6, s1
	s_wait_alu 0xfffe
	s_xor_b32 s1, exec_lo, s6
	s_cbranch_execnz .LBB6_299
; %bb.295:
	s_wait_alu 0xfffe
	s_and_not1_saveexec_b32 s0, s1
	s_cbranch_execnz .LBB6_321
.LBB6_296:
	s_wait_alu 0xfffe
	s_or_b32 exec_lo, exec_lo, s0
	s_and_saveexec_b32 s0, s3
.LBB6_297:
	; divergent unreachable
.LBB6_298:
	s_endpgm
.LBB6_299:
	s_and_saveexec_b32 s3, s5
	s_wait_alu 0xfffe
	s_xor_b32 s3, exec_lo, s3
	s_cbranch_execz .LBB6_319
; %bb.300:
	s_and_saveexec_b32 s5, s4
	s_wait_alu 0xfffe
	s_xor_b32 s4, exec_lo, s5
; %bb.301:
	v_mov_b32_e32 v44, v22
; %bb.302:
	s_wait_alu 0xfffe
	s_or_b32 exec_lo, exec_lo, s4
	s_and_saveexec_b32 s4, s2
; %bb.303:
	v_dual_mov_b32 v2, 0 :: v_dual_mov_b32 v3, s36
	ds_store_b32 v2, v3 offset:5140
; %bb.304:
	s_wait_alu 0xfffe
	s_or_b32 exec_lo, exec_lo, s4
	s_wait_loadcnt_dscnt 0x0
	s_barrier_signal -1
	s_barrier_wait -1
	global_inv scope:SCOPE_SE
	s_and_saveexec_b32 s4, s0
	s_cbranch_execz .LBB6_316
; %bb.305:
	v_mov_b32_e32 v2, 0
	v_and_b32_e32 v6, 0xff, v44
	s_mov_b32 s5, 0
                                        ; implicit-def: $sgpr6
                                        ; implicit-def: $sgpr7
                                        ; implicit-def: $sgpr8
	ds_load_b32 v4, v2 offset:5140
	s_wait_dscnt 0x0
	v_ashrrev_i32_e32 v5, 31, v4
	s_branch .LBB6_308
.LBB6_306:                              ;   in Loop: Header=BB6_308 Depth=1
	s_wait_alu 0xfffe
	s_or_b32 exec_lo, exec_lo, s11
	s_delay_alu instid0(SALU_CYCLE_1)
	s_and_not1_b32 s8, s8, exec_lo
	s_and_b32 s10, s10, exec_lo
	s_and_not1_b32 s7, s7, exec_lo
	s_and_b32 s0, s0, exec_lo
	s_wait_alu 0xfffe
	s_or_b32 s8, s8, s10
	s_or_b32 s7, s7, s0
.LBB6_307:                              ;   in Loop: Header=BB6_308 Depth=1
	s_wait_alu 0xfffe
	s_or_b32 exec_lo, exec_lo, s9
	s_delay_alu instid0(SALU_CYCLE_1)
	s_and_b32 s0, exec_lo, s7
	s_wait_alu 0xfffe
	s_or_b32 s5, s0, s5
	s_and_not1_b32 s0, s6, exec_lo
	s_and_b32 s6, s8, exec_lo
	s_wait_alu 0xfffe
	s_or_b32 s6, s0, s6
	s_and_not1_b32 exec_lo, exec_lo, s5
	s_cbranch_execz .LBB6_311
.LBB6_308:                              ; =>This Inner Loop Header: Depth=1
	v_dual_mov_b32 v3, v1 :: v_dual_mov_b32 v2, v0
	s_or_b32 s8, s8, exec_lo
	s_or_b32 s7, s7, exec_lo
	s_mov_b32 s9, exec_lo
                                        ; implicit-def: $vgpr0_vgpr1
	s_delay_alu instid0(VALU_DEP_1)
	v_cmpx_lt_i64_e64 v[2:3], v[4:5]
	s_cbranch_execz .LBB6_307
; %bb.309:                              ;   in Loop: Header=BB6_308 Depth=1
	global_load_u8 v0, v[12:13], off
	s_mov_b32 s0, -1
	s_mov_b32 s10, 0
	s_wait_loadcnt 0x0
	v_cmp_ne_u16_e32 vcc_lo, v0, v6
                                        ; implicit-def: $vgpr0_vgpr1
	s_and_saveexec_b32 s11, vcc_lo
	s_cbranch_execz .LBB6_306
; %bb.310:                              ;   in Loop: Header=BB6_308 Depth=1
	v_add_co_u32 v0, vcc_lo, v2, s68
	s_wait_alu 0xfffd
	v_add_co_ci_u32_e64 v1, null, 0, v3, vcc_lo
	v_add_co_u32 v12, s0, v12, s72
	s_wait_alu 0xf1fe
	v_add_co_ci_u32_e64 v13, null, s73, v13, s0
	s_delay_alu instid0(VALU_DEP_3)
	v_cmp_le_i64_e32 vcc_lo, s[36:37], v[0:1]
	s_mov_b32 s10, exec_lo
	s_or_not1_b32 s0, vcc_lo, exec_lo
	s_branch .LBB6_306
.LBB6_311:
	s_or_b32 exec_lo, exec_lo, s5
	s_wait_alu 0xfffe
	s_xor_b32 s0, s6, -1
	s_wait_alu 0xfffe
	s_and_saveexec_b32 s5, s0
	s_wait_alu 0xfffe
	s_xor_b32 s5, exec_lo, s5
	s_cbranch_execz .LBB6_316
; %bb.312:
	s_mov_b32 s5, exec_lo
	s_brev_b32 s0, -2
.LBB6_313:                              ; =>This Inner Loop Header: Depth=1
	s_wait_alu 0xfffe
	s_ctz_i32_b32 s6, s5
	s_wait_alu 0xfffe
	v_readlane_b32 s7, v2, s6
	s_lshl_b32 s6, 1, s6
	s_wait_alu 0xfffe
	s_and_not1_b32 s5, s5, s6
	s_min_i32 s0, s0, s7
	s_wait_alu 0xfffe
	s_cmp_lg_u32 s5, 0
	s_cbranch_scc1 .LBB6_313
; %bb.314:
	v_mbcnt_lo_u32_b32 v0, exec_lo, 0
	s_mov_b32 s5, exec_lo
	s_delay_alu instid0(VALU_DEP_1)
	v_cmpx_eq_u32_e32 0, v0
	s_wait_alu 0xfffe
	s_xor_b32 s5, exec_lo, s5
; %bb.315:
	v_dual_mov_b32 v0, 0 :: v_dual_mov_b32 v1, s0
	ds_min_i32 v0, v1 offset:5140
.LBB6_316:
	s_wait_alu 0xfffe
	s_or_b32 exec_lo, exec_lo, s4
	s_wait_loadcnt_dscnt 0x0
	s_barrier_signal -1
	s_barrier_wait -1
	global_inv scope:SCOPE_SE
	s_and_saveexec_b32 s0, s2
	s_cbranch_execz .LBB6_318
; %bb.317:
	v_readlane_b32 s16, v61, 2
	v_readlane_b32 s17, v61, 3
	;; [unrolled: 1-line block ×4, first 2 shown]
	v_mov_b32_e32 v2, 0
	s_mul_u64 s[4:5], s[56:57], s[46:47]
	s_mul_u64 s[14:15], s[62:63], s[16:17]
	v_readlane_b32 s16, v61, 14
	v_readlane_b32 s17, v61, 15
	s_mul_u64 s[8:9], s[40:41], s[20:21]
	ds_load_b32 v0, v2 offset:5140
	s_wait_alu 0xfffe
	s_sub_nc_u64 s[4:5], s[26:27], s[4:5]
	s_mul_u64 s[10:11], s[34:35], s[30:31]
	s_add_nc_u64 s[8:9], s[16:17], s[8:9]
	v_readlane_b32 s16, v61, 0
	v_readlane_b32 s17, v61, 1
	s_wait_alu 0xfffe
	s_sub_nc_u64 s[10:11], s[26:27], s[10:11]
	v_readlane_b32 s18, v61, 4
	v_readlane_b32 s19, v61, 5
	s_mul_u64 s[12:13], s[62:63], s[44:45]
	s_mul_u64 s[4:5], s[4:5], s[16:17]
	v_readlane_b32 s16, v61, 6
	v_readlane_b32 s17, v61, 7
	;; [unrolled: 1-line block ×4, first 2 shown]
	s_wait_alu 0xfffe
	s_sub_nc_u64 s[12:13], s[56:57], s[12:13]
	s_mul_u64 s[6:7], s[40:41], s[28:29]
	s_mul_u64 s[10:11], s[10:11], s[16:17]
	v_readlane_b32 s16, v61, 12
	v_readlane_b32 s17, v61, 13
	s_lshl_b64 s[14:15], s[14:15], 3
	s_wait_alu 0xfffe
	s_mul_u64 s[12:13], s[12:13], s[18:19]
	s_sub_nc_u64 s[6:7], s[34:35], s[6:7]
	s_wait_alu 0xfffe
	s_lshl_b64 s[12:13], s[12:13], 3
	s_add_nc_u64 s[14:15], s[16:17], s[14:15]
	s_mul_u64 s[6:7], s[6:7], s[22:23]
	s_wait_dscnt 0x0
	v_ashrrev_i32_e32 v1, 31, v0
	s_lshl_b64 s[4:5], s[4:5], 3
	s_wait_alu 0xfffe
	s_add_nc_u64 s[12:13], s[14:15], s[12:13]
	s_add_nc_u64 s[6:7], s[8:9], s[6:7]
	s_wait_alu 0xfffe
	s_add_nc_u64 s[4:5], s[12:13], s[4:5]
	s_add_nc_u64 s[6:7], s[6:7], s[10:11]
	s_clause 0x1
	global_store_b64 v2, v[0:1], s[4:5]
	global_store_b8 v2, v44, s[6:7]
.LBB6_318:
	s_wait_alu 0xfffe
	s_or_b32 exec_lo, exec_lo, s0
.LBB6_319:
	s_wait_alu 0xfffe
	s_or_saveexec_b32 s0, s3
	s_mov_b32 s2, 0
	s_wait_alu 0xfffe
	s_xor_b32 exec_lo, exec_lo, s0
	s_cbranch_execnz .LBB6_322
.LBB6_320:
	s_or_b32 exec_lo, exec_lo, s0
	s_wait_alu 0xfffe
	s_and_b32 s3, s2, exec_lo
	s_and_not1_saveexec_b32 s0, s1
	s_cbranch_execz .LBB6_296
.LBB6_321:
	s_wait_alu 0xfffe
	s_or_b32 s3, s3, exec_lo
	s_trap 2
	s_or_b32 exec_lo, exec_lo, s0
	s_wait_alu 0xfffe
	s_and_saveexec_b32 s0, s3
	s_cbranch_execnz .LBB6_297
	s_branch .LBB6_298
.LBB6_322:
	s_mov_b32 s2, exec_lo
	s_trap 2
	s_branch .LBB6_320
	.section	.rodata,"a",@progbits
	.p2align	6, 0x0
	.amdhsa_kernel _ZN2at6native12_GLOBAL__N_114gatherKthValueIhlLi3EEEvNS_4cuda6detail10TensorInfoIKT_T0_EES8_S8_S8_S8_NS5_IS6_S8_EENS5_IlS8_EE
		.amdhsa_group_segment_fixed_size 5144
		.amdhsa_private_segment_fixed_size 0
		.amdhsa_kernarg_size 1536
		.amdhsa_user_sgpr_count 2
		.amdhsa_user_sgpr_dispatch_ptr 0
		.amdhsa_user_sgpr_queue_ptr 0
		.amdhsa_user_sgpr_kernarg_segment_ptr 1
		.amdhsa_user_sgpr_dispatch_id 0
		.amdhsa_user_sgpr_private_segment_size 0
		.amdhsa_wavefront_size32 1
		.amdhsa_uses_dynamic_stack 0
		.amdhsa_enable_private_segment 0
		.amdhsa_system_sgpr_workgroup_id_x 1
		.amdhsa_system_sgpr_workgroup_id_y 1
		.amdhsa_system_sgpr_workgroup_id_z 1
		.amdhsa_system_sgpr_workgroup_info 0
		.amdhsa_system_vgpr_workitem_id 0
		.amdhsa_next_free_vgpr 62
		.amdhsa_next_free_sgpr 105
		.amdhsa_reserve_vcc 1
		.amdhsa_float_round_mode_32 0
		.amdhsa_float_round_mode_16_64 0
		.amdhsa_float_denorm_mode_32 3
		.amdhsa_float_denorm_mode_16_64 3
		.amdhsa_fp16_overflow 0
		.amdhsa_workgroup_processor_mode 1
		.amdhsa_memory_ordered 1
		.amdhsa_forward_progress 1
		.amdhsa_inst_pref_size 190
		.amdhsa_round_robin_scheduling 0
		.amdhsa_exception_fp_ieee_invalid_op 0
		.amdhsa_exception_fp_denorm_src 0
		.amdhsa_exception_fp_ieee_div_zero 0
		.amdhsa_exception_fp_ieee_overflow 0
		.amdhsa_exception_fp_ieee_underflow 0
		.amdhsa_exception_fp_ieee_inexact 0
		.amdhsa_exception_int_div_zero 0
	.end_amdhsa_kernel
	.section	.text._ZN2at6native12_GLOBAL__N_114gatherKthValueIhlLi3EEEvNS_4cuda6detail10TensorInfoIKT_T0_EES8_S8_S8_S8_NS5_IS6_S8_EENS5_IlS8_EE,"axG",@progbits,_ZN2at6native12_GLOBAL__N_114gatherKthValueIhlLi3EEEvNS_4cuda6detail10TensorInfoIKT_T0_EES8_S8_S8_S8_NS5_IS6_S8_EENS5_IlS8_EE,comdat
.Lfunc_end6:
	.size	_ZN2at6native12_GLOBAL__N_114gatherKthValueIhlLi3EEEvNS_4cuda6detail10TensorInfoIKT_T0_EES8_S8_S8_S8_NS5_IS6_S8_EENS5_IlS8_EE, .Lfunc_end6-_ZN2at6native12_GLOBAL__N_114gatherKthValueIhlLi3EEEvNS_4cuda6detail10TensorInfoIKT_T0_EES8_S8_S8_S8_NS5_IS6_S8_EENS5_IlS8_EE
                                        ; -- End function
	.set _ZN2at6native12_GLOBAL__N_114gatherKthValueIhlLi3EEEvNS_4cuda6detail10TensorInfoIKT_T0_EES8_S8_S8_S8_NS5_IS6_S8_EENS5_IlS8_EE.num_vgpr, 62
	.set _ZN2at6native12_GLOBAL__N_114gatherKthValueIhlLi3EEEvNS_4cuda6detail10TensorInfoIKT_T0_EES8_S8_S8_S8_NS5_IS6_S8_EENS5_IlS8_EE.num_agpr, 0
	.set _ZN2at6native12_GLOBAL__N_114gatherKthValueIhlLi3EEEvNS_4cuda6detail10TensorInfoIKT_T0_EES8_S8_S8_S8_NS5_IS6_S8_EENS5_IlS8_EE.numbered_sgpr, 105
	.set _ZN2at6native12_GLOBAL__N_114gatherKthValueIhlLi3EEEvNS_4cuda6detail10TensorInfoIKT_T0_EES8_S8_S8_S8_NS5_IS6_S8_EENS5_IlS8_EE.num_named_barrier, 0
	.set _ZN2at6native12_GLOBAL__N_114gatherKthValueIhlLi3EEEvNS_4cuda6detail10TensorInfoIKT_T0_EES8_S8_S8_S8_NS5_IS6_S8_EENS5_IlS8_EE.private_seg_size, 0
	.set _ZN2at6native12_GLOBAL__N_114gatherKthValueIhlLi3EEEvNS_4cuda6detail10TensorInfoIKT_T0_EES8_S8_S8_S8_NS5_IS6_S8_EENS5_IlS8_EE.uses_vcc, 1
	.set _ZN2at6native12_GLOBAL__N_114gatherKthValueIhlLi3EEEvNS_4cuda6detail10TensorInfoIKT_T0_EES8_S8_S8_S8_NS5_IS6_S8_EENS5_IlS8_EE.uses_flat_scratch, 0
	.set _ZN2at6native12_GLOBAL__N_114gatherKthValueIhlLi3EEEvNS_4cuda6detail10TensorInfoIKT_T0_EES8_S8_S8_S8_NS5_IS6_S8_EENS5_IlS8_EE.has_dyn_sized_stack, 0
	.set _ZN2at6native12_GLOBAL__N_114gatherKthValueIhlLi3EEEvNS_4cuda6detail10TensorInfoIKT_T0_EES8_S8_S8_S8_NS5_IS6_S8_EENS5_IlS8_EE.has_recursion, 0
	.set _ZN2at6native12_GLOBAL__N_114gatherKthValueIhlLi3EEEvNS_4cuda6detail10TensorInfoIKT_T0_EES8_S8_S8_S8_NS5_IS6_S8_EENS5_IlS8_EE.has_indirect_call, 0
	.section	.AMDGPU.csdata,"",@progbits
; Kernel info:
; codeLenInByte = 24248
; TotalNumSgprs: 107
; NumVgprs: 62
; ScratchSize: 0
; MemoryBound: 0
; FloatMode: 240
; IeeeMode: 1
; LDSByteSize: 5144 bytes/workgroup (compile time only)
; SGPRBlocks: 0
; VGPRBlocks: 7
; NumSGPRsForWavesPerEU: 107
; NumVGPRsForWavesPerEU: 62
; Occupancy: 16
; WaveLimiterHint : 1
; COMPUTE_PGM_RSRC2:SCRATCH_EN: 0
; COMPUTE_PGM_RSRC2:USER_SGPR: 2
; COMPUTE_PGM_RSRC2:TRAP_HANDLER: 0
; COMPUTE_PGM_RSRC2:TGID_X_EN: 1
; COMPUTE_PGM_RSRC2:TGID_Y_EN: 1
; COMPUTE_PGM_RSRC2:TGID_Z_EN: 1
; COMPUTE_PGM_RSRC2:TIDIG_COMP_CNT: 0
	.section	.text._ZN2at6native12_GLOBAL__N_114gatherKthValueIhlLin1EEEvNS_4cuda6detail10TensorInfoIKT_T0_EES8_S8_S8_S8_NS5_IS6_S8_EENS5_IlS8_EE,"axG",@progbits,_ZN2at6native12_GLOBAL__N_114gatherKthValueIhlLin1EEEvNS_4cuda6detail10TensorInfoIKT_T0_EES8_S8_S8_S8_NS5_IS6_S8_EENS5_IlS8_EE,comdat
	.globl	_ZN2at6native12_GLOBAL__N_114gatherKthValueIhlLin1EEEvNS_4cuda6detail10TensorInfoIKT_T0_EES8_S8_S8_S8_NS5_IS6_S8_EENS5_IlS8_EE ; -- Begin function _ZN2at6native12_GLOBAL__N_114gatherKthValueIhlLin1EEEvNS_4cuda6detail10TensorInfoIKT_T0_EES8_S8_S8_S8_NS5_IS6_S8_EENS5_IlS8_EE
	.p2align	8
	.type	_ZN2at6native12_GLOBAL__N_114gatherKthValueIhlLin1EEEvNS_4cuda6detail10TensorInfoIKT_T0_EES8_S8_S8_S8_NS5_IS6_S8_EENS5_IlS8_EE,@function
_ZN2at6native12_GLOBAL__N_114gatherKthValueIhlLin1EEEvNS_4cuda6detail10TensorInfoIKT_T0_EES8_S8_S8_S8_NS5_IS6_S8_EENS5_IlS8_EE: ; @_ZN2at6native12_GLOBAL__N_114gatherKthValueIhlLin1EEEvNS_4cuda6detail10TensorInfoIKT_T0_EES8_S8_S8_S8_NS5_IS6_S8_EENS5_IlS8_EE
; %bb.0:
	s_clause 0x1
	s_load_b64 s[4:5], s[0:1], 0x500
	s_load_b256 s[36:43], s[0:1], 0x1a0
	s_lshr_b32 s2, ttmp7, 16
	s_and_b32 s3, ttmp7, 0xffff
	s_wait_kmcnt 0x0
	s_mul_i32 s2, s5, s2
	s_delay_alu instid0(SALU_CYCLE_1) | instskip(SKIP_2) | instid1(SALU_CYCLE_1)
	s_add_co_i32 s2, s2, s3
	s_mov_b32 s3, 0
	s_mul_i32 s2, s2, s4
	s_add_co_i32 s2, s2, ttmp9
	s_delay_alu instid0(SALU_CYCLE_1)
	v_cmp_le_i64_e64 s5, s[40:41], s[2:3]
	s_and_b32 vcc_lo, exec_lo, s5
	s_cbranch_vccnz .LBB7_298
; %bb.1:
	s_load_b32 s5, s[0:1], 0x198
	s_mov_b64 s[6:7], 0
	s_mov_b64 s[10:11], s[2:3]
	s_wait_kmcnt 0x0
	s_cmp_lt_i32 s5, 2
	s_cbranch_scc1 .LBB7_9
; %bb.2:
	s_mov_b32 s8, 0
	s_add_co_i32 s6, s5, -1
	s_mov_b32 s7, s8
	s_add_co_i32 s5, s5, 1
	s_lshl_b64 s[6:7], s[6:7], 3
	s_mov_b64 s[14:15], s[2:3]
	s_add_nc_u64 s[10:11], s[0:1], s[6:7]
	s_mov_b64 s[6:7], 0
	s_add_nc_u64 s[12:13], s[10:11], 8
.LBB7_3:                                ; =>This Inner Loop Header: Depth=1
	s_load_b64 s[16:17], s[12:13], 0x0
	s_wait_kmcnt 0x0
	s_or_b64 s[10:11], s[14:15], s[16:17]
	s_delay_alu instid0(SALU_CYCLE_1)
	s_mov_b32 s9, s11
                                        ; implicit-def: $sgpr10_sgpr11
	s_wait_alu 0xfffe
	s_cmp_lg_u64 s[8:9], 0
	s_mov_b32 s9, -1
	s_cbranch_scc0 .LBB7_5
; %bb.4:                                ;   in Loop: Header=BB7_3 Depth=1
	s_ashr_i32 s10, s17, 31
	s_mov_b32 s25, s8
	s_mov_b32 s11, s10
	;; [unrolled: 1-line block ×3, first 2 shown]
	s_add_nc_u64 s[18:19], s[16:17], s[10:11]
	s_delay_alu instid0(SALU_CYCLE_1) | instskip(NEXT) | instid1(SALU_CYCLE_1)
	s_xor_b64 s[18:19], s[18:19], s[10:11]
	s_cvt_f32_u32 s9, s18
	s_cvt_f32_u32 s20, s19
	s_sub_nc_u64 s[22:23], 0, s[18:19]
	s_wait_alu 0xfffe
	s_delay_alu instid0(SALU_CYCLE_1) | instskip(SKIP_1) | instid1(SALU_CYCLE_2)
	s_fmamk_f32 s9, s20, 0x4f800000, s9
	s_wait_alu 0xfffe
	v_s_rcp_f32 s9, s9
	s_delay_alu instid0(TRANS32_DEP_1) | instskip(SKIP_1) | instid1(SALU_CYCLE_2)
	s_mul_f32 s9, s9, 0x5f7ffffc
	s_wait_alu 0xfffe
	s_mul_f32 s20, s9, 0x2f800000
	s_delay_alu instid0(SALU_CYCLE_3) | instskip(NEXT) | instid1(SALU_CYCLE_3)
	s_trunc_f32 s20, s20
	s_fmamk_f32 s9, s20, 0xcf800000, s9
	s_cvt_u32_f32 s21, s20
	s_wait_alu 0xfffe
	s_delay_alu instid0(SALU_CYCLE_1) | instskip(NEXT) | instid1(SALU_CYCLE_3)
	s_cvt_u32_f32 s20, s9
	s_mul_u64 s[26:27], s[22:23], s[20:21]
	s_delay_alu instid0(SALU_CYCLE_1)
	s_mul_hi_u32 s31, s20, s27
	s_mul_i32 s30, s20, s27
	s_mul_hi_u32 s24, s20, s26
	s_mul_i32 s28, s21, s26
	s_add_nc_u64 s[24:25], s[24:25], s[30:31]
	s_mul_hi_u32 s9, s21, s26
	s_mul_hi_u32 s33, s21, s27
	s_add_co_u32 s24, s24, s28
	s_wait_alu 0xfffe
	s_add_co_ci_u32 s28, s25, s9
	s_mul_i32 s26, s21, s27
	s_add_co_ci_u32 s27, s33, 0
	s_delay_alu instid0(SALU_CYCLE_1)
	s_add_nc_u64 s[24:25], s[28:29], s[26:27]
	s_mov_b32 s27, s8
	s_add_co_u32 s20, s20, s24
	s_cselect_b32 s9, -1, 0
	s_wait_alu 0xfffe
	s_cmp_lg_u32 s9, 0
	s_add_co_ci_u32 s21, s21, s25
	s_mov_b32 s25, s8
	s_mul_u64 s[22:23], s[22:23], s[20:21]
	s_delay_alu instid0(SALU_CYCLE_1)
	s_mul_hi_u32 s29, s20, s23
	s_mul_i32 s28, s20, s23
	s_mul_hi_u32 s24, s20, s22
	s_mul_i32 s26, s21, s22
	s_add_nc_u64 s[24:25], s[24:25], s[28:29]
	s_mul_hi_u32 s9, s21, s22
	s_mul_hi_u32 s30, s21, s23
	s_mul_i32 s22, s21, s23
	s_add_co_u32 s23, s24, s26
	s_wait_alu 0xfffe
	s_add_co_ci_u32 s26, s25, s9
	s_add_co_ci_u32 s23, s30, 0
	s_mov_b32 s25, s8
	s_add_nc_u64 s[22:23], s[26:27], s[22:23]
	s_delay_alu instid0(SALU_CYCLE_1) | instskip(SKIP_1) | instid1(SALU_CYCLE_1)
	s_add_co_u32 s9, s20, s22
	s_cselect_b32 s20, -1, 0
	s_cmp_lg_u32 s20, 0
	s_add_co_ci_u32 s26, s21, s23
	s_ashr_i32 s20, s15, 31
	s_delay_alu instid0(SALU_CYCLE_1) | instskip(NEXT) | instid1(SALU_CYCLE_1)
	s_mov_b32 s21, s20
	s_add_nc_u64 s[22:23], s[14:15], s[20:21]
	s_delay_alu instid0(SALU_CYCLE_1) | instskip(NEXT) | instid1(SALU_CYCLE_1)
	s_xor_b64 s[22:23], s[22:23], s[20:21]
	s_mul_hi_u32 s29, s22, s26
	s_mul_i32 s28, s22, s26
	s_wait_alu 0xfffe
	s_mul_hi_u32 s24, s22, s9
	s_mul_hi_u32 s31, s23, s9
	s_mul_i32 s9, s23, s9
	s_add_nc_u64 s[24:25], s[24:25], s[28:29]
	s_mul_hi_u32 s30, s23, s26
	s_wait_alu 0xfffe
	s_add_co_u32 s9, s24, s9
	s_mul_i32 s28, s23, s26
	s_add_co_ci_u32 s26, s25, s31
	s_add_co_ci_u32 s29, s30, 0
	s_delay_alu instid0(SALU_CYCLE_1) | instskip(NEXT) | instid1(SALU_CYCLE_1)
	s_add_nc_u64 s[24:25], s[26:27], s[28:29]
	s_mul_u64 s[26:27], s[18:19], s[24:25]
	s_delay_alu instid0(SALU_CYCLE_1)
	s_sub_co_u32 s9, s22, s26
	s_cselect_b32 s22, -1, 0
	s_sub_co_i32 s26, s23, s27
	s_cmp_lg_u32 s22, 0
	s_sub_co_ci_u32 s26, s26, s19
	s_wait_alu 0xfffe
	s_sub_co_u32 s28, s9, s18
	s_cselect_b32 s29, -1, 0
	s_delay_alu instid0(SALU_CYCLE_1) | instskip(SKIP_1) | instid1(SALU_CYCLE_1)
	s_cmp_lg_u32 s29, 0
	s_sub_co_ci_u32 s26, s26, 0
	s_cmp_ge_u32 s26, s19
	s_cselect_b32 s30, -1, 0
	s_cmp_ge_u32 s28, s18
	s_add_nc_u64 s[28:29], s[24:25], 1
	s_cselect_b32 s31, -1, 0
	s_cmp_eq_u32 s26, s19
	s_cselect_b32 s26, s31, s30
	s_add_nc_u64 s[30:31], s[24:25], 2
	s_cmp_lg_u32 s26, 0
	s_cselect_b32 s26, s30, s28
	s_cselect_b32 s28, s31, s29
	s_cmp_lg_u32 s22, 0
	s_sub_co_ci_u32 s22, s23, s27
	s_delay_alu instid0(SALU_CYCLE_1)
	s_cmp_ge_u32 s22, s19
	s_cselect_b32 s23, -1, 0
	s_cmp_ge_u32 s9, s18
	s_cselect_b32 s9, -1, 0
	s_cmp_eq_u32 s22, s19
	s_wait_alu 0xfffe
	s_cselect_b32 s9, s9, s23
	s_wait_alu 0xfffe
	s_cmp_lg_u32 s9, 0
	s_mov_b32 s9, 0
	s_cselect_b32 s19, s28, s25
	s_cselect_b32 s18, s26, s24
	s_xor_b64 s[10:11], s[20:21], s[10:11]
	s_delay_alu instid0(SALU_CYCLE_1) | instskip(NEXT) | instid1(SALU_CYCLE_1)
	s_xor_b64 s[18:19], s[18:19], s[10:11]
	s_sub_nc_u64 s[10:11], s[18:19], s[10:11]
.LBB7_5:                                ;   in Loop: Header=BB7_3 Depth=1
	s_wait_alu 0xfffe
	s_and_not1_b32 vcc_lo, exec_lo, s9
	s_cbranch_vccnz .LBB7_7
; %bb.6:                                ;   in Loop: Header=BB7_3 Depth=1
	v_cvt_f32_u32_e32 v1, s16
	s_sub_co_i32 s10, 0, s16
	s_delay_alu instid0(VALU_DEP_1) | instskip(NEXT) | instid1(TRANS32_DEP_1)
	v_rcp_iflag_f32_e32 v1, v1
	v_mul_f32_e32 v1, 0x4f7ffffe, v1
	s_delay_alu instid0(VALU_DEP_1) | instskip(NEXT) | instid1(VALU_DEP_1)
	v_cvt_u32_f32_e32 v1, v1
	v_readfirstlane_b32 s9, v1
	s_mul_i32 s10, s10, s9
	s_delay_alu instid0(SALU_CYCLE_1) | instskip(NEXT) | instid1(SALU_CYCLE_1)
	s_mul_hi_u32 s10, s9, s10
	s_add_co_i32 s9, s9, s10
	s_wait_alu 0xfffe
	s_mul_hi_u32 s9, s14, s9
	s_wait_alu 0xfffe
	s_mul_i32 s10, s9, s16
	s_add_co_i32 s11, s9, 1
	s_sub_co_i32 s10, s14, s10
	s_delay_alu instid0(SALU_CYCLE_1)
	s_sub_co_i32 s18, s10, s16
	s_cmp_ge_u32 s10, s16
	s_cselect_b32 s9, s11, s9
	s_cselect_b32 s10, s18, s10
	s_wait_alu 0xfffe
	s_add_co_i32 s11, s9, 1
	s_cmp_ge_u32 s10, s16
	s_cselect_b32 s10, s11, s9
	s_mov_b32 s11, s8
.LBB7_7:                                ;   in Loop: Header=BB7_3 Depth=1
	s_load_b64 s[18:19], s[12:13], 0xc8
	s_mul_u64 s[16:17], s[10:11], s[16:17]
	s_add_co_i32 s5, s5, -1
	s_wait_alu 0xfffe
	s_sub_nc_u64 s[14:15], s[14:15], s[16:17]
	s_cmp_gt_u32 s5, 2
	s_add_nc_u64 s[12:13], s[12:13], -8
	s_wait_kmcnt 0x0
	s_mul_u64 s[14:15], s[18:19], s[14:15]
	s_delay_alu instid0(SALU_CYCLE_1)
	s_add_nc_u64 s[6:7], s[14:15], s[6:7]
	s_cbranch_scc0 .LBB7_9
; %bb.8:                                ;   in Loop: Header=BB7_3 Depth=1
	s_mov_b64 s[14:15], s[10:11]
	s_branch .LBB7_3
.LBB7_9:
	s_load_b32 s5, s[0:1], 0x358
	s_add_nc_u64 s[8:9], s[0:1], 0x500
	s_add_nc_u64 s[12:13], s[0:1], 0x1c0
	s_mov_b64 s[26:27], 0
	s_mov_b64 s[28:29], s[2:3]
	s_wait_kmcnt 0x0
	s_cmp_lt_i32 s5, 2
	s_cbranch_scc1 .LBB7_17
; %bb.10:
	s_mov_b32 s14, 0
	s_add_co_i32 s16, s5, -1
	s_mov_b32 s17, s14
	s_add_co_i32 s5, s5, 1
	s_wait_alu 0xfffe
	s_lshl_b64 s[16:17], s[16:17], 3
	s_mov_b64 s[18:19], s[2:3]
	s_wait_alu 0xfffe
	s_add_nc_u64 s[16:17], s[12:13], s[16:17]
	s_wait_alu 0xfffe
	s_add_nc_u64 s[16:17], s[16:17], 8
.LBB7_11:                               ; =>This Inner Loop Header: Depth=1
	s_load_b64 s[20:21], s[16:17], 0x0
                                        ; implicit-def: $sgpr28_sgpr29
	s_wait_kmcnt 0x0
	s_or_b64 s[22:23], s[18:19], s[20:21]
	s_delay_alu instid0(SALU_CYCLE_1)
	s_mov_b32 s15, s23
	s_wait_alu 0xfffe
	s_cmp_lg_u64 s[14:15], 0
	s_mov_b32 s15, -1
	s_cbranch_scc0 .LBB7_13
; %bb.12:                               ;   in Loop: Header=BB7_11 Depth=1
	s_ashr_i32 s22, s21, 31
	s_mov_b32 s35, s14
	s_mov_b32 s23, s22
	;; [unrolled: 1-line block ×3, first 2 shown]
	s_add_nc_u64 s[24:25], s[20:21], s[22:23]
	s_delay_alu instid0(SALU_CYCLE_1) | instskip(NEXT) | instid1(SALU_CYCLE_1)
	s_xor_b64 s[24:25], s[24:25], s[22:23]
	s_cvt_f32_u32 s15, s24
	s_cvt_f32_u32 s28, s25
	s_sub_nc_u64 s[30:31], 0, s[24:25]
	s_wait_alu 0xfffe
	s_delay_alu instid0(SALU_CYCLE_1) | instskip(SKIP_1) | instid1(SALU_CYCLE_2)
	s_fmamk_f32 s15, s28, 0x4f800000, s15
	s_wait_alu 0xfffe
	v_s_rcp_f32 s15, s15
	s_delay_alu instid0(TRANS32_DEP_1) | instskip(SKIP_1) | instid1(SALU_CYCLE_2)
	s_mul_f32 s15, s15, 0x5f7ffffc
	s_wait_alu 0xfffe
	s_mul_f32 s28, s15, 0x2f800000
	s_delay_alu instid0(SALU_CYCLE_3) | instskip(NEXT) | instid1(SALU_CYCLE_3)
	s_trunc_f32 s28, s28
	s_fmamk_f32 s15, s28, 0xcf800000, s15
	s_cvt_u32_f32 s29, s28
	s_wait_alu 0xfffe
	s_delay_alu instid0(SALU_CYCLE_1) | instskip(NEXT) | instid1(SALU_CYCLE_3)
	s_cvt_u32_f32 s28, s15
	s_mul_u64 s[40:41], s[30:31], s[28:29]
	s_wait_alu 0xfffe
	s_mul_hi_u32 s47, s28, s41
	s_mul_i32 s46, s28, s41
	s_mul_hi_u32 s34, s28, s40
	s_mul_i32 s33, s29, s40
	s_add_nc_u64 s[34:35], s[34:35], s[46:47]
	s_mul_hi_u32 s15, s29, s40
	s_mul_hi_u32 s48, s29, s41
	s_add_co_u32 s33, s34, s33
	s_wait_alu 0xfffe
	s_add_co_ci_u32 s44, s35, s15
	s_mul_i32 s40, s29, s41
	s_add_co_ci_u32 s41, s48, 0
	s_wait_alu 0xfffe
	s_add_nc_u64 s[34:35], s[44:45], s[40:41]
	s_mov_b32 s41, s14
	s_add_co_u32 s28, s28, s34
	s_cselect_b32 s15, -1, 0
	s_wait_alu 0xfffe
	s_cmp_lg_u32 s15, 0
	s_add_co_ci_u32 s29, s29, s35
	s_mov_b32 s35, s14
	s_mul_u64 s[30:31], s[30:31], s[28:29]
	s_delay_alu instid0(SALU_CYCLE_1)
	s_mul_hi_u32 s45, s28, s31
	s_mul_i32 s44, s28, s31
	s_mul_hi_u32 s34, s28, s30
	s_mul_i32 s33, s29, s30
	s_add_nc_u64 s[34:35], s[34:35], s[44:45]
	s_mul_hi_u32 s15, s29, s30
	s_mul_hi_u32 s46, s29, s31
	s_mul_i32 s30, s29, s31
	s_add_co_u32 s31, s34, s33
	s_wait_alu 0xfffe
	s_add_co_ci_u32 s40, s35, s15
	s_add_co_ci_u32 s31, s46, 0
	s_mov_b32 s35, s14
	s_wait_alu 0xfffe
	s_add_nc_u64 s[30:31], s[40:41], s[30:31]
	s_delay_alu instid0(SALU_CYCLE_1) | instskip(SKIP_1) | instid1(SALU_CYCLE_1)
	s_add_co_u32 s15, s28, s30
	s_cselect_b32 s28, -1, 0
	s_cmp_lg_u32 s28, 0
	s_add_co_ci_u32 s33, s29, s31
	s_ashr_i32 s28, s19, 31
	s_delay_alu instid0(SALU_CYCLE_1) | instskip(NEXT) | instid1(SALU_CYCLE_1)
	s_mov_b32 s29, s28
	s_add_nc_u64 s[30:31], s[18:19], s[28:29]
	s_delay_alu instid0(SALU_CYCLE_1) | instskip(NEXT) | instid1(SALU_CYCLE_1)
	s_xor_b64 s[30:31], s[30:31], s[28:29]
	s_mul_hi_u32 s45, s30, s33
	s_mul_i32 s44, s30, s33
	s_wait_alu 0xfffe
	s_mul_hi_u32 s34, s30, s15
	s_mul_hi_u32 s40, s31, s15
	s_mul_i32 s15, s31, s15
	s_add_nc_u64 s[34:35], s[34:35], s[44:45]
	s_mul_hi_u32 s46, s31, s33
	s_wait_alu 0xfffe
	s_add_co_u32 s15, s34, s15
	s_add_co_ci_u32 s40, s35, s40
	s_mul_i32 s44, s31, s33
	s_add_co_ci_u32 s45, s46, 0
	s_wait_alu 0xfffe
	s_add_nc_u64 s[34:35], s[40:41], s[44:45]
	s_delay_alu instid0(SALU_CYCLE_1)
	s_mul_u64 s[40:41], s[24:25], s[34:35]
	s_wait_alu 0xfffe
	s_sub_co_u32 s15, s30, s40
	s_cselect_b32 s30, -1, 0
	s_sub_co_i32 s33, s31, s41
	s_cmp_lg_u32 s30, 0
	s_sub_co_ci_u32 s33, s33, s25
	s_wait_alu 0xfffe
	s_sub_co_u32 s40, s15, s24
	s_cselect_b32 s44, -1, 0
	s_delay_alu instid0(SALU_CYCLE_1) | instskip(SKIP_2) | instid1(SALU_CYCLE_1)
	s_cmp_lg_u32 s44, 0
	s_add_nc_u64 s[44:45], s[34:35], 1
	s_sub_co_ci_u32 s33, s33, 0
	s_cmp_ge_u32 s33, s25
	s_cselect_b32 s46, -1, 0
	s_wait_alu 0xfffe
	s_cmp_ge_u32 s40, s24
	s_cselect_b32 s40, -1, 0
	s_cmp_eq_u32 s33, s25
	s_wait_alu 0xfffe
	s_cselect_b32 s33, s40, s46
	s_add_nc_u64 s[46:47], s[34:35], 2
	s_cmp_lg_u32 s33, 0
	s_cselect_b32 s33, s46, s44
	s_cselect_b32 s40, s47, s45
	s_cmp_lg_u32 s30, 0
	s_sub_co_ci_u32 s30, s31, s41
	s_delay_alu instid0(SALU_CYCLE_1)
	s_cmp_ge_u32 s30, s25
	s_cselect_b32 s31, -1, 0
	s_cmp_ge_u32 s15, s24
	s_cselect_b32 s15, -1, 0
	s_cmp_eq_u32 s30, s25
	s_wait_alu 0xfffe
	s_cselect_b32 s15, s15, s31
	s_wait_alu 0xfffe
	s_cmp_lg_u32 s15, 0
	s_mov_b32 s15, 0
	s_cselect_b32 s25, s40, s35
	s_cselect_b32 s24, s33, s34
	s_xor_b64 s[22:23], s[28:29], s[22:23]
	s_delay_alu instid0(SALU_CYCLE_1) | instskip(NEXT) | instid1(SALU_CYCLE_1)
	s_xor_b64 s[24:25], s[24:25], s[22:23]
	s_sub_nc_u64 s[28:29], s[24:25], s[22:23]
.LBB7_13:                               ;   in Loop: Header=BB7_11 Depth=1
	s_wait_alu 0xfffe
	s_and_not1_b32 vcc_lo, exec_lo, s15
	s_cbranch_vccnz .LBB7_15
; %bb.14:                               ;   in Loop: Header=BB7_11 Depth=1
	v_cvt_f32_u32_e32 v1, s20
	s_sub_co_i32 s22, 0, s20
	s_mov_b32 s29, s14
	s_delay_alu instid0(VALU_DEP_1) | instskip(NEXT) | instid1(TRANS32_DEP_1)
	v_rcp_iflag_f32_e32 v1, v1
	v_mul_f32_e32 v1, 0x4f7ffffe, v1
	s_delay_alu instid0(VALU_DEP_1) | instskip(NEXT) | instid1(VALU_DEP_1)
	v_cvt_u32_f32_e32 v1, v1
	v_readfirstlane_b32 s15, v1
	s_mul_i32 s22, s22, s15
	s_delay_alu instid0(SALU_CYCLE_1) | instskip(NEXT) | instid1(SALU_CYCLE_1)
	s_mul_hi_u32 s22, s15, s22
	s_add_co_i32 s15, s15, s22
	s_wait_alu 0xfffe
	s_mul_hi_u32 s15, s18, s15
	s_wait_alu 0xfffe
	s_mul_i32 s22, s15, s20
	s_add_co_i32 s23, s15, 1
	s_sub_co_i32 s22, s18, s22
	s_delay_alu instid0(SALU_CYCLE_1)
	s_sub_co_i32 s24, s22, s20
	s_cmp_ge_u32 s22, s20
	s_cselect_b32 s15, s23, s15
	s_cselect_b32 s22, s24, s22
	s_wait_alu 0xfffe
	s_add_co_i32 s23, s15, 1
	s_cmp_ge_u32 s22, s20
	s_cselect_b32 s28, s23, s15
.LBB7_15:                               ;   in Loop: Header=BB7_11 Depth=1
	s_load_b64 s[22:23], s[16:17], 0xc8
	s_mul_u64 s[20:21], s[28:29], s[20:21]
	s_add_co_i32 s5, s5, -1
	s_wait_alu 0xfffe
	s_sub_nc_u64 s[18:19], s[18:19], s[20:21]
	s_cmp_gt_u32 s5, 2
	s_add_nc_u64 s[16:17], s[16:17], -8
	s_wait_kmcnt 0x0
	s_mul_u64 s[18:19], s[22:23], s[18:19]
	s_delay_alu instid0(SALU_CYCLE_1)
	s_add_nc_u64 s[26:27], s[18:19], s[26:27]
	s_cbranch_scc0 .LBB7_17
; %bb.16:                               ;   in Loop: Header=BB7_11 Depth=1
	s_mov_b64 s[18:19], s[28:29]
	s_branch .LBB7_11
.LBB7_17:
	s_clause 0x1
	s_load_b64 s[14:15], s[0:1], 0xd0
	s_load_b32 s5, s[0:1], 0x4f8
	s_mov_b64 s[30:31], 0
	s_wait_kmcnt 0x0
	s_cmp_lt_i32 s5, 2
	s_cbranch_scc1 .LBB7_25
; %bb.18:
	s_mov_b32 s16, 0
	s_add_co_i32 s18, s5, -1
	s_wait_alu 0xfffe
	s_mov_b32 s19, s16
	s_add_nc_u64 s[20:21], s[0:1], 0x360
	s_lshl_b64 s[18:19], s[18:19], 3
	s_add_co_i32 s5, s5, 1
	s_wait_alu 0xfffe
	s_add_nc_u64 s[18:19], s[20:21], s[18:19]
	s_delay_alu instid0(SALU_CYCLE_1)
	s_add_nc_u64 s[18:19], s[18:19], 8
.LBB7_19:                               ; =>This Inner Loop Header: Depth=1
	s_load_b64 s[20:21], s[18:19], 0x0
                                        ; implicit-def: $sgpr34_sgpr35
	s_wait_kmcnt 0x0
	s_or_b64 s[22:23], s[2:3], s[20:21]
	s_delay_alu instid0(SALU_CYCLE_1)
	s_mov_b32 s17, s23
	s_wait_alu 0xfffe
	s_cmp_lg_u64 s[16:17], 0
	s_mov_b32 s17, -1
	s_cbranch_scc0 .LBB7_21
; %bb.20:                               ;   in Loop: Header=BB7_19 Depth=1
	s_ashr_i32 s22, s21, 31
	s_mov_b32 s45, s16
	s_mov_b32 s23, s22
	;; [unrolled: 1-line block ×3, first 2 shown]
	s_add_nc_u64 s[24:25], s[20:21], s[22:23]
	s_delay_alu instid0(SALU_CYCLE_1) | instskip(NEXT) | instid1(SALU_CYCLE_1)
	s_xor_b64 s[24:25], s[24:25], s[22:23]
	s_cvt_f32_u32 s17, s24
	s_cvt_f32_u32 s33, s25
	s_sub_nc_u64 s[40:41], 0, s[24:25]
	s_wait_alu 0xfffe
	s_delay_alu instid0(SALU_CYCLE_1) | instskip(SKIP_1) | instid1(SALU_CYCLE_2)
	s_fmamk_f32 s17, s33, 0x4f800000, s17
	s_wait_alu 0xfffe
	v_s_rcp_f32 s17, s17
	s_delay_alu instid0(TRANS32_DEP_1) | instskip(SKIP_1) | instid1(SALU_CYCLE_2)
	s_mul_f32 s17, s17, 0x5f7ffffc
	s_wait_alu 0xfffe
	s_mul_f32 s33, s17, 0x2f800000
	s_delay_alu instid0(SALU_CYCLE_3) | instskip(NEXT) | instid1(SALU_CYCLE_3)
	s_trunc_f32 s33, s33
	s_fmamk_f32 s17, s33, 0xcf800000, s17
	s_cvt_u32_f32 s35, s33
	s_wait_alu 0xfffe
	s_delay_alu instid0(SALU_CYCLE_1) | instskip(NEXT) | instid1(SALU_CYCLE_3)
	s_cvt_u32_f32 s34, s17
	s_mul_u64 s[46:47], s[40:41], s[34:35]
	s_delay_alu instid0(SALU_CYCLE_1)
	s_mul_hi_u32 s51, s34, s47
	s_mul_i32 s50, s34, s47
	s_mul_hi_u32 s44, s34, s46
	s_mul_i32 s33, s35, s46
	s_add_nc_u64 s[44:45], s[44:45], s[50:51]
	s_mul_hi_u32 s17, s35, s46
	s_mul_hi_u32 s52, s35, s47
	s_add_co_u32 s33, s44, s33
	s_wait_alu 0xfffe
	s_add_co_ci_u32 s48, s45, s17
	s_mul_i32 s46, s35, s47
	s_add_co_ci_u32 s47, s52, 0
	s_delay_alu instid0(SALU_CYCLE_1)
	s_add_nc_u64 s[44:45], s[48:49], s[46:47]
	s_mov_b32 s47, s16
	s_add_co_u32 s34, s34, s44
	s_cselect_b32 s17, -1, 0
	s_wait_alu 0xfffe
	s_cmp_lg_u32 s17, 0
	s_add_co_ci_u32 s35, s35, s45
	s_mov_b32 s45, s16
	s_mul_u64 s[40:41], s[40:41], s[34:35]
	s_wait_alu 0xfffe
	s_mul_hi_u32 s49, s34, s41
	s_mul_i32 s48, s34, s41
	s_mul_hi_u32 s44, s34, s40
	s_mul_i32 s33, s35, s40
	s_add_nc_u64 s[44:45], s[44:45], s[48:49]
	s_mul_hi_u32 s17, s35, s40
	s_mul_hi_u32 s50, s35, s41
	s_add_co_u32 s33, s44, s33
	s_wait_alu 0xfffe
	s_add_co_ci_u32 s46, s45, s17
	s_mul_i32 s40, s35, s41
	s_add_co_ci_u32 s41, s50, 0
	s_mov_b32 s45, s16
	s_wait_alu 0xfffe
	s_add_nc_u64 s[40:41], s[46:47], s[40:41]
	s_wait_alu 0xfffe
	s_add_co_u32 s17, s34, s40
	s_cselect_b32 s33, -1, 0
	s_delay_alu instid0(SALU_CYCLE_1) | instskip(SKIP_2) | instid1(SALU_CYCLE_1)
	s_cmp_lg_u32 s33, 0
	s_add_co_ci_u32 s33, s35, s41
	s_ashr_i32 s34, s3, 31
	s_mov_b32 s35, s34
	s_delay_alu instid0(SALU_CYCLE_1)
	s_add_nc_u64 s[40:41], s[2:3], s[34:35]
	s_wait_alu 0xfffe
	s_xor_b64 s[40:41], s[40:41], s[34:35]
	s_wait_alu 0xfffe
	s_mul_hi_u32 s49, s40, s33
	s_mul_i32 s48, s40, s33
	s_mul_hi_u32 s44, s40, s17
	s_mul_hi_u32 s46, s41, s17
	s_mul_i32 s17, s41, s17
	s_add_nc_u64 s[44:45], s[44:45], s[48:49]
	s_mul_hi_u32 s50, s41, s33
	s_wait_alu 0xfffe
	s_add_co_u32 s17, s44, s17
	s_add_co_ci_u32 s46, s45, s46
	s_mul_i32 s48, s41, s33
	s_add_co_ci_u32 s49, s50, 0
	s_delay_alu instid0(SALU_CYCLE_1) | instskip(NEXT) | instid1(SALU_CYCLE_1)
	s_add_nc_u64 s[44:45], s[46:47], s[48:49]
	s_mul_u64 s[46:47], s[24:25], s[44:45]
	s_delay_alu instid0(SALU_CYCLE_1)
	s_sub_co_u32 s17, s40, s46
	s_cselect_b32 s33, -1, 0
	s_sub_co_i32 s40, s41, s47
	s_cmp_lg_u32 s33, 0
	s_wait_alu 0xfffe
	s_sub_co_ci_u32 s40, s40, s25
	s_sub_co_u32 s46, s17, s24
	s_cselect_b32 s48, -1, 0
	s_delay_alu instid0(SALU_CYCLE_1)
	s_cmp_lg_u32 s48, 0
	s_add_nc_u64 s[48:49], s[44:45], 1
	s_wait_alu 0xfffe
	s_sub_co_ci_u32 s40, s40, 0
	s_wait_alu 0xfffe
	s_cmp_ge_u32 s40, s25
	s_cselect_b32 s50, -1, 0
	s_cmp_ge_u32 s46, s24
	s_cselect_b32 s46, -1, 0
	s_cmp_eq_u32 s40, s25
	s_cselect_b32 s40, s46, s50
	s_add_nc_u64 s[50:51], s[44:45], 2
	s_wait_alu 0xfffe
	s_cmp_lg_u32 s40, 0
	s_cselect_b32 s40, s50, s48
	s_cselect_b32 s46, s51, s49
	s_cmp_lg_u32 s33, 0
	s_sub_co_ci_u32 s33, s41, s47
	s_delay_alu instid0(SALU_CYCLE_1)
	s_cmp_ge_u32 s33, s25
	s_cselect_b32 s41, -1, 0
	s_cmp_ge_u32 s17, s24
	s_cselect_b32 s17, -1, 0
	s_cmp_eq_u32 s33, s25
	s_wait_alu 0xfffe
	s_cselect_b32 s17, s17, s41
	s_wait_alu 0xfffe
	s_cmp_lg_u32 s17, 0
	s_mov_b32 s17, 0
	s_cselect_b32 s25, s46, s45
	s_cselect_b32 s24, s40, s44
	s_xor_b64 s[22:23], s[34:35], s[22:23]
	s_delay_alu instid0(SALU_CYCLE_1) | instskip(NEXT) | instid1(SALU_CYCLE_1)
	s_xor_b64 s[24:25], s[24:25], s[22:23]
	s_sub_nc_u64 s[34:35], s[24:25], s[22:23]
.LBB7_21:                               ;   in Loop: Header=BB7_19 Depth=1
	s_wait_alu 0xfffe
	s_and_not1_b32 vcc_lo, exec_lo, s17
	s_cbranch_vccnz .LBB7_23
; %bb.22:                               ;   in Loop: Header=BB7_19 Depth=1
	v_cvt_f32_u32_e32 v1, s20
	s_sub_co_i32 s22, 0, s20
	s_mov_b32 s35, s16
	s_delay_alu instid0(VALU_DEP_1) | instskip(NEXT) | instid1(TRANS32_DEP_1)
	v_rcp_iflag_f32_e32 v1, v1
	v_mul_f32_e32 v1, 0x4f7ffffe, v1
	s_delay_alu instid0(VALU_DEP_1) | instskip(NEXT) | instid1(VALU_DEP_1)
	v_cvt_u32_f32_e32 v1, v1
	v_readfirstlane_b32 s17, v1
	s_mul_i32 s22, s22, s17
	s_delay_alu instid0(SALU_CYCLE_1) | instskip(NEXT) | instid1(SALU_CYCLE_1)
	s_mul_hi_u32 s22, s17, s22
	s_add_co_i32 s17, s17, s22
	s_wait_alu 0xfffe
	s_mul_hi_u32 s17, s2, s17
	s_wait_alu 0xfffe
	s_mul_i32 s22, s17, s20
	s_add_co_i32 s23, s17, 1
	s_sub_co_i32 s22, s2, s22
	s_delay_alu instid0(SALU_CYCLE_1)
	s_sub_co_i32 s24, s22, s20
	s_cmp_ge_u32 s22, s20
	s_cselect_b32 s17, s23, s17
	s_cselect_b32 s22, s24, s22
	s_wait_alu 0xfffe
	s_add_co_i32 s23, s17, 1
	s_cmp_ge_u32 s22, s20
	s_cselect_b32 s34, s23, s17
.LBB7_23:                               ;   in Loop: Header=BB7_19 Depth=1
	s_load_b64 s[22:23], s[18:19], 0xc8
	s_mul_u64 s[20:21], s[34:35], s[20:21]
	s_add_co_i32 s5, s5, -1
	s_wait_alu 0xfffe
	s_sub_nc_u64 s[2:3], s[2:3], s[20:21]
	s_cmp_gt_u32 s5, 2
	s_add_nc_u64 s[18:19], s[18:19], -8
	s_wait_kmcnt 0x0
	s_wait_alu 0xfffe
	s_mul_u64 s[2:3], s[22:23], s[2:3]
	s_wait_alu 0xfffe
	s_add_nc_u64 s[30:31], s[2:3], s[30:31]
	s_cbranch_scc0 .LBB7_26
; %bb.24:                               ;   in Loop: Header=BB7_19 Depth=1
	s_mov_b64 s[2:3], s[34:35]
	s_branch .LBB7_19
.LBB7_25:
	s_mov_b64 s[34:35], s[2:3]
.LBB7_26:
	s_clause 0x1
	s_load_b64 s[40:41], s[12:13], 0xd0
	s_load_b64 s[12:13], s[0:1], 0x0
	v_cmp_eq_u32_e64 s2, 0, v0
	s_mov_b32 s53, 0
	s_and_saveexec_b32 s3, s2
	s_cbranch_execz .LBB7_28
; %bb.27:
	v_dual_mov_b32 v1, 0 :: v_dual_mov_b32 v4, s37
	s_delay_alu instid0(VALU_DEP_1)
	v_dual_mov_b32 v3, s36 :: v_dual_mov_b32 v2, v1
	ds_store_b32 v1, v1 offset:5136
	ds_store_b128 v1, v[1:4] offset:5120
.LBB7_28:
	s_wait_alu 0xfffe
	s_or_b32 exec_lo, exec_lo, s3
	v_mad_co_u64_u32 v[4:5], null, s42, v0, 0
	v_mbcnt_lo_u32_b32 v34, -1, 0
	s_mul_u64 s[10:11], s[14:15], s[10:11]
	s_clause 0x2
	s_load_b64 s[48:49], s[0:1], 0x430
	s_load_b64 s[44:45], s[0:1], 0x1c0
	;; [unrolled: 1-line block ×3, first 2 shown]
	v_cmp_gt_u32_e32 vcc_lo, 32, v0
	s_wait_kmcnt 0x0
	s_add_nc_u64 s[14:15], s[12:13], s[10:11]
	v_cmp_gt_i32_e64 s0, 4, v34
	v_mov_b32_e32 v1, v5
	v_dual_mov_b32 v3, 0 :: v_dual_lshlrev_b32 v16, 2, v0
	s_wait_alu 0xfffe
	s_add_nc_u64 s[56:57], s[14:15], s[6:7]
	s_and_b32 s33, vcc_lo, s0
	v_mad_co_u64_u32 v[6:7], null, s43, v0, v[1:2]
	v_add_nc_u32_e32 v2, 2, v0
	v_add_co_u32 v14, vcc_lo, s56, v4
	v_lshlrev_b64_e64 v[7:8], v34, -1
	s_wait_dscnt 0x0
	s_barrier_signal -1
	s_delay_alu instid0(VALU_DEP_4) | instskip(SKIP_1) | instid1(VALU_DEP_3)
	v_add_co_ci_u32_e64 v15, null, s57, v6, vcc_lo
	v_cmp_gt_i64_e32 vcc_lo, s[36:37], v[2:3]
	v_not_b32_e32 v35, v7
	v_not_b32_e32 v7, v0
	s_barrier_wait -1
	global_inv scope:SCOPE_SE
	s_load_b32 s5, s[8:9], 0xc
	v_cndmask_b32_e64 v2, v2, s36, vcc_lo
	v_cndmask_b32_e64 v8, 0, s37, vcc_lo
	v_or_b32_e32 v9, 3, v16
	v_or_b32_e32 v11, 2, v16
	v_mad_co_u64_u32 v[25:26], null, s42, v16, s[42:43]
	v_add_co_u32 v7, vcc_lo, v2, v7
	v_mov_b32_e32 v1, v3
	v_mad_co_u64_u32 v[21:22], null, s42, v9, 0
	s_delay_alu instid0(VALU_DEP_3)
	v_and_b32_e32 v18, -4, v7
	s_wait_alu 0xfffd
	v_add_co_ci_u32_e64 v8, null, -1, v8, vcc_lo
	v_mov_b32_e32 v5, v6
	v_mad_co_u64_u32 v[23:24], null, s42, v11, 0
	v_add_co_u32 v20, vcc_lo, v18, v0
	s_wait_alu 0xfffd
	v_add_co_ci_u32_e64 v2, null, 0, v8, vcc_lo
	v_mov_b32_e32 v2, v22
	s_wait_kmcnt 0x0
	s_and_b32 s50, s5, 0xffff
	s_bfe_u32 s14, s5, 0xb0005
	s_cmp_gt_u32 s50, 31
	s_movk_i32 s5, 0x3e0
	v_mad_co_u64_u32 v[9:10], null, s43, v9, v[2:3]
	v_mov_b32_e32 v19, v8
	v_mov_b32_e32 v17, v3
	s_cselect_b32 s83, -1, 0
	v_and_or_b32 v36, v0, s5, 0xc00
	s_cmp_lt_u32 ttmp9, s4
	v_cmp_lt_u64_e64 s4, 3, v[7:8]
	v_cmp_ne_u64_e64 s5, v[7:8], v[18:19]
	v_dual_mov_b32 v7, v24 :: v_dual_mov_b32 v28, s38
	v_mov_b32_e32 v8, v26
	s_cselect_b32 s52, 12, 18
	s_wait_alu 0xfffe
	s_add_co_i32 s15, s14, -1
	s_add_nc_u64 s[6:7], s[6:7], s[10:11]
	s_wait_alu 0xfffe
	s_and_b32 s15, s15, 0xffff
	v_mad_co_u64_u32 v[10:11], null, s43, v11, v[7:8]
	v_mad_co_u64_u32 v[7:8], null, s43, v16, v[8:9]
	s_add_nc_u64 s[62:63], s[12:13], s[6:7]
	s_bfe_u32 s92, s50, 0x30005
	v_mul_lo_u32 v42, 0, s42
	s_wait_alu 0xfffe
	s_cmp_gt_u32 s15, 6
	v_add_co_u32 v39, s6, s36, v0
	v_add_co_u32 v12, vcc_lo, s62, v4
	v_cmp_lt_i64_e64 s82, 0xc00, s[36:37]
	v_cmp_gt_i64_e64 s0, s[36:37], v[0:1]
	s_mov_b32 s51, s53
	v_lshlrev_b64_e32 v[26:27], 2, v[4:5]
	v_cmp_eq_u32_e64 s1, 0, v34
	v_cmp_gt_u32_e64 s3, 2, v0
	s_cselect_b32 s93, -1, 0
	s_and_b32 s94, s14, 0x7f8
	v_dual_mov_b32 v24, v9 :: v_dual_mov_b32 v37, v10
	v_mov_b32_e32 v38, v7
	v_add_co_ci_u32_e64 v40, null, s37, 0, s6
	v_lshl_or_b32 v41, v34, 3, 0xc00
	s_wait_alu 0xfffd
	v_add_co_ci_u32_e64 v13, null, s63, v6, vcc_lo
	v_dual_mov_b32 v29, s39 :: v_dual_mov_b32 v44, 0
	v_dual_mov_b32 v22, 0 :: v_dual_mov_b32 v43, 0
	s_add_nc_u64 s[58:59], s[50:51], -1
	s_cmp_lg_u32 s92, 0
	s_add_nc_u64 s[60:61], s[58:59], s[36:37]
	s_mov_b32 s84, s42
	s_mov_b32 s85, s43
	;; [unrolled: 1-line block ×9, first 2 shown]
	s_cselect_b32 s96, -1, 0
	s_lshl_b64 s[64:65], s[42:43], 2
	s_mul_u64 s[54:55], s[42:43], s[50:51]
	s_add_nc_u64 s[38:39], s[8:9], s[52:53]
	s_mov_b32 s97, 0
	s_mov_b32 s98, 0
                                        ; implicit-def: $sgpr102
                                        ; implicit-def: $sgpr104
                                        ; implicit-def: $sgpr99
                                        ; implicit-def: $sgpr101
                                        ; implicit-def: $sgpr103
                                        ; implicit-def: $sgpr100
	s_branch .LBB7_32
.LBB7_29:                               ;   in Loop: Header=BB7_32 Depth=1
	s_wait_alu 0xfffe
	s_or_b32 exec_lo, exec_lo, s9
	s_delay_alu instid0(SALU_CYCLE_1)
	s_and_b32 s7, s7, exec_lo
	s_and_not1_b32 s22, s22, exec_lo
	s_and_not1_b32 s21, s21, exec_lo
	s_or_not1_b32 s18, s8, exec_lo
.LBB7_30:                               ;   in Loop: Header=BB7_32 Depth=1
	s_wait_alu 0xfffe
	s_or_b32 exec_lo, exec_lo, s6
	s_delay_alu instid0(SALU_CYCLE_1)
	s_and_not1_b32 s6, s100, exec_lo
	s_and_b32 s7, s7, exec_lo
	s_and_not1_b32 s8, s101, exec_lo
	s_wait_alu 0xfffe
	s_or_b32 s100, s6, s7
	s_and_not1_b32 s6, s103, exec_lo
	s_and_b32 s7, s22, exec_lo
	s_and_b32 s9, s21, exec_lo
	s_wait_alu 0xfffe
	s_or_b32 s103, s6, s7
	s_or_b32 s101, s8, s9
	s_or_not1_b32 s18, s18, exec_lo
.LBB7_31:                               ;   in Loop: Header=BB7_32 Depth=1
	s_wait_alu 0xfffe
	s_or_b32 exec_lo, exec_lo, s17
	s_delay_alu instid0(SALU_CYCLE_1)
	s_and_b32 s6, exec_lo, s18
	v_dual_mov_b32 v29, v9 :: v_dual_mov_b32 v28, v8
	s_wait_alu 0xfffe
	s_or_b32 s97, s6, s97
	s_and_not1_b32 s6, s99, exec_lo
	s_and_b32 s7, s100, exec_lo
	s_and_not1_b32 s8, s104, exec_lo
	s_wait_alu 0xfffe
	s_or_b32 s99, s6, s7
	s_and_b32 s6, s103, exec_lo
	s_and_not1_b32 s7, s102, exec_lo
	s_and_b32 s9, s101, exec_lo
	s_wait_alu 0xfffe
	s_or_b32 s104, s8, s6
	s_or_b32 s102, s7, s9
	s_and_not1_b32 exec_lo, exec_lo, s97
	s_cbranch_execz .LBB7_294
.LBB7_32:                               ; =>This Loop Header: Depth=1
                                        ;     Child Loop BB7_37 Depth 2
                                        ;     Child Loop BB7_51 Depth 2
	;; [unrolled: 1-line block ×17, first 2 shown]
	ds_load_b128 v[4:7], v3 offset:5120
	s_wait_dscnt 0x0
	v_readfirstlane_b32 s67, v5
	v_readfirstlane_b32 s66, v4
	s_wait_alu 0xf1ff
	s_delay_alu instid0(VALU_DEP_1)
	v_cmp_gt_i64_e64 s6, s[66:67], 0
	s_and_b32 vcc_lo, exec_lo, s6
	s_wait_alu 0xfffe
	s_cbranch_vccnz .LBB7_64
; %bb.33:                               ;   in Loop: Header=BB7_32 Depth=1
	s_and_b32 vcc_lo, exec_lo, s82
	s_wait_alu 0xfffe
	s_cbranch_vccz .LBB7_45
; %bb.34:                               ;   in Loop: Header=BB7_32 Depth=1
	v_cmp_gt_i64_e32 vcc_lo, 0xc01, v[6:7]
	s_mov_b32 s8, 0
	s_mov_b32 s6, 0
	s_cbranch_vccz .LBB7_46
; %bb.35:                               ;   in Loop: Header=BB7_32 Depth=1
	global_load_u16 v2, v3, s[38:39]
	global_load_u8 v8, v[14:15], off
	s_mov_b32 s9, 0
	s_wait_loadcnt 0x1
	v_and_b32_e32 v2, 0xffff, v2
	s_delay_alu instid0(VALU_DEP_1) | instskip(SKIP_3) | instid1(VALU_DEP_3)
	v_add_co_u32 v4, s6, v0, v2
	s_wait_alu 0xf1fe
	v_add_co_ci_u32_e64 v5, null, 0, 0, s6
	v_mul_lo_u32 v6, v2, s43
	v_mul_lo_u32 v10, s43, v4
	v_mul_hi_u32 v11, v2, s42
	s_delay_alu instid0(VALU_DEP_4) | instskip(SKIP_2) | instid1(VALU_DEP_2)
	v_mul_lo_u32 v7, s42, v5
	v_mad_co_u64_u32 v[4:5], null, s42, v4, s[62:63]
	v_add_nc_u32_e32 v6, v6, v42
	v_add3_u32 v5, v10, v5, v7
	s_delay_alu instid0(VALU_DEP_2)
	v_dual_mov_b32 v7, v1 :: v_dual_add_nc_u32 v10, v6, v11
	v_mul_lo_u32 v9, v2, s42
	v_mov_b32_e32 v6, v0
	s_branch .LBB7_37
.LBB7_36:                               ;   in Loop: Header=BB7_37 Depth=2
	s_wait_alu 0xfffe
	s_or_b32 exec_lo, exec_lo, s7
	v_add_co_u32 v4, vcc_lo, v4, v9
	s_wait_alu 0xfffd
	v_add_co_ci_u32_e64 v5, null, v5, v10, vcc_lo
	v_mov_b32_e32 v8, v11
	s_and_not1_b32 exec_lo, exec_lo, s9
	s_cbranch_execz .LBB7_98
.LBB7_37:                               ;   Parent Loop BB7_32 Depth=1
                                        ; =>  This Inner Loop Header: Depth=2
	s_delay_alu instid0(VALU_DEP_1)
	v_add_co_u32 v6, vcc_lo, v6, v2
	s_wait_alu 0xfffd
	v_add_co_ci_u32_e64 v7, null, 0, v7, vcc_lo
	s_wait_dscnt 0x0
	v_dual_mov_b32 v30, 0 :: v_dual_mov_b32 v11, 0
	s_mov_b32 s7, exec_lo
	s_delay_alu instid0(VALU_DEP_2)
	v_cmp_le_i64_e32 vcc_lo, s[36:37], v[6:7]
	v_cmpx_gt_i64_e64 s[36:37], v[6:7]
	s_cbranch_execz .LBB7_39
; %bb.38:                               ;   in Loop: Header=BB7_37 Depth=2
	global_load_u8 v11, v[4:5], off
.LBB7_39:                               ;   in Loop: Header=BB7_37 Depth=2
	s_wait_alu 0xfffe
	s_or_b32 exec_lo, exec_lo, s7
	s_wait_loadcnt 0x0
	v_and_b32_e32 v31, v8, v43
	s_delay_alu instid0(VALU_DEP_1) | instskip(NEXT) | instid1(VALU_DEP_1)
	v_and_b32_e32 v31, 0xff, v31
	v_cmp_eq_u32_e64 s6, v31, v22
	s_cmp_lg_u32 s6, 0
	s_cselect_b32 s7, -1, 0
	s_wait_alu 0xfffe
	s_and_b32 s7, s1, s7
	s_wait_alu 0xfffe
	s_and_saveexec_b32 s10, s7
	s_cbranch_execz .LBB7_43
; %bb.40:                               ;   in Loop: Header=BB7_37 Depth=2
	s_mov_b32 s13, exec_lo
	s_bcnt1_i32_b32 s11, s6
	s_wait_alu 0xfffe
	v_mbcnt_lo_u32_b32 v30, s13, 0
	s_mov_b32 s12, exec_lo
                                        ; implicit-def: $vgpr31
	s_delay_alu instid0(VALU_DEP_1)
	v_cmpx_eq_u32_e32 0, v30
; %bb.41:                               ;   in Loop: Header=BB7_37 Depth=2
	s_bcnt1_i32_b32 s7, s13
	s_wait_alu 0xfffe
	s_mul_i32 s7, s11, s7
	s_wait_alu 0xfffe
	v_mov_b32_e32 v31, s7
	ds_add_rtn_u32 v31, v3, v31 offset:5136
; %bb.42:                               ;   in Loop: Header=BB7_37 Depth=2
	s_or_b32 exec_lo, exec_lo, s12
	s_wait_dscnt 0x0
	v_readfirstlane_b32 s7, v31
	s_wait_alu 0xf1ff
	s_delay_alu instid0(VALU_DEP_1)
	v_mad_u32_u24 v30, s11, v30, s7
.LBB7_43:                               ;   in Loop: Header=BB7_37 Depth=2
	s_wait_alu 0xfffe
	s_or_b32 exec_lo, exec_lo, s10
	ds_bpermute_b32 v30, v3, v30
	s_and_b32 s7, exec_lo, vcc_lo
	s_wait_alu 0xfffe
	s_or_b32 s9, s7, s9
	s_and_saveexec_b32 s7, s6
	s_cbranch_execz .LBB7_36
; %bb.44:                               ;   in Loop: Header=BB7_37 Depth=2
	v_and_b32_e32 v31, s6, v35
	s_wait_dscnt 0x0
	s_delay_alu instid0(VALU_DEP_1)
	v_bcnt_u32_b32 v30, v31, v30
	ds_store_b8 v30, v8
	s_branch .LBB7_36
.LBB7_45:                               ;   in Loop: Header=BB7_32 Depth=1
	s_mov_b32 s8, -1
	s_mov_b32 s6, 0
.LBB7_46:                               ;   in Loop: Header=BB7_32 Depth=1
	s_wait_alu 0xfffe
	s_and_b32 vcc_lo, exec_lo, s8
	s_wait_alu 0xfffe
	s_cbranch_vccz .LBB7_62
.LBB7_47:                               ;   in Loop: Header=BB7_32 Depth=1
	s_and_saveexec_b32 s12, s0
	s_cbranch_execz .LBB7_59
; %bb.48:                               ;   in Loop: Header=BB7_32 Depth=1
	global_load_u16 v4, v3, s[38:39]
	global_load_u8 v32, v[14:15], off
	v_mov_b32_e32 v8, v0
	s_mov_b32 s13, exec_lo
	s_wait_loadcnt 0x1
	v_and_b32_e32 v2, 0xffff, v4
	v_readfirstlane_b32 s6, v4
	s_delay_alu instid0(VALU_DEP_2) | instskip(NEXT) | instid1(VALU_DEP_1)
	v_add_nc_u32_e32 v2, v2, v0
	v_cmpx_gt_i64_e64 s[36:37], v[2:3]
	s_cbranch_execz .LBB7_58
; %bb.49:                               ;   in Loop: Header=BB7_32 Depth=1
	s_and_b32 s52, s6, 0xffff
	v_dual_mov_b32 v7, v1 :: v_dual_mov_b32 v6, v0
	s_wait_alu 0xfffe
	s_cmp_eq_u32 s52, 1
	v_dual_mov_b32 v5, v3 :: v_dual_mov_b32 v4, v2
	s_cselect_b32 s6, -1, 0
                                        ; implicit-def: $vgpr8_vgpr9
	s_wait_alu 0xfffe
	s_and_b32 s7, s4, s6
	s_mov_b32 s6, -1
	s_wait_alu 0xfffe
	s_and_saveexec_b32 s8, s7
	s_cbranch_execz .LBB7_53
; %bb.50:                               ;   in Loop: Header=BB7_32 Depth=1
	v_add_co_u32 v8, s6, v2, 3
	s_wait_alu 0xf1ff
	v_add_co_ci_u32_e64 v9, null, 0, 0, s6
	v_add_co_u32 v6, s6, v2, 2
	s_wait_alu 0xf1ff
	v_add_co_ci_u32_e64 v7, null, 0, 0, s6
	;; [unrolled: 3-line block ×3, first 2 shown]
	v_mov_b32_e32 v11, v9
	v_dual_mov_b32 v31, v19 :: v_dual_mov_b32 v10, v8
	s_wait_loadcnt 0x0
	v_dual_mov_b32 v30, v18 :: v_dual_lshlrev_b32 v45, 24, v32
	v_mov_b32_e32 v9, v7
	v_dual_mov_b32 v33, v0 :: v_dual_mov_b32 v8, v6
	v_mov_b32_e32 v7, v5
	v_mov_b32_e32 v6, v4
	;; [unrolled: 1-line block ×4, first 2 shown]
	s_mov_b32 s9, 0
.LBB7_51:                               ;   Parent Loop BB7_32 Depth=1
                                        ; =>  This Inner Loop Header: Depth=2
	v_mul_lo_u32 v55, v7, s86
	v_mul_lo_u32 v56, v6, s87
	v_mad_co_u64_u32 v[48:49], null, v6, s86, 0
	v_mul_lo_u32 v32, v9, s88
	v_mul_lo_u32 v54, v8, s89
	v_mad_co_u64_u32 v[46:47], null, v8, s88, 0
	;; [unrolled: 3-line block ×3, first 2 shown]
	v_mad_co_u64_u32 v[52:53], null, v10, s90, s[56:57]
	v_mul_lo_u32 v59, v10, s91
	v_mul_lo_u32 v60, v11, s90
	v_add3_u32 v55, v49, v56, v55
	v_add3_u32 v32, v47, v54, v32
	;; [unrolled: 1-line block ×3, first 2 shown]
	v_add_co_u32 v54, s7, s56, v48
	v_add_co_u32 v49, s6, s56, v46
	v_add3_u32 v53, v60, v53, v59
	v_add_co_u32 v47, vcc_lo, s56, v50
	s_wait_alu 0xf1ff
	v_add_co_ci_u32_e64 v55, null, s57, v55, s7
	v_add_co_ci_u32_e64 v50, null, s57, v32, s6
	s_wait_alu 0xfffd
	v_add_co_ci_u32_e64 v48, null, s57, v51, vcc_lo
	s_clause 0x3
	global_load_u8 v32, v[52:53], off
	global_load_u8 v46, v[54:55], off
	global_load_u8 v49, v[49:50], off
	global_load_u8 v47, v[47:48], off
	v_add_co_u32 v10, vcc_lo, v10, 4
	s_wait_alu 0xfffd
	v_add_co_ci_u32_e64 v11, null, 0, v11, vcc_lo
	v_add_co_u32 v8, vcc_lo, v8, 4
	s_wait_alu 0xfffd
	v_add_co_ci_u32_e64 v9, null, 0, v9, vcc_lo
	v_add_co_u32 v6, vcc_lo, v6, 4
	s_wait_alu 0xfffd
	v_add_co_ci_u32_e64 v7, null, 0, v7, vcc_lo
	v_add_co_u32 v30, vcc_lo, v30, -4
	s_wait_alu 0xfffd
	v_add_co_ci_u32_e64 v31, null, -1, v31, vcc_lo
	v_add_co_u32 v4, vcc_lo, v4, 4
	s_wait_alu 0xfffd
	v_add_co_ci_u32_e64 v5, null, 0, v5, vcc_lo
	s_delay_alu instid0(VALU_DEP_3)
	v_cmp_eq_u64_e64 s6, 0, v[30:31]
	s_wait_alu 0xfffe
	s_or_b32 s9, s6, s9
	s_wait_loadcnt 0x0
	v_perm_b32 v48, v47, v46, 0xc0c0004
	v_perm_b32 v46, v46, v49, 0xc0c0004
	;; [unrolled: 1-line block ×4, first 2 shown]
	s_delay_alu instid0(VALU_DEP_2) | instskip(NEXT) | instid1(VALU_DEP_2)
	v_lshl_or_b32 v45, v46, 16, v45
	v_lshl_or_b32 v46, v47, 16, v48
	ds_store_b32 v33, v45
	v_add_nc_u32_e32 v33, 4, v33
	v_mov_b32_e32 v45, v46
	s_wait_alu 0xfffe
	s_and_not1_b32 exec_lo, exec_lo, s9
	s_cbranch_execnz .LBB7_51
; %bb.52:                               ;   in Loop: Header=BB7_32 Depth=1
	s_or_b32 exec_lo, exec_lo, s9
	v_add_co_u32 v4, vcc_lo, v2, v18
	s_wait_alu 0xfffd
	v_add_co_ci_u32_e64 v5, null, 0, v19, vcc_lo
	v_dual_mov_b32 v6, v20 :: v_dual_mov_b32 v7, v21
	s_delay_alu instid0(VALU_DEP_3)
	v_add_co_u32 v8, vcc_lo, v4, -1
	s_or_not1_b32 s6, s5, exec_lo
	s_wait_alu 0xfffd
	v_add_co_ci_u32_e64 v2, null, -1, v5, vcc_lo
.LBB7_53:                               ;   in Loop: Header=BB7_32 Depth=1
	s_wait_alu 0xfffe
	s_or_b32 exec_lo, exec_lo, s8
	s_and_saveexec_b32 s7, s6
	s_cbranch_execz .LBB7_57
; %bb.54:                               ;   in Loop: Header=BB7_32 Depth=1
	v_mad_co_u64_u32 v[9:10], null, s42, v4, s[62:63]
	v_mul_lo_u32 v2, s42, v5
	v_mul_lo_u32 v7, s43, v4
	s_sub_nc_u64 s[8:9], 0, s[52:53]
	s_mul_u64 s[10:11], s[42:43], s[52:53]
	s_mov_b32 s14, 0
	s_delay_alu instid0(VALU_DEP_1)
	v_add3_u32 v10, v7, v10, v2
.LBB7_55:                               ;   Parent Loop BB7_32 Depth=1
                                        ; =>  This Inner Loop Header: Depth=2
	global_load_u8 v2, v[9:10], off
	v_dual_mov_b32 v8, v5 :: v_dual_mov_b32 v7, v4
	s_wait_alu 0xfffe
	v_add_co_u32 v9, vcc_lo, v9, s10
	s_wait_alu 0xfffd
	v_add_co_ci_u32_e64 v10, null, s11, v10, vcc_lo
	v_add_co_u32 v4, s6, v7, s52
	s_wait_alu 0xf1ff
	v_add_co_ci_u32_e64 v5, null, 0, v8, s6
	s_wait_loadcnt 0x1
	ds_store_b8 v6, v32
	v_mov_b32_e32 v6, v7
	v_mov_b32_e32 v7, v8
	v_cmp_le_i64_e32 vcc_lo, s[36:37], v[4:5]
	v_add_co_u32 v8, s6, s8, v4
	s_wait_alu 0xf1ff
	v_add_co_ci_u32_e64 v7, null, s9, v5, s6
	s_or_b32 s14, vcc_lo, s14
	s_wait_loadcnt 0x0
	v_mov_b32_e32 v32, v2
	s_wait_alu 0xfffe
	s_and_not1_b32 exec_lo, exec_lo, s14
	s_cbranch_execnz .LBB7_55
; %bb.56:                               ;   in Loop: Header=BB7_32 Depth=1
	s_or_b32 exec_lo, exec_lo, s14
	v_mov_b32_e32 v32, v2
.LBB7_57:                               ;   in Loop: Header=BB7_32 Depth=1
	s_wait_alu 0xfffe
	s_or_b32 exec_lo, exec_lo, s7
.LBB7_58:                               ;   in Loop: Header=BB7_32 Depth=1
	s_wait_alu 0xfffe
	s_or_b32 exec_lo, exec_lo, s13
	s_wait_loadcnt 0x0
	ds_store_b8 v8, v32
.LBB7_59:                               ;   in Loop: Header=BB7_32 Depth=1
	s_wait_alu 0xfffe
	s_or_b32 exec_lo, exec_lo, s12
	s_wait_loadcnt_dscnt 0x0
	s_barrier_signal -1
	s_barrier_wait -1
	global_inv scope:SCOPE_SE
	s_and_saveexec_b32 s6, s2
; %bb.60:                               ;   in Loop: Header=BB7_32 Depth=1
	v_dual_mov_b32 v4, s36 :: v_dual_mov_b32 v5, s37
	ds_store_b64 v3, v[4:5] offset:5120
; %bb.61:                               ;   in Loop: Header=BB7_32 Depth=1
	s_wait_alu 0xfffe
	s_or_b32 exec_lo, exec_lo, s6
	s_wait_loadcnt_dscnt 0x0
	s_barrier_signal -1
	s_mov_b32 s6, -1
	s_barrier_wait -1
.LBB7_62:                               ;   in Loop: Header=BB7_32 Depth=1
	s_wait_alu 0xfffe
	s_and_b32 vcc_lo, exec_lo, s6
	s_wait_alu 0xfffe
	s_cbranch_vccz .LBB7_64
; %bb.63:                               ;   in Loop: Header=BB7_32 Depth=1
	s_wait_loadcnt 0x0
	global_inv scope:SCOPE_SE
	ds_load_b64 v[4:5], v3 offset:5120
	s_wait_dscnt 0x0
	v_readfirstlane_b32 s66, v4
.LBB7_64:                               ;   in Loop: Header=BB7_32 Depth=1
	s_delay_alu instid0(VALU_DEP_1)
	s_cmp_lt_i32 s66, 1
	s_mov_b32 s6, -1
                                        ; implicit-def: $vgpr10_vgpr11
                                        ; implicit-def: $vgpr6_vgpr7
	s_cbranch_scc1 .LBB7_74
; %bb.65:                               ;   in Loop: Header=BB7_32 Depth=1
	s_wait_alu 0xfffe
	s_and_b32 vcc_lo, exec_lo, s6
	s_wait_alu 0xfffe
	s_cbranch_vccnz .LBB7_88
.LBB7_66:                               ;   in Loop: Header=BB7_32 Depth=1
	s_lshl_b32 s6, s98, 7
	s_and_saveexec_b32 s7, s1
	s_cbranch_execz .LBB7_68
.LBB7_67:                               ;   in Loop: Header=BB7_32 Depth=1
	s_wait_alu 0xfffe
	v_lshl_add_u32 v2, s6, 3, v36
	ds_store_b128 v2, v[4:7]
	ds_store_b128 v2, v[8:11] offset:16
.LBB7_68:                               ;   in Loop: Header=BB7_32 Depth=1
	s_wait_alu 0xfffe
	s_or_b32 exec_lo, exec_lo, s7
	s_wait_loadcnt_dscnt 0x0
	s_barrier_signal -1
	s_barrier_wait -1
	global_inv scope:SCOPE_SE
	s_and_saveexec_b32 s7, s33
	s_cbranch_execz .LBB7_105
; %bb.69:                               ;   in Loop: Header=BB7_32 Depth=1
	v_mov_b32_e32 v4, 0
	v_mov_b32_e32 v5, 0
	s_and_not1_b32 vcc_lo, exec_lo, s83
	s_wait_alu 0xfffe
	s_cbranch_vccnz .LBB7_104
; %bb.70:                               ;   in Loop: Header=BB7_32 Depth=1
	v_mov_b32_e32 v4, 0
	v_mov_b32_e32 v5, 0
	s_and_not1_b32 vcc_lo, exec_lo, s93
	s_wait_alu 0xfffe
	s_cbranch_vccnz .LBB7_101
; %bb.71:                               ;   in Loop: Header=BB7_32 Depth=1
	v_lshl_add_u32 v2, s98, 10, v41
	s_mov_b32 s8, 0
.LBB7_72:                               ;   Parent Loop BB7_32 Depth=1
                                        ; =>  This Inner Loop Header: Depth=2
	ds_load_2addr_b64 v[6:9], v2 offset1:4
	ds_load_2addr_b64 v[30:33], v2 offset0:8 offset1:12
	ds_load_2addr_b64 v[45:48], v2 offset0:16 offset1:20
	s_wait_alu 0xfffe
	s_add_co_i32 s8, s8, 8
	s_wait_alu 0xfffe
	s_cmp_eq_u32 s94, s8
	s_wait_dscnt 0x2
	v_add_co_u32 v4, vcc_lo, v6, v4
	s_wait_alu 0xfffd
	v_add_co_ci_u32_e64 v5, null, v7, v5, vcc_lo
	s_delay_alu instid0(VALU_DEP_2) | instskip(SKIP_1) | instid1(VALU_DEP_2)
	v_add_co_u32 v8, vcc_lo, v8, v4
	s_wait_alu 0xfffd
	v_add_co_ci_u32_e64 v9, null, v9, v5, vcc_lo
	ds_load_2addr_b64 v[4:7], v2 offset0:24 offset1:28
	s_wait_dscnt 0x2
	v_add_co_u32 v8, vcc_lo, v30, v8
	s_wait_alu 0xfffd
	v_add_co_ci_u32_e64 v9, null, v31, v9, vcc_lo
	v_add_nc_u32_e32 v2, 0x100, v2
	s_delay_alu instid0(VALU_DEP_3) | instskip(SKIP_1) | instid1(VALU_DEP_3)
	v_add_co_u32 v8, vcc_lo, v32, v8
	s_wait_alu 0xfffd
	v_add_co_ci_u32_e64 v9, null, v33, v9, vcc_lo
	s_wait_dscnt 0x1
	s_delay_alu instid0(VALU_DEP_2) | instskip(SKIP_1) | instid1(VALU_DEP_2)
	v_add_co_u32 v8, vcc_lo, v45, v8
	s_wait_alu 0xfffd
	v_add_co_ci_u32_e64 v9, null, v46, v9, vcc_lo
	s_delay_alu instid0(VALU_DEP_2) | instskip(SKIP_1) | instid1(VALU_DEP_2)
	v_add_co_u32 v8, vcc_lo, v47, v8
	s_wait_alu 0xfffd
	v_add_co_ci_u32_e64 v9, null, v48, v9, vcc_lo
	s_wait_dscnt 0x0
	s_delay_alu instid0(VALU_DEP_2) | instskip(SKIP_1) | instid1(VALU_DEP_2)
	v_add_co_u32 v4, vcc_lo, v4, v8
	s_wait_alu 0xfffd
	v_add_co_ci_u32_e64 v5, null, v5, v9, vcc_lo
	s_delay_alu instid0(VALU_DEP_2) | instskip(SKIP_1) | instid1(VALU_DEP_2)
	v_add_co_u32 v4, vcc_lo, v6, v4
	s_wait_alu 0xfffd
	v_add_co_ci_u32_e64 v5, null, v7, v5, vcc_lo
	s_cbranch_scc0 .LBB7_72
; %bb.73:                               ;   in Loop: Header=BB7_32 Depth=1
	s_mov_b32 s8, s94
	s_and_not1_b32 vcc_lo, exec_lo, s96
	s_wait_alu 0xfffe
	s_cbranch_vccz .LBB7_102
	s_branch .LBB7_104
.LBB7_74:                               ;   in Loop: Header=BB7_32 Depth=1
	global_load_u16 v2, v3, s[38:39]
	s_mov_b32 s7, s37
	s_wait_loadcnt 0x0
	v_readfirstlane_b32 s6, v2
	s_wait_alu 0xfffe
	s_and_b32 s8, 0xffff, s6
	s_mov_b32 s6, s53
	s_wait_alu 0xfffe
	s_lshl_b32 s68, s8, 2
	s_cmp_lg_u64 s[6:7], 0
	s_cbranch_scc0 .LBB7_97
; %bb.75:                               ;   in Loop: Header=BB7_32 Depth=1
	s_mov_b32 s69, s53
	s_wait_alu 0xfffe
	s_add_nc_u64 s[6:7], s[68:69], 0
	s_wait_alu 0xfffe
	s_xor_b64 s[6:7], s[6:7], 0
	s_wait_alu 0xfffe
	s_cvt_f32_u32 s8, s6
	s_cvt_f32_u32 s9, s7
	s_sub_nc_u64 s[10:11], 0, s[6:7]
	s_wait_alu 0xfffe
	s_delay_alu instid0(SALU_CYCLE_1) | instskip(SKIP_1) | instid1(SALU_CYCLE_2)
	s_fmamk_f32 s8, s9, 0x4f800000, s8
	s_wait_alu 0xfffe
	v_s_rcp_f32 s8, s8
	s_delay_alu instid0(TRANS32_DEP_1) | instskip(SKIP_1) | instid1(SALU_CYCLE_2)
	s_mul_f32 s8, s8, 0x5f7ffffc
	s_wait_alu 0xfffe
	s_mul_f32 s9, s8, 0x2f800000
	s_wait_alu 0xfffe
	s_delay_alu instid0(SALU_CYCLE_2) | instskip(SKIP_1) | instid1(SALU_CYCLE_2)
	s_trunc_f32 s9, s9
	s_wait_alu 0xfffe
	s_fmamk_f32 s8, s9, 0xcf800000, s8
	s_cvt_u32_f32 s9, s9
	s_wait_alu 0xfffe
	s_delay_alu instid0(SALU_CYCLE_1) | instskip(SKIP_1) | instid1(SALU_CYCLE_2)
	s_cvt_u32_f32 s8, s8
	s_wait_alu 0xfffe
	s_mul_u64 s[12:13], s[10:11], s[8:9]
	s_wait_alu 0xfffe
	s_mul_hi_u32 s15, s8, s13
	s_mul_i32 s14, s8, s13
	s_mul_hi_u32 s52, s8, s12
	s_mul_i32 s17, s9, s12
	s_wait_alu 0xfffe
	s_add_nc_u64 s[14:15], s[52:53], s[14:15]
	s_mul_hi_u32 s16, s9, s12
	s_mul_hi_u32 s18, s9, s13
	s_mul_i32 s12, s9, s13
	s_wait_alu 0xfffe
	s_add_co_u32 s13, s14, s17
	s_add_co_ci_u32 s52, s15, s16
	s_add_co_ci_u32 s13, s18, 0
	s_wait_alu 0xfffe
	s_add_nc_u64 s[12:13], s[52:53], s[12:13]
	s_wait_alu 0xfffe
	s_add_co_u32 s8, s8, s12
	s_cselect_b32 s12, -1, 0
	s_wait_alu 0xfffe
	s_cmp_lg_u32 s12, 0
	s_add_co_ci_u32 s9, s9, s13
	s_wait_alu 0xfffe
	s_mul_u64 s[10:11], s[10:11], s[8:9]
	s_wait_alu 0xfffe
	s_mul_hi_u32 s13, s8, s11
	s_mul_i32 s12, s8, s11
	s_mul_hi_u32 s52, s8, s10
	s_mul_i32 s15, s9, s10
	s_wait_alu 0xfffe
	s_add_nc_u64 s[12:13], s[52:53], s[12:13]
	s_mul_hi_u32 s14, s9, s10
	s_mul_hi_u32 s16, s9, s11
	s_mul_i32 s10, s9, s11
	s_wait_alu 0xfffe
	s_add_co_u32 s11, s12, s15
	s_add_co_ci_u32 s52, s13, s14
	s_add_co_ci_u32 s11, s16, 0
	s_wait_alu 0xfffe
	s_add_nc_u64 s[10:11], s[52:53], s[10:11]
	s_wait_alu 0xfffe
	s_add_co_u32 s14, s8, s10
	s_cselect_b32 s8, -1, 0
	s_wait_alu 0xfffe
	s_cmp_lg_u32 s8, 0
	s_add_co_ci_u32 s15, s9, s11
	s_ashr_i32 s8, s37, 31
	s_wait_alu 0xfffe
	s_mov_b32 s9, s8
	s_wait_alu 0xfffe
	s_add_nc_u64 s[10:11], s[36:37], s[8:9]
	s_wait_alu 0xfffe
	s_xor_b64 s[10:11], s[10:11], s[8:9]
	s_wait_alu 0xfffe
	s_mul_hi_u32 s13, s10, s15
	s_mul_i32 s12, s10, s15
	s_mul_hi_u32 s52, s10, s14
	s_mul_i32 s18, s11, s14
	s_wait_alu 0xfffe
	s_add_nc_u64 s[12:13], s[52:53], s[12:13]
	s_mul_hi_u32 s17, s11, s14
	s_mul_hi_u32 s16, s11, s15
	s_wait_alu 0xfffe
	s_add_co_u32 s12, s12, s18
	s_add_co_ci_u32 s52, s13, s17
	s_mul_i32 s14, s11, s15
	s_add_co_ci_u32 s15, s16, 0
	s_wait_alu 0xfffe
	s_add_nc_u64 s[12:13], s[52:53], s[14:15]
	s_wait_alu 0xfffe
	s_mul_u64 s[12:13], s[6:7], s[12:13]
	s_wait_alu 0xfffe
	s_sub_co_u32 s10, s10, s12
	s_cselect_b32 s12, -1, 0
	s_sub_co_i32 s14, s11, s13
	s_wait_alu 0xfffe
	s_cmp_lg_u32 s12, 0
	s_sub_co_ci_u32 s14, s14, s7
	s_sub_co_u32 s15, s10, s6
	s_cselect_b32 s16, -1, 0
	s_wait_alu 0xfffe
	s_cmp_lg_u32 s16, 0
	s_sub_co_ci_u32 s17, s14, 0
	s_wait_alu 0xfffe
	s_cmp_ge_u32 s17, s7
	s_cselect_b32 s18, -1, 0
	s_cmp_ge_u32 s15, s6
	s_cselect_b32 s19, -1, 0
	s_cmp_eq_u32 s17, s7
	s_cselect_b32 s18, s19, s18
	s_cmp_lg_u32 s16, 0
	s_sub_co_ci_u32 s14, s14, s7
	s_sub_co_u32 s16, s15, s6
	s_cselect_b32 s19, -1, 0
	s_delay_alu instid0(SALU_CYCLE_1)
	s_cmp_lg_u32 s19, 0
	s_wait_alu 0xfffe
	s_sub_co_ci_u32 s14, s14, 0
	s_cmp_lg_u32 s18, 0
	s_cselect_b32 s15, s16, s15
	s_wait_alu 0xfffe
	s_cselect_b32 s14, s14, s17
	s_cmp_lg_u32 s12, 0
	s_sub_co_ci_u32 s11, s11, s13
	s_wait_alu 0xfffe
	s_cmp_ge_u32 s11, s7
	s_cselect_b32 s12, -1, 0
	s_cmp_ge_u32 s10, s6
	s_cselect_b32 s6, -1, 0
	s_cmp_eq_u32 s11, s7
	s_wait_alu 0xfffe
	s_cselect_b32 s6, s6, s12
	s_wait_alu 0xfffe
	s_cmp_lg_u32 s6, 0
	s_cselect_b32 s7, s14, s11
	s_cselect_b32 s6, s15, s10
	s_wait_alu 0xfffe
	s_xor_b64 s[6:7], s[6:7], s[8:9]
	s_wait_alu 0xfffe
	s_sub_nc_u64 s[70:71], s[6:7], s[8:9]
	s_cbranch_execnz .LBB7_77
.LBB7_76:                               ;   in Loop: Header=BB7_32 Depth=1
	s_wait_alu 0xfffe
	v_cvt_f32_u32_e32 v4, s68
	s_sub_co_i32 s7, 0, s68
	s_delay_alu instid0(VALU_DEP_1) | instskip(NEXT) | instid1(TRANS32_DEP_1)
	v_rcp_iflag_f32_e32 v4, v4
	v_mul_f32_e32 v4, 0x4f7ffffe, v4
	s_delay_alu instid0(VALU_DEP_1) | instskip(NEXT) | instid1(VALU_DEP_1)
	v_cvt_u32_f32_e32 v4, v4
	v_readfirstlane_b32 s6, v4
	s_wait_alu 0xfffe
	s_mul_i32 s7, s7, s6
	s_wait_alu 0xfffe
	s_mul_hi_u32 s7, s6, s7
	s_wait_alu 0xfffe
	s_add_co_i32 s6, s6, s7
	s_wait_alu 0xfffe
	s_mul_hi_u32 s6, s36, s6
	s_wait_alu 0xfffe
	s_mul_i32 s6, s6, s68
	s_wait_alu 0xfffe
	s_sub_co_i32 s6, s36, s6
	s_wait_alu 0xfffe
	s_sub_co_i32 s7, s6, s68
	s_cmp_ge_u32 s6, s68
	s_wait_alu 0xfffe
	s_cselect_b32 s6, s7, s6
	s_wait_alu 0xfffe
	s_sub_co_i32 s7, s6, s68
	s_cmp_ge_u32 s6, s68
	s_wait_alu 0xfffe
	s_cselect_b32 s52, s7, s6
	s_wait_alu 0xfffe
	s_mov_b64 s[70:71], s[52:53]
.LBB7_77:                               ;   in Loop: Header=BB7_32 Depth=1
	v_mov_b32_e32 v4, 0
	v_dual_mov_b32 v8, 0 :: v_dual_mov_b32 v5, 0
	v_dual_mov_b32 v6, 0 :: v_dual_mov_b32 v9, 0
	;; [unrolled: 1-line block ×3, first 2 shown]
	v_dual_mov_b32 v11, 0 :: v_dual_and_b32 v2, 0xffff, v2
	s_wait_alu 0xfffe
	s_sub_nc_u64 s[72:73], s[36:37], s[70:71]
	s_mov_b32 s67, exec_lo
	s_wait_alu 0xfffe
	v_cmpx_gt_i64_e64 s[72:73], v[16:17]
	s_cbranch_execz .LBB7_81
; %bb.78:                               ;   in Loop: Header=BB7_32 Depth=1
	v_mul_lo_u32 v4, v2, s65
	v_mul_lo_u32 v5, 0, s64
	v_mul_hi_u32 v6, v2, s64
	v_mul_lo_u32 v45, v2, s64
	v_dual_mov_b32 v30, s56 :: v_dual_mov_b32 v33, v17
	v_mov_b32_e32 v32, v16
	s_mov_b64 s[74:75], 0
	v_dual_mov_b32 v31, s57 :: v_dual_add_nc_u32 v4, v4, v5
	s_mov_b32 s69, 0
	s_mov_b64 s[76:77], 0
	s_mov_b64 s[78:79], 0
	;; [unrolled: 1-line block ×3, first 2 shown]
	v_add_nc_u32_e32 v46, v4, v6
.LBB7_79:                               ;   Parent Loop BB7_32 Depth=1
                                        ; =>  This Inner Loop Header: Depth=2
	v_add_co_u32 v4, vcc_lo, v30, v26
	s_wait_alu 0xfffd
	v_add_co_ci_u32_e64 v5, null, v31, v27, vcc_lo
	v_add_co_u32 v6, vcc_lo, v30, v25
	s_wait_alu 0xfffd
	v_add_co_ci_u32_e64 v7, null, v31, v38, vcc_lo
	;; [unrolled: 3-line block ×4, first 2 shown]
	s_clause 0x3
	global_load_u8 v4, v[4:5], off
	global_load_u8 v5, v[6:7], off
	;; [unrolled: 1-line block ×4, first 2 shown]
	v_add_co_u32 v32, vcc_lo, v32, s68
	s_wait_alu 0xfffd
	v_add_co_ci_u32_e64 v33, null, 0, v33, vcc_lo
	v_add_co_u32 v30, vcc_lo, v30, v45
	s_wait_alu 0xfffd
	v_add_co_ci_u32_e64 v31, null, v31, v46, vcc_lo
	s_delay_alu instid0(VALU_DEP_3)
	v_cmp_le_i64_e32 vcc_lo, s[72:73], v[32:33]
	s_wait_loadcnt 0x3
	v_and_b32_e32 v8, v43, v4
	v_bfe_u32 v4, v4, s95, 2
	s_wait_loadcnt 0x2
	v_and_b32_e32 v9, v43, v5
	v_bfe_u32 v5, v5, s95, 2
	;; [unrolled: 3-line block ×3, first 2 shown]
	v_cmp_eq_u32_e64 s6, v8, v22
	v_cmp_eq_u32_e64 s10, 0, v4
	s_wait_loadcnt 0x0
	v_and_b32_e32 v11, v43, v7
	v_bfe_u32 v7, v7, s95, 2
	v_cmp_eq_u32_e64 s7, v9, v22
	v_cmp_eq_u32_e64 s11, 0, v5
	;; [unrolled: 1-line block ×4, first 2 shown]
	s_and_b32 s10, s6, s10
	v_cmp_eq_u32_e64 s9, v11, v22
	v_cmp_eq_u32_e64 s13, 0, v7
	;; [unrolled: 1-line block ×5, first 2 shown]
	s_wait_alu 0xfffe
	v_cndmask_b32_e64 v4, 0, 1, s10
	s_and_b32 s10, s7, s11
	v_cmp_eq_u32_e64 s15, 1, v5
	v_cmp_eq_u32_e64 s19, 2, v5
	v_cmp_eq_u32_e64 s23, 3, v5
	s_wait_alu 0xfffe
	v_cndmask_b32_e64 v5, 0, 1, s10
	s_and_b32 s10, s8, s12
	v_cmp_eq_u32_e64 s16, 1, v6
	v_cmp_eq_u32_e64 s20, 2, v6
	v_cmp_eq_u32_e64 s24, 3, v6
	;; [unrolled: 6-line block ×3, first 2 shown]
	s_wait_alu 0xfffe
	v_cndmask_b32_e64 v7, 0, 1, s10
	s_and_b32 s10, s6, s14
	s_wait_alu 0xfffe
	v_cndmask_b32_e64 v8, 0, 1, s10
	s_and_b32 s10, s7, s15
	;; [unrolled: 3-line block ×4, first 2 shown]
	v_cmp_ne_u32_e64 s11, 0, v9
	s_wait_alu 0xfffe
	v_cndmask_b32_e64 v11, 0, 1, s10
	s_and_b32 s10, s6, s18
	s_and_b32 s6, s6, s22
	s_wait_alu 0xfffe
	v_cndmask_b32_e64 v47, 0, 1, s10
	v_cndmask_b32_e64 v51, 0, 1, s6
	s_and_b32 s6, s7, s23
	s_and_b32 s10, s7, s19
	s_wait_alu 0xfffe
	v_cndmask_b32_e64 v52, 0, 1, s6
	s_and_b32 s6, s8, s24
	v_cndmask_b32_e64 v48, 0, 1, s10
	s_and_b32 s10, s8, s20
	s_wait_alu 0xfffe
	v_cndmask_b32_e64 v53, 0, 1, s6
	s_and_b32 s6, s9, s25
	v_cndmask_b32_e64 v49, 0, 1, s10
	s_and_b32 s10, s9, s21
	s_wait_alu 0xfffe
	v_cndmask_b32_e64 v54, 0, 1, s6
	v_cmp_ne_u32_e64 s6, 0, v4
	v_cmp_ne_u32_e64 s7, 0, v5
	v_cndmask_b32_e64 v50, 0, 1, s10
	v_cmp_ne_u32_e64 s8, 0, v6
	v_cmp_ne_u32_e64 s10, 0, v8
	;; [unrolled: 1-line block ×6, first 2 shown]
	s_bcnt1_i32_b32 s6, s6
	s_bcnt1_i32_b32 s7, s7
	v_cmp_ne_u32_e64 s13, 0, v11
	v_cmp_ne_u32_e64 s16, 0, v49
	;; [unrolled: 1-line block ×4, first 2 shown]
	s_bcnt1_i32_b32 s8, s8
	s_bcnt1_i32_b32 s10, s10
	;; [unrolled: 1-line block ×3, first 2 shown]
	s_wait_alu 0xfffe
	s_add_co_i32 s6, s7, s6
	v_cmp_ne_u32_e64 s17, 0, v50
	v_cmp_ne_u32_e64 s20, 0, v53
	s_bcnt1_i32_b32 s9, s9
	s_bcnt1_i32_b32 s12, s12
	;; [unrolled: 1-line block ×4, first 2 shown]
	s_add_co_i32 s7, s11, s10
	s_wait_alu 0xfffe
	s_add_co_i32 s6, s6, s8
	v_cmp_ne_u32_e64 s21, 0, v54
	s_bcnt1_i32_b32 s13, s13
	s_bcnt1_i32_b32 s16, s16
	;; [unrolled: 1-line block ×4, first 2 shown]
	s_add_co_i32 s10, s15, s14
	s_add_co_i32 s7, s7, s12
	s_wait_alu 0xfffe
	s_add_co_i32 s52, s6, s9
	s_bcnt1_i32_b32 s17, s17
	s_bcnt1_i32_b32 s20, s20
	s_add_co_i32 s11, s19, s18
	s_add_co_i32 s8, s10, s16
	s_wait_alu 0xfffe
	s_add_nc_u64 s[80:81], s[80:81], s[52:53]
	s_add_co_i32 s52, s7, s13
	s_bcnt1_i32_b32 s21, s21
	s_add_co_i32 s10, s11, s20
	s_wait_alu 0xfffe
	s_add_nc_u64 s[78:79], s[78:79], s[52:53]
	s_add_co_i32 s52, s8, s17
	v_mov_b32_e32 v4, s80
	s_wait_alu 0xfffe
	s_add_nc_u64 s[76:77], s[76:77], s[52:53]
	s_add_co_i32 s52, s10, s21
	v_mov_b32_e32 v6, s78
	s_wait_alu 0xfffe
	s_add_nc_u64 s[74:75], s[74:75], s[52:53]
	v_mov_b32_e32 v5, s81
	v_dual_mov_b32 v7, s79 :: v_dual_mov_b32 v8, s76
	s_wait_alu 0xfffe
	v_dual_mov_b32 v9, s77 :: v_dual_mov_b32 v10, s74
	v_mov_b32_e32 v11, s75
	s_or_b32 s69, vcc_lo, s69
	s_wait_alu 0xfffe
	s_and_not1_b32 exec_lo, exec_lo, s69
	s_cbranch_execnz .LBB7_79
; %bb.80:                               ;   in Loop: Header=BB7_32 Depth=1
	s_or_b32 exec_lo, exec_lo, s69
.LBB7_81:                               ;   in Loop: Header=BB7_32 Depth=1
	s_wait_alu 0xfffe
	s_or_b32 exec_lo, exec_lo, s67
	v_add_co_u32 v30, s6, s72, v0
	s_wait_alu 0xf1ff
	v_add_co_ci_u32_e64 v31, null, s73, 0, s6
	s_mov_b32 s9, exec_lo
	v_cmpx_gt_i64_e64 s[36:37], v[30:31]
	s_cbranch_execz .LBB7_87
; %bb.82:                               ;   in Loop: Header=BB7_32 Depth=1
	v_mad_co_u64_u32 v[32:33], null, v30, s42, s[56:57]
	v_mul_lo_u32 v45, v30, s43
	v_mul_lo_u32 v46, v31, s42
	v_mul_hi_u32 v49, v2, s42
	s_mov_b32 s10, 0
	s_delay_alu instid0(VALU_DEP_2)
	v_add3_u32 v33, v46, v33, v45
	v_mul_lo_u32 v45, v2, s43
	global_load_u8 v48, v[32:33], off
	v_add_co_u32 v32, vcc_lo, v39, v2
	s_wait_alu 0xfffd
	v_add_co_ci_u32_e64 v33, null, 0, v40, vcc_lo
	v_add_nc_u32_e32 v50, v45, v42
	s_delay_alu instid0(VALU_DEP_3) | instskip(SKIP_1) | instid1(VALU_DEP_3)
	v_sub_co_u32 v32, vcc_lo, v32, s70
	s_wait_alu 0xfffd
	v_subrev_co_ci_u32_e64 v33, null, s71, v33, vcc_lo
	v_mul_lo_u32 v45, v2, s42
	s_delay_alu instid0(VALU_DEP_3) | instskip(NEXT) | instid1(VALU_DEP_3)
	v_mul_lo_u32 v47, s43, v32
	v_mul_lo_u32 v46, s42, v33
	v_mad_co_u64_u32 v[32:33], null, s42, v32, s[62:63]
	s_delay_alu instid0(VALU_DEP_1)
	v_add3_u32 v33, v47, v33, v46
	v_add_nc_u32_e32 v46, v50, v49
	s_branch .LBB7_84
.LBB7_83:                               ;   in Loop: Header=BB7_84 Depth=2
	s_wait_alu 0xfffe
	s_or_b32 exec_lo, exec_lo, s7
	s_wait_loadcnt 0x0
	v_and_b32_e32 v48, 0xff, v48
	s_and_b32 s8, exec_lo, vcc_lo
	s_wait_alu 0xfffe
	s_or_b32 s10, s8, s10
	s_delay_alu instid0(VALU_DEP_1) | instskip(SKIP_1) | instid1(VALU_DEP_2)
	v_and_b32_e32 v49, v43, v48
	v_bfe_u32 v48, v48, s95, 2
	v_cmp_eq_u32_e64 s6, v49, v22
	s_delay_alu instid0(VALU_DEP_2)
	v_cmp_eq_u32_e64 s7, 0, v48
	v_cmp_eq_u32_e32 vcc_lo, 1, v48
	v_cmp_eq_u32_e64 s8, 2, v48
	s_and_b32 s7, s6, s7
	s_wait_alu 0xfffe
	v_cndmask_b32_e64 v49, 0, 1, s7
	s_and_b32 s7, s6, vcc_lo
	v_cmp_eq_u32_e32 vcc_lo, 3, v48
	s_wait_alu 0xfffe
	v_cndmask_b32_e64 v50, 0, 1, s7
	s_and_b32 s7, s6, s8
	s_wait_alu 0xfffe
	v_cndmask_b32_e64 v48, 0, 1, s7
	v_cmp_ne_u32_e64 s7, 0, v49
	v_cmp_ne_u32_e64 s8, 0, v50
	s_and_b32 s6, s6, vcc_lo
	s_wait_alu 0xfffe
	v_cndmask_b32_e64 v49, 0, 1, s6
	s_bcnt1_i32_b32 s6, s7
	v_cmp_ne_u32_e32 vcc_lo, 0, v48
	s_bcnt1_i32_b32 s7, s8
	s_wait_alu 0xfffe
	v_add_co_u32 v4, s6, v4, s6
	s_wait_alu 0xf1ff
	v_add_co_ci_u32_e64 v5, null, 0, v5, s6
	v_add_co_u32 v6, s6, v6, s7
	s_wait_alu 0xf1ff
	v_add_co_ci_u32_e64 v7, null, 0, v7, s6
	s_bcnt1_i32_b32 s6, vcc_lo
	v_cmp_ne_u32_e32 vcc_lo, 0, v49
	s_wait_alu 0xfffe
	v_add_co_u32 v8, s6, v8, s6
	s_wait_alu 0xf1ff
	v_add_co_ci_u32_e64 v9, null, 0, v9, s6
	s_bcnt1_i32_b32 s6, vcc_lo
	v_mov_b32_e32 v48, v47
	s_wait_alu 0xfffe
	v_add_co_u32 v10, vcc_lo, v10, s6
	s_wait_alu 0xfffd
	v_add_co_ci_u32_e64 v11, null, 0, v11, vcc_lo
	v_add_co_u32 v32, vcc_lo, v32, v45
	s_wait_alu 0xfffd
	v_add_co_ci_u32_e64 v33, null, v33, v46, vcc_lo
	s_and_not1_b32 exec_lo, exec_lo, s10
	s_cbranch_execz .LBB7_86
.LBB7_84:                               ;   Parent Loop BB7_32 Depth=1
                                        ; =>  This Inner Loop Header: Depth=2
	v_add_co_u32 v30, vcc_lo, v30, v2
	s_wait_alu 0xfffd
	v_add_co_ci_u32_e64 v31, null, 0, v31, vcc_lo
	v_mov_b32_e32 v47, 0
	s_mov_b32 s7, exec_lo
	s_delay_alu instid0(VALU_DEP_2)
	v_cmp_le_i64_e32 vcc_lo, s[36:37], v[30:31]
	v_cmpx_gt_i64_e64 s[36:37], v[30:31]
	s_cbranch_execz .LBB7_83
; %bb.85:                               ;   in Loop: Header=BB7_84 Depth=2
	global_load_u8 v47, v[32:33], off
	s_branch .LBB7_83
.LBB7_86:                               ;   in Loop: Header=BB7_32 Depth=1
	s_or_b32 exec_lo, exec_lo, s10
.LBB7_87:                               ;   in Loop: Header=BB7_32 Depth=1
	s_wait_alu 0xfffe
	s_or_b32 exec_lo, exec_lo, s9
	s_branch .LBB7_66
.LBB7_88:                               ;   in Loop: Header=BB7_32 Depth=1
	global_load_u16 v2, v3, s[38:39]
	v_mov_b32_e32 v6, 0
	v_mov_b32_e32 v8, 0
	v_dual_mov_b32 v10, 0 :: v_dual_mov_b32 v9, 0
	v_mov_b32_e32 v11, 0
	s_mov_b32 s78, exec_lo
	v_mov_b32_e32 v7, 0
	s_wait_loadcnt 0x0
	v_readfirstlane_b32 s6, v2
	v_and_b32_e32 v2, 0xffff, v2
	s_and_b32 s67, 0xffff, s6
	s_wait_alu 0xfffe
	s_lshl_b32 s77, s67, 2
	s_wait_alu 0xfffe
	s_cvt_f32_u32 s6, s77
	s_sub_co_i32 s7, 0, s77
	s_wait_alu 0xfffe
	s_delay_alu instid0(SALU_CYCLE_1) | instskip(NEXT) | instid1(TRANS32_DEP_1)
	v_rcp_iflag_f32_e32 v4, s6
	v_readfirstlane_b32 s6, v4
	s_mul_f32 s6, s6, 0x4f7ffffe
	s_wait_alu 0xfffe
	s_delay_alu instid0(SALU_CYCLE_2) | instskip(SKIP_1) | instid1(SALU_CYCLE_2)
	s_cvt_u32_f32 s6, s6
	s_wait_alu 0xfffe
	s_mul_i32 s7, s7, s6
	s_wait_alu 0xfffe
	s_mul_hi_u32 s7, s6, s7
	s_wait_alu 0xfffe
	s_add_co_i32 s6, s6, s7
	s_wait_alu 0xfffe
	s_mul_hi_u32 s6, s66, s6
	s_wait_alu 0xfffe
	s_mul_i32 s7, s6, s77
	s_add_co_i32 s8, s6, 1
	s_wait_alu 0xfffe
	s_sub_co_i32 s7, s66, s7
	s_wait_alu 0xfffe
	s_sub_co_i32 s9, s7, s77
	s_cmp_ge_u32 s7, s77
	s_cselect_b32 s6, s8, s6
	s_wait_alu 0xfffe
	s_cselect_b32 s7, s9, s7
	s_add_co_i32 s8, s6, 1
	s_wait_alu 0xfffe
	s_cmp_ge_u32 s7, s77
	s_cselect_b32 s76, s8, s6
	s_wait_alu 0xfffe
	v_mul_hi_u32 v5, s76, v2
	v_mul_lo_u32 v4, s76, v2
	s_delay_alu instid0(VALU_DEP_1) | instskip(SKIP_2) | instid1(VALU_DEP_3)
	v_lshlrev_b64_e32 v[30:31], 2, v[4:5]
	v_mov_b32_e32 v4, 0
	v_mov_b32_e32 v5, 0
	v_cmpx_gt_u64_e64 v[30:31], v[16:17]
	s_cbranch_execz .LBB7_92
; %bb.89:                               ;   in Loop: Header=BB7_32 Depth=1
	v_mov_b32_e32 v33, v17
	v_dual_mov_b32 v45, v16 :: v_dual_mov_b32 v32, v16
	s_mov_b64 s[68:69], 0
	s_mov_b32 s79, 0
	s_mov_b64 s[70:71], 0
	s_mov_b64 s[72:73], 0
	;; [unrolled: 1-line block ×3, first 2 shown]
.LBB7_90:                               ;   Parent Loop BB7_32 Depth=1
                                        ; =>  This Inner Loop Header: Depth=2
	ds_load_b32 v4, v45
	v_add_co_u32 v32, vcc_lo, v32, s77
	s_wait_alu 0xfffd
	v_add_co_ci_u32_e64 v33, null, 0, v33, vcc_lo
	s_delay_alu instid0(VALU_DEP_1)
	v_cmp_ge_u64_e32 vcc_lo, v[32:33], v[30:31]
	s_wait_dscnt 0x0
	v_and_b32_e32 v5, 0xff, v4
	v_bfe_u32 v6, v4, 8, 8
	v_bfe_u32 v7, v4, 16, 8
	v_lshrrev_b32_e32 v4, 24, v4
	s_delay_alu instid0(VALU_DEP_4)
	v_and_b32_e32 v8, v43, v5
	v_bfe_u32 v5, v5, s95, 2
	v_and_b32_e32 v9, v43, v6
	v_bfe_u32 v6, v6, s95, 2
	v_and_b32_e32 v10, v43, v7
	v_bfe_u32 v7, v7, s95, 2
	v_cmp_eq_u32_e64 s6, v8, v22
	v_cmp_eq_u32_e64 s10, 0, v5
	v_and_b32_e32 v11, v43, v4
	v_bfe_u32 v4, v4, s95, 2
	v_cmp_eq_u32_e64 s7, v9, v22
	v_cmp_eq_u32_e64 s11, 0, v6
	;; [unrolled: 1-line block ×4, first 2 shown]
	s_and_b32 s10, s6, s10
	v_cmp_eq_u32_e64 s9, v11, v22
	v_cmp_eq_u32_e64 s13, 0, v4
	;; [unrolled: 1-line block ×5, first 2 shown]
	s_wait_alu 0xfffe
	v_cndmask_b32_e64 v4, 0, 1, s10
	s_and_b32 s10, s7, s11
	v_cmp_eq_u32_e64 s14, 1, v5
	v_cmp_eq_u32_e64 s18, 2, v5
	v_cmp_eq_u32_e64 s22, 3, v5
	s_wait_alu 0xfffe
	v_cndmask_b32_e64 v5, 0, 1, s10
	s_and_b32 s10, s8, s12
	v_cmp_eq_u32_e64 s15, 1, v6
	v_cmp_eq_u32_e64 s19, 2, v6
	v_cmp_eq_u32_e64 s23, 3, v6
	;; [unrolled: 6-line block ×3, first 2 shown]
	s_wait_alu 0xfffe
	v_cndmask_b32_e64 v7, 0, 1, s10
	s_and_b32 s10, s6, s14
	s_wait_alu 0xfffe
	v_cndmask_b32_e64 v8, 0, 1, s10
	s_and_b32 s10, s7, s15
	;; [unrolled: 3-line block ×4, first 2 shown]
	v_cmp_ne_u32_e64 s11, 0, v9
	s_wait_alu 0xfffe
	v_cndmask_b32_e64 v11, 0, 1, s10
	s_and_b32 s10, s6, s18
	s_and_b32 s6, s6, s22
	s_wait_alu 0xfffe
	v_cndmask_b32_e64 v46, 0, 1, s10
	v_cndmask_b32_e64 v50, 0, 1, s6
	s_and_b32 s6, s7, s23
	s_and_b32 s10, s7, s19
	s_wait_alu 0xfffe
	v_cndmask_b32_e64 v51, 0, 1, s6
	s_and_b32 s6, s8, s24
	v_cndmask_b32_e64 v47, 0, 1, s10
	s_and_b32 s10, s8, s20
	s_wait_alu 0xfffe
	v_cndmask_b32_e64 v52, 0, 1, s6
	s_and_b32 s6, s9, s25
	v_cndmask_b32_e64 v48, 0, 1, s10
	s_and_b32 s10, s9, s21
	s_wait_alu 0xfffe
	v_cndmask_b32_e64 v53, 0, 1, s6
	v_cmp_ne_u32_e64 s6, 0, v4
	v_cmp_ne_u32_e64 s7, 0, v5
	v_cndmask_b32_e64 v49, 0, 1, s10
	v_cmp_ne_u32_e64 s8, 0, v6
	v_cmp_ne_u32_e64 s10, 0, v8
	;; [unrolled: 1-line block ×6, first 2 shown]
	s_bcnt1_i32_b32 s6, s6
	s_bcnt1_i32_b32 s7, s7
	v_cmp_ne_u32_e64 s13, 0, v11
	v_cmp_ne_u32_e64 s16, 0, v48
	;; [unrolled: 1-line block ×4, first 2 shown]
	s_bcnt1_i32_b32 s8, s8
	s_bcnt1_i32_b32 s10, s10
	;; [unrolled: 1-line block ×3, first 2 shown]
	s_wait_alu 0xfffe
	s_add_co_i32 s6, s7, s6
	v_cmp_ne_u32_e64 s17, 0, v49
	v_cmp_ne_u32_e64 s20, 0, v52
	s_bcnt1_i32_b32 s9, s9
	s_bcnt1_i32_b32 s12, s12
	;; [unrolled: 1-line block ×4, first 2 shown]
	s_add_co_i32 s7, s11, s10
	s_wait_alu 0xfffe
	s_add_co_i32 s6, s6, s8
	v_cmp_ne_u32_e64 s21, 0, v53
	s_bcnt1_i32_b32 s13, s13
	s_bcnt1_i32_b32 s16, s16
	;; [unrolled: 1-line block ×4, first 2 shown]
	s_add_co_i32 s10, s15, s14
	s_add_co_i32 s7, s7, s12
	s_wait_alu 0xfffe
	s_add_co_i32 s52, s6, s9
	s_bcnt1_i32_b32 s17, s17
	s_bcnt1_i32_b32 s20, s20
	s_add_co_i32 s11, s19, s18
	s_add_co_i32 s8, s10, s16
	s_wait_alu 0xfffe
	s_add_nc_u64 s[74:75], s[74:75], s[52:53]
	s_add_co_i32 s52, s7, s13
	s_bcnt1_i32_b32 s21, s21
	s_add_co_i32 s10, s11, s20
	s_wait_alu 0xfffe
	s_add_nc_u64 s[72:73], s[72:73], s[52:53]
	s_add_co_i32 s52, s8, s17
	v_dual_mov_b32 v4, s74 :: v_dual_add_nc_u32 v45, s77, v45
	s_wait_alu 0xfffe
	s_add_nc_u64 s[70:71], s[70:71], s[52:53]
	s_add_co_i32 s52, s10, s21
	v_mov_b32_e32 v6, s72
	s_wait_alu 0xfffe
	s_add_nc_u64 s[68:69], s[68:69], s[52:53]
	v_mov_b32_e32 v8, s70
	s_wait_alu 0xfffe
	v_dual_mov_b32 v10, s68 :: v_dual_mov_b32 v5, s75
	v_mov_b32_e32 v7, s73
	v_mov_b32_e32 v9, s71
	;; [unrolled: 1-line block ×3, first 2 shown]
	s_or_b32 s79, vcc_lo, s79
	s_wait_alu 0xfffe
	s_and_not1_b32 exec_lo, exec_lo, s79
	s_cbranch_execnz .LBB7_90
; %bb.91:                               ;   in Loop: Header=BB7_32 Depth=1
	s_or_b32 exec_lo, exec_lo, s79
.LBB7_92:                               ;   in Loop: Header=BB7_32 Depth=1
	s_delay_alu instid0(SALU_CYCLE_1)
	s_or_b32 exec_lo, exec_lo, s78
	v_add_co_u32 v30, vcc_lo, v30, v0
	s_wait_alu 0xfffd
	v_add_co_ci_u32_e64 v31, null, 0, v31, vcc_lo
	s_and_b32 s52, s66, 0x7fffffff
	s_mov_b32 s11, exec_lo
	s_wait_alu 0xfffe
	v_cmpx_gt_u64_e64 s[52:53], v[30:31]
	s_cbranch_execz .LBB7_96
; %bb.93:                               ;   in Loop: Header=BB7_32 Depth=1
	s_mul_i32 s76, s76, s67
	s_mov_b32 s12, 0
	s_wait_alu 0xfffe
	v_lshl_add_u32 v32, s76, 2, v0
.LBB7_94:                               ;   Parent Loop BB7_32 Depth=1
                                        ; =>  This Inner Loop Header: Depth=2
	ds_load_u8 v33, v32
	v_add_co_u32 v30, vcc_lo, v30, v2
	s_wait_alu 0xfffd
	v_add_co_ci_u32_e64 v31, null, 0, v31, vcc_lo
	v_add_nc_u32_e32 v32, s67, v32
	s_delay_alu instid0(VALU_DEP_2) | instskip(SKIP_3) | instid1(VALU_DEP_2)
	v_cmp_le_u64_e32 vcc_lo, s[52:53], v[30:31]
	s_wait_dscnt 0x0
	v_and_b32_e32 v45, v43, v33
	v_bfe_u32 v33, v33, s95, 2
	v_cmp_eq_u32_e64 s6, v45, v22
	s_delay_alu instid0(VALU_DEP_2)
	v_cmp_eq_u32_e64 s7, 0, v33
	v_cmp_eq_u32_e64 s8, 1, v33
	;; [unrolled: 1-line block ×4, first 2 shown]
	s_and_b32 s7, s6, s7
	s_wait_alu 0xfffe
	v_cndmask_b32_e64 v33, 0, 1, s7
	s_and_b32 s7, s6, s8
	s_wait_alu 0xfffe
	v_cndmask_b32_e64 v45, 0, 1, s7
	s_and_b32 s7, s6, s9
	s_and_b32 s6, s6, s10
	s_wait_alu 0xfffe
	v_cndmask_b32_e64 v46, 0, 1, s7
	v_cndmask_b32_e64 v47, 0, 1, s6
	v_cmp_ne_u32_e64 s6, 0, v33
	v_cmp_ne_u32_e64 s7, 0, v45
	s_delay_alu instid0(VALU_DEP_4) | instskip(NEXT) | instid1(VALU_DEP_4)
	v_cmp_ne_u32_e64 s8, 0, v46
	v_cmp_ne_u32_e64 s9, 0, v47
	s_bcnt1_i32_b32 s6, s6
	s_bcnt1_i32_b32 s7, s7
	s_wait_alu 0xfffe
	v_add_co_u32 v4, s6, v4, s6
	s_bcnt1_i32_b32 s8, s8
	v_add_co_ci_u32_e64 v5, null, 0, v5, s6
	v_add_co_u32 v6, s6, v6, s7
	s_bcnt1_i32_b32 s9, s9
	v_add_co_ci_u32_e64 v7, null, 0, v7, s6
	s_wait_alu 0xfffe
	v_add_co_u32 v8, s6, v8, s8
	s_wait_alu 0xf1ff
	v_add_co_ci_u32_e64 v9, null, 0, v9, s6
	v_add_co_u32 v10, s6, v10, s9
	s_wait_alu 0xf1ff
	v_add_co_ci_u32_e64 v11, null, 0, v11, s6
	s_or_b32 s12, vcc_lo, s12
	s_wait_alu 0xfffe
	s_and_not1_b32 exec_lo, exec_lo, s12
	s_cbranch_execnz .LBB7_94
; %bb.95:                               ;   in Loop: Header=BB7_32 Depth=1
	s_or_b32 exec_lo, exec_lo, s12
.LBB7_96:                               ;   in Loop: Header=BB7_32 Depth=1
	s_delay_alu instid0(SALU_CYCLE_1)
	s_or_b32 exec_lo, exec_lo, s11
	s_lshl_b32 s6, s98, 7
	s_and_saveexec_b32 s7, s1
	s_cbranch_execnz .LBB7_67
	s_branch .LBB7_68
.LBB7_97:                               ;   in Loop: Header=BB7_32 Depth=1
                                        ; implicit-def: $sgpr70_sgpr71
	s_branch .LBB7_76
.LBB7_98:                               ;   in Loop: Header=BB7_32 Depth=1
	s_or_b32 exec_lo, exec_lo, s9
	s_wait_dscnt 0x0
	s_barrier_signal -1
	s_barrier_wait -1
	global_inv scope:SCOPE_SE
	s_and_saveexec_b32 s6, s2
	s_cbranch_execz .LBB7_100
; %bb.99:                               ;   in Loop: Header=BB7_32 Depth=1
	ds_load_b32 v4, v3 offset:5136
	s_wait_dscnt 0x0
	v_ashrrev_i32_e32 v5, 31, v4
	ds_store_b64 v3, v[4:5] offset:5120
.LBB7_100:                              ;   in Loop: Header=BB7_32 Depth=1
	s_wait_alu 0xfffe
	s_or_b32 exec_lo, exec_lo, s6
	s_wait_loadcnt_dscnt 0x0
	s_barrier_signal -1
	s_mov_b32 s6, -1
	s_barrier_wait -1
	s_and_b32 vcc_lo, exec_lo, s8
	s_wait_alu 0xfffe
	s_cbranch_vccnz .LBB7_47
	s_branch .LBB7_62
.LBB7_101:                              ;   in Loop: Header=BB7_32 Depth=1
	s_mov_b32 s8, 0
	s_and_not1_b32 vcc_lo, exec_lo, s96
	s_wait_alu 0xfffe
	s_cbranch_vccnz .LBB7_104
.LBB7_102:                              ;   in Loop: Header=BB7_32 Depth=1
	s_lshl_b32 s9, s98, 10
	s_lshl_b32 s8, s8, 5
	s_wait_alu 0xfffe
	v_add3_u32 v2, s9, s8, v41
	s_mov_b32 s8, s92
.LBB7_103:                              ;   Parent Loop BB7_32 Depth=1
                                        ; =>  This Inner Loop Header: Depth=2
	ds_load_b64 v[6:7], v2
	v_add_nc_u32_e32 v2, 32, v2
	s_wait_alu 0xfffe
	s_add_co_i32 s8, s8, -1
	s_wait_alu 0xfffe
	s_cmp_lg_u32 s8, 0
	s_wait_dscnt 0x0
	v_add_co_u32 v4, vcc_lo, v6, v4
	s_wait_alu 0xfffd
	v_add_co_ci_u32_e64 v5, null, v7, v5, vcc_lo
	s_cbranch_scc1 .LBB7_103
.LBB7_104:                              ;   in Loop: Header=BB7_32 Depth=1
	v_add_lshl_u32 v2, s6, v34, 3
	ds_store_b64 v2, v[4:5] offset:3072
.LBB7_105:                              ;   in Loop: Header=BB7_32 Depth=1
	s_wait_alu 0xfffe
	s_or_b32 exec_lo, exec_lo, s7
	s_lshl_b32 s6, s6, 3
	s_wait_loadcnt_dscnt 0x0
	s_wait_alu 0xfffe
	v_mov_b32_e32 v2, s6
	s_barrier_signal -1
	s_barrier_wait -1
	global_inv scope:SCOPE_SE
	v_cmp_eq_u64_e32 vcc_lo, 1, v[28:29]
	ds_load_b128 v[4:7], v2 offset:3072
	ds_load_b128 v[8:11], v2 offset:3088
	s_lshl_b32 s16, 3, s95
	s_mov_b32 s18, -1
	s_wait_alu 0xfffe
	s_not_b32 s20, s16
                                        ; implicit-def: $sgpr22
                                        ; implicit-def: $sgpr21
	s_wait_dscnt 0x1
	v_cmp_eq_u64_e64 s6, 1, v[4:5]
	s_wait_dscnt 0x0
	v_readfirstlane_b32 s10, v8
	v_readfirstlane_b32 s11, v9
	v_readfirstlane_b32 s8, v10
	v_readfirstlane_b32 s9, v11
	s_and_b32 s19, s6, vcc_lo
	s_mov_b32 s6, -1
	s_and_saveexec_b32 s17, s19
	s_cbranch_execz .LBB7_137
; %bb.106:                              ;   in Loop: Header=BB7_32 Depth=1
	ds_load_b64 v[8:9], v3 offset:5120
	s_wait_loadcnt_dscnt 0x0
	s_barrier_signal -1
	s_barrier_wait -1
	global_inv scope:SCOPE_SE
	v_readfirstlane_b32 s12, v8
	v_readfirstlane_b32 s13, v9
	s_and_saveexec_b32 s6, s3
; %bb.107:                              ;   in Loop: Header=BB7_32 Depth=1
	ds_store_b8 v0, v3 offset:3072
; %bb.108:                              ;   in Loop: Header=BB7_32 Depth=1
	s_wait_alu 0xfffe
	s_or_b32 exec_lo, exec_lo, s6
	v_cmp_lt_i64_e64 s6, s[12:13], 1
	v_and_b32_e32 v22, s20, v22
	v_or_b32_e32 v43, s16, v43
	s_mov_b32 s21, -1
	s_mov_b32 s22, 0
	s_mov_b32 s23, 0
	s_and_b32 vcc_lo, exec_lo, s6
	s_mov_b32 s7, -1
	s_wait_loadcnt_dscnt 0x0
	s_barrier_signal -1
	s_barrier_wait -1
	global_inv scope:SCOPE_SE
                                        ; implicit-def: $vgpr44
	s_wait_alu 0xfffe
	s_cbranch_vccz .LBB7_122
; %bb.109:                              ;   in Loop: Header=BB7_32 Depth=1
	s_mov_b32 s6, s53
	s_mov_b32 s7, s61
	s_wait_alu 0xfffe
	s_cmp_lg_u64 s[6:7], 0
	s_cbranch_scc0 .LBB7_163
; %bb.110:                              ;   in Loop: Header=BB7_32 Depth=1
	s_add_nc_u64 s[6:7], s[50:51], 0
	s_wait_alu 0xfffe
	s_xor_b64 s[6:7], s[6:7], 0
	s_wait_alu 0xfffe
	s_cvt_f32_u32 s14, s6
	s_cvt_f32_u32 s15, s7
	s_sub_nc_u64 s[24:25], 0, s[6:7]
	s_wait_alu 0xfffe
	s_delay_alu instid0(SALU_CYCLE_1) | instskip(SKIP_1) | instid1(SALU_CYCLE_2)
	s_fmamk_f32 s14, s15, 0x4f800000, s14
	s_wait_alu 0xfffe
	v_s_rcp_f32 s14, s14
	s_delay_alu instid0(TRANS32_DEP_1) | instskip(SKIP_1) | instid1(SALU_CYCLE_2)
	s_mul_f32 s14, s14, 0x5f7ffffc
	s_wait_alu 0xfffe
	s_mul_f32 s15, s14, 0x2f800000
	s_wait_alu 0xfffe
	s_delay_alu instid0(SALU_CYCLE_2) | instskip(SKIP_1) | instid1(SALU_CYCLE_2)
	s_trunc_f32 s15, s15
	s_wait_alu 0xfffe
	s_fmamk_f32 s14, s15, 0xcf800000, s14
	s_cvt_u32_f32 s15, s15
	s_wait_alu 0xfffe
	s_delay_alu instid0(SALU_CYCLE_1) | instskip(SKIP_1) | instid1(SALU_CYCLE_2)
	s_cvt_u32_f32 s14, s14
	s_wait_alu 0xfffe
	s_mul_u64 s[66:67], s[24:25], s[14:15]
	s_wait_alu 0xfffe
	s_mul_hi_u32 s69, s14, s67
	s_mul_i32 s68, s14, s67
	s_mul_hi_u32 s52, s14, s66
	s_mul_i32 s70, s15, s66
	s_wait_alu 0xfffe
	s_add_nc_u64 s[68:69], s[52:53], s[68:69]
	s_mul_hi_u32 s23, s15, s66
	s_mul_hi_u32 s71, s15, s67
	s_wait_alu 0xfffe
	s_add_co_u32 s52, s68, s70
	s_add_co_ci_u32 s52, s69, s23
	s_mul_i32 s66, s15, s67
	s_add_co_ci_u32 s67, s71, 0
	s_wait_alu 0xfffe
	s_add_nc_u64 s[66:67], s[52:53], s[66:67]
	s_wait_alu 0xfffe
	s_add_co_u32 s14, s14, s66
	s_cselect_b32 s23, -1, 0
	s_delay_alu instid0(SALU_CYCLE_1)
	s_cmp_lg_u32 s23, 0
	s_add_co_ci_u32 s15, s15, s67
	s_wait_alu 0xfffe
	s_mul_u64 s[24:25], s[24:25], s[14:15]
	s_wait_alu 0xfffe
	s_mul_hi_u32 s67, s14, s25
	s_mul_i32 s66, s14, s25
	s_mul_hi_u32 s52, s14, s24
	s_mul_i32 s68, s15, s24
	s_wait_alu 0xfffe
	s_add_nc_u64 s[66:67], s[52:53], s[66:67]
	s_mul_hi_u32 s23, s15, s24
	s_mul_hi_u32 s69, s15, s25
	s_mul_i32 s24, s15, s25
	s_wait_alu 0xfffe
	s_add_co_u32 s25, s66, s68
	s_add_co_ci_u32 s52, s67, s23
	s_add_co_ci_u32 s25, s69, 0
	s_wait_alu 0xfffe
	s_add_nc_u64 s[24:25], s[52:53], s[24:25]
	s_wait_alu 0xfffe
	s_add_co_u32 s23, s14, s24
	s_cselect_b32 s14, -1, 0
	s_wait_alu 0xfffe
	s_cmp_lg_u32 s14, 0
	s_add_co_ci_u32 s68, s15, s25
	s_ashr_i32 s14, s61, 31
	s_wait_alu 0xfffe
	s_mov_b32 s15, s14
	s_wait_alu 0xfffe
	s_add_nc_u64 s[24:25], s[60:61], s[14:15]
	s_wait_alu 0xfffe
	s_xor_b64 s[24:25], s[24:25], s[14:15]
	s_wait_alu 0xfffe
	s_mul_hi_u32 s67, s24, s68
	s_mul_i32 s66, s24, s68
	s_mul_hi_u32 s52, s24, s23
	s_mul_hi_u32 s70, s25, s23
	s_mul_i32 s23, s25, s23
	s_wait_alu 0xfffe
	s_add_nc_u64 s[66:67], s[52:53], s[66:67]
	s_mul_hi_u32 s69, s25, s68
	s_wait_alu 0xfffe
	s_add_co_u32 s23, s66, s23
	s_add_co_ci_u32 s52, s67, s70
	s_mul_i32 s68, s25, s68
	s_add_co_ci_u32 s69, s69, 0
	s_wait_alu 0xfffe
	s_add_nc_u64 s[66:67], s[52:53], s[68:69]
	s_wait_alu 0xfffe
	s_mul_u64 s[66:67], s[6:7], s[66:67]
	s_wait_alu 0xfffe
	s_sub_co_u32 s23, s24, s66
	s_cselect_b32 s24, -1, 0
	s_sub_co_i32 s52, s25, s67
	s_wait_alu 0xfffe
	s_cmp_lg_u32 s24, 0
	s_sub_co_ci_u32 s52, s52, s7
	s_sub_co_u32 s66, s23, s6
	s_cselect_b32 s68, -1, 0
	s_wait_alu 0xfffe
	s_cmp_lg_u32 s68, 0
	s_sub_co_ci_u32 s69, s52, 0
	s_wait_alu 0xfffe
	s_cmp_ge_u32 s69, s7
	s_cselect_b32 s70, -1, 0
	s_cmp_ge_u32 s66, s6
	s_cselect_b32 s71, -1, 0
	s_cmp_eq_u32 s69, s7
	s_wait_alu 0xfffe
	s_cselect_b32 s70, s71, s70
	s_cmp_lg_u32 s68, 0
	s_sub_co_ci_u32 s52, s52, s7
	s_sub_co_u32 s68, s66, s6
	s_cselect_b32 s71, -1, 0
	s_wait_alu 0xfffe
	s_cmp_lg_u32 s71, 0
	s_sub_co_ci_u32 s52, s52, 0
	s_cmp_lg_u32 s70, 0
	s_cselect_b32 s66, s68, s66
	s_wait_alu 0xfffe
	s_cselect_b32 s52, s52, s69
	s_cmp_lg_u32 s24, 0
	s_sub_co_ci_u32 s24, s25, s67
	s_wait_alu 0xfffe
	s_cmp_ge_u32 s24, s7
	s_cselect_b32 s25, -1, 0
	s_cmp_ge_u32 s23, s6
	s_cselect_b32 s6, -1, 0
	s_cmp_eq_u32 s24, s7
	s_wait_alu 0xfffe
	s_cselect_b32 s6, s6, s25
	s_wait_alu 0xfffe
	s_cmp_lg_u32 s6, 0
	s_cselect_b32 s7, s52, s24
	s_cselect_b32 s6, s66, s23
	s_wait_alu 0xfffe
	s_xor_b64 s[6:7], s[6:7], s[14:15]
	s_wait_alu 0xfffe
	s_sub_nc_u64 s[6:7], s[6:7], s[14:15]
	s_cbranch_execnz .LBB7_112
.LBB7_111:                              ;   in Loop: Header=BB7_32 Depth=1
	v_cvt_f32_u32_e32 v2, s50
	s_sub_co_i32 s7, 0, s50
	s_delay_alu instid0(VALU_DEP_1) | instskip(NEXT) | instid1(TRANS32_DEP_1)
	v_rcp_iflag_f32_e32 v2, v2
	v_mul_f32_e32 v2, 0x4f7ffffe, v2
	s_delay_alu instid0(VALU_DEP_1) | instskip(NEXT) | instid1(VALU_DEP_1)
	v_cvt_u32_f32_e32 v2, v2
	v_readfirstlane_b32 s6, v2
	s_wait_alu 0xfffe
	s_mul_i32 s7, s7, s6
	s_wait_alu 0xfffe
	s_mul_hi_u32 s7, s6, s7
	s_wait_alu 0xfffe
	s_add_co_i32 s6, s6, s7
	s_wait_alu 0xfffe
	s_mul_hi_u32 s6, s60, s6
	s_wait_alu 0xfffe
	s_mul_i32 s6, s6, s50
	s_wait_alu 0xfffe
	s_sub_co_i32 s6, s60, s6
	s_wait_alu 0xfffe
	s_sub_co_i32 s7, s6, s50
	s_cmp_ge_u32 s6, s50
	s_wait_alu 0xfffe
	s_cselect_b32 s6, s7, s6
	s_wait_alu 0xfffe
	s_sub_co_i32 s7, s6, s50
	s_cmp_ge_u32 s6, s50
	s_wait_alu 0xfffe
	s_cselect_b32 s52, s7, s6
	s_wait_alu 0xfffe
	s_mov_b64 s[6:7], s[52:53]
.LBB7_112:                              ;   in Loop: Header=BB7_32 Depth=1
	s_wait_alu 0xfffe
	s_sub_nc_u64 s[14:15], s[60:61], s[6:7]
	s_mov_b32 s7, 0
	s_mov_b32 s23, 0
	s_mov_b32 s24, exec_lo
                                        ; implicit-def: $vgpr44
	s_wait_alu 0xfffe
	v_cmpx_gt_i64_e64 s[14:15], v[0:1]
	s_cbranch_execz .LBB7_121
; %bb.113:                              ;   in Loop: Header=BB7_32 Depth=1
	v_dual_mov_b32 v8, v12 :: v_dual_mov_b32 v9, v13
	v_dual_mov_b32 v11, v1 :: v_dual_mov_b32 v10, v0
                                        ; implicit-def: $sgpr25
	s_branch .LBB7_116
.LBB7_114:                              ;   in Loop: Header=BB7_116 Depth=2
	s_wait_alu 0xfffe
	s_or_b32 exec_lo, exec_lo, s6
	s_wait_loadcnt_dscnt 0x0
	s_barrier_signal -1
	s_barrier_wait -1
	global_inv scope:SCOPE_SE
	ds_load_u16 v2, v3 offset:3072
	s_mov_b32 s6, -1
	s_mov_b32 s52, -1
	s_wait_loadcnt_dscnt 0x0
	s_barrier_signal -1
	s_barrier_wait -1
	global_inv scope:SCOPE_SE
	v_and_b32_e32 v30, 0xff, v2
	s_delay_alu instid0(VALU_DEP_1)
	v_cmp_ne_u32_e32 vcc_lo, 0, v30
	s_cbranch_vccz .LBB7_119
.LBB7_115:                              ;   in Loop: Header=BB7_116 Depth=2
	s_wait_alu 0xfffe
	s_and_b32 s6, exec_lo, s6
	s_wait_alu 0xfffe
	s_or_b32 s23, s6, s23
	s_and_not1_b32 s6, s25, exec_lo
	s_and_b32 s25, s52, exec_lo
	s_wait_alu 0xfffe
	s_or_b32 s25, s6, s25
	s_and_not1_b32 exec_lo, exec_lo, s23
	s_cbranch_execz .LBB7_120
.LBB7_116:                              ;   Parent Loop BB7_32 Depth=1
                                        ; =>  This Inner Loop Header: Depth=2
	s_mov_b32 s6, exec_lo
	s_delay_alu instid0(VALU_DEP_1)
	v_cmpx_gt_i64_e64 s[36:37], v[10:11]
	s_cbranch_execz .LBB7_114
; %bb.117:                              ;   in Loop: Header=BB7_116 Depth=2
	global_load_u8 v2, v[8:9], off
	s_wait_loadcnt 0x0
	v_and_b32_e32 v30, v2, v43
	s_delay_alu instid0(VALU_DEP_1) | instskip(NEXT) | instid1(VALU_DEP_1)
	v_and_b32_e32 v30, 0xff, v30
	v_cmp_eq_u32_e32 vcc_lo, v30, v22
	s_and_b32 exec_lo, exec_lo, vcc_lo
	s_cbranch_execz .LBB7_114
; %bb.118:                              ;   in Loop: Header=BB7_116 Depth=2
	v_lshlrev_b16 v2, 8, v2
	s_delay_alu instid0(VALU_DEP_1)
	v_or_b32_e32 v2, 1, v2
	ds_store_b16 v3, v2 offset:3072
	s_branch .LBB7_114
.LBB7_119:                              ;   in Loop: Header=BB7_116 Depth=2
	v_add_co_u32 v10, vcc_lo, v10, s50
	s_wait_alu 0xfffd
	v_add_co_ci_u32_e64 v11, null, 0, v11, vcc_lo
	v_add_co_u32 v8, s6, v8, s54
	s_wait_alu 0xf1fe
	v_add_co_ci_u32_e64 v9, null, s55, v9, s6
	s_delay_alu instid0(VALU_DEP_3)
	v_cmp_le_i64_e32 vcc_lo, s[14:15], v[10:11]
	s_mov_b32 s52, 0
	s_or_not1_b32 s6, vcc_lo, exec_lo
	s_branch .LBB7_115
.LBB7_120:                              ;   in Loop: Header=BB7_32 Depth=1
	s_or_b32 exec_lo, exec_lo, s23
	v_and_b32_e32 v2, 0xffff, v2
	s_wait_alu 0xfffe
	s_and_b32 s23, s25, exec_lo
	s_delay_alu instid0(VALU_DEP_1)
	v_lshrrev_b32_e32 v44, 8, v2
.LBB7_121:                              ;   in Loop: Header=BB7_32 Depth=1
	s_or_b32 exec_lo, exec_lo, s24
.LBB7_122:                              ;   in Loop: Header=BB7_32 Depth=1
	s_delay_alu instid0(SALU_CYCLE_1)
	s_and_b32 vcc_lo, exec_lo, s7
	s_wait_alu 0xfffe
	s_cbranch_vccz .LBB7_136
; %bb.123:                              ;   in Loop: Header=BB7_32 Depth=1
	s_add_nc_u64 s[6:7], s[12:13], s[58:59]
	s_mov_b32 s14, s53
	s_wait_alu 0xfffe
	s_mov_b32 s15, s7
	s_wait_alu 0xfffe
	s_cmp_lg_u64 s[14:15], 0
	s_cbranch_scc0 .LBB7_164
; %bb.124:                              ;   in Loop: Header=BB7_32 Depth=1
	s_add_nc_u64 s[14:15], s[50:51], 0
	s_wait_alu 0xfffe
	s_xor_b64 s[14:15], s[14:15], 0
	s_wait_alu 0xfffe
	s_cvt_f32_u32 s21, s14
	s_cvt_f32_u32 s22, s15
	s_sub_nc_u64 s[66:67], 0, s[14:15]
	s_wait_alu 0xfffe
	s_delay_alu instid0(SALU_CYCLE_1) | instskip(SKIP_1) | instid1(SALU_CYCLE_2)
	s_fmamk_f32 s21, s22, 0x4f800000, s21
	s_wait_alu 0xfffe
	v_s_rcp_f32 s21, s21
	s_delay_alu instid0(TRANS32_DEP_1) | instskip(SKIP_1) | instid1(SALU_CYCLE_2)
	s_mul_f32 s21, s21, 0x5f7ffffc
	s_wait_alu 0xfffe
	s_mul_f32 s22, s21, 0x2f800000
	s_delay_alu instid0(SALU_CYCLE_3) | instskip(NEXT) | instid1(SALU_CYCLE_3)
	s_trunc_f32 s22, s22
	s_fmamk_f32 s21, s22, 0xcf800000, s21
	s_cvt_u32_f32 s25, s22
	s_wait_alu 0xfffe
	s_delay_alu instid0(SALU_CYCLE_1) | instskip(SKIP_1) | instid1(SALU_CYCLE_2)
	s_cvt_u32_f32 s24, s21
	s_wait_alu 0xfffe
	s_mul_u64 s[68:69], s[66:67], s[24:25]
	s_wait_alu 0xfffe
	s_mul_hi_u32 s71, s24, s69
	s_mul_i32 s70, s24, s69
	s_mul_hi_u32 s52, s24, s68
	s_mul_i32 s22, s25, s68
	s_wait_alu 0xfffe
	s_add_nc_u64 s[70:71], s[52:53], s[70:71]
	s_mul_hi_u32 s21, s25, s68
	s_mul_hi_u32 s72, s25, s69
	s_wait_alu 0xfffe
	s_add_co_u32 s22, s70, s22
	s_add_co_ci_u32 s52, s71, s21
	s_mul_i32 s68, s25, s69
	s_add_co_ci_u32 s69, s72, 0
	s_wait_alu 0xfffe
	s_add_nc_u64 s[68:69], s[52:53], s[68:69]
	s_wait_alu 0xfffe
	s_add_co_u32 s24, s24, s68
	s_cselect_b32 s21, -1, 0
	s_wait_alu 0xfffe
	s_cmp_lg_u32 s21, 0
	s_add_co_ci_u32 s25, s25, s69
	s_wait_alu 0xfffe
	s_mul_u64 s[66:67], s[66:67], s[24:25]
	s_wait_alu 0xfffe
	s_mul_hi_u32 s69, s24, s67
	s_mul_i32 s68, s24, s67
	s_mul_hi_u32 s52, s24, s66
	s_mul_i32 s22, s25, s66
	s_wait_alu 0xfffe
	s_add_nc_u64 s[68:69], s[52:53], s[68:69]
	s_mul_hi_u32 s21, s25, s66
	s_mul_hi_u32 s70, s25, s67
	s_wait_alu 0xfffe
	s_add_co_u32 s22, s68, s22
	s_add_co_ci_u32 s52, s69, s21
	s_mul_i32 s66, s25, s67
	s_add_co_ci_u32 s67, s70, 0
	s_wait_alu 0xfffe
	s_add_nc_u64 s[66:67], s[52:53], s[66:67]
	s_wait_alu 0xfffe
	s_add_co_u32 s21, s24, s66
	s_cselect_b32 s22, -1, 0
	s_delay_alu instid0(SALU_CYCLE_1)
	s_cmp_lg_u32 s22, 0
	s_add_co_ci_u32 s22, s25, s67
	s_ashr_i32 s24, s7, 31
	s_wait_alu 0xfffe
	s_mov_b32 s25, s24
	s_wait_alu 0xfffe
	s_add_nc_u64 s[66:67], s[6:7], s[24:25]
	s_wait_alu 0xfffe
	s_xor_b64 s[66:67], s[66:67], s[24:25]
	s_wait_alu 0xfffe
	s_mul_hi_u32 s69, s66, s22
	s_mul_i32 s68, s66, s22
	s_mul_hi_u32 s52, s66, s21
	s_mul_hi_u32 s72, s67, s21
	s_mul_i32 s21, s67, s21
	s_wait_alu 0xfffe
	s_add_nc_u64 s[68:69], s[52:53], s[68:69]
	s_mul_hi_u32 s71, s67, s22
	s_wait_alu 0xfffe
	s_add_co_u32 s21, s68, s21
	s_add_co_ci_u32 s52, s69, s72
	s_mul_i32 s70, s67, s22
	s_add_co_ci_u32 s71, s71, 0
	s_wait_alu 0xfffe
	s_add_nc_u64 s[68:69], s[52:53], s[70:71]
	s_wait_alu 0xfffe
	s_mul_u64 s[68:69], s[14:15], s[68:69]
	s_wait_alu 0xfffe
	s_sub_co_u32 s21, s66, s68
	s_cselect_b32 s22, -1, 0
	s_sub_co_i32 s52, s67, s69
	s_cmp_lg_u32 s22, 0
	s_wait_alu 0xfffe
	s_sub_co_ci_u32 s52, s52, s15
	s_sub_co_u32 s66, s21, s14
	s_cselect_b32 s68, -1, 0
	s_wait_alu 0xfffe
	s_cmp_lg_u32 s68, 0
	s_sub_co_ci_u32 s70, s52, 0
	s_wait_alu 0xfffe
	s_cmp_ge_u32 s70, s15
	s_cselect_b32 s71, -1, 0
	s_cmp_ge_u32 s66, s14
	s_cselect_b32 s72, -1, 0
	s_cmp_eq_u32 s70, s15
	s_wait_alu 0xfffe
	s_cselect_b32 s71, s72, s71
	s_cmp_lg_u32 s68, 0
	s_sub_co_ci_u32 s52, s52, s15
	s_sub_co_u32 s68, s66, s14
	s_cselect_b32 s72, -1, 0
	s_wait_alu 0xfffe
	s_cmp_lg_u32 s72, 0
	s_sub_co_ci_u32 s52, s52, 0
	s_cmp_lg_u32 s71, 0
	s_cselect_b32 s66, s68, s66
	s_wait_alu 0xfffe
	s_cselect_b32 s52, s52, s70
	s_cmp_lg_u32 s22, 0
	s_sub_co_ci_u32 s22, s67, s69
	s_delay_alu instid0(SALU_CYCLE_1)
	s_cmp_ge_u32 s22, s15
	s_cselect_b32 s67, -1, 0
	s_cmp_ge_u32 s21, s14
	s_cselect_b32 s14, -1, 0
	s_cmp_eq_u32 s22, s15
	s_wait_alu 0xfffe
	s_cselect_b32 s14, s14, s67
	s_wait_alu 0xfffe
	s_cmp_lg_u32 s14, 0
	s_cselect_b32 s15, s52, s22
	s_cselect_b32 s14, s66, s21
	s_wait_alu 0xfffe
	s_xor_b64 s[14:15], s[14:15], s[24:25]
	s_wait_alu 0xfffe
	s_sub_nc_u64 s[14:15], s[14:15], s[24:25]
	s_cbranch_execnz .LBB7_126
.LBB7_125:                              ;   in Loop: Header=BB7_32 Depth=1
	v_cvt_f32_u32_e32 v2, s50
	s_sub_co_i32 s15, 0, s50
	s_delay_alu instid0(VALU_DEP_1) | instskip(NEXT) | instid1(TRANS32_DEP_1)
	v_rcp_iflag_f32_e32 v2, v2
	v_mul_f32_e32 v2, 0x4f7ffffe, v2
	s_delay_alu instid0(VALU_DEP_1) | instskip(NEXT) | instid1(VALU_DEP_1)
	v_cvt_u32_f32_e32 v2, v2
	v_readfirstlane_b32 s14, v2
	s_wait_alu 0xfffe
	s_mul_i32 s15, s15, s14
	s_wait_alu 0xfffe
	s_mul_hi_u32 s15, s14, s15
	s_wait_alu 0xfffe
	s_add_co_i32 s14, s14, s15
	s_wait_alu 0xfffe
	s_mul_hi_u32 s14, s6, s14
	s_wait_alu 0xfffe
	s_mul_i32 s14, s14, s50
	s_wait_alu 0xfffe
	s_sub_co_i32 s14, s6, s14
	s_wait_alu 0xfffe
	s_sub_co_i32 s15, s14, s50
	s_cmp_ge_u32 s14, s50
	s_wait_alu 0xfffe
	s_cselect_b32 s14, s15, s14
	s_wait_alu 0xfffe
	s_sub_co_i32 s15, s14, s50
	s_cmp_ge_u32 s14, s50
	s_wait_alu 0xfffe
	s_cselect_b32 s52, s15, s14
	s_wait_alu 0xfffe
	s_mov_b64 s[14:15], s[52:53]
.LBB7_126:                              ;   in Loop: Header=BB7_32 Depth=1
	s_wait_alu 0xfffe
	s_sub_nc_u64 s[6:7], s[6:7], s[14:15]
	s_mov_b32 s14, exec_lo
                                        ; implicit-def: $vgpr44
	s_wait_alu 0xfffe
	v_cmpx_gt_i64_e64 s[6:7], v[0:1]
	s_cbranch_execz .LBB7_135
; %bb.127:                              ;   in Loop: Header=BB7_32 Depth=1
	v_dual_mov_b32 v2, v0 :: v_dual_mov_b32 v9, v1
	v_mov_b32_e32 v8, v0
	s_mov_b32 s21, 0
                                        ; implicit-def: $sgpr15
	s_branch .LBB7_130
.LBB7_128:                              ;   in Loop: Header=BB7_130 Depth=2
	s_or_b32 exec_lo, exec_lo, s22
	s_wait_loadcnt_dscnt 0x0
	s_barrier_signal -1
	s_barrier_wait -1
	global_inv scope:SCOPE_SE
	ds_load_u16 v10, v3 offset:3072
	s_mov_b32 s22, -1
	s_mov_b32 s24, -1
	s_wait_loadcnt_dscnt 0x0
	s_barrier_signal -1
	s_barrier_wait -1
	global_inv scope:SCOPE_SE
	v_and_b32_e32 v11, 0xff, v10
	s_delay_alu instid0(VALU_DEP_1)
	v_cmp_ne_u32_e32 vcc_lo, 0, v11
	s_cbranch_vccz .LBB7_133
.LBB7_129:                              ;   in Loop: Header=BB7_130 Depth=2
	s_and_b32 s22, exec_lo, s22
	s_wait_alu 0xfffe
	s_or_b32 s21, s22, s21
	s_and_not1_b32 s15, s15, exec_lo
	s_and_b32 s22, s24, exec_lo
	s_wait_alu 0xfffe
	s_or_b32 s15, s15, s22
	s_and_not1_b32 exec_lo, exec_lo, s21
	s_cbranch_execz .LBB7_134
.LBB7_130:                              ;   Parent Loop BB7_32 Depth=1
                                        ; =>  This Inner Loop Header: Depth=2
	s_mov_b32 s22, exec_lo
	s_delay_alu instid0(VALU_DEP_1)
	v_cmpx_gt_u64_e64 s[12:13], v[8:9]
	s_cbranch_execz .LBB7_128
; %bb.131:                              ;   in Loop: Header=BB7_130 Depth=2
	ds_load_u8 v10, v2
	s_wait_dscnt 0x0
	v_and_b32_e32 v11, v10, v43
	s_delay_alu instid0(VALU_DEP_1) | instskip(NEXT) | instid1(VALU_DEP_1)
	v_and_b32_e32 v11, 0xff, v11
	v_cmp_eq_u32_e32 vcc_lo, v11, v22
	s_and_b32 exec_lo, exec_lo, vcc_lo
	s_cbranch_execz .LBB7_128
; %bb.132:                              ;   in Loop: Header=BB7_130 Depth=2
	v_lshlrev_b16 v10, 8, v10
	s_delay_alu instid0(VALU_DEP_1)
	v_or_b32_e32 v10, 1, v10
	ds_store_b16 v3, v10 offset:3072
	s_branch .LBB7_128
.LBB7_133:                              ;   in Loop: Header=BB7_130 Depth=2
	v_add_co_u32 v8, vcc_lo, v8, s50
	s_wait_alu 0xfffd
	v_add_co_ci_u32_e64 v9, null, 0, v9, vcc_lo
	v_add_nc_u32_e32 v2, s50, v2
	s_mov_b32 s24, 0
	s_delay_alu instid0(VALU_DEP_2)
	v_cmp_le_i64_e32 vcc_lo, s[6:7], v[8:9]
	s_or_not1_b32 s22, vcc_lo, exec_lo
	s_branch .LBB7_129
.LBB7_134:                              ;   in Loop: Header=BB7_32 Depth=1
	s_or_b32 exec_lo, exec_lo, s21
	v_and_b32_e32 v2, 0xffff, v10
	s_and_not1_b32 s6, s23, exec_lo
	s_wait_alu 0xfffe
	s_and_b32 s7, s15, exec_lo
	s_wait_alu 0xfffe
	s_or_b32 s23, s6, s7
	v_lshrrev_b32_e32 v44, 8, v2
.LBB7_135:                              ;   in Loop: Header=BB7_32 Depth=1
	s_or_b32 exec_lo, exec_lo, s14
	s_mov_b32 s21, 0
	s_mov_b32 s22, -1
.LBB7_136:                              ;   in Loop: Header=BB7_32 Depth=1
	s_or_not1_b32 s6, s23, exec_lo
.LBB7_137:                              ;   in Loop: Header=BB7_32 Depth=1
	s_wait_alu 0xfffe
	s_or_b32 exec_lo, exec_lo, s17
	s_delay_alu instid0(SALU_CYCLE_1)
	s_and_not1_b32 s7, s103, exec_lo
	s_and_b32 s12, s22, exec_lo
	s_and_not1_b32 s13, s101, exec_lo
	s_and_b32 s14, s21, exec_lo
	s_and_not1_b32 s100, s100, exec_lo
	s_wait_alu 0xfffe
	s_or_b32 s103, s7, s12
	s_or_b32 s101, s13, s14
                                        ; implicit-def: $vgpr8_vgpr9
	s_and_saveexec_b32 s17, s6
	s_cbranch_execz .LBB7_31
; %bb.138:                              ;   in Loop: Header=BB7_32 Depth=1
	v_mov_b32_e32 v8, 1
	v_dual_mov_b32 v9, 0 :: v_dual_mov_b32 v2, 1
	s_xor_b32 s12, s19, -1
	s_mov_b32 s7, 0
	s_wait_alu 0xfffe
	s_and_saveexec_b32 s6, s12
	s_cbranch_execz .LBB7_147
; %bb.139:                              ;   in Loop: Header=BB7_32 Depth=1
	s_mov_b32 s7, exec_lo
	v_cmpx_le_i64_e64 v[28:29], v[4:5]
	s_wait_alu 0xfffe
	s_xor_b32 s7, exec_lo, s7
	s_cbranch_execz .LBB7_144
; %bb.140:                              ;   in Loop: Header=BB7_32 Depth=1
	ds_load_b64 v[8:9], v3 offset:5120
	v_and_b32_e32 v22, s20, v22
	v_or_b32_e32 v43, s16, v43
	s_wait_dscnt 0x0
	v_cmp_ne_u64_e32 vcc_lo, 0, v[8:9]
	s_cbranch_vccnz .LBB7_144
; %bb.141:                              ;   in Loop: Header=BB7_32 Depth=1
	s_and_saveexec_b32 s12, s2
; %bb.142:                              ;   in Loop: Header=BB7_32 Depth=1
	ds_store_b64 v3, v[4:5] offset:5128
; %bb.143:                              ;   in Loop: Header=BB7_32 Depth=1
	s_wait_alu 0xfffe
	s_or_b32 exec_lo, exec_lo, s12
	s_wait_loadcnt_dscnt 0x0
	s_barrier_signal -1
	s_barrier_wait -1
	global_inv scope:SCOPE_SE
.LBB7_144:                              ;   in Loop: Header=BB7_32 Depth=1
	s_wait_alu 0xfffe
	s_or_saveexec_b32 s7, s7
	v_mov_b32_e32 v2, 8
	s_mov_b32 s12, 0
	s_wait_alu 0xfffe
	s_xor_b32 exec_lo, exec_lo, s7
; %bb.145:                              ;   in Loop: Header=BB7_32 Depth=1
	v_sub_co_u32 v28, vcc_lo, v28, v4
	s_wait_alu 0xfffd
	v_sub_co_ci_u32_e64 v29, null, v29, v5, vcc_lo
	v_mov_b32_e32 v2, 0
	s_mov_b32 s12, exec_lo
; %bb.146:                              ;   in Loop: Header=BB7_32 Depth=1
	s_or_b32 exec_lo, exec_lo, s7
	s_delay_alu instid0(VALU_DEP_2)
	v_dual_mov_b32 v8, v28 :: v_dual_mov_b32 v9, v29
	s_wait_alu 0xfffe
	s_and_b32 s7, s12, exec_lo
.LBB7_147:                              ;   in Loop: Header=BB7_32 Depth=1
	s_wait_alu 0xfffe
	s_or_b32 exec_lo, exec_lo, s6
	s_mov_b32 s18, -1
	s_mov_b32 s6, -1
                                        ; implicit-def: $sgpr21
                                        ; implicit-def: $sgpr22
	s_and_saveexec_b32 s12, s7
	s_wait_alu 0xfffe
	s_xor_b32 s19, exec_lo, s12
	s_cbranch_execz .LBB7_289
; %bb.148:                              ;   in Loop: Header=BB7_32 Depth=1
	v_cmp_eq_u64_e32 vcc_lo, 1, v[6:7]
	v_cmp_eq_u64_e64 s6, 1, v[8:9]
                                        ; implicit-def: $sgpr22
                                        ; implicit-def: $sgpr21
	s_and_b32 s24, vcc_lo, s6
	s_mov_b32 s6, -1
	s_wait_alu 0xfffe
	s_and_saveexec_b32 s23, s24
	s_cbranch_execz .LBB7_182
; %bb.149:                              ;   in Loop: Header=BB7_32 Depth=1
	ds_load_b64 v[4:5], v3 offset:5120
	s_wait_loadcnt_dscnt 0x0
	s_barrier_signal -1
	s_barrier_wait -1
	global_inv scope:SCOPE_SE
	v_readfirstlane_b32 s12, v4
	v_readfirstlane_b32 s13, v5
	s_and_saveexec_b32 s6, s3
; %bb.150:                              ;   in Loop: Header=BB7_32 Depth=1
	ds_store_b8 v0, v3 offset:3072
; %bb.151:                              ;   in Loop: Header=BB7_32 Depth=1
	s_wait_alu 0xfffe
	s_or_b32 exec_lo, exec_lo, s6
	s_lshl_b32 s6, 1, s95
	v_or_b32_e32 v43, s16, v43
	s_wait_alu 0xfffe
	v_and_or_b32 v22, v22, s20, s6
	v_cmp_gt_i64_e64 s6, s[12:13], 0
	s_mov_b32 s21, -1
	s_mov_b32 s22, 0
	s_mov_b32 s25, 0
	s_mov_b32 s7, -1
	s_wait_loadcnt_dscnt 0x0
	s_and_b32 vcc_lo, exec_lo, s6
	s_barrier_signal -1
	s_barrier_wait -1
	global_inv scope:SCOPE_SE
                                        ; implicit-def: $vgpr44
	s_wait_alu 0xfffe
	s_cbranch_vccnz .LBB7_167
; %bb.152:                              ;   in Loop: Header=BB7_32 Depth=1
	s_mov_b32 s6, s53
	s_mov_b32 s7, s61
	s_wait_alu 0xfffe
	s_cmp_lg_u64 s[6:7], 0
	s_cbranch_scc0 .LBB7_209
; %bb.153:                              ;   in Loop: Header=BB7_32 Depth=1
	s_add_nc_u64 s[6:7], s[50:51], 0
	s_wait_alu 0xfffe
	s_xor_b64 s[6:7], s[6:7], 0
	s_wait_alu 0xfffe
	s_cvt_f32_u32 s14, s6
	s_cvt_f32_u32 s15, s7
	s_sub_nc_u64 s[66:67], 0, s[6:7]
	s_wait_alu 0xfffe
	s_delay_alu instid0(SALU_CYCLE_1) | instskip(SKIP_1) | instid1(SALU_CYCLE_2)
	s_fmamk_f32 s14, s15, 0x4f800000, s14
	s_wait_alu 0xfffe
	v_s_rcp_f32 s14, s14
	s_delay_alu instid0(TRANS32_DEP_1) | instskip(SKIP_1) | instid1(SALU_CYCLE_2)
	s_mul_f32 s14, s14, 0x5f7ffffc
	s_wait_alu 0xfffe
	s_mul_f32 s15, s14, 0x2f800000
	s_wait_alu 0xfffe
	s_delay_alu instid0(SALU_CYCLE_2) | instskip(SKIP_1) | instid1(SALU_CYCLE_2)
	s_trunc_f32 s15, s15
	s_wait_alu 0xfffe
	s_fmamk_f32 s14, s15, 0xcf800000, s14
	s_cvt_u32_f32 s15, s15
	s_wait_alu 0xfffe
	s_delay_alu instid0(SALU_CYCLE_1) | instskip(SKIP_1) | instid1(SALU_CYCLE_2)
	s_cvt_u32_f32 s14, s14
	s_wait_alu 0xfffe
	s_mul_u64 s[68:69], s[66:67], s[14:15]
	s_wait_alu 0xfffe
	s_mul_hi_u32 s71, s14, s69
	s_mul_i32 s70, s14, s69
	s_mul_hi_u32 s52, s14, s68
	s_mul_i32 s72, s15, s68
	s_wait_alu 0xfffe
	s_add_nc_u64 s[70:71], s[52:53], s[70:71]
	s_mul_hi_u32 s25, s15, s68
	s_mul_hi_u32 s73, s15, s69
	s_wait_alu 0xfffe
	s_add_co_u32 s52, s70, s72
	s_add_co_ci_u32 s52, s71, s25
	s_mul_i32 s68, s15, s69
	s_add_co_ci_u32 s69, s73, 0
	s_wait_alu 0xfffe
	s_add_nc_u64 s[68:69], s[52:53], s[68:69]
	s_wait_alu 0xfffe
	s_add_co_u32 s14, s14, s68
	s_cselect_b32 s25, -1, 0
	s_wait_alu 0xfffe
	s_cmp_lg_u32 s25, 0
	s_add_co_ci_u32 s15, s15, s69
	s_wait_alu 0xfffe
	s_mul_u64 s[66:67], s[66:67], s[14:15]
	s_wait_alu 0xfffe
	s_mul_hi_u32 s69, s14, s67
	s_mul_i32 s68, s14, s67
	s_mul_hi_u32 s52, s14, s66
	s_mul_i32 s70, s15, s66
	s_wait_alu 0xfffe
	s_add_nc_u64 s[68:69], s[52:53], s[68:69]
	s_mul_hi_u32 s25, s15, s66
	s_mul_hi_u32 s71, s15, s67
	s_wait_alu 0xfffe
	s_add_co_u32 s52, s68, s70
	s_add_co_ci_u32 s52, s69, s25
	s_mul_i32 s66, s15, s67
	s_add_co_ci_u32 s67, s71, 0
	s_wait_alu 0xfffe
	s_add_nc_u64 s[66:67], s[52:53], s[66:67]
	s_wait_alu 0xfffe
	s_add_co_u32 s25, s14, s66
	s_cselect_b32 s14, -1, 0
	s_wait_alu 0xfffe
	s_cmp_lg_u32 s14, 0
	s_add_co_ci_u32 s70, s15, s67
	s_ashr_i32 s14, s61, 31
	s_wait_alu 0xfffe
	s_mov_b32 s15, s14
	s_wait_alu 0xfffe
	s_add_nc_u64 s[66:67], s[60:61], s[14:15]
	s_wait_alu 0xfffe
	s_xor_b64 s[66:67], s[66:67], s[14:15]
	s_wait_alu 0xfffe
	s_mul_hi_u32 s69, s66, s70
	s_mul_i32 s68, s66, s70
	s_mul_hi_u32 s52, s66, s25
	s_mul_hi_u32 s72, s67, s25
	s_mul_i32 s25, s67, s25
	s_wait_alu 0xfffe
	s_add_nc_u64 s[68:69], s[52:53], s[68:69]
	s_mul_hi_u32 s71, s67, s70
	s_wait_alu 0xfffe
	s_add_co_u32 s25, s68, s25
	s_add_co_ci_u32 s52, s69, s72
	s_mul_i32 s70, s67, s70
	s_add_co_ci_u32 s71, s71, 0
	s_wait_alu 0xfffe
	s_add_nc_u64 s[68:69], s[52:53], s[70:71]
	s_wait_alu 0xfffe
	s_mul_u64 s[68:69], s[6:7], s[68:69]
	s_wait_alu 0xfffe
	s_sub_co_u32 s25, s66, s68
	s_cselect_b32 s52, -1, 0
	s_sub_co_i32 s66, s67, s69
	s_wait_alu 0xfffe
	s_cmp_lg_u32 s52, 0
	s_sub_co_ci_u32 s66, s66, s7
	s_sub_co_u32 s68, s25, s6
	s_cselect_b32 s70, -1, 0
	s_wait_alu 0xfffe
	s_cmp_lg_u32 s70, 0
	s_sub_co_ci_u32 s71, s66, 0
	s_wait_alu 0xfffe
	s_cmp_ge_u32 s71, s7
	s_cselect_b32 s72, -1, 0
	s_cmp_ge_u32 s68, s6
	s_cselect_b32 s73, -1, 0
	s_cmp_eq_u32 s71, s7
	s_wait_alu 0xfffe
	s_cselect_b32 s72, s73, s72
	s_cmp_lg_u32 s70, 0
	s_sub_co_ci_u32 s66, s66, s7
	s_sub_co_u32 s70, s68, s6
	s_cselect_b32 s73, -1, 0
	s_wait_alu 0xfffe
	s_cmp_lg_u32 s73, 0
	s_sub_co_ci_u32 s66, s66, 0
	s_cmp_lg_u32 s72, 0
	s_cselect_b32 s68, s70, s68
	s_wait_alu 0xfffe
	s_cselect_b32 s66, s66, s71
	s_cmp_lg_u32 s52, 0
	s_sub_co_ci_u32 s52, s67, s69
	s_wait_alu 0xfffe
	s_cmp_ge_u32 s52, s7
	s_cselect_b32 s67, -1, 0
	s_cmp_ge_u32 s25, s6
	s_cselect_b32 s6, -1, 0
	s_cmp_eq_u32 s52, s7
	s_wait_alu 0xfffe
	s_cselect_b32 s6, s6, s67
	s_wait_alu 0xfffe
	s_cmp_lg_u32 s6, 0
	s_cselect_b32 s7, s66, s52
	s_cselect_b32 s6, s68, s25
	s_wait_alu 0xfffe
	s_xor_b64 s[6:7], s[6:7], s[14:15]
	s_wait_alu 0xfffe
	s_sub_nc_u64 s[6:7], s[6:7], s[14:15]
	s_cbranch_execnz .LBB7_155
.LBB7_154:                              ;   in Loop: Header=BB7_32 Depth=1
	v_cvt_f32_u32_e32 v4, s50
	s_sub_co_i32 s7, 0, s50
	s_delay_alu instid0(VALU_DEP_1) | instskip(NEXT) | instid1(TRANS32_DEP_1)
	v_rcp_iflag_f32_e32 v4, v4
	v_mul_f32_e32 v4, 0x4f7ffffe, v4
	s_delay_alu instid0(VALU_DEP_1) | instskip(NEXT) | instid1(VALU_DEP_1)
	v_cvt_u32_f32_e32 v4, v4
	v_readfirstlane_b32 s6, v4
	s_wait_alu 0xfffe
	s_mul_i32 s7, s7, s6
	s_wait_alu 0xfffe
	s_mul_hi_u32 s7, s6, s7
	s_wait_alu 0xfffe
	s_add_co_i32 s6, s6, s7
	s_wait_alu 0xfffe
	s_mul_hi_u32 s6, s60, s6
	s_wait_alu 0xfffe
	s_mul_i32 s6, s6, s50
	s_wait_alu 0xfffe
	s_sub_co_i32 s6, s60, s6
	s_wait_alu 0xfffe
	s_sub_co_i32 s7, s6, s50
	s_cmp_ge_u32 s6, s50
	s_wait_alu 0xfffe
	s_cselect_b32 s6, s7, s6
	s_wait_alu 0xfffe
	s_sub_co_i32 s7, s6, s50
	s_cmp_ge_u32 s6, s50
	s_wait_alu 0xfffe
	s_cselect_b32 s52, s7, s6
	s_wait_alu 0xfffe
	s_mov_b64 s[6:7], s[52:53]
.LBB7_155:                              ;   in Loop: Header=BB7_32 Depth=1
	s_wait_alu 0xfffe
	s_sub_nc_u64 s[14:15], s[60:61], s[6:7]
	s_mov_b32 s7, 0
	s_mov_b32 s25, 0
	s_mov_b32 s52, exec_lo
                                        ; implicit-def: $vgpr44
	s_wait_alu 0xfffe
	v_cmpx_gt_i64_e64 s[14:15], v[0:1]
	s_cbranch_execz .LBB7_166
; %bb.156:                              ;   in Loop: Header=BB7_32 Depth=1
	v_dual_mov_b32 v4, v12 :: v_dual_mov_b32 v5, v13
	v_dual_mov_b32 v11, v1 :: v_dual_mov_b32 v10, v0
                                        ; implicit-def: $sgpr66
	s_branch .LBB7_159
.LBB7_157:                              ;   in Loop: Header=BB7_159 Depth=2
	s_wait_alu 0xfffe
	s_or_b32 exec_lo, exec_lo, s6
	s_wait_loadcnt_dscnt 0x0
	s_barrier_signal -1
	s_barrier_wait -1
	global_inv scope:SCOPE_SE
	ds_load_u16 v28, v3 offset:3072
	s_mov_b32 s6, -1
	s_mov_b32 s67, -1
	s_wait_loadcnt_dscnt 0x0
	s_barrier_signal -1
	s_barrier_wait -1
	global_inv scope:SCOPE_SE
	v_and_b32_e32 v29, 0xff, v28
	s_delay_alu instid0(VALU_DEP_1)
	v_cmp_ne_u32_e32 vcc_lo, 0, v29
	s_cbranch_vccz .LBB7_162
.LBB7_158:                              ;   in Loop: Header=BB7_159 Depth=2
	s_wait_alu 0xfffe
	s_and_b32 s6, exec_lo, s6
	s_wait_alu 0xfffe
	s_or_b32 s25, s6, s25
	s_and_not1_b32 s6, s66, exec_lo
	s_and_b32 s66, s67, exec_lo
	s_wait_alu 0xfffe
	s_or_b32 s66, s6, s66
	s_and_not1_b32 exec_lo, exec_lo, s25
	s_cbranch_execz .LBB7_165
.LBB7_159:                              ;   Parent Loop BB7_32 Depth=1
                                        ; =>  This Inner Loop Header: Depth=2
	s_mov_b32 s6, exec_lo
	s_delay_alu instid0(VALU_DEP_1)
	v_cmpx_gt_i64_e64 s[36:37], v[10:11]
	s_cbranch_execz .LBB7_157
; %bb.160:                              ;   in Loop: Header=BB7_159 Depth=2
	global_load_u8 v28, v[4:5], off
	s_wait_loadcnt 0x0
	v_and_b32_e32 v29, v28, v43
	s_delay_alu instid0(VALU_DEP_1) | instskip(NEXT) | instid1(VALU_DEP_1)
	v_and_b32_e32 v29, 0xff, v29
	v_cmp_eq_u32_e32 vcc_lo, v29, v22
	s_and_b32 exec_lo, exec_lo, vcc_lo
	s_cbranch_execz .LBB7_157
; %bb.161:                              ;   in Loop: Header=BB7_159 Depth=2
	v_lshlrev_b16 v28, 8, v28
	s_delay_alu instid0(VALU_DEP_1)
	v_or_b32_e32 v28, 1, v28
	ds_store_b16 v3, v28 offset:3072
	s_branch .LBB7_157
.LBB7_162:                              ;   in Loop: Header=BB7_159 Depth=2
	v_add_co_u32 v10, vcc_lo, v10, s50
	s_wait_alu 0xfffd
	v_add_co_ci_u32_e64 v11, null, 0, v11, vcc_lo
	v_add_co_u32 v4, s6, v4, s54
	s_wait_alu 0xf1fe
	v_add_co_ci_u32_e64 v5, null, s55, v5, s6
	s_delay_alu instid0(VALU_DEP_3)
	v_cmp_le_i64_e32 vcc_lo, s[14:15], v[10:11]
	s_mov_b32 s67, 0
	s_or_not1_b32 s6, vcc_lo, exec_lo
	s_branch .LBB7_158
.LBB7_163:                              ;   in Loop: Header=BB7_32 Depth=1
                                        ; implicit-def: $sgpr6_sgpr7
	s_branch .LBB7_111
.LBB7_164:                              ;   in Loop: Header=BB7_32 Depth=1
                                        ; implicit-def: $sgpr14_sgpr15
	s_branch .LBB7_125
.LBB7_165:                              ;   in Loop: Header=BB7_32 Depth=1
	s_or_b32 exec_lo, exec_lo, s25
	v_and_b32_e32 v4, 0xffff, v28
	s_wait_alu 0xfffe
	s_and_b32 s25, s66, exec_lo
	s_delay_alu instid0(VALU_DEP_1)
	v_lshrrev_b32_e32 v44, 8, v4
.LBB7_166:                              ;   in Loop: Header=BB7_32 Depth=1
	s_or_b32 exec_lo, exec_lo, s52
.LBB7_167:                              ;   in Loop: Header=BB7_32 Depth=1
	s_delay_alu instid0(SALU_CYCLE_1)
	s_and_b32 vcc_lo, exec_lo, s7
	s_wait_alu 0xfffe
	s_cbranch_vccz .LBB7_181
; %bb.168:                              ;   in Loop: Header=BB7_32 Depth=1
	s_add_nc_u64 s[6:7], s[12:13], s[58:59]
	s_mov_b32 s14, s53
	s_wait_alu 0xfffe
	s_mov_b32 s15, s7
	s_wait_alu 0xfffe
	s_cmp_lg_u64 s[14:15], 0
	s_cbranch_scc0 .LBB7_210
; %bb.169:                              ;   in Loop: Header=BB7_32 Depth=1
	s_add_nc_u64 s[14:15], s[50:51], 0
	s_wait_alu 0xfffe
	s_xor_b64 s[14:15], s[14:15], 0
	s_wait_alu 0xfffe
	s_cvt_f32_u32 s21, s14
	s_cvt_f32_u32 s22, s15
	s_sub_nc_u64 s[68:69], 0, s[14:15]
	s_wait_alu 0xfffe
	s_delay_alu instid0(SALU_CYCLE_1) | instskip(SKIP_1) | instid1(SALU_CYCLE_2)
	s_fmamk_f32 s21, s22, 0x4f800000, s21
	s_wait_alu 0xfffe
	v_s_rcp_f32 s21, s21
	s_delay_alu instid0(TRANS32_DEP_1) | instskip(SKIP_1) | instid1(SALU_CYCLE_2)
	s_mul_f32 s21, s21, 0x5f7ffffc
	s_wait_alu 0xfffe
	s_mul_f32 s22, s21, 0x2f800000
	s_delay_alu instid0(SALU_CYCLE_3) | instskip(NEXT) | instid1(SALU_CYCLE_3)
	s_trunc_f32 s22, s22
	s_fmamk_f32 s21, s22, 0xcf800000, s21
	s_cvt_u32_f32 s67, s22
	s_wait_alu 0xfffe
	s_delay_alu instid0(SALU_CYCLE_1) | instskip(SKIP_1) | instid1(SALU_CYCLE_2)
	s_cvt_u32_f32 s66, s21
	s_wait_alu 0xfffe
	s_mul_u64 s[70:71], s[68:69], s[66:67]
	s_wait_alu 0xfffe
	s_mul_hi_u32 s73, s66, s71
	s_mul_i32 s72, s66, s71
	s_mul_hi_u32 s52, s66, s70
	s_mul_i32 s22, s67, s70
	s_wait_alu 0xfffe
	s_add_nc_u64 s[72:73], s[52:53], s[72:73]
	s_mul_hi_u32 s21, s67, s70
	s_mul_hi_u32 s74, s67, s71
	s_wait_alu 0xfffe
	s_add_co_u32 s22, s72, s22
	s_add_co_ci_u32 s52, s73, s21
	s_mul_i32 s70, s67, s71
	s_add_co_ci_u32 s71, s74, 0
	s_wait_alu 0xfffe
	s_add_nc_u64 s[70:71], s[52:53], s[70:71]
	s_wait_alu 0xfffe
	s_add_co_u32 s66, s66, s70
	s_cselect_b32 s21, -1, 0
	s_wait_alu 0xfffe
	s_cmp_lg_u32 s21, 0
	s_add_co_ci_u32 s67, s67, s71
	s_wait_alu 0xfffe
	s_mul_u64 s[68:69], s[68:69], s[66:67]
	s_wait_alu 0xfffe
	s_mul_hi_u32 s71, s66, s69
	s_mul_i32 s70, s66, s69
	s_mul_hi_u32 s52, s66, s68
	s_mul_i32 s22, s67, s68
	s_wait_alu 0xfffe
	s_add_nc_u64 s[70:71], s[52:53], s[70:71]
	s_mul_hi_u32 s21, s67, s68
	s_mul_hi_u32 s72, s67, s69
	s_wait_alu 0xfffe
	s_add_co_u32 s22, s70, s22
	s_add_co_ci_u32 s52, s71, s21
	s_mul_i32 s68, s67, s69
	s_add_co_ci_u32 s69, s72, 0
	s_wait_alu 0xfffe
	s_add_nc_u64 s[68:69], s[52:53], s[68:69]
	s_wait_alu 0xfffe
	s_add_co_u32 s21, s66, s68
	s_cselect_b32 s22, -1, 0
	s_delay_alu instid0(SALU_CYCLE_1)
	s_cmp_lg_u32 s22, 0
	s_add_co_ci_u32 s22, s67, s69
	s_ashr_i32 s66, s7, 31
	s_wait_alu 0xfffe
	s_mov_b32 s67, s66
	s_wait_alu 0xfffe
	s_add_nc_u64 s[68:69], s[6:7], s[66:67]
	s_wait_alu 0xfffe
	s_xor_b64 s[68:69], s[68:69], s[66:67]
	s_wait_alu 0xfffe
	s_mul_hi_u32 s71, s68, s22
	s_mul_i32 s70, s68, s22
	s_mul_hi_u32 s52, s68, s21
	s_mul_hi_u32 s74, s69, s21
	s_mul_i32 s21, s69, s21
	s_wait_alu 0xfffe
	s_add_nc_u64 s[70:71], s[52:53], s[70:71]
	s_mul_hi_u32 s73, s69, s22
	s_wait_alu 0xfffe
	s_add_co_u32 s21, s70, s21
	s_add_co_ci_u32 s52, s71, s74
	s_mul_i32 s72, s69, s22
	s_add_co_ci_u32 s73, s73, 0
	s_wait_alu 0xfffe
	s_add_nc_u64 s[70:71], s[52:53], s[72:73]
	s_wait_alu 0xfffe
	s_mul_u64 s[70:71], s[14:15], s[70:71]
	s_wait_alu 0xfffe
	s_sub_co_u32 s21, s68, s70
	s_cselect_b32 s22, -1, 0
	s_sub_co_i32 s52, s69, s71
	s_cmp_lg_u32 s22, 0
	s_wait_alu 0xfffe
	s_sub_co_ci_u32 s52, s52, s15
	s_sub_co_u32 s68, s21, s14
	s_cselect_b32 s70, -1, 0
	s_wait_alu 0xfffe
	s_cmp_lg_u32 s70, 0
	s_sub_co_ci_u32 s72, s52, 0
	s_wait_alu 0xfffe
	s_cmp_ge_u32 s72, s15
	s_cselect_b32 s73, -1, 0
	s_cmp_ge_u32 s68, s14
	s_cselect_b32 s74, -1, 0
	s_cmp_eq_u32 s72, s15
	s_wait_alu 0xfffe
	s_cselect_b32 s73, s74, s73
	s_cmp_lg_u32 s70, 0
	s_sub_co_ci_u32 s52, s52, s15
	s_sub_co_u32 s70, s68, s14
	s_cselect_b32 s74, -1, 0
	s_wait_alu 0xfffe
	s_cmp_lg_u32 s74, 0
	s_sub_co_ci_u32 s52, s52, 0
	s_cmp_lg_u32 s73, 0
	s_cselect_b32 s68, s70, s68
	s_wait_alu 0xfffe
	s_cselect_b32 s52, s52, s72
	s_cmp_lg_u32 s22, 0
	s_sub_co_ci_u32 s22, s69, s71
	s_delay_alu instid0(SALU_CYCLE_1)
	s_cmp_ge_u32 s22, s15
	s_cselect_b32 s69, -1, 0
	s_cmp_ge_u32 s21, s14
	s_cselect_b32 s14, -1, 0
	s_cmp_eq_u32 s22, s15
	s_wait_alu 0xfffe
	s_cselect_b32 s14, s14, s69
	s_wait_alu 0xfffe
	s_cmp_lg_u32 s14, 0
	s_cselect_b32 s15, s52, s22
	s_cselect_b32 s14, s68, s21
	s_wait_alu 0xfffe
	s_xor_b64 s[14:15], s[14:15], s[66:67]
	s_wait_alu 0xfffe
	s_sub_nc_u64 s[14:15], s[14:15], s[66:67]
	s_cbranch_execnz .LBB7_171
.LBB7_170:                              ;   in Loop: Header=BB7_32 Depth=1
	v_cvt_f32_u32_e32 v4, s50
	s_sub_co_i32 s15, 0, s50
	s_delay_alu instid0(VALU_DEP_1) | instskip(NEXT) | instid1(TRANS32_DEP_1)
	v_rcp_iflag_f32_e32 v4, v4
	v_mul_f32_e32 v4, 0x4f7ffffe, v4
	s_delay_alu instid0(VALU_DEP_1) | instskip(NEXT) | instid1(VALU_DEP_1)
	v_cvt_u32_f32_e32 v4, v4
	v_readfirstlane_b32 s14, v4
	s_wait_alu 0xfffe
	s_mul_i32 s15, s15, s14
	s_wait_alu 0xfffe
	s_mul_hi_u32 s15, s14, s15
	s_wait_alu 0xfffe
	s_add_co_i32 s14, s14, s15
	s_wait_alu 0xfffe
	s_mul_hi_u32 s14, s6, s14
	s_wait_alu 0xfffe
	s_mul_i32 s14, s14, s50
	s_wait_alu 0xfffe
	s_sub_co_i32 s14, s6, s14
	s_wait_alu 0xfffe
	s_sub_co_i32 s15, s14, s50
	s_cmp_ge_u32 s14, s50
	s_wait_alu 0xfffe
	s_cselect_b32 s14, s15, s14
	s_wait_alu 0xfffe
	s_sub_co_i32 s15, s14, s50
	s_cmp_ge_u32 s14, s50
	s_wait_alu 0xfffe
	s_cselect_b32 s52, s15, s14
	s_wait_alu 0xfffe
	s_mov_b64 s[14:15], s[52:53]
.LBB7_171:                              ;   in Loop: Header=BB7_32 Depth=1
	s_wait_alu 0xfffe
	s_sub_nc_u64 s[6:7], s[6:7], s[14:15]
	s_mov_b32 s14, exec_lo
                                        ; implicit-def: $vgpr44
	s_wait_alu 0xfffe
	v_cmpx_gt_i64_e64 s[6:7], v[0:1]
	s_cbranch_execz .LBB7_180
; %bb.172:                              ;   in Loop: Header=BB7_32 Depth=1
	v_dual_mov_b32 v10, v0 :: v_dual_mov_b32 v5, v1
	v_mov_b32_e32 v4, v0
	s_mov_b32 s15, 0
                                        ; implicit-def: $sgpr21
	s_branch .LBB7_175
.LBB7_173:                              ;   in Loop: Header=BB7_175 Depth=2
	s_or_b32 exec_lo, exec_lo, s22
	s_wait_loadcnt_dscnt 0x0
	s_barrier_signal -1
	s_barrier_wait -1
	global_inv scope:SCOPE_SE
	ds_load_u16 v11, v3 offset:3072
	s_mov_b32 s22, -1
	s_mov_b32 s52, -1
	s_wait_loadcnt_dscnt 0x0
	s_barrier_signal -1
	s_barrier_wait -1
	global_inv scope:SCOPE_SE
	v_and_b32_e32 v28, 0xff, v11
	s_delay_alu instid0(VALU_DEP_1)
	v_cmp_eq_u32_e32 vcc_lo, 0, v28
	s_cbranch_vccnz .LBB7_178
.LBB7_174:                              ;   in Loop: Header=BB7_175 Depth=2
	s_and_b32 s22, exec_lo, s22
	s_wait_alu 0xfffe
	s_or_b32 s15, s22, s15
	s_and_not1_b32 s21, s21, exec_lo
	s_and_b32 s22, s52, exec_lo
	s_wait_alu 0xfffe
	s_or_b32 s21, s21, s22
	s_and_not1_b32 exec_lo, exec_lo, s15
	s_cbranch_execz .LBB7_179
.LBB7_175:                              ;   Parent Loop BB7_32 Depth=1
                                        ; =>  This Inner Loop Header: Depth=2
	s_mov_b32 s22, exec_lo
	s_delay_alu instid0(VALU_DEP_1)
	v_cmpx_gt_u64_e64 s[12:13], v[4:5]
	s_cbranch_execz .LBB7_173
; %bb.176:                              ;   in Loop: Header=BB7_175 Depth=2
	ds_load_u8 v11, v10
	s_wait_dscnt 0x0
	v_and_b32_e32 v28, v11, v43
	s_delay_alu instid0(VALU_DEP_1) | instskip(NEXT) | instid1(VALU_DEP_1)
	v_and_b32_e32 v28, 0xff, v28
	v_cmp_eq_u32_e32 vcc_lo, v28, v22
	s_and_b32 exec_lo, exec_lo, vcc_lo
	s_cbranch_execz .LBB7_173
; %bb.177:                              ;   in Loop: Header=BB7_175 Depth=2
	v_lshlrev_b16 v11, 8, v11
	s_delay_alu instid0(VALU_DEP_1)
	v_or_b32_e32 v11, 1, v11
	ds_store_b16 v3, v11 offset:3072
	s_branch .LBB7_173
.LBB7_178:                              ;   in Loop: Header=BB7_175 Depth=2
	v_add_co_u32 v4, vcc_lo, v4, s50
	s_wait_alu 0xfffd
	v_add_co_ci_u32_e64 v5, null, 0, v5, vcc_lo
	v_add_nc_u32_e32 v10, s50, v10
	s_mov_b32 s52, 0
	s_delay_alu instid0(VALU_DEP_2)
	v_cmp_le_i64_e32 vcc_lo, s[6:7], v[4:5]
	s_or_not1_b32 s22, vcc_lo, exec_lo
	s_branch .LBB7_174
.LBB7_179:                              ;   in Loop: Header=BB7_32 Depth=1
	s_or_b32 exec_lo, exec_lo, s15
	v_and_b32_e32 v4, 0xffff, v11
	s_and_not1_b32 s6, s25, exec_lo
	s_wait_alu 0xfffe
	s_and_b32 s7, s21, exec_lo
	s_wait_alu 0xfffe
	s_or_b32 s25, s6, s7
	v_lshrrev_b32_e32 v44, 8, v4
.LBB7_180:                              ;   in Loop: Header=BB7_32 Depth=1
	s_or_b32 exec_lo, exec_lo, s14
	s_mov_b32 s21, 0
	s_mov_b32 s22, -1
.LBB7_181:                              ;   in Loop: Header=BB7_32 Depth=1
	s_wait_alu 0xfffe
	s_or_not1_b32 s6, s25, exec_lo
.LBB7_182:                              ;   in Loop: Header=BB7_32 Depth=1
	s_or_b32 exec_lo, exec_lo, s23
	s_mov_b32 s7, 0
	s_wait_alu 0xfffe
	s_and_saveexec_b32 s23, s6
	s_cbranch_execz .LBB7_288
; %bb.183:                              ;   in Loop: Header=BB7_32 Depth=1
	v_mov_b32_e32 v4, 1
	v_dual_mov_b32 v5, 0 :: v_dual_mov_b32 v2, 1
	s_xor_b32 s12, s24, -1
	s_wait_alu 0xfffe
	s_and_saveexec_b32 s6, s12
	s_cbranch_execz .LBB7_193
; %bb.184:                              ;   in Loop: Header=BB7_32 Depth=1
	s_mov_b32 s7, exec_lo
	v_cmpx_le_i64_e64 v[8:9], v[6:7]
	s_wait_alu 0xfffe
	s_xor_b32 s7, exec_lo, s7
	s_cbranch_execz .LBB7_190
; %bb.185:                              ;   in Loop: Header=BB7_32 Depth=1
	ds_load_b64 v[4:5], v3 offset:5120
	s_lshl_b32 s12, 1, s95
	v_or_b32_e32 v43, s16, v43
	s_wait_alu 0xfffe
	v_and_or_b32 v22, v22, s20, s12
	s_wait_dscnt 0x0
	v_cmp_ne_u64_e32 vcc_lo, 0, v[4:5]
	s_cbranch_vccnz .LBB7_189
; %bb.186:                              ;   in Loop: Header=BB7_32 Depth=1
	s_and_saveexec_b32 s12, s2
; %bb.187:                              ;   in Loop: Header=BB7_32 Depth=1
	ds_store_b64 v3, v[6:7] offset:5128
; %bb.188:                              ;   in Loop: Header=BB7_32 Depth=1
	s_wait_alu 0xfffe
	s_or_b32 exec_lo, exec_lo, s12
	s_wait_loadcnt_dscnt 0x0
	s_barrier_signal -1
	s_barrier_wait -1
	global_inv scope:SCOPE_SE
.LBB7_189:                              ;   in Loop: Header=BB7_32 Depth=1
                                        ; implicit-def: $vgpr4_vgpr5_vgpr6_vgpr7
.LBB7_190:                              ;   in Loop: Header=BB7_32 Depth=1
	s_wait_alu 0xfffe
	s_or_saveexec_b32 s7, s7
	v_mov_b32_e32 v2, 8
	s_mov_b32 s12, 0
	s_wait_alu 0xfffe
	s_xor_b32 exec_lo, exec_lo, s7
; %bb.191:                              ;   in Loop: Header=BB7_32 Depth=1
	v_sub_co_u32 v8, vcc_lo, v8, v6
	s_wait_alu 0xfffd
	v_sub_co_ci_u32_e64 v9, null, v9, v7, vcc_lo
	v_mov_b32_e32 v2, 0
	s_mov_b32 s12, exec_lo
; %bb.192:                              ;   in Loop: Header=BB7_32 Depth=1
	s_or_b32 exec_lo, exec_lo, s7
	s_delay_alu instid0(VALU_DEP_2)
	v_dual_mov_b32 v4, v8 :: v_dual_mov_b32 v5, v9
	s_wait_alu 0xfffe
	s_and_b32 s7, s12, exec_lo
.LBB7_193:                              ;   in Loop: Header=BB7_32 Depth=1
	s_wait_alu 0xfffe
	s_or_b32 exec_lo, exec_lo, s6
	s_mov_b32 s6, -1
                                        ; implicit-def: $sgpr25
                                        ; implicit-def: $sgpr66
	s_and_saveexec_b32 s24, s7
	s_cbranch_execz .LBB7_287
; %bb.194:                              ;   in Loop: Header=BB7_32 Depth=1
	v_cmp_eq_u64_e32 vcc_lo, 1, v[4:5]
	s_cmp_eq_u64 s[10:11], 1
                                        ; implicit-def: $sgpr66
                                        ; implicit-def: $sgpr25
	s_cselect_b32 s6, -1, 0
	s_wait_alu 0xfffe
	s_and_b32 s67, s6, vcc_lo
	s_mov_b32 s6, -1
	s_wait_alu 0xfffe
	s_and_saveexec_b32 s68, s67
	s_cbranch_execz .LBB7_228
; %bb.195:                              ;   in Loop: Header=BB7_32 Depth=1
	ds_load_b64 v[6:7], v3 offset:5120
	s_wait_loadcnt_dscnt 0x0
	s_barrier_signal -1
	s_barrier_wait -1
	global_inv scope:SCOPE_SE
	v_readfirstlane_b32 s12, v6
	v_readfirstlane_b32 s13, v7
	s_and_saveexec_b32 s6, s3
; %bb.196:                              ;   in Loop: Header=BB7_32 Depth=1
	ds_store_b8 v0, v3 offset:3072
; %bb.197:                              ;   in Loop: Header=BB7_32 Depth=1
	s_wait_alu 0xfffe
	s_or_b32 exec_lo, exec_lo, s6
	s_lshl_b32 s6, 2, s95
	v_or_b32_e32 v43, s16, v43
	s_wait_alu 0xfffe
	v_and_or_b32 v22, v22, s20, s6
	v_cmp_gt_i64_e64 s6, s[12:13], 0
	s_mov_b32 s25, -1
	s_mov_b32 s66, 0
	s_mov_b32 s69, 0
	s_mov_b32 s7, -1
	s_wait_loadcnt_dscnt 0x0
	s_and_b32 vcc_lo, exec_lo, s6
	s_barrier_signal -1
	s_barrier_wait -1
	global_inv scope:SCOPE_SE
                                        ; implicit-def: $vgpr44
	s_wait_alu 0xfffe
	s_cbranch_vccnz .LBB7_213
; %bb.198:                              ;   in Loop: Header=BB7_32 Depth=1
	s_mov_b32 s6, s53
	s_mov_b32 s7, s61
	s_wait_alu 0xfffe
	s_cmp_lg_u64 s[6:7], 0
	s_cbranch_scc0 .LBB7_254
; %bb.199:                              ;   in Loop: Header=BB7_32 Depth=1
	s_add_nc_u64 s[6:7], s[50:51], 0
	s_wait_alu 0xfffe
	s_xor_b64 s[6:7], s[6:7], 0
	s_wait_alu 0xfffe
	s_cvt_f32_u32 s14, s6
	s_cvt_f32_u32 s15, s7
	s_sub_nc_u64 s[70:71], 0, s[6:7]
	s_wait_alu 0xfffe
	s_delay_alu instid0(SALU_CYCLE_1) | instskip(SKIP_1) | instid1(SALU_CYCLE_2)
	s_fmamk_f32 s14, s15, 0x4f800000, s14
	s_wait_alu 0xfffe
	v_s_rcp_f32 s14, s14
	s_delay_alu instid0(TRANS32_DEP_1) | instskip(SKIP_1) | instid1(SALU_CYCLE_2)
	s_mul_f32 s14, s14, 0x5f7ffffc
	s_wait_alu 0xfffe
	s_mul_f32 s15, s14, 0x2f800000
	s_wait_alu 0xfffe
	s_delay_alu instid0(SALU_CYCLE_2) | instskip(SKIP_1) | instid1(SALU_CYCLE_2)
	s_trunc_f32 s15, s15
	s_wait_alu 0xfffe
	s_fmamk_f32 s14, s15, 0xcf800000, s14
	s_cvt_u32_f32 s15, s15
	s_wait_alu 0xfffe
	s_delay_alu instid0(SALU_CYCLE_1) | instskip(SKIP_1) | instid1(SALU_CYCLE_2)
	s_cvt_u32_f32 s14, s14
	s_wait_alu 0xfffe
	s_mul_u64 s[72:73], s[70:71], s[14:15]
	s_wait_alu 0xfffe
	s_mul_hi_u32 s75, s14, s73
	s_mul_i32 s74, s14, s73
	s_mul_hi_u32 s52, s14, s72
	s_mul_i32 s76, s15, s72
	s_wait_alu 0xfffe
	s_add_nc_u64 s[74:75], s[52:53], s[74:75]
	s_mul_hi_u32 s69, s15, s72
	s_mul_hi_u32 s77, s15, s73
	s_wait_alu 0xfffe
	s_add_co_u32 s52, s74, s76
	s_add_co_ci_u32 s52, s75, s69
	s_mul_i32 s72, s15, s73
	s_add_co_ci_u32 s73, s77, 0
	s_wait_alu 0xfffe
	s_add_nc_u64 s[72:73], s[52:53], s[72:73]
	s_wait_alu 0xfffe
	s_add_co_u32 s14, s14, s72
	s_cselect_b32 s52, -1, 0
	s_wait_alu 0xfffe
	s_cmp_lg_u32 s52, 0
	s_add_co_ci_u32 s15, s15, s73
	s_wait_alu 0xfffe
	s_mul_u64 s[70:71], s[70:71], s[14:15]
	s_wait_alu 0xfffe
	s_mul_hi_u32 s73, s14, s71
	s_mul_i32 s72, s14, s71
	s_mul_hi_u32 s52, s14, s70
	s_mul_i32 s74, s15, s70
	s_wait_alu 0xfffe
	s_add_nc_u64 s[72:73], s[52:53], s[72:73]
	s_mul_hi_u32 s69, s15, s70
	s_mul_hi_u32 s75, s15, s71
	s_wait_alu 0xfffe
	s_add_co_u32 s52, s72, s74
	s_add_co_ci_u32 s52, s73, s69
	s_mul_i32 s70, s15, s71
	s_add_co_ci_u32 s71, s75, 0
	s_wait_alu 0xfffe
	s_add_nc_u64 s[70:71], s[52:53], s[70:71]
	s_wait_alu 0xfffe
	s_add_co_u32 s69, s14, s70
	s_cselect_b32 s14, -1, 0
	s_wait_alu 0xfffe
	s_cmp_lg_u32 s14, 0
	s_add_co_ci_u32 s74, s15, s71
	s_ashr_i32 s14, s61, 31
	s_wait_alu 0xfffe
	s_mov_b32 s15, s14
	s_wait_alu 0xfffe
	s_add_nc_u64 s[70:71], s[60:61], s[14:15]
	s_wait_alu 0xfffe
	s_xor_b64 s[70:71], s[70:71], s[14:15]
	s_wait_alu 0xfffe
	s_mul_hi_u32 s73, s70, s74
	s_mul_i32 s72, s70, s74
	s_mul_hi_u32 s52, s70, s69
	s_mul_hi_u32 s76, s71, s69
	s_mul_i32 s69, s71, s69
	s_wait_alu 0xfffe
	s_add_nc_u64 s[72:73], s[52:53], s[72:73]
	s_mul_hi_u32 s75, s71, s74
	s_wait_alu 0xfffe
	s_add_co_u32 s52, s72, s69
	s_add_co_ci_u32 s52, s73, s76
	s_mul_i32 s74, s71, s74
	s_add_co_ci_u32 s75, s75, 0
	s_wait_alu 0xfffe
	s_add_nc_u64 s[72:73], s[52:53], s[74:75]
	s_wait_alu 0xfffe
	s_mul_u64 s[72:73], s[6:7], s[72:73]
	s_wait_alu 0xfffe
	s_sub_co_u32 s52, s70, s72
	s_cselect_b32 s69, -1, 0
	s_sub_co_i32 s70, s71, s73
	s_wait_alu 0xfffe
	s_cmp_lg_u32 s69, 0
	s_sub_co_ci_u32 s70, s70, s7
	s_sub_co_u32 s72, s52, s6
	s_cselect_b32 s74, -1, 0
	s_wait_alu 0xfffe
	s_cmp_lg_u32 s74, 0
	s_sub_co_ci_u32 s75, s70, 0
	s_wait_alu 0xfffe
	s_cmp_ge_u32 s75, s7
	s_cselect_b32 s76, -1, 0
	s_cmp_ge_u32 s72, s6
	s_cselect_b32 s77, -1, 0
	s_cmp_eq_u32 s75, s7
	s_wait_alu 0xfffe
	s_cselect_b32 s76, s77, s76
	s_cmp_lg_u32 s74, 0
	s_sub_co_ci_u32 s70, s70, s7
	s_sub_co_u32 s74, s72, s6
	s_cselect_b32 s77, -1, 0
	s_wait_alu 0xfffe
	s_cmp_lg_u32 s77, 0
	s_sub_co_ci_u32 s70, s70, 0
	s_cmp_lg_u32 s76, 0
	s_cselect_b32 s72, s74, s72
	s_wait_alu 0xfffe
	s_cselect_b32 s70, s70, s75
	s_cmp_lg_u32 s69, 0
	s_sub_co_ci_u32 s69, s71, s73
	s_wait_alu 0xfffe
	s_cmp_ge_u32 s69, s7
	s_cselect_b32 s71, -1, 0
	s_cmp_ge_u32 s52, s6
	s_cselect_b32 s6, -1, 0
	s_cmp_eq_u32 s69, s7
	s_wait_alu 0xfffe
	s_cselect_b32 s6, s6, s71
	s_wait_alu 0xfffe
	s_cmp_lg_u32 s6, 0
	s_cselect_b32 s7, s70, s69
	s_cselect_b32 s6, s72, s52
	s_wait_alu 0xfffe
	s_xor_b64 s[6:7], s[6:7], s[14:15]
	s_wait_alu 0xfffe
	s_sub_nc_u64 s[6:7], s[6:7], s[14:15]
	s_cbranch_execnz .LBB7_201
.LBB7_200:                              ;   in Loop: Header=BB7_32 Depth=1
	v_cvt_f32_u32_e32 v6, s50
	s_sub_co_i32 s7, 0, s50
	s_delay_alu instid0(VALU_DEP_1) | instskip(NEXT) | instid1(TRANS32_DEP_1)
	v_rcp_iflag_f32_e32 v6, v6
	v_mul_f32_e32 v6, 0x4f7ffffe, v6
	s_delay_alu instid0(VALU_DEP_1) | instskip(NEXT) | instid1(VALU_DEP_1)
	v_cvt_u32_f32_e32 v6, v6
	v_readfirstlane_b32 s6, v6
	s_wait_alu 0xfffe
	s_mul_i32 s7, s7, s6
	s_wait_alu 0xfffe
	s_mul_hi_u32 s7, s6, s7
	s_wait_alu 0xfffe
	s_add_co_i32 s6, s6, s7
	s_wait_alu 0xfffe
	s_mul_hi_u32 s6, s60, s6
	s_wait_alu 0xfffe
	s_mul_i32 s6, s6, s50
	s_wait_alu 0xfffe
	s_sub_co_i32 s6, s60, s6
	s_wait_alu 0xfffe
	s_sub_co_i32 s7, s6, s50
	s_cmp_ge_u32 s6, s50
	s_wait_alu 0xfffe
	s_cselect_b32 s6, s7, s6
	s_wait_alu 0xfffe
	s_sub_co_i32 s7, s6, s50
	s_cmp_ge_u32 s6, s50
	s_wait_alu 0xfffe
	s_cselect_b32 s52, s7, s6
	s_wait_alu 0xfffe
	s_mov_b64 s[6:7], s[52:53]
.LBB7_201:                              ;   in Loop: Header=BB7_32 Depth=1
	s_wait_alu 0xfffe
	s_sub_nc_u64 s[14:15], s[60:61], s[6:7]
	s_mov_b32 s7, 0
	s_mov_b32 s69, 0
	s_mov_b32 s52, exec_lo
                                        ; implicit-def: $vgpr44
	s_wait_alu 0xfffe
	v_cmpx_gt_i64_e64 s[14:15], v[0:1]
	s_cbranch_execz .LBB7_212
; %bb.202:                              ;   in Loop: Header=BB7_32 Depth=1
	v_dual_mov_b32 v6, v12 :: v_dual_mov_b32 v7, v13
	v_dual_mov_b32 v9, v1 :: v_dual_mov_b32 v8, v0
                                        ; implicit-def: $sgpr70
	s_branch .LBB7_205
.LBB7_203:                              ;   in Loop: Header=BB7_205 Depth=2
	s_wait_alu 0xfffe
	s_or_b32 exec_lo, exec_lo, s6
	s_wait_loadcnt_dscnt 0x0
	s_barrier_signal -1
	s_barrier_wait -1
	global_inv scope:SCOPE_SE
	ds_load_u16 v10, v3 offset:3072
	s_mov_b32 s6, -1
	s_mov_b32 s71, -1
	s_wait_loadcnt_dscnt 0x0
	s_barrier_signal -1
	s_barrier_wait -1
	global_inv scope:SCOPE_SE
	v_and_b32_e32 v11, 0xff, v10
	s_delay_alu instid0(VALU_DEP_1)
	v_cmp_ne_u32_e32 vcc_lo, 0, v11
	s_cbranch_vccz .LBB7_208
.LBB7_204:                              ;   in Loop: Header=BB7_205 Depth=2
	s_wait_alu 0xfffe
	s_and_b32 s6, exec_lo, s6
	s_wait_alu 0xfffe
	s_or_b32 s69, s6, s69
	s_and_not1_b32 s6, s70, exec_lo
	s_and_b32 s70, s71, exec_lo
	s_wait_alu 0xfffe
	s_or_b32 s70, s6, s70
	s_and_not1_b32 exec_lo, exec_lo, s69
	s_cbranch_execz .LBB7_211
.LBB7_205:                              ;   Parent Loop BB7_32 Depth=1
                                        ; =>  This Inner Loop Header: Depth=2
	s_mov_b32 s6, exec_lo
	s_delay_alu instid0(VALU_DEP_1)
	v_cmpx_gt_i64_e64 s[36:37], v[8:9]
	s_cbranch_execz .LBB7_203
; %bb.206:                              ;   in Loop: Header=BB7_205 Depth=2
	global_load_u8 v10, v[6:7], off
	s_wait_loadcnt 0x0
	v_and_b32_e32 v11, v10, v43
	s_delay_alu instid0(VALU_DEP_1) | instskip(NEXT) | instid1(VALU_DEP_1)
	v_and_b32_e32 v11, 0xff, v11
	v_cmp_eq_u32_e32 vcc_lo, v11, v22
	s_and_b32 exec_lo, exec_lo, vcc_lo
	s_cbranch_execz .LBB7_203
; %bb.207:                              ;   in Loop: Header=BB7_205 Depth=2
	v_lshlrev_b16 v10, 8, v10
	s_delay_alu instid0(VALU_DEP_1)
	v_or_b32_e32 v10, 1, v10
	ds_store_b16 v3, v10 offset:3072
	s_branch .LBB7_203
.LBB7_208:                              ;   in Loop: Header=BB7_205 Depth=2
	v_add_co_u32 v8, vcc_lo, v8, s50
	s_wait_alu 0xfffd
	v_add_co_ci_u32_e64 v9, null, 0, v9, vcc_lo
	v_add_co_u32 v6, s6, v6, s54
	s_wait_alu 0xf1fe
	v_add_co_ci_u32_e64 v7, null, s55, v7, s6
	s_delay_alu instid0(VALU_DEP_3)
	v_cmp_le_i64_e32 vcc_lo, s[14:15], v[8:9]
	s_mov_b32 s71, 0
	s_or_not1_b32 s6, vcc_lo, exec_lo
	s_branch .LBB7_204
.LBB7_209:                              ;   in Loop: Header=BB7_32 Depth=1
                                        ; implicit-def: $sgpr6_sgpr7
	s_branch .LBB7_154
.LBB7_210:                              ;   in Loop: Header=BB7_32 Depth=1
                                        ; implicit-def: $sgpr14_sgpr15
	s_branch .LBB7_170
.LBB7_211:                              ;   in Loop: Header=BB7_32 Depth=1
	s_or_b32 exec_lo, exec_lo, s69
	v_and_b32_e32 v6, 0xffff, v10
	s_wait_alu 0xfffe
	s_and_b32 s69, s70, exec_lo
	s_delay_alu instid0(VALU_DEP_1)
	v_lshrrev_b32_e32 v44, 8, v6
.LBB7_212:                              ;   in Loop: Header=BB7_32 Depth=1
	s_or_b32 exec_lo, exec_lo, s52
.LBB7_213:                              ;   in Loop: Header=BB7_32 Depth=1
	s_delay_alu instid0(SALU_CYCLE_1)
	s_and_b32 vcc_lo, exec_lo, s7
	s_wait_alu 0xfffe
	s_cbranch_vccz .LBB7_227
; %bb.214:                              ;   in Loop: Header=BB7_32 Depth=1
	s_add_nc_u64 s[6:7], s[12:13], s[58:59]
	s_mov_b32 s14, s53
	s_wait_alu 0xfffe
	s_mov_b32 s15, s7
	s_wait_alu 0xfffe
	s_cmp_lg_u64 s[14:15], 0
	s_cbranch_scc0 .LBB7_255
; %bb.215:                              ;   in Loop: Header=BB7_32 Depth=1
	s_add_nc_u64 s[14:15], s[50:51], 0
	s_wait_alu 0xfffe
	s_xor_b64 s[14:15], s[14:15], 0
	s_wait_alu 0xfffe
	s_cvt_f32_u32 s25, s14
	s_cvt_f32_u32 s52, s15
	s_sub_nc_u64 s[72:73], 0, s[14:15]
	s_wait_alu 0xfffe
	s_delay_alu instid0(SALU_CYCLE_1) | instskip(SKIP_1) | instid1(SALU_CYCLE_2)
	s_fmamk_f32 s25, s52, 0x4f800000, s25
	s_wait_alu 0xfffe
	v_s_rcp_f32 s25, s25
	s_delay_alu instid0(TRANS32_DEP_1) | instskip(SKIP_1) | instid1(SALU_CYCLE_2)
	s_mul_f32 s25, s25, 0x5f7ffffc
	s_wait_alu 0xfffe
	s_mul_f32 s52, s25, 0x2f800000
	s_wait_alu 0xfffe
	s_delay_alu instid0(SALU_CYCLE_2) | instskip(SKIP_1) | instid1(SALU_CYCLE_2)
	s_trunc_f32 s52, s52
	s_wait_alu 0xfffe
	s_fmamk_f32 s25, s52, 0xcf800000, s25
	s_cvt_u32_f32 s71, s52
	s_wait_alu 0xfffe
	s_delay_alu instid0(SALU_CYCLE_1) | instskip(SKIP_1) | instid1(SALU_CYCLE_2)
	s_cvt_u32_f32 s70, s25
	s_wait_alu 0xfffe
	s_mul_u64 s[74:75], s[72:73], s[70:71]
	s_wait_alu 0xfffe
	s_mul_hi_u32 s77, s70, s75
	s_mul_i32 s76, s70, s75
	s_mul_hi_u32 s52, s70, s74
	s_mul_i32 s66, s71, s74
	s_wait_alu 0xfffe
	s_add_nc_u64 s[76:77], s[52:53], s[76:77]
	s_mul_hi_u32 s25, s71, s74
	s_mul_hi_u32 s78, s71, s75
	s_wait_alu 0xfffe
	s_add_co_u32 s52, s76, s66
	s_add_co_ci_u32 s52, s77, s25
	s_mul_i32 s74, s71, s75
	s_add_co_ci_u32 s75, s78, 0
	s_wait_alu 0xfffe
	s_add_nc_u64 s[74:75], s[52:53], s[74:75]
	s_wait_alu 0xfffe
	s_add_co_u32 s70, s70, s74
	s_cselect_b32 s25, -1, 0
	s_wait_alu 0xfffe
	s_cmp_lg_u32 s25, 0
	s_add_co_ci_u32 s71, s71, s75
	s_wait_alu 0xfffe
	s_mul_u64 s[72:73], s[72:73], s[70:71]
	s_wait_alu 0xfffe
	s_mul_hi_u32 s75, s70, s73
	s_mul_i32 s74, s70, s73
	s_mul_hi_u32 s52, s70, s72
	s_mul_i32 s66, s71, s72
	s_wait_alu 0xfffe
	s_add_nc_u64 s[74:75], s[52:53], s[74:75]
	s_mul_hi_u32 s25, s71, s72
	s_mul_hi_u32 s76, s71, s73
	s_wait_alu 0xfffe
	s_add_co_u32 s52, s74, s66
	s_add_co_ci_u32 s52, s75, s25
	s_mul_i32 s72, s71, s73
	s_add_co_ci_u32 s73, s76, 0
	s_wait_alu 0xfffe
	s_add_nc_u64 s[72:73], s[52:53], s[72:73]
	s_wait_alu 0xfffe
	s_add_co_u32 s25, s70, s72
	s_cselect_b32 s52, -1, 0
	s_wait_alu 0xfffe
	s_cmp_lg_u32 s52, 0
	s_add_co_ci_u32 s66, s71, s73
	s_ashr_i32 s70, s7, 31
	s_wait_alu 0xfffe
	s_mov_b32 s71, s70
	s_wait_alu 0xfffe
	s_add_nc_u64 s[72:73], s[6:7], s[70:71]
	s_wait_alu 0xfffe
	s_xor_b64 s[72:73], s[72:73], s[70:71]
	s_wait_alu 0xfffe
	s_mul_hi_u32 s75, s72, s66
	s_mul_i32 s74, s72, s66
	s_mul_hi_u32 s52, s72, s25
	s_mul_hi_u32 s78, s73, s25
	s_mul_i32 s25, s73, s25
	s_wait_alu 0xfffe
	s_add_nc_u64 s[74:75], s[52:53], s[74:75]
	s_mul_hi_u32 s77, s73, s66
	s_wait_alu 0xfffe
	s_add_co_u32 s25, s74, s25
	s_add_co_ci_u32 s52, s75, s78
	s_mul_i32 s76, s73, s66
	s_add_co_ci_u32 s77, s77, 0
	s_wait_alu 0xfffe
	s_add_nc_u64 s[74:75], s[52:53], s[76:77]
	s_wait_alu 0xfffe
	s_mul_u64 s[74:75], s[14:15], s[74:75]
	s_wait_alu 0xfffe
	s_sub_co_u32 s25, s72, s74
	s_cselect_b32 s52, -1, 0
	s_sub_co_i32 s66, s73, s75
	s_wait_alu 0xfffe
	s_cmp_lg_u32 s52, 0
	s_sub_co_ci_u32 s66, s66, s15
	s_sub_co_u32 s72, s25, s14
	s_cselect_b32 s74, -1, 0
	s_wait_alu 0xfffe
	s_cmp_lg_u32 s74, 0
	s_sub_co_ci_u32 s76, s66, 0
	s_wait_alu 0xfffe
	s_cmp_ge_u32 s76, s15
	s_cselect_b32 s77, -1, 0
	s_cmp_ge_u32 s72, s14
	s_cselect_b32 s78, -1, 0
	s_cmp_eq_u32 s76, s15
	s_wait_alu 0xfffe
	s_cselect_b32 s77, s78, s77
	s_cmp_lg_u32 s74, 0
	s_sub_co_ci_u32 s66, s66, s15
	s_sub_co_u32 s74, s72, s14
	s_cselect_b32 s78, -1, 0
	s_wait_alu 0xfffe
	s_cmp_lg_u32 s78, 0
	s_sub_co_ci_u32 s66, s66, 0
	s_cmp_lg_u32 s77, 0
	s_cselect_b32 s72, s74, s72
	s_wait_alu 0xfffe
	s_cselect_b32 s66, s66, s76
	s_cmp_lg_u32 s52, 0
	s_sub_co_ci_u32 s52, s73, s75
	s_wait_alu 0xfffe
	s_cmp_ge_u32 s52, s15
	s_cselect_b32 s73, -1, 0
	s_cmp_ge_u32 s25, s14
	s_cselect_b32 s14, -1, 0
	s_cmp_eq_u32 s52, s15
	s_wait_alu 0xfffe
	s_cselect_b32 s14, s14, s73
	s_wait_alu 0xfffe
	s_cmp_lg_u32 s14, 0
	s_cselect_b32 s15, s66, s52
	s_cselect_b32 s14, s72, s25
	s_wait_alu 0xfffe
	s_xor_b64 s[14:15], s[14:15], s[70:71]
	s_wait_alu 0xfffe
	s_sub_nc_u64 s[14:15], s[14:15], s[70:71]
	s_cbranch_execnz .LBB7_217
.LBB7_216:                              ;   in Loop: Header=BB7_32 Depth=1
	v_cvt_f32_u32_e32 v6, s50
	s_sub_co_i32 s15, 0, s50
	s_delay_alu instid0(VALU_DEP_1) | instskip(NEXT) | instid1(TRANS32_DEP_1)
	v_rcp_iflag_f32_e32 v6, v6
	v_mul_f32_e32 v6, 0x4f7ffffe, v6
	s_delay_alu instid0(VALU_DEP_1) | instskip(NEXT) | instid1(VALU_DEP_1)
	v_cvt_u32_f32_e32 v6, v6
	v_readfirstlane_b32 s14, v6
	s_wait_alu 0xfffe
	s_mul_i32 s15, s15, s14
	s_wait_alu 0xfffe
	s_mul_hi_u32 s15, s14, s15
	s_wait_alu 0xfffe
	s_add_co_i32 s14, s14, s15
	s_wait_alu 0xfffe
	s_mul_hi_u32 s14, s6, s14
	s_wait_alu 0xfffe
	s_mul_i32 s14, s14, s50
	s_wait_alu 0xfffe
	s_sub_co_i32 s14, s6, s14
	s_wait_alu 0xfffe
	s_sub_co_i32 s15, s14, s50
	s_cmp_ge_u32 s14, s50
	s_wait_alu 0xfffe
	s_cselect_b32 s14, s15, s14
	s_wait_alu 0xfffe
	s_sub_co_i32 s15, s14, s50
	s_cmp_ge_u32 s14, s50
	s_wait_alu 0xfffe
	s_cselect_b32 s52, s15, s14
	s_wait_alu 0xfffe
	s_mov_b64 s[14:15], s[52:53]
.LBB7_217:                              ;   in Loop: Header=BB7_32 Depth=1
	s_wait_alu 0xfffe
	s_sub_nc_u64 s[6:7], s[6:7], s[14:15]
	s_mov_b32 s14, exec_lo
                                        ; implicit-def: $vgpr44
	s_wait_alu 0xfffe
	v_cmpx_gt_i64_e64 s[6:7], v[0:1]
	s_cbranch_execz .LBB7_226
; %bb.218:                              ;   in Loop: Header=BB7_32 Depth=1
	v_dual_mov_b32 v8, v0 :: v_dual_mov_b32 v7, v1
	v_mov_b32_e32 v6, v0
	s_mov_b32 s15, 0
                                        ; implicit-def: $sgpr25
	s_branch .LBB7_221
.LBB7_219:                              ;   in Loop: Header=BB7_221 Depth=2
	s_wait_alu 0xfffe
	s_or_b32 exec_lo, exec_lo, s52
	s_wait_loadcnt_dscnt 0x0
	s_barrier_signal -1
	s_barrier_wait -1
	global_inv scope:SCOPE_SE
	ds_load_u16 v9, v3 offset:3072
	s_mov_b32 s52, -1
	s_mov_b32 s66, -1
	s_wait_loadcnt_dscnt 0x0
	s_barrier_signal -1
	s_barrier_wait -1
	global_inv scope:SCOPE_SE
	v_and_b32_e32 v10, 0xff, v9
	s_delay_alu instid0(VALU_DEP_1)
	v_cmp_eq_u32_e32 vcc_lo, 0, v10
	s_cbranch_vccnz .LBB7_224
.LBB7_220:                              ;   in Loop: Header=BB7_221 Depth=2
	s_wait_alu 0xfffe
	s_and_b32 s52, exec_lo, s52
	s_wait_alu 0xfffe
	s_or_b32 s15, s52, s15
	s_and_not1_b32 s25, s25, exec_lo
	s_and_b32 s52, s66, exec_lo
	s_wait_alu 0xfffe
	s_or_b32 s25, s25, s52
	s_and_not1_b32 exec_lo, exec_lo, s15
	s_cbranch_execz .LBB7_225
.LBB7_221:                              ;   Parent Loop BB7_32 Depth=1
                                        ; =>  This Inner Loop Header: Depth=2
	s_mov_b32 s52, exec_lo
	s_delay_alu instid0(VALU_DEP_1)
	v_cmpx_gt_u64_e64 s[12:13], v[6:7]
	s_cbranch_execz .LBB7_219
; %bb.222:                              ;   in Loop: Header=BB7_221 Depth=2
	ds_load_u8 v9, v8
	s_wait_dscnt 0x0
	v_and_b32_e32 v10, v9, v43
	s_delay_alu instid0(VALU_DEP_1) | instskip(NEXT) | instid1(VALU_DEP_1)
	v_and_b32_e32 v10, 0xff, v10
	v_cmp_eq_u32_e32 vcc_lo, v10, v22
	s_and_b32 exec_lo, exec_lo, vcc_lo
	s_cbranch_execz .LBB7_219
; %bb.223:                              ;   in Loop: Header=BB7_221 Depth=2
	v_lshlrev_b16 v9, 8, v9
	s_delay_alu instid0(VALU_DEP_1)
	v_or_b32_e32 v9, 1, v9
	ds_store_b16 v3, v9 offset:3072
	s_branch .LBB7_219
.LBB7_224:                              ;   in Loop: Header=BB7_221 Depth=2
	v_add_co_u32 v6, vcc_lo, v6, s50
	s_wait_alu 0xfffd
	v_add_co_ci_u32_e64 v7, null, 0, v7, vcc_lo
	v_add_nc_u32_e32 v8, s50, v8
	s_mov_b32 s66, 0
	s_delay_alu instid0(VALU_DEP_2)
	v_cmp_le_i64_e32 vcc_lo, s[6:7], v[6:7]
	s_or_not1_b32 s52, vcc_lo, exec_lo
	s_branch .LBB7_220
.LBB7_225:                              ;   in Loop: Header=BB7_32 Depth=1
	s_or_b32 exec_lo, exec_lo, s15
	v_and_b32_e32 v6, 0xffff, v9
	s_and_not1_b32 s6, s69, exec_lo
	s_wait_alu 0xfffe
	s_and_b32 s7, s25, exec_lo
	s_wait_alu 0xfffe
	s_or_b32 s69, s6, s7
	v_lshrrev_b32_e32 v44, 8, v6
.LBB7_226:                              ;   in Loop: Header=BB7_32 Depth=1
	s_or_b32 exec_lo, exec_lo, s14
	s_mov_b32 s25, 0
	s_mov_b32 s66, -1
.LBB7_227:                              ;   in Loop: Header=BB7_32 Depth=1
	s_wait_alu 0xfffe
	s_or_not1_b32 s6, s69, exec_lo
.LBB7_228:                              ;   in Loop: Header=BB7_32 Depth=1
	s_wait_alu 0xfffe
	s_or_b32 exec_lo, exec_lo, s68
	s_mov_b32 s7, 0
	s_and_saveexec_b32 s14, s6
	s_cbranch_execz .LBB7_286
; %bb.229:                              ;   in Loop: Header=BB7_32 Depth=1
	v_mov_b32_e32 v6, 1
	v_dual_mov_b32 v7, 0 :: v_dual_mov_b32 v2, 1
	s_xor_b32 s12, s67, -1
	s_wait_alu 0xfffe
	s_and_saveexec_b32 s6, s12
	s_cbranch_execz .LBB7_238
; %bb.230:                              ;   in Loop: Header=BB7_32 Depth=1
	s_mov_b32 s7, exec_lo
	v_cmpx_ge_i64_e64 s[10:11], v[4:5]
	s_wait_alu 0xfffe
	s_xor_b32 s7, exec_lo, s7
	s_cbranch_execz .LBB7_235
; %bb.231:                              ;   in Loop: Header=BB7_32 Depth=1
	ds_load_b64 v[6:7], v3 offset:5120
	s_lshl_b32 s12, 2, s95
	v_or_b32_e32 v43, s16, v43
	s_wait_alu 0xfffe
	v_and_or_b32 v22, v22, s20, s12
	s_wait_dscnt 0x0
	v_cmp_ne_u64_e32 vcc_lo, 0, v[6:7]
	s_cbranch_vccnz .LBB7_235
; %bb.232:                              ;   in Loop: Header=BB7_32 Depth=1
	s_and_saveexec_b32 s12, s2
; %bb.233:                              ;   in Loop: Header=BB7_32 Depth=1
	v_dual_mov_b32 v6, s10 :: v_dual_mov_b32 v7, s11
	ds_store_b64 v3, v[6:7] offset:5128
; %bb.234:                              ;   in Loop: Header=BB7_32 Depth=1
	s_wait_alu 0xfffe
	s_or_b32 exec_lo, exec_lo, s12
	s_wait_loadcnt_dscnt 0x0
	s_barrier_signal -1
	s_barrier_wait -1
	global_inv scope:SCOPE_SE
.LBB7_235:                              ;   in Loop: Header=BB7_32 Depth=1
	s_wait_alu 0xfffe
	s_or_saveexec_b32 s7, s7
	v_mov_b32_e32 v2, 8
	s_mov_b32 s12, 0
	s_wait_alu 0xfffe
	s_xor_b32 exec_lo, exec_lo, s7
; %bb.236:                              ;   in Loop: Header=BB7_32 Depth=1
	v_sub_co_u32 v4, vcc_lo, v4, s10
	s_wait_alu 0xfffd
	v_subrev_co_ci_u32_e64 v5, null, s11, v5, vcc_lo
	v_mov_b32_e32 v2, 0
	s_mov_b32 s12, exec_lo
; %bb.237:                              ;   in Loop: Header=BB7_32 Depth=1
	s_or_b32 exec_lo, exec_lo, s7
	s_delay_alu instid0(VALU_DEP_2)
	v_dual_mov_b32 v7, v5 :: v_dual_mov_b32 v6, v4
	s_wait_alu 0xfffe
	s_and_b32 s7, s12, exec_lo
.LBB7_238:                              ;   in Loop: Header=BB7_32 Depth=1
	s_wait_alu 0xfffe
	s_or_b32 exec_lo, exec_lo, s6
	s_mov_b32 s6, -1
                                        ; implicit-def: $sgpr69
                                        ; implicit-def: $sgpr68
	s_and_saveexec_b32 s15, s7
	s_cbranch_execz .LBB7_285
; %bb.239:                              ;   in Loop: Header=BB7_32 Depth=1
	v_cmp_eq_u64_e32 vcc_lo, 1, v[6:7]
	s_cmp_eq_u64 s[8:9], 1
	s_mov_b32 s7, -1
	s_cselect_b32 s6, -1, 0
                                        ; implicit-def: $sgpr69
                                        ; implicit-def: $sgpr68
	s_wait_alu 0xfffe
	s_and_b32 s20, s6, vcc_lo
	s_wait_alu 0xfffe
	s_and_saveexec_b32 s67, s20
	s_cbranch_execz .LBB7_273
; %bb.240:                              ;   in Loop: Header=BB7_32 Depth=1
	ds_load_b64 v[4:5], v3 offset:5120
	s_wait_loadcnt_dscnt 0x0
	s_barrier_signal -1
	s_barrier_wait -1
	global_inv scope:SCOPE_SE
	v_readfirstlane_b32 s10, v4
	v_readfirstlane_b32 s11, v5
	s_and_saveexec_b32 s6, s3
; %bb.241:                              ;   in Loop: Header=BB7_32 Depth=1
	ds_store_b8 v0, v3 offset:3072
; %bb.242:                              ;   in Loop: Header=BB7_32 Depth=1
	s_wait_alu 0xfffe
	s_or_b32 exec_lo, exec_lo, s6
	v_cmp_gt_i64_e64 s6, s[10:11], 0
	v_or_b32_e32 v22, s16, v22
	v_or_b32_e32 v43, s16, v43
	s_mov_b32 s68, -1
	s_mov_b32 s69, 0
	s_mov_b32 s70, 0
	s_and_b32 vcc_lo, exec_lo, s6
	s_wait_loadcnt_dscnt 0x0
	s_barrier_signal -1
	s_barrier_wait -1
	global_inv scope:SCOPE_SE
                                        ; implicit-def: $vgpr44
	s_wait_alu 0xfffe
	s_cbranch_vccnz .LBB7_258
; %bb.243:                              ;   in Loop: Header=BB7_32 Depth=1
	s_mov_b32 s6, s53
	s_mov_b32 s7, s61
	s_wait_alu 0xfffe
	s_cmp_lg_u64 s[6:7], 0
	s_cbranch_scc0 .LBB7_292
; %bb.244:                              ;   in Loop: Header=BB7_32 Depth=1
	s_add_nc_u64 s[6:7], s[50:51], 0
	s_wait_alu 0xfffe
	s_xor_b64 s[6:7], s[6:7], 0
	s_wait_alu 0xfffe
	s_cvt_f32_u32 s12, s6
	s_cvt_f32_u32 s13, s7
	s_sub_nc_u64 s[70:71], 0, s[6:7]
	s_wait_alu 0xfffe
	s_delay_alu instid0(SALU_CYCLE_1) | instskip(SKIP_1) | instid1(SALU_CYCLE_2)
	s_fmamk_f32 s12, s13, 0x4f800000, s12
	s_wait_alu 0xfffe
	v_s_rcp_f32 s12, s12
	s_delay_alu instid0(TRANS32_DEP_1) | instskip(SKIP_1) | instid1(SALU_CYCLE_2)
	s_mul_f32 s12, s12, 0x5f7ffffc
	s_wait_alu 0xfffe
	s_mul_f32 s13, s12, 0x2f800000
	s_wait_alu 0xfffe
	s_delay_alu instid0(SALU_CYCLE_2) | instskip(SKIP_1) | instid1(SALU_CYCLE_2)
	s_trunc_f32 s13, s13
	s_wait_alu 0xfffe
	s_fmamk_f32 s12, s13, 0xcf800000, s12
	s_cvt_u32_f32 s13, s13
	s_wait_alu 0xfffe
	s_delay_alu instid0(SALU_CYCLE_1) | instskip(SKIP_1) | instid1(SALU_CYCLE_2)
	s_cvt_u32_f32 s12, s12
	s_wait_alu 0xfffe
	s_mul_u64 s[72:73], s[70:71], s[12:13]
	s_wait_alu 0xfffe
	s_mul_hi_u32 s75, s12, s73
	s_mul_i32 s74, s12, s73
	s_mul_hi_u32 s52, s12, s72
	s_mul_i32 s77, s13, s72
	s_wait_alu 0xfffe
	s_add_nc_u64 s[74:75], s[52:53], s[74:75]
	s_mul_hi_u32 s76, s13, s72
	s_mul_hi_u32 s78, s13, s73
	s_wait_alu 0xfffe
	s_add_co_u32 s52, s74, s77
	s_add_co_ci_u32 s52, s75, s76
	s_mul_i32 s72, s13, s73
	s_add_co_ci_u32 s73, s78, 0
	s_wait_alu 0xfffe
	s_add_nc_u64 s[72:73], s[52:53], s[72:73]
	s_wait_alu 0xfffe
	s_add_co_u32 s12, s12, s72
	s_cselect_b32 s52, -1, 0
	s_wait_alu 0xfffe
	s_cmp_lg_u32 s52, 0
	s_add_co_ci_u32 s13, s13, s73
	s_wait_alu 0xfffe
	s_mul_u64 s[70:71], s[70:71], s[12:13]
	s_wait_alu 0xfffe
	s_mul_hi_u32 s73, s12, s71
	s_mul_i32 s72, s12, s71
	s_mul_hi_u32 s52, s12, s70
	s_mul_i32 s75, s13, s70
	s_wait_alu 0xfffe
	s_add_nc_u64 s[72:73], s[52:53], s[72:73]
	s_mul_hi_u32 s74, s13, s70
	s_mul_hi_u32 s76, s13, s71
	s_wait_alu 0xfffe
	s_add_co_u32 s52, s72, s75
	s_add_co_ci_u32 s52, s73, s74
	s_mul_i32 s70, s13, s71
	s_add_co_ci_u32 s71, s76, 0
	s_wait_alu 0xfffe
	s_add_nc_u64 s[70:71], s[52:53], s[70:71]
	s_wait_alu 0xfffe
	s_add_co_u32 s74, s12, s70
	s_cselect_b32 s12, -1, 0
	s_wait_alu 0xfffe
	s_cmp_lg_u32 s12, 0
	s_add_co_ci_u32 s75, s13, s71
	s_ashr_i32 s12, s61, 31
	s_wait_alu 0xfffe
	s_mov_b32 s13, s12
	s_wait_alu 0xfffe
	s_add_nc_u64 s[70:71], s[60:61], s[12:13]
	s_wait_alu 0xfffe
	s_xor_b64 s[70:71], s[70:71], s[12:13]
	s_wait_alu 0xfffe
	s_mul_hi_u32 s73, s70, s75
	s_mul_i32 s72, s70, s75
	s_mul_hi_u32 s52, s70, s74
	s_mul_i32 s78, s71, s74
	s_wait_alu 0xfffe
	s_add_nc_u64 s[72:73], s[52:53], s[72:73]
	s_mul_hi_u32 s77, s71, s74
	s_mul_hi_u32 s76, s71, s75
	s_wait_alu 0xfffe
	s_add_co_u32 s52, s72, s78
	s_add_co_ci_u32 s52, s73, s77
	s_mul_i32 s74, s71, s75
	s_add_co_ci_u32 s75, s76, 0
	s_wait_alu 0xfffe
	s_add_nc_u64 s[72:73], s[52:53], s[74:75]
	s_wait_alu 0xfffe
	s_mul_u64 s[72:73], s[6:7], s[72:73]
	s_wait_alu 0xfffe
	s_sub_co_u32 s52, s70, s72
	s_cselect_b32 s70, -1, 0
	s_sub_co_i32 s72, s71, s73
	s_wait_alu 0xfffe
	s_cmp_lg_u32 s70, 0
	s_sub_co_ci_u32 s72, s72, s7
	s_sub_co_u32 s74, s52, s6
	s_cselect_b32 s75, -1, 0
	s_wait_alu 0xfffe
	s_cmp_lg_u32 s75, 0
	s_sub_co_ci_u32 s76, s72, 0
	s_wait_alu 0xfffe
	s_cmp_ge_u32 s76, s7
	s_cselect_b32 s77, -1, 0
	s_cmp_ge_u32 s74, s6
	s_cselect_b32 s78, -1, 0
	s_cmp_eq_u32 s76, s7
	s_wait_alu 0xfffe
	s_cselect_b32 s77, s78, s77
	s_cmp_lg_u32 s75, 0
	s_sub_co_ci_u32 s72, s72, s7
	s_sub_co_u32 s75, s74, s6
	s_cselect_b32 s78, -1, 0
	s_wait_alu 0xfffe
	s_cmp_lg_u32 s78, 0
	s_sub_co_ci_u32 s72, s72, 0
	s_cmp_lg_u32 s77, 0
	s_cselect_b32 s74, s75, s74
	s_wait_alu 0xfffe
	s_cselect_b32 s72, s72, s76
	s_cmp_lg_u32 s70, 0
	s_sub_co_ci_u32 s70, s71, s73
	s_wait_alu 0xfffe
	s_cmp_ge_u32 s70, s7
	s_cselect_b32 s71, -1, 0
	s_cmp_ge_u32 s52, s6
	s_cselect_b32 s6, -1, 0
	s_cmp_eq_u32 s70, s7
	s_wait_alu 0xfffe
	s_cselect_b32 s6, s6, s71
	s_wait_alu 0xfffe
	s_cmp_lg_u32 s6, 0
	s_cselect_b32 s7, s72, s70
	s_cselect_b32 s6, s74, s52
	s_wait_alu 0xfffe
	s_xor_b64 s[6:7], s[6:7], s[12:13]
	s_wait_alu 0xfffe
	s_sub_nc_u64 s[6:7], s[6:7], s[12:13]
	s_cbranch_execnz .LBB7_246
.LBB7_245:                              ;   in Loop: Header=BB7_32 Depth=1
	v_cvt_f32_u32_e32 v4, s50
	s_sub_co_i32 s7, 0, s50
	s_delay_alu instid0(VALU_DEP_1) | instskip(NEXT) | instid1(TRANS32_DEP_1)
	v_rcp_iflag_f32_e32 v4, v4
	v_mul_f32_e32 v4, 0x4f7ffffe, v4
	s_delay_alu instid0(VALU_DEP_1) | instskip(NEXT) | instid1(VALU_DEP_1)
	v_cvt_u32_f32_e32 v4, v4
	v_readfirstlane_b32 s6, v4
	s_wait_alu 0xfffe
	s_mul_i32 s7, s7, s6
	s_wait_alu 0xfffe
	s_mul_hi_u32 s7, s6, s7
	s_wait_alu 0xfffe
	s_add_co_i32 s6, s6, s7
	s_wait_alu 0xfffe
	s_mul_hi_u32 s6, s60, s6
	s_wait_alu 0xfffe
	s_mul_i32 s6, s6, s50
	s_wait_alu 0xfffe
	s_sub_co_i32 s6, s60, s6
	s_wait_alu 0xfffe
	s_sub_co_i32 s7, s6, s50
	s_cmp_ge_u32 s6, s50
	s_wait_alu 0xfffe
	s_cselect_b32 s6, s7, s6
	s_wait_alu 0xfffe
	s_sub_co_i32 s7, s6, s50
	s_cmp_ge_u32 s6, s50
	s_wait_alu 0xfffe
	s_cselect_b32 s52, s7, s6
	s_wait_alu 0xfffe
	s_mov_b64 s[6:7], s[52:53]
.LBB7_246:                              ;   in Loop: Header=BB7_32 Depth=1
	s_wait_alu 0xfffe
	s_sub_nc_u64 s[12:13], s[60:61], s[6:7]
	s_mov_b32 s7, 0
	s_mov_b32 s70, 0
	s_mov_b32 s52, exec_lo
                                        ; implicit-def: $vgpr44
	s_wait_alu 0xfffe
	v_cmpx_gt_i64_e64 s[12:13], v[0:1]
	s_cbranch_execz .LBB7_257
; %bb.247:                              ;   in Loop: Header=BB7_32 Depth=1
	v_dual_mov_b32 v4, v12 :: v_dual_mov_b32 v5, v13
	v_dual_mov_b32 v9, v1 :: v_dual_mov_b32 v8, v0
                                        ; implicit-def: $sgpr71
	s_branch .LBB7_250
.LBB7_248:                              ;   in Loop: Header=BB7_250 Depth=2
	s_wait_alu 0xfffe
	s_or_b32 exec_lo, exec_lo, s6
	s_wait_loadcnt_dscnt 0x0
	s_barrier_signal -1
	s_barrier_wait -1
	global_inv scope:SCOPE_SE
	ds_load_u16 v10, v3 offset:3072
	s_mov_b32 s6, -1
	s_mov_b32 s72, -1
	s_wait_loadcnt_dscnt 0x0
	s_barrier_signal -1
	s_barrier_wait -1
	global_inv scope:SCOPE_SE
	v_and_b32_e32 v11, 0xff, v10
	s_delay_alu instid0(VALU_DEP_1)
	v_cmp_ne_u32_e32 vcc_lo, 0, v11
	s_cbranch_vccz .LBB7_253
.LBB7_249:                              ;   in Loop: Header=BB7_250 Depth=2
	s_wait_alu 0xfffe
	s_and_b32 s6, exec_lo, s6
	s_wait_alu 0xfffe
	s_or_b32 s70, s6, s70
	s_and_not1_b32 s6, s71, exec_lo
	s_and_b32 s71, s72, exec_lo
	s_wait_alu 0xfffe
	s_or_b32 s71, s6, s71
	s_and_not1_b32 exec_lo, exec_lo, s70
	s_cbranch_execz .LBB7_256
.LBB7_250:                              ;   Parent Loop BB7_32 Depth=1
                                        ; =>  This Inner Loop Header: Depth=2
	s_mov_b32 s6, exec_lo
	s_delay_alu instid0(VALU_DEP_1)
	v_cmpx_gt_i64_e64 s[36:37], v[8:9]
	s_cbranch_execz .LBB7_248
; %bb.251:                              ;   in Loop: Header=BB7_250 Depth=2
	global_load_u8 v10, v[4:5], off
	s_wait_loadcnt 0x0
	v_and_b32_e32 v11, v10, v43
	s_delay_alu instid0(VALU_DEP_1) | instskip(NEXT) | instid1(VALU_DEP_1)
	v_and_b32_e32 v11, 0xff, v11
	v_cmp_eq_u32_e32 vcc_lo, v11, v22
	s_and_b32 exec_lo, exec_lo, vcc_lo
	s_cbranch_execz .LBB7_248
; %bb.252:                              ;   in Loop: Header=BB7_250 Depth=2
	v_lshlrev_b16 v10, 8, v10
	s_delay_alu instid0(VALU_DEP_1)
	v_or_b32_e32 v10, 1, v10
	ds_store_b16 v3, v10 offset:3072
	s_branch .LBB7_248
.LBB7_253:                              ;   in Loop: Header=BB7_250 Depth=2
	v_add_co_u32 v8, vcc_lo, v8, s50
	s_wait_alu 0xfffd
	v_add_co_ci_u32_e64 v9, null, 0, v9, vcc_lo
	v_add_co_u32 v4, s6, v4, s54
	s_wait_alu 0xf1fe
	v_add_co_ci_u32_e64 v5, null, s55, v5, s6
	s_delay_alu instid0(VALU_DEP_3)
	v_cmp_le_i64_e32 vcc_lo, s[12:13], v[8:9]
	s_mov_b32 s72, 0
	s_or_not1_b32 s6, vcc_lo, exec_lo
	s_branch .LBB7_249
.LBB7_254:                              ;   in Loop: Header=BB7_32 Depth=1
                                        ; implicit-def: $sgpr6_sgpr7
	s_branch .LBB7_200
.LBB7_255:                              ;   in Loop: Header=BB7_32 Depth=1
                                        ; implicit-def: $sgpr14_sgpr15
	s_branch .LBB7_216
.LBB7_256:                              ;   in Loop: Header=BB7_32 Depth=1
	s_or_b32 exec_lo, exec_lo, s70
	v_and_b32_e32 v4, 0xffff, v10
	s_wait_alu 0xfffe
	s_and_b32 s70, s71, exec_lo
	s_delay_alu instid0(VALU_DEP_1)
	v_lshrrev_b32_e32 v44, 8, v4
.LBB7_257:                              ;   in Loop: Header=BB7_32 Depth=1
	s_or_b32 exec_lo, exec_lo, s52
.LBB7_258:                              ;   in Loop: Header=BB7_32 Depth=1
	s_delay_alu instid0(SALU_CYCLE_1)
	s_and_b32 vcc_lo, exec_lo, s7
	s_wait_alu 0xfffe
	s_cbranch_vccz .LBB7_272
; %bb.259:                              ;   in Loop: Header=BB7_32 Depth=1
	s_add_nc_u64 s[6:7], s[10:11], s[58:59]
	s_mov_b32 s12, s53
	s_wait_alu 0xfffe
	s_mov_b32 s13, s7
	s_wait_alu 0xfffe
	s_cmp_lg_u64 s[12:13], 0
	s_cbranch_scc0 .LBB7_293
; %bb.260:                              ;   in Loop: Header=BB7_32 Depth=1
	s_add_nc_u64 s[12:13], s[50:51], 0
	s_wait_alu 0xfffe
	s_xor_b64 s[12:13], s[12:13], 0
	s_wait_alu 0xfffe
	s_cvt_f32_u32 s52, s12
	s_cvt_f32_u32 s68, s13
	s_sub_nc_u64 s[72:73], 0, s[12:13]
	s_wait_alu 0xfffe
	s_delay_alu instid0(SALU_CYCLE_1) | instskip(SKIP_1) | instid1(SALU_CYCLE_2)
	s_fmamk_f32 s52, s68, 0x4f800000, s52
	s_wait_alu 0xfffe
	v_s_rcp_f32 s52, s52
	s_delay_alu instid0(TRANS32_DEP_1) | instskip(SKIP_1) | instid1(SALU_CYCLE_2)
	s_mul_f32 s52, s52, 0x5f7ffffc
	s_wait_alu 0xfffe
	s_mul_f32 s68, s52, 0x2f800000
	s_wait_alu 0xfffe
	s_delay_alu instid0(SALU_CYCLE_2) | instskip(SKIP_1) | instid1(SALU_CYCLE_2)
	s_trunc_f32 s68, s68
	s_wait_alu 0xfffe
	s_fmamk_f32 s52, s68, 0xcf800000, s52
	s_cvt_u32_f32 s69, s68
	s_wait_alu 0xfffe
	s_delay_alu instid0(SALU_CYCLE_1) | instskip(SKIP_1) | instid1(SALU_CYCLE_2)
	s_cvt_u32_f32 s68, s52
	s_wait_alu 0xfffe
	s_mul_u64 s[74:75], s[72:73], s[68:69]
	s_wait_alu 0xfffe
	s_mul_hi_u32 s77, s68, s75
	s_mul_i32 s76, s68, s75
	s_mul_hi_u32 s52, s68, s74
	s_mul_i32 s78, s69, s74
	s_wait_alu 0xfffe
	s_add_nc_u64 s[76:77], s[52:53], s[76:77]
	s_mul_hi_u32 s71, s69, s74
	s_mul_hi_u32 s79, s69, s75
	s_wait_alu 0xfffe
	s_add_co_u32 s52, s76, s78
	s_add_co_ci_u32 s52, s77, s71
	s_mul_i32 s74, s69, s75
	s_add_co_ci_u32 s75, s79, 0
	s_wait_alu 0xfffe
	s_add_nc_u64 s[74:75], s[52:53], s[74:75]
	s_wait_alu 0xfffe
	s_add_co_u32 s68, s68, s74
	s_cselect_b32 s52, -1, 0
	s_wait_alu 0xfffe
	s_cmp_lg_u32 s52, 0
	s_add_co_ci_u32 s69, s69, s75
	s_wait_alu 0xfffe
	s_mul_u64 s[72:73], s[72:73], s[68:69]
	s_wait_alu 0xfffe
	s_mul_hi_u32 s75, s68, s73
	s_mul_i32 s74, s68, s73
	s_mul_hi_u32 s52, s68, s72
	s_mul_i32 s76, s69, s72
	s_wait_alu 0xfffe
	s_add_nc_u64 s[74:75], s[52:53], s[74:75]
	s_mul_hi_u32 s71, s69, s72
	s_mul_hi_u32 s77, s69, s73
	s_wait_alu 0xfffe
	s_add_co_u32 s52, s74, s76
	s_add_co_ci_u32 s52, s75, s71
	s_mul_i32 s72, s69, s73
	s_add_co_ci_u32 s73, s77, 0
	s_wait_alu 0xfffe
	s_add_nc_u64 s[72:73], s[52:53], s[72:73]
	s_wait_alu 0xfffe
	s_add_co_u32 s71, s68, s72
	s_cselect_b32 s52, -1, 0
	s_wait_alu 0xfffe
	s_cmp_lg_u32 s52, 0
	s_add_co_ci_u32 s76, s69, s73
	s_ashr_i32 s68, s7, 31
	s_wait_alu 0xfffe
	s_mov_b32 s69, s68
	s_wait_alu 0xfffe
	s_add_nc_u64 s[72:73], s[6:7], s[68:69]
	s_wait_alu 0xfffe
	s_xor_b64 s[72:73], s[72:73], s[68:69]
	s_wait_alu 0xfffe
	s_mul_hi_u32 s75, s72, s76
	s_mul_i32 s74, s72, s76
	s_mul_hi_u32 s52, s72, s71
	s_mul_hi_u32 s78, s73, s71
	s_mul_i32 s71, s73, s71
	s_wait_alu 0xfffe
	s_add_nc_u64 s[74:75], s[52:53], s[74:75]
	s_mul_hi_u32 s77, s73, s76
	s_wait_alu 0xfffe
	s_add_co_u32 s52, s74, s71
	s_add_co_ci_u32 s52, s75, s78
	s_mul_i32 s76, s73, s76
	s_add_co_ci_u32 s77, s77, 0
	s_wait_alu 0xfffe
	s_add_nc_u64 s[74:75], s[52:53], s[76:77]
	s_wait_alu 0xfffe
	s_mul_u64 s[74:75], s[12:13], s[74:75]
	s_wait_alu 0xfffe
	s_sub_co_u32 s52, s72, s74
	s_cselect_b32 s71, -1, 0
	s_sub_co_i32 s72, s73, s75
	s_wait_alu 0xfffe
	s_cmp_lg_u32 s71, 0
	s_sub_co_ci_u32 s72, s72, s13
	s_sub_co_u32 s74, s52, s12
	s_cselect_b32 s76, -1, 0
	s_wait_alu 0xfffe
	s_cmp_lg_u32 s76, 0
	s_sub_co_ci_u32 s77, s72, 0
	s_wait_alu 0xfffe
	s_cmp_ge_u32 s77, s13
	s_cselect_b32 s78, -1, 0
	s_cmp_ge_u32 s74, s12
	s_cselect_b32 s79, -1, 0
	s_cmp_eq_u32 s77, s13
	s_wait_alu 0xfffe
	s_cselect_b32 s78, s79, s78
	s_cmp_lg_u32 s76, 0
	s_sub_co_ci_u32 s72, s72, s13
	s_sub_co_u32 s76, s74, s12
	s_cselect_b32 s79, -1, 0
	s_wait_alu 0xfffe
	s_cmp_lg_u32 s79, 0
	s_sub_co_ci_u32 s72, s72, 0
	s_cmp_lg_u32 s78, 0
	s_cselect_b32 s74, s76, s74
	s_wait_alu 0xfffe
	s_cselect_b32 s72, s72, s77
	s_cmp_lg_u32 s71, 0
	s_sub_co_ci_u32 s71, s73, s75
	s_wait_alu 0xfffe
	s_cmp_ge_u32 s71, s13
	s_cselect_b32 s73, -1, 0
	s_cmp_ge_u32 s52, s12
	s_cselect_b32 s12, -1, 0
	s_cmp_eq_u32 s71, s13
	s_wait_alu 0xfffe
	s_cselect_b32 s12, s12, s73
	s_wait_alu 0xfffe
	s_cmp_lg_u32 s12, 0
	s_cselect_b32 s13, s72, s71
	s_cselect_b32 s12, s74, s52
	s_wait_alu 0xfffe
	s_xor_b64 s[12:13], s[12:13], s[68:69]
	s_wait_alu 0xfffe
	s_sub_nc_u64 s[12:13], s[12:13], s[68:69]
	s_cbranch_execnz .LBB7_262
.LBB7_261:                              ;   in Loop: Header=BB7_32 Depth=1
	v_cvt_f32_u32_e32 v4, s50
	s_sub_co_i32 s13, 0, s50
	s_delay_alu instid0(VALU_DEP_1) | instskip(NEXT) | instid1(TRANS32_DEP_1)
	v_rcp_iflag_f32_e32 v4, v4
	v_mul_f32_e32 v4, 0x4f7ffffe, v4
	s_delay_alu instid0(VALU_DEP_1) | instskip(NEXT) | instid1(VALU_DEP_1)
	v_cvt_u32_f32_e32 v4, v4
	v_readfirstlane_b32 s12, v4
	s_wait_alu 0xfffe
	s_mul_i32 s13, s13, s12
	s_wait_alu 0xfffe
	s_mul_hi_u32 s13, s12, s13
	s_wait_alu 0xfffe
	s_add_co_i32 s12, s12, s13
	s_wait_alu 0xfffe
	s_mul_hi_u32 s12, s6, s12
	s_wait_alu 0xfffe
	s_mul_i32 s12, s12, s50
	s_wait_alu 0xfffe
	s_sub_co_i32 s12, s6, s12
	s_wait_alu 0xfffe
	s_sub_co_i32 s13, s12, s50
	s_cmp_ge_u32 s12, s50
	s_wait_alu 0xfffe
	s_cselect_b32 s12, s13, s12
	s_wait_alu 0xfffe
	s_sub_co_i32 s13, s12, s50
	s_cmp_ge_u32 s12, s50
	s_wait_alu 0xfffe
	s_cselect_b32 s52, s13, s12
	s_wait_alu 0xfffe
	s_mov_b64 s[12:13], s[52:53]
.LBB7_262:                              ;   in Loop: Header=BB7_32 Depth=1
	s_wait_alu 0xfffe
	s_sub_nc_u64 s[6:7], s[6:7], s[12:13]
	s_mov_b32 s12, exec_lo
                                        ; implicit-def: $vgpr44
	s_wait_alu 0xfffe
	v_cmpx_gt_i64_e64 s[6:7], v[0:1]
	s_cbranch_execz .LBB7_271
; %bb.263:                              ;   in Loop: Header=BB7_32 Depth=1
	v_dual_mov_b32 v8, v0 :: v_dual_mov_b32 v5, v1
	v_mov_b32_e32 v4, v0
	s_mov_b32 s13, 0
                                        ; implicit-def: $sgpr52
	s_branch .LBB7_266
.LBB7_264:                              ;   in Loop: Header=BB7_266 Depth=2
	s_wait_alu 0xfffe
	s_or_b32 exec_lo, exec_lo, s68
	s_wait_loadcnt_dscnt 0x0
	s_barrier_signal -1
	s_barrier_wait -1
	global_inv scope:SCOPE_SE
	ds_load_u16 v9, v3 offset:3072
	s_mov_b32 s68, -1
	s_mov_b32 s69, -1
	s_wait_loadcnt_dscnt 0x0
	s_barrier_signal -1
	s_barrier_wait -1
	global_inv scope:SCOPE_SE
	v_and_b32_e32 v10, 0xff, v9
	s_delay_alu instid0(VALU_DEP_1)
	v_cmp_eq_u32_e32 vcc_lo, 0, v10
	s_cbranch_vccnz .LBB7_269
.LBB7_265:                              ;   in Loop: Header=BB7_266 Depth=2
	s_wait_alu 0xfffe
	s_and_b32 s68, exec_lo, s68
	s_wait_alu 0xfffe
	s_or_b32 s13, s68, s13
	s_and_not1_b32 s52, s52, exec_lo
	s_and_b32 s68, s69, exec_lo
	s_wait_alu 0xfffe
	s_or_b32 s52, s52, s68
	s_and_not1_b32 exec_lo, exec_lo, s13
	s_cbranch_execz .LBB7_270
.LBB7_266:                              ;   Parent Loop BB7_32 Depth=1
                                        ; =>  This Inner Loop Header: Depth=2
	s_mov_b32 s68, exec_lo
	s_delay_alu instid0(VALU_DEP_1)
	v_cmpx_gt_u64_e64 s[10:11], v[4:5]
	s_cbranch_execz .LBB7_264
; %bb.267:                              ;   in Loop: Header=BB7_266 Depth=2
	ds_load_u8 v9, v8
	s_wait_dscnt 0x0
	v_and_b32_e32 v10, v9, v43
	s_delay_alu instid0(VALU_DEP_1) | instskip(NEXT) | instid1(VALU_DEP_1)
	v_and_b32_e32 v10, 0xff, v10
	v_cmp_eq_u32_e32 vcc_lo, v10, v22
	s_and_b32 exec_lo, exec_lo, vcc_lo
	s_cbranch_execz .LBB7_264
; %bb.268:                              ;   in Loop: Header=BB7_266 Depth=2
	v_lshlrev_b16 v9, 8, v9
	s_delay_alu instid0(VALU_DEP_1)
	v_or_b32_e32 v9, 1, v9
	ds_store_b16 v3, v9 offset:3072
	s_branch .LBB7_264
.LBB7_269:                              ;   in Loop: Header=BB7_266 Depth=2
	v_add_co_u32 v4, vcc_lo, v4, s50
	s_wait_alu 0xfffd
	v_add_co_ci_u32_e64 v5, null, 0, v5, vcc_lo
	v_add_nc_u32_e32 v8, s50, v8
	s_mov_b32 s69, 0
	s_delay_alu instid0(VALU_DEP_2)
	v_cmp_le_i64_e32 vcc_lo, s[6:7], v[4:5]
	s_or_not1_b32 s68, vcc_lo, exec_lo
	s_branch .LBB7_265
.LBB7_270:                              ;   in Loop: Header=BB7_32 Depth=1
	s_or_b32 exec_lo, exec_lo, s13
	v_and_b32_e32 v4, 0xffff, v9
	s_and_not1_b32 s6, s70, exec_lo
	s_wait_alu 0xfffe
	s_and_b32 s7, s52, exec_lo
	s_wait_alu 0xfffe
	s_or_b32 s70, s6, s7
	v_lshrrev_b32_e32 v44, 8, v4
.LBB7_271:                              ;   in Loop: Header=BB7_32 Depth=1
	s_or_b32 exec_lo, exec_lo, s12
	s_mov_b32 s68, 0
	s_mov_b32 s69, -1
.LBB7_272:                              ;   in Loop: Header=BB7_32 Depth=1
	s_wait_alu 0xfffe
	s_or_not1_b32 s7, s70, exec_lo
.LBB7_273:                              ;   in Loop: Header=BB7_32 Depth=1
	s_wait_alu 0xfffe
	s_or_b32 exec_lo, exec_lo, s67
	s_mov_b32 s10, 0
	s_and_saveexec_b32 s6, s7
	s_cbranch_execz .LBB7_284
; %bb.274:                              ;   in Loop: Header=BB7_32 Depth=1
	v_mov_b32_e32 v4, 1
	v_dual_mov_b32 v5, 0 :: v_dual_mov_b32 v2, 1
	s_xor_b32 s10, s20, -1
	s_wait_alu 0xfffe
	s_and_saveexec_b32 s7, s10
	s_cbranch_execz .LBB7_283
; %bb.275:                              ;   in Loop: Header=BB7_32 Depth=1
	s_mov_b32 s10, exec_lo
	v_cmpx_ge_i64_e64 s[8:9], v[6:7]
	s_wait_alu 0xfffe
	s_xor_b32 s10, exec_lo, s10
	s_cbranch_execz .LBB7_280
; %bb.276:                              ;   in Loop: Header=BB7_32 Depth=1
	ds_load_b64 v[4:5], v3 offset:5120
	v_or_b32_e32 v22, s16, v22
	v_or_b32_e32 v43, s16, v43
	s_wait_dscnt 0x0
	v_cmp_ne_u64_e32 vcc_lo, 0, v[4:5]
	s_cbranch_vccnz .LBB7_280
; %bb.277:                              ;   in Loop: Header=BB7_32 Depth=1
	s_and_saveexec_b32 s11, s2
; %bb.278:                              ;   in Loop: Header=BB7_32 Depth=1
	v_dual_mov_b32 v4, s8 :: v_dual_mov_b32 v5, s9
	ds_store_b64 v3, v[4:5] offset:5128
; %bb.279:                              ;   in Loop: Header=BB7_32 Depth=1
	s_wait_alu 0xfffe
	s_or_b32 exec_lo, exec_lo, s11
	s_wait_loadcnt_dscnt 0x0
	s_barrier_signal -1
	s_barrier_wait -1
	global_inv scope:SCOPE_SE
.LBB7_280:                              ;   in Loop: Header=BB7_32 Depth=1
	s_wait_alu 0xfffe
	s_and_not1_saveexec_b32 s10, s10
; %bb.281:                              ;   in Loop: Header=BB7_32 Depth=1
	v_sub_co_u32 v6, vcc_lo, v6, s8
	s_wait_alu 0xfffd
	v_subrev_co_ci_u32_e64 v7, null, s9, v7, vcc_lo
; %bb.282:                              ;   in Loop: Header=BB7_32 Depth=1
	s_wait_alu 0xfffe
	s_or_b32 exec_lo, exec_lo, s10
	v_mov_b32_e32 v4, v6
	s_delay_alu instid0(VALU_DEP_2)
	v_dual_mov_b32 v2, 8 :: v_dual_mov_b32 v5, v7
.LBB7_283:                              ;   in Loop: Header=BB7_32 Depth=1
	s_wait_alu 0xfffe
	s_or_b32 exec_lo, exec_lo, s7
	s_delay_alu instid0(VALU_DEP_1)
	v_dual_mov_b32 v7, v5 :: v_dual_mov_b32 v6, v4
	s_mov_b32 s10, exec_lo
.LBB7_284:                              ;   in Loop: Header=BB7_32 Depth=1
	s_wait_alu 0xfffe
	s_or_b32 exec_lo, exec_lo, s6
	s_delay_alu instid0(SALU_CYCLE_1)
	s_or_not1_b32 s6, s10, exec_lo
.LBB7_285:                              ;   in Loop: Header=BB7_32 Depth=1
	s_wait_alu 0xfffe
	s_or_b32 exec_lo, exec_lo, s15
	v_dual_mov_b32 v4, v6 :: v_dual_mov_b32 v5, v7
	s_and_not1_b32 s7, s66, exec_lo
	s_and_b32 s8, s69, exec_lo
	s_and_not1_b32 s9, s25, exec_lo
	s_and_b32 s10, s68, exec_lo
	s_wait_alu 0xfffe
	s_or_b32 s66, s7, s8
	s_or_b32 s25, s9, s10
	s_and_b32 s7, s6, exec_lo
.LBB7_286:                              ;   in Loop: Header=BB7_32 Depth=1
	s_wait_alu 0xfffe
	s_or_b32 exec_lo, exec_lo, s14
	s_delay_alu instid0(SALU_CYCLE_1)
	s_or_not1_b32 s6, s7, exec_lo
.LBB7_287:                              ;   in Loop: Header=BB7_32 Depth=1
	s_wait_alu 0xfffe
	s_or_b32 exec_lo, exec_lo, s24
	v_dual_mov_b32 v9, v5 :: v_dual_mov_b32 v8, v4
	s_and_not1_b32 s7, s22, exec_lo
	s_and_b32 s8, s66, exec_lo
	s_and_not1_b32 s9, s21, exec_lo
	s_and_b32 s10, s25, exec_lo
	s_wait_alu 0xfffe
	s_or_b32 s22, s7, s8
	s_or_b32 s21, s9, s10
	s_and_b32 s7, s6, exec_lo
.LBB7_288:                              ;   in Loop: Header=BB7_32 Depth=1
	s_or_b32 exec_lo, exec_lo, s23
	s_wait_alu 0xfffe
	s_or_not1_b32 s6, s7, exec_lo
.LBB7_289:                              ;   in Loop: Header=BB7_32 Depth=1
	s_or_b32 exec_lo, exec_lo, s19
	s_mov_b32 s7, 0
	s_wait_alu 0xfffe
	s_and_saveexec_b32 s8, s6
	s_wait_alu 0xfffe
	s_xor_b32 s6, exec_lo, s8
	s_cbranch_execz .LBB7_30
; %bb.290:                              ;   in Loop: Header=BB7_32 Depth=1
	v_and_b32_e32 v2, 7, v2
	s_mov_b32 s8, -1
	s_mov_b32 s7, -1
	s_mov_b32 s9, exec_lo
	s_delay_alu instid0(VALU_DEP_1)
	v_cmpx_eq_u32_e32 0, v2
	s_cbranch_execz .LBB7_29
; %bb.291:                              ;   in Loop: Header=BB7_32 Depth=1
	s_xor_b32 s98, s98, 1
	s_add_co_i32 s10, s95, -2
	s_cmp_eq_u32 s95, 0
	s_wait_alu 0xfffe
	s_mov_b32 s95, s10
	s_cselect_b32 s8, -1, 0
	s_xor_b32 s7, exec_lo, -1
	s_wait_alu 0xfffe
	s_or_not1_b32 s8, s8, exec_lo
	s_branch .LBB7_29
.LBB7_292:                              ;   in Loop: Header=BB7_32 Depth=1
                                        ; implicit-def: $sgpr6_sgpr7
	s_branch .LBB7_245
.LBB7_293:                              ;   in Loop: Header=BB7_32 Depth=1
                                        ; implicit-def: $sgpr12_sgpr13
	s_branch .LBB7_261
.LBB7_294:
	s_or_b32 exec_lo, exec_lo, s97
	s_xor_b32 s5, s104, -1
	s_xor_b32 s1, s102, -1
	;; [unrolled: 1-line block ×3, first 2 shown]
	s_mov_b32 s3, 0
	s_and_saveexec_b32 s6, s1
	s_wait_alu 0xfffe
	s_xor_b32 s1, exec_lo, s6
	s_cbranch_execnz .LBB7_299
; %bb.295:
	s_and_not1_saveexec_b32 s0, s1
	s_cbranch_execnz .LBB7_321
.LBB7_296:
	s_wait_alu 0xfffe
	s_or_b32 exec_lo, exec_lo, s0
	s_and_saveexec_b32 s0, s3
.LBB7_297:
	; divergent unreachable
.LBB7_298:
	s_endpgm
.LBB7_299:
	s_and_saveexec_b32 s3, s5
	s_wait_alu 0xfffe
	s_xor_b32 s3, exec_lo, s3
	s_cbranch_execz .LBB7_319
; %bb.300:
	s_and_saveexec_b32 s5, s4
	s_wait_alu 0xfffe
	s_xor_b32 s4, exec_lo, s5
; %bb.301:
	v_mov_b32_e32 v44, v22
; %bb.302:
	s_wait_alu 0xfffe
	s_or_b32 exec_lo, exec_lo, s4
	s_and_saveexec_b32 s4, s2
; %bb.303:
	v_dual_mov_b32 v2, 0 :: v_dual_mov_b32 v3, s36
	ds_store_b32 v2, v3 offset:5140
; %bb.304:
	s_wait_alu 0xfffe
	s_or_b32 exec_lo, exec_lo, s4
	s_wait_loadcnt_dscnt 0x0
	s_barrier_signal -1
	s_barrier_wait -1
	global_inv scope:SCOPE_SE
	s_and_saveexec_b32 s4, s0
	s_cbranch_execz .LBB7_316
; %bb.305:
	v_mov_b32_e32 v2, 0
	v_and_b32_e32 v6, 0xff, v44
	s_mov_b32 s5, 0
                                        ; implicit-def: $sgpr6
                                        ; implicit-def: $sgpr7
                                        ; implicit-def: $sgpr8
	ds_load_b32 v4, v2 offset:5140
	s_wait_dscnt 0x0
	v_ashrrev_i32_e32 v5, 31, v4
	s_branch .LBB7_308
.LBB7_306:                              ;   in Loop: Header=BB7_308 Depth=1
	s_wait_alu 0xfffe
	s_or_b32 exec_lo, exec_lo, s11
	s_delay_alu instid0(SALU_CYCLE_1)
	s_and_not1_b32 s8, s8, exec_lo
	s_and_b32 s10, s10, exec_lo
	s_and_not1_b32 s7, s7, exec_lo
	s_and_b32 s0, s0, exec_lo
	s_wait_alu 0xfffe
	s_or_b32 s8, s8, s10
	s_or_b32 s7, s7, s0
.LBB7_307:                              ;   in Loop: Header=BB7_308 Depth=1
	s_wait_alu 0xfffe
	s_or_b32 exec_lo, exec_lo, s9
	s_delay_alu instid0(SALU_CYCLE_1)
	s_and_b32 s0, exec_lo, s7
	s_wait_alu 0xfffe
	s_or_b32 s5, s0, s5
	s_and_not1_b32 s0, s6, exec_lo
	s_and_b32 s6, s8, exec_lo
	s_wait_alu 0xfffe
	s_or_b32 s6, s0, s6
	s_and_not1_b32 exec_lo, exec_lo, s5
	s_cbranch_execz .LBB7_311
.LBB7_308:                              ; =>This Inner Loop Header: Depth=1
	v_dual_mov_b32 v3, v1 :: v_dual_mov_b32 v2, v0
	s_or_b32 s8, s8, exec_lo
	s_or_b32 s7, s7, exec_lo
	s_mov_b32 s9, exec_lo
                                        ; implicit-def: $vgpr0_vgpr1
	s_delay_alu instid0(VALU_DEP_1)
	v_cmpx_lt_i64_e64 v[2:3], v[4:5]
	s_cbranch_execz .LBB7_307
; %bb.309:                              ;   in Loop: Header=BB7_308 Depth=1
	global_load_u8 v0, v[12:13], off
	s_mov_b32 s0, -1
	s_mov_b32 s10, 0
	s_wait_loadcnt 0x0
	v_cmp_ne_u16_e32 vcc_lo, v0, v6
                                        ; implicit-def: $vgpr0_vgpr1
	s_and_saveexec_b32 s11, vcc_lo
	s_cbranch_execz .LBB7_306
; %bb.310:                              ;   in Loop: Header=BB7_308 Depth=1
	v_add_co_u32 v0, vcc_lo, v2, s50
	s_wait_alu 0xfffd
	v_add_co_ci_u32_e64 v1, null, 0, v3, vcc_lo
	v_add_co_u32 v12, s0, v12, s54
	s_wait_alu 0xf1fe
	v_add_co_ci_u32_e64 v13, null, s55, v13, s0
	s_delay_alu instid0(VALU_DEP_3)
	v_cmp_le_i64_e32 vcc_lo, s[36:37], v[0:1]
	s_mov_b32 s10, exec_lo
	s_or_not1_b32 s0, vcc_lo, exec_lo
	s_branch .LBB7_306
.LBB7_311:
	s_or_b32 exec_lo, exec_lo, s5
	s_wait_alu 0xfffe
	s_xor_b32 s0, s6, -1
	s_wait_alu 0xfffe
	s_and_saveexec_b32 s5, s0
	s_wait_alu 0xfffe
	s_xor_b32 s5, exec_lo, s5
	s_cbranch_execz .LBB7_316
; %bb.312:
	s_mov_b32 s5, exec_lo
	s_brev_b32 s0, -2
.LBB7_313:                              ; =>This Inner Loop Header: Depth=1
	s_wait_alu 0xfffe
	s_ctz_i32_b32 s6, s5
	s_wait_alu 0xfffe
	v_readlane_b32 s7, v2, s6
	s_lshl_b32 s6, 1, s6
	s_wait_alu 0xfffe
	s_and_not1_b32 s5, s5, s6
	s_min_i32 s0, s0, s7
	s_wait_alu 0xfffe
	s_cmp_lg_u32 s5, 0
	s_cbranch_scc1 .LBB7_313
; %bb.314:
	v_mbcnt_lo_u32_b32 v0, exec_lo, 0
	s_mov_b32 s5, exec_lo
	s_delay_alu instid0(VALU_DEP_1)
	v_cmpx_eq_u32_e32 0, v0
	s_wait_alu 0xfffe
	s_xor_b32 s5, exec_lo, s5
; %bb.315:
	v_dual_mov_b32 v0, 0 :: v_dual_mov_b32 v1, s0
	ds_min_i32 v0, v1 offset:5140
.LBB7_316:
	s_wait_alu 0xfffe
	s_or_b32 exec_lo, exec_lo, s4
	s_wait_loadcnt_dscnt 0x0
	s_barrier_signal -1
	s_barrier_wait -1
	global_inv scope:SCOPE_SE
	s_and_saveexec_b32 s0, s2
	s_cbranch_execz .LBB7_318
; %bb.317:
	v_mov_b32_e32 v2, 0
	s_mul_u64 s[6:7], s[48:49], s[34:35]
	s_mul_u64 s[4:5], s[40:41], s[28:29]
	s_wait_alu 0xfffe
	s_lshl_b64 s[6:7], s[6:7], 3
	s_lshl_b64 s[8:9], s[30:31], 3
	ds_load_b32 v0, v2 offset:5140
	s_wait_alu 0xfffe
	s_add_nc_u64 s[6:7], s[46:47], s[6:7]
	s_add_nc_u64 s[4:5], s[44:45], s[4:5]
	s_wait_alu 0xfffe
	s_add_nc_u64 s[6:7], s[6:7], s[8:9]
	s_add_nc_u64 s[4:5], s[4:5], s[26:27]
	s_wait_dscnt 0x0
	v_ashrrev_i32_e32 v1, 31, v0
	s_clause 0x1
	global_store_b64 v2, v[0:1], s[6:7]
	global_store_b8 v2, v44, s[4:5]
.LBB7_318:
	s_wait_alu 0xfffe
	s_or_b32 exec_lo, exec_lo, s0
.LBB7_319:
	s_wait_alu 0xfffe
	s_or_saveexec_b32 s0, s3
	s_mov_b32 s2, 0
	s_wait_alu 0xfffe
	s_xor_b32 exec_lo, exec_lo, s0
	s_cbranch_execnz .LBB7_322
.LBB7_320:
	s_or_b32 exec_lo, exec_lo, s0
	s_wait_alu 0xfffe
	s_and_b32 s3, s2, exec_lo
	s_and_not1_saveexec_b32 s0, s1
	s_cbranch_execz .LBB7_296
.LBB7_321:
	s_wait_alu 0xfffe
	s_or_b32 s3, s3, exec_lo
	s_trap 2
	s_or_b32 exec_lo, exec_lo, s0
	s_wait_alu 0xfffe
	s_and_saveexec_b32 s0, s3
	s_cbranch_execnz .LBB7_297
	s_branch .LBB7_298
.LBB7_322:
	s_mov_b32 s2, exec_lo
	s_trap 2
	s_branch .LBB7_320
	.section	.rodata,"a",@progbits
	.p2align	6, 0x0
	.amdhsa_kernel _ZN2at6native12_GLOBAL__N_114gatherKthValueIhlLin1EEEvNS_4cuda6detail10TensorInfoIKT_T0_EES8_S8_S8_S8_NS5_IS6_S8_EENS5_IlS8_EE
		.amdhsa_group_segment_fixed_size 5144
		.amdhsa_private_segment_fixed_size 0
		.amdhsa_kernarg_size 1536
		.amdhsa_user_sgpr_count 2
		.amdhsa_user_sgpr_dispatch_ptr 0
		.amdhsa_user_sgpr_queue_ptr 0
		.amdhsa_user_sgpr_kernarg_segment_ptr 1
		.amdhsa_user_sgpr_dispatch_id 0
		.amdhsa_user_sgpr_private_segment_size 0
		.amdhsa_wavefront_size32 1
		.amdhsa_uses_dynamic_stack 0
		.amdhsa_enable_private_segment 0
		.amdhsa_system_sgpr_workgroup_id_x 1
		.amdhsa_system_sgpr_workgroup_id_y 1
		.amdhsa_system_sgpr_workgroup_id_z 1
		.amdhsa_system_sgpr_workgroup_info 0
		.amdhsa_system_vgpr_workitem_id 0
		.amdhsa_next_free_vgpr 61
		.amdhsa_next_free_sgpr 105
		.amdhsa_reserve_vcc 1
		.amdhsa_float_round_mode_32 0
		.amdhsa_float_round_mode_16_64 0
		.amdhsa_float_denorm_mode_32 3
		.amdhsa_float_denorm_mode_16_64 3
		.amdhsa_fp16_overflow 0
		.amdhsa_workgroup_processor_mode 1
		.amdhsa_memory_ordered 1
		.amdhsa_forward_progress 1
		.amdhsa_inst_pref_size 173
		.amdhsa_round_robin_scheduling 0
		.amdhsa_exception_fp_ieee_invalid_op 0
		.amdhsa_exception_fp_denorm_src 0
		.amdhsa_exception_fp_ieee_div_zero 0
		.amdhsa_exception_fp_ieee_overflow 0
		.amdhsa_exception_fp_ieee_underflow 0
		.amdhsa_exception_fp_ieee_inexact 0
		.amdhsa_exception_int_div_zero 0
	.end_amdhsa_kernel
	.section	.text._ZN2at6native12_GLOBAL__N_114gatherKthValueIhlLin1EEEvNS_4cuda6detail10TensorInfoIKT_T0_EES8_S8_S8_S8_NS5_IS6_S8_EENS5_IlS8_EE,"axG",@progbits,_ZN2at6native12_GLOBAL__N_114gatherKthValueIhlLin1EEEvNS_4cuda6detail10TensorInfoIKT_T0_EES8_S8_S8_S8_NS5_IS6_S8_EENS5_IlS8_EE,comdat
.Lfunc_end7:
	.size	_ZN2at6native12_GLOBAL__N_114gatherKthValueIhlLin1EEEvNS_4cuda6detail10TensorInfoIKT_T0_EES8_S8_S8_S8_NS5_IS6_S8_EENS5_IlS8_EE, .Lfunc_end7-_ZN2at6native12_GLOBAL__N_114gatherKthValueIhlLin1EEEvNS_4cuda6detail10TensorInfoIKT_T0_EES8_S8_S8_S8_NS5_IS6_S8_EENS5_IlS8_EE
                                        ; -- End function
	.set _ZN2at6native12_GLOBAL__N_114gatherKthValueIhlLin1EEEvNS_4cuda6detail10TensorInfoIKT_T0_EES8_S8_S8_S8_NS5_IS6_S8_EENS5_IlS8_EE.num_vgpr, 61
	.set _ZN2at6native12_GLOBAL__N_114gatherKthValueIhlLin1EEEvNS_4cuda6detail10TensorInfoIKT_T0_EES8_S8_S8_S8_NS5_IS6_S8_EENS5_IlS8_EE.num_agpr, 0
	.set _ZN2at6native12_GLOBAL__N_114gatherKthValueIhlLin1EEEvNS_4cuda6detail10TensorInfoIKT_T0_EES8_S8_S8_S8_NS5_IS6_S8_EENS5_IlS8_EE.numbered_sgpr, 105
	.set _ZN2at6native12_GLOBAL__N_114gatherKthValueIhlLin1EEEvNS_4cuda6detail10TensorInfoIKT_T0_EES8_S8_S8_S8_NS5_IS6_S8_EENS5_IlS8_EE.num_named_barrier, 0
	.set _ZN2at6native12_GLOBAL__N_114gatherKthValueIhlLin1EEEvNS_4cuda6detail10TensorInfoIKT_T0_EES8_S8_S8_S8_NS5_IS6_S8_EENS5_IlS8_EE.private_seg_size, 0
	.set _ZN2at6native12_GLOBAL__N_114gatherKthValueIhlLin1EEEvNS_4cuda6detail10TensorInfoIKT_T0_EES8_S8_S8_S8_NS5_IS6_S8_EENS5_IlS8_EE.uses_vcc, 1
	.set _ZN2at6native12_GLOBAL__N_114gatherKthValueIhlLin1EEEvNS_4cuda6detail10TensorInfoIKT_T0_EES8_S8_S8_S8_NS5_IS6_S8_EENS5_IlS8_EE.uses_flat_scratch, 0
	.set _ZN2at6native12_GLOBAL__N_114gatherKthValueIhlLin1EEEvNS_4cuda6detail10TensorInfoIKT_T0_EES8_S8_S8_S8_NS5_IS6_S8_EENS5_IlS8_EE.has_dyn_sized_stack, 0
	.set _ZN2at6native12_GLOBAL__N_114gatherKthValueIhlLin1EEEvNS_4cuda6detail10TensorInfoIKT_T0_EES8_S8_S8_S8_NS5_IS6_S8_EENS5_IlS8_EE.has_recursion, 0
	.set _ZN2at6native12_GLOBAL__N_114gatherKthValueIhlLin1EEEvNS_4cuda6detail10TensorInfoIKT_T0_EES8_S8_S8_S8_NS5_IS6_S8_EENS5_IlS8_EE.has_indirect_call, 0
	.section	.AMDGPU.csdata,"",@progbits
; Kernel info:
; codeLenInByte = 22076
; TotalNumSgprs: 107
; NumVgprs: 61
; ScratchSize: 0
; MemoryBound: 0
; FloatMode: 240
; IeeeMode: 1
; LDSByteSize: 5144 bytes/workgroup (compile time only)
; SGPRBlocks: 0
; VGPRBlocks: 7
; NumSGPRsForWavesPerEU: 107
; NumVGPRsForWavesPerEU: 61
; Occupancy: 16
; WaveLimiterHint : 1
; COMPUTE_PGM_RSRC2:SCRATCH_EN: 0
; COMPUTE_PGM_RSRC2:USER_SGPR: 2
; COMPUTE_PGM_RSRC2:TRAP_HANDLER: 0
; COMPUTE_PGM_RSRC2:TGID_X_EN: 1
; COMPUTE_PGM_RSRC2:TGID_Y_EN: 1
; COMPUTE_PGM_RSRC2:TGID_Z_EN: 1
; COMPUTE_PGM_RSRC2:TIDIG_COMP_CNT: 0
	.section	.text._ZN2at6native12_GLOBAL__N_114gatherKthValueIaiLi1EEEvNS_4cuda6detail10TensorInfoIKT_T0_EES8_S8_S8_S8_NS5_IS6_S8_EENS5_IlS8_EE,"axG",@progbits,_ZN2at6native12_GLOBAL__N_114gatherKthValueIaiLi1EEEvNS_4cuda6detail10TensorInfoIKT_T0_EES8_S8_S8_S8_NS5_IS6_S8_EENS5_IlS8_EE,comdat
	.globl	_ZN2at6native12_GLOBAL__N_114gatherKthValueIaiLi1EEEvNS_4cuda6detail10TensorInfoIKT_T0_EES8_S8_S8_S8_NS5_IS6_S8_EENS5_IlS8_EE ; -- Begin function _ZN2at6native12_GLOBAL__N_114gatherKthValueIaiLi1EEEvNS_4cuda6detail10TensorInfoIKT_T0_EES8_S8_S8_S8_NS5_IS6_S8_EENS5_IlS8_EE
	.p2align	8
	.type	_ZN2at6native12_GLOBAL__N_114gatherKthValueIaiLi1EEEvNS_4cuda6detail10TensorInfoIKT_T0_EES8_S8_S8_S8_NS5_IS6_S8_EENS5_IlS8_EE,@function
_ZN2at6native12_GLOBAL__N_114gatherKthValueIaiLi1EEEvNS_4cuda6detail10TensorInfoIKT_T0_EES8_S8_S8_S8_NS5_IS6_S8_EENS5_IlS8_EE: ; @_ZN2at6native12_GLOBAL__N_114gatherKthValueIaiLi1EEEvNS_4cuda6detail10TensorInfoIKT_T0_EES8_S8_S8_S8_NS5_IS6_S8_EENS5_IlS8_EE
; %bb.0:
	s_clause 0x1
	s_load_b64 s[6:7], s[0:1], 0x298
	s_load_b128 s[36:39], s[0:1], 0xd8
	s_lshr_b32 s2, ttmp7, 16
	s_and_b32 s3, ttmp7, 0xffff
	s_wait_kmcnt 0x0
	s_mul_i32 s2, s7, s2
	s_delay_alu instid0(SALU_CYCLE_1) | instskip(NEXT) | instid1(SALU_CYCLE_1)
	s_add_co_i32 s2, s2, s3
	s_mul_i32 s29, s2, s6
	s_delay_alu instid0(SALU_CYCLE_1) | instskip(NEXT) | instid1(SALU_CYCLE_1)
	s_add_co_i32 s29, s29, ttmp9
	s_cmp_ge_i32 s29, s38
	s_cbranch_scc1 .LBB8_233
; %bb.1:
	s_clause 0x1
	s_load_b32 s3, s[0:1], 0x6c
	s_load_b64 s[4:5], s[0:1], 0x0
	v_cmp_eq_u32_e64 s2, 0, v0
	s_add_nc_u64 s[10:11], s[0:1], 0x298
	s_mov_b32 s41, 0
	s_and_saveexec_b32 s7, s2
; %bb.2:
	v_dual_mov_b32 v1, 0 :: v_dual_mov_b32 v2, s36
	s_delay_alu instid0(VALU_DEP_1)
	v_mov_b32_e32 v3, v1
	ds_store_b96 v1, v[1:3] offset:4096
; %bb.3:
	s_or_b32 exec_lo, exec_lo, s7
	s_wait_dscnt 0x0
	s_barrier_signal -1
	s_barrier_wait -1
	global_inv scope:SCOPE_SE
	s_load_b32 s7, s[10:11], 0xc
	v_mbcnt_lo_u32_b32 v12, -1, 0
	s_clause 0x3
	s_load_b32 s33, s[0:1], 0x22c
	s_load_b64 s[30:31], s[0:1], 0x1c0
	s_load_b32 s38, s[0:1], 0x154
	s_load_b64 s[34:35], s[0:1], 0xe8
	v_cmp_gt_u32_e32 vcc_lo, 32, v0
	s_wait_kmcnt 0x0
	s_mul_i32 s8, s3, s29
	v_mul_lo_u32 v11, s39, v0
	v_cmp_gt_i32_e64 s1, 4, v12
	s_ashr_i32 s9, s8, 31
	v_lshrrev_b32_e32 v3, 1, v0
	s_add_nc_u64 s[42:43], s[4:5], s[8:9]
	v_dual_mov_b32 v14, 0 :: v_dual_lshlrev_b32 v13, 2, v0
	s_and_b32 s51, vcc_lo, s1
	v_cmp_gt_u32_e64 s0, 2, v0
	v_cmp_gt_i32_e64 s3, s36, v0
	v_dual_mov_b32 v23, 0 :: v_dual_lshlrev_b32 v20, 2, v11
	v_lshl_or_b32 v22, v12, 2, 0xc00
	v_mov_b32_e32 v26, s37
	v_mov_b32_e32 v24, 0
	s_and_b32 s50, s7, 0xffff
	s_bfe_u32 s7, s7, 0xb0005
	s_lshl_b32 s52, s50, 2
	s_add_co_i32 s53, s50, -1
	s_cvt_f32_u32 s1, s52
	s_add_co_i32 s62, s53, s36
	s_cmp_gt_i32 s36, 0xc00
	s_mul_i32 s54, s39, s50
	v_rcp_iflag_f32_e32 v1, s1
	s_cselect_b32 s55, -1, 0
	s_cmp_gt_u32 s50, 31
	v_cmp_gt_u32_e64 s1, s36, v0
	s_cselect_b32 s56, -1, 0
	s_cmp_lt_u32 ttmp9, s6
	s_mov_b32 s70, 6
	s_cselect_b32 s40, 12, 18
	s_add_co_i32 s6, s7, -1
	s_bfe_u32 s57, s50, 0x30005
	v_readfirstlane_b32 s12, v1
	s_and_b32 s6, s6, 0xffff
	v_lshlrev_b64_e64 v[1:2], v12, -1
	s_cmp_gt_u32 s6, 6
	s_mov_b32 s45, s41
	s_mul_f32 s6, s12, 0x4f7ffffe
	s_cselect_b32 s58, -1, 0
	s_and_b32 s59, s7, 0x7f8
	s_cvt_f32_u32 s12, s50
	s_cmp_lg_u32 s57, 0
	s_cvt_u32_f32 s6, s6
	s_cselect_b32 s60, -1, 0
	s_sub_co_i32 s7, 0, s52
	v_rcp_iflag_f32_e32 v4, s12
	s_mul_i32 s7, s7, s6
	v_not_b32_e32 v15, v1
	s_mul_hi_u32 s4, s6, s7
	s_mov_b32 s47, s41
	s_add_co_i32 s44, s6, s4
	v_add_co_u32 v5, s6, s42, v11
	s_mul_hi_u32 s5, s36, s44
	v_add_co_ci_u32_e64 v6, null, s43, 0, s6
	s_mul_i32 s5, s5, s52
	v_readfirstlane_b32 s6, v4
	s_sub_co_i32 s5, s36, s5
	v_cmp_eq_u32_e64 s4, 0, v12
	s_sub_co_i32 s7, s5, s52
	s_cmp_ge_u32 s5, s52
	s_mul_f32 s6, s6, 0x4f7ffffe
	s_wait_alu 0xfffe
	s_cselect_b32 s5, s7, s5
	s_movk_i32 s7, 0x1f0
	s_sub_co_i32 s8, s5, s52
	s_cmp_ge_u32 s5, s52
	s_cvt_u32_f32 s6, s6
	s_cselect_b32 s9, s8, s5
	s_sub_co_i32 s5, 0, s50
	s_sub_co_i32 s61, s36, s9
	s_wait_alu 0xfffe
	s_mul_i32 s5, s5, s6
	v_dual_mov_b32 v25, 0 :: v_dual_add_nc_u32 v16, s61, v0
	s_mul_hi_u32 s5, s6, s5
	s_abs_i32 s8, s62
	s_add_co_i32 s46, s6, s5
	s_delay_alu instid0(VALU_DEP_1)
	v_mul_lo_u32 v1, v16, s39
	s_mul_hi_u32 s5, s8, s46
	v_and_or_b32 v17, v3, s7, 0xc00
	s_mul_i32 s5, s5, s50
	s_ashr_i32 s7, s62, 31
	s_sub_co_i32 s5, s8, s5
	v_or_b32_e32 v3, 3, v13
	s_sub_co_i32 s6, s5, s50
	s_cmp_ge_u32 s5, s50
	v_ashrrev_i32_e32 v2, 31, v1
	s_wait_alu 0xfffe
	s_cselect_b32 s8, s6, s5
	v_add_co_u32 v7, vcc_lo, s42, v1
	v_add3_u32 v1, s50, s36, v0
	s_sub_co_i32 s12, s8, s50
	s_cmp_ge_u32 s8, s50
	v_add_co_ci_u32_e64 v8, null, s43, v2, vcc_lo
	s_wait_alu 0xfffe
	s_cselect_b32 s8, s12, s8
	v_or_b32_e32 v2, 2, v13
	v_subrev_nc_u32_e32 v1, s9, v1
	s_xor_b32 s8, s8, s7
	s_mov_b32 s12, s39
	s_wait_alu 0xfffe
	s_sub_co_i32 s8, s7, s8
	v_mad_co_u64_u32 v[9:10], null, s39, v13, s[12:13]
	v_mul_lo_u32 v18, s39, v2
	v_mul_lo_u32 v19, s39, v3
	;; [unrolled: 1-line block ×3, first 2 shown]
	s_wait_alu 0xfffe
	s_add_co_i32 s62, s62, s8
	v_cmp_gt_i32_e64 s5, s61, v13
	v_cmp_gt_u32_e64 s6, s36, v16
	v_cmp_gt_i32_e64 s7, s36, v16
	v_cmp_gt_i32_e64 s8, s62, v0
	v_mov_b32_e32 v10, 0
	s_lshl_b32 s37, s54, 2
	s_add_nc_u64 s[48:49], s[10:11], s[40:41]
	s_mov_b32 s63, 0
                                        ; implicit-def: $sgpr67
                                        ; implicit-def: $sgpr69
                                        ; implicit-def: $sgpr64
                                        ; implicit-def: $sgpr66
                                        ; implicit-def: $sgpr68
                                        ; implicit-def: $sgpr65
	s_branch .LBB8_7
.LBB8_4:                                ;   in Loop: Header=BB8_7 Depth=1
	s_wait_alu 0xfffe
	s_or_b32 exec_lo, exec_lo, s13
	s_delay_alu instid0(SALU_CYCLE_1)
	s_and_b32 s10, s10, exec_lo
	s_and_not1_b32 s15, s15, exec_lo
	s_and_not1_b32 s14, s14, exec_lo
	s_or_not1_b32 s12, s12, exec_lo
.LBB8_5:                                ;   in Loop: Header=BB8_7 Depth=1
	s_wait_alu 0xfffe
	s_or_b32 exec_lo, exec_lo, s9
	s_delay_alu instid0(SALU_CYCLE_1)
	s_and_not1_b32 s9, s65, exec_lo
	s_and_b32 s10, s10, exec_lo
	s_and_not1_b32 s13, s66, exec_lo
	s_wait_alu 0xfffe
	s_or_b32 s65, s9, s10
	s_and_not1_b32 s9, s68, exec_lo
	s_and_b32 s10, s15, exec_lo
	s_and_b32 s14, s14, exec_lo
	s_wait_alu 0xfffe
	s_or_b32 s68, s9, s10
	s_or_b32 s66, s13, s14
	s_or_not1_b32 s13, s12, exec_lo
.LBB8_6:                                ;   in Loop: Header=BB8_7 Depth=1
	s_wait_alu 0xfffe
	s_or_b32 exec_lo, exec_lo, s11
	s_delay_alu instid0(SALU_CYCLE_1)
	s_and_b32 s9, exec_lo, s13
	v_mov_b32_e32 v26, v2
	s_wait_alu 0xfffe
	s_or_b32 s63, s9, s63
	s_and_not1_b32 s9, s64, exec_lo
	s_and_b32 s10, s65, exec_lo
	s_and_not1_b32 s11, s69, exec_lo
	s_wait_alu 0xfffe
	s_or_b32 s64, s9, s10
	s_and_b32 s9, s68, exec_lo
	s_and_not1_b32 s10, s67, exec_lo
	s_and_b32 s12, s66, exec_lo
	s_wait_alu 0xfffe
	s_or_b32 s69, s11, s9
	s_or_b32 s67, s10, s12
	s_mov_b32 s70, s21
	s_and_not1_b32 exec_lo, exec_lo, s63
	s_cbranch_execz .LBB8_229
.LBB8_7:                                ; =>This Loop Header: Depth=1
                                        ;     Child Loop BB8_12 Depth 2
                                        ;     Child Loop BB8_27 Depth 2
	;; [unrolled: 1-line block ×16, first 2 shown]
	ds_load_b64 v[1:2], v14 offset:4096
	s_wait_dscnt 0x0
	v_readfirstlane_b32 s40, v1
	s_cmp_gt_i32 s40, 0
	s_cbranch_scc1 .LBB8_34
; %bb.8:                                ;   in Loop: Header=BB8_7 Depth=1
	s_and_b32 vcc_lo, exec_lo, s55
	s_wait_alu 0xfffe
	s_cbranch_vccz .LBB8_20
; %bb.9:                                ;   in Loop: Header=BB8_7 Depth=1
	v_cmp_gt_i32_e32 vcc_lo, 0xc01, v2
	s_mov_b32 s10, 0
	s_mov_b32 s9, 0
	s_cbranch_vccz .LBB8_21
; %bb.10:                               ;   in Loop: Header=BB8_7 Depth=1
	global_load_u8 v2, v[5:6], off
	s_load_u16 s11, s[48:49], 0x0
	v_mov_b32_e32 v3, v0
	s_mov_b32 s12, 0
	s_wait_kmcnt 0x0
	v_add_nc_u32_e32 v1, s11, v0
	s_mul_i32 s13, s39, s11
	s_delay_alu instid0(VALU_DEP_1)
	v_mul_lo_u32 v1, s39, v1
	s_branch .LBB8_12
.LBB8_11:                               ;   in Loop: Header=BB8_12 Depth=2
	s_wait_alu 0xfffe
	s_or_b32 exec_lo, exec_lo, s9
	v_cmp_le_i32_e32 vcc_lo, s36, v3
	v_dual_mov_b32 v2, v4 :: v_dual_add_nc_u32 v1, s13, v1
	s_or_b32 s12, vcc_lo, s12
	s_wait_alu 0xfffe
	s_and_not1_b32 exec_lo, exec_lo, s12
	s_cbranch_execz .LBB8_66
.LBB8_12:                               ;   Parent Loop BB8_7 Depth=1
                                        ; =>  This Inner Loop Header: Depth=2
	v_dual_mov_b32 v4, 0 :: v_dual_add_nc_u32 v3, s11, v3
	s_wait_dscnt 0x0
	v_mov_b32_e32 v27, 0
	s_mov_b32 s9, exec_lo
	s_delay_alu instid0(VALU_DEP_2)
	v_cmpx_gt_u32_e64 s36, v3
	s_cbranch_execz .LBB8_14
; %bb.13:                               ;   in Loop: Header=BB8_12 Depth=2
	global_load_u8 v4, v1, s[42:43]
.LBB8_14:                               ;   in Loop: Header=BB8_12 Depth=2
	s_wait_alu 0xfffe
	s_or_b32 exec_lo, exec_lo, s9
	s_wait_loadcnt 0x0
	v_bfe_i32 v28, v2, 0, 8
	s_delay_alu instid0(VALU_DEP_1) | instskip(NEXT) | instid1(VALU_DEP_1)
	v_add_nc_u32_e32 v28, 0x80, v28
	v_and_b32_e32 v28, v28, v24
	s_delay_alu instid0(VALU_DEP_1)
	v_cmp_eq_u32_e32 vcc_lo, v28, v10
	s_cmp_lg_u32 vcc_lo, 0
	s_cselect_b32 s9, -1, 0
	s_wait_alu 0xfffe
	s_and_b32 s9, s4, s9
	s_wait_alu 0xfffe
	s_and_saveexec_b32 s14, s9
	s_cbranch_execz .LBB8_18
; %bb.15:                               ;   in Loop: Header=BB8_12 Depth=2
	s_mov_b32 s17, exec_lo
	s_bcnt1_i32_b32 s15, vcc_lo
	s_wait_alu 0xfffe
	v_mbcnt_lo_u32_b32 v27, s17, 0
	s_mov_b32 s16, exec_lo
                                        ; implicit-def: $vgpr28
	s_delay_alu instid0(VALU_DEP_1)
	v_cmpx_eq_u32_e32 0, v27
; %bb.16:                               ;   in Loop: Header=BB8_12 Depth=2
	s_bcnt1_i32_b32 s9, s17
	s_wait_alu 0xfffe
	s_mul_i32 s9, s15, s9
	s_wait_alu 0xfffe
	v_mov_b32_e32 v28, s9
	ds_add_rtn_u32 v28, v14, v28 offset:4104
; %bb.17:                               ;   in Loop: Header=BB8_12 Depth=2
	s_or_b32 exec_lo, exec_lo, s16
	s_wait_dscnt 0x0
	v_readfirstlane_b32 s9, v28
	s_wait_alu 0xf1ff
	s_delay_alu instid0(VALU_DEP_1)
	v_mad_u32_u24 v27, s15, v27, s9
.LBB8_18:                               ;   in Loop: Header=BB8_12 Depth=2
	s_wait_alu 0xfffe
	s_or_b32 exec_lo, exec_lo, s14
	ds_bpermute_b32 v27, v14, v27
	s_and_saveexec_b32 s9, vcc_lo
	s_cbranch_execz .LBB8_11
; %bb.19:                               ;   in Loop: Header=BB8_12 Depth=2
	v_and_b32_e32 v28, vcc_lo, v15
	s_wait_dscnt 0x0
	s_delay_alu instid0(VALU_DEP_1)
	v_bcnt_u32_b32 v27, v28, v27
	ds_store_b8 v27, v2
	s_branch .LBB8_11
.LBB8_20:                               ;   in Loop: Header=BB8_7 Depth=1
	s_mov_b32 s10, -1
	s_mov_b32 s9, 0
.LBB8_21:                               ;   in Loop: Header=BB8_7 Depth=1
	s_wait_alu 0xfffe
	s_and_b32 vcc_lo, exec_lo, s10
	s_wait_alu 0xfffe
	s_cbranch_vccz .LBB8_32
.LBB8_22:                               ;   in Loop: Header=BB8_7 Depth=1
	v_mov_b32_e32 v1, 0
	s_and_saveexec_b32 s9, s1
	s_cbranch_execz .LBB8_24
; %bb.23:                               ;   in Loop: Header=BB8_7 Depth=1
	global_load_u8 v1, v[5:6], off
.LBB8_24:                               ;   in Loop: Header=BB8_7 Depth=1
	s_wait_alu 0xfffe
	s_or_b32 exec_lo, exec_lo, s9
	s_and_saveexec_b32 s9, s3
	s_cbranch_execz .LBB8_29
; %bb.25:                               ;   in Loop: Header=BB8_7 Depth=1
	s_load_u16 s10, s[48:49], 0x0
	s_mov_b32 s12, 0
	s_wait_kmcnt 0x0
	v_dual_mov_b32 v3, v0 :: v_dual_add_nc_u32 v2, s10, v0
	s_mul_i32 s11, s39, s10
	s_delay_alu instid0(VALU_DEP_1)
	v_mul_lo_u32 v2, s39, v2
	s_branch .LBB8_27
.LBB8_26:                               ;   in Loop: Header=BB8_27 Depth=2
	s_wait_alu 0xfffe
	s_or_b32 exec_lo, exec_lo, s13
	v_cmp_le_i32_e32 vcc_lo, s36, v4
	s_wait_loadcnt 0x0
	ds_store_b8 v3, v1
	v_dual_mov_b32 v1, v27 :: v_dual_add_nc_u32 v2, s11, v2
	v_mov_b32_e32 v3, v4
	s_or_b32 s12, vcc_lo, s12
	s_wait_alu 0xfffe
	s_and_not1_b32 exec_lo, exec_lo, s12
	s_cbranch_execz .LBB8_29
.LBB8_27:                               ;   Parent Loop BB8_7 Depth=1
                                        ; =>  This Inner Loop Header: Depth=2
	s_delay_alu instid0(VALU_DEP_2) | instskip(SKIP_1) | instid1(VALU_DEP_1)
	v_dual_mov_b32 v27, 0 :: v_dual_add_nc_u32 v4, s10, v3
	s_mov_b32 s13, exec_lo
	v_cmpx_gt_u32_e64 s36, v4
	s_cbranch_execz .LBB8_26
; %bb.28:                               ;   in Loop: Header=BB8_27 Depth=2
	global_load_u8 v27, v2, s[42:43]
	s_branch .LBB8_26
.LBB8_29:                               ;   in Loop: Header=BB8_7 Depth=1
	s_wait_alu 0xfffe
	s_or_b32 exec_lo, exec_lo, s9
	s_wait_loadcnt_dscnt 0x0
	s_barrier_signal -1
	s_barrier_wait -1
	global_inv scope:SCOPE_SE
	s_and_saveexec_b32 s9, s2
; %bb.30:                               ;   in Loop: Header=BB8_7 Depth=1
	v_mov_b32_e32 v1, s36
	ds_store_b32 v14, v1 offset:4096
; %bb.31:                               ;   in Loop: Header=BB8_7 Depth=1
	s_wait_alu 0xfffe
	s_or_b32 exec_lo, exec_lo, s9
	s_mov_b32 s9, -1
	s_wait_loadcnt_dscnt 0x0
	s_barrier_signal -1
	s_barrier_wait -1
.LBB8_32:                               ;   in Loop: Header=BB8_7 Depth=1
	s_wait_alu 0xfffe
	s_and_b32 vcc_lo, exec_lo, s9
	s_wait_alu 0xfffe
	s_cbranch_vccz .LBB8_34
; %bb.33:                               ;   in Loop: Header=BB8_7 Depth=1
	s_wait_loadcnt 0x0
	global_inv scope:SCOPE_SE
	ds_load_b32 v1, v14 offset:4096
	s_wait_dscnt 0x0
	v_readfirstlane_b32 s40, v1
.LBB8_34:                               ;   in Loop: Header=BB8_7 Depth=1
	s_delay_alu instid0(VALU_DEP_1)
	s_cmp_lt_i32 s40, 1
	s_mov_b32 s9, -1
                                        ; implicit-def: $vgpr4
	s_cbranch_scc1 .LBB8_44
; %bb.35:                               ;   in Loop: Header=BB8_7 Depth=1
	s_wait_alu 0xfffe
	s_and_b32 vcc_lo, exec_lo, s9
	s_wait_alu 0xfffe
	s_cbranch_vccnz .LBB8_57
.LBB8_36:                               ;   in Loop: Header=BB8_7 Depth=1
	v_lshlrev_b32_e32 v27, 7, v23
	s_and_saveexec_b32 s9, s4
.LBB8_37:                               ;   in Loop: Header=BB8_7 Depth=1
	s_delay_alu instid0(VALU_DEP_1)
	v_lshl_add_u32 v28, v27, 2, v17
	ds_store_b128 v28, v[1:4]
.LBB8_38:                               ;   in Loop: Header=BB8_7 Depth=1
	s_wait_alu 0xfffe
	s_or_b32 exec_lo, exec_lo, s9
	s_wait_loadcnt_dscnt 0x0
	s_barrier_signal -1
	s_barrier_wait -1
	global_inv scope:SCOPE_SE
	s_and_saveexec_b32 s9, s51
	s_cbranch_execz .LBB8_73
; %bb.39:                               ;   in Loop: Header=BB8_7 Depth=1
	v_mov_b32_e32 v1, 0
	s_and_not1_b32 vcc_lo, exec_lo, s56
	s_wait_alu 0xfffe
	s_cbranch_vccnz .LBB8_72
; %bb.40:                               ;   in Loop: Header=BB8_7 Depth=1
	s_and_not1_b32 vcc_lo, exec_lo, s58
	s_wait_alu 0xfffe
	s_cbranch_vccnz .LBB8_69
; %bb.41:                               ;   in Loop: Header=BB8_7 Depth=1
	v_lshl_add_u32 v2, v23, 9, v22
	v_mov_b32_e32 v1, 0
	s_mov_b32 s10, 0
.LBB8_42:                               ;   Parent Loop BB8_7 Depth=1
                                        ; =>  This Inner Loop Header: Depth=2
	ds_load_2addr_b32 v[3:4], v2 offset1:4
	ds_load_2addr_b32 v[28:29], v2 offset0:8 offset1:12
	ds_load_2addr_b32 v[30:31], v2 offset0:16 offset1:20
	;; [unrolled: 1-line block ×3, first 2 shown]
	v_add_nc_u32_e32 v2, 0x80, v2
	s_wait_alu 0xfffe
	s_add_co_i32 s10, s10, 8
	s_wait_alu 0xfffe
	s_cmp_eq_u32 s59, s10
	s_wait_dscnt 0x3
	v_add3_u32 v1, v3, v1, v4
	s_wait_dscnt 0x2
	s_delay_alu instid0(VALU_DEP_1) | instskip(SKIP_1) | instid1(VALU_DEP_1)
	v_add3_u32 v1, v28, v1, v29
	s_wait_dscnt 0x1
	v_add3_u32 v1, v30, v1, v31
	s_wait_dscnt 0x0
	s_delay_alu instid0(VALU_DEP_1)
	v_add3_u32 v1, v32, v1, v33
	s_cbranch_scc0 .LBB8_42
; %bb.43:                               ;   in Loop: Header=BB8_7 Depth=1
	s_mov_b32 s10, s59
	s_and_not1_b32 vcc_lo, exec_lo, s60
	s_wait_alu 0xfffe
	s_cbranch_vccz .LBB8_70
	s_branch .LBB8_72
.LBB8_44:                               ;   in Loop: Header=BB8_7 Depth=1
	v_dual_mov_b32 v1, 0 :: v_dual_mov_b32 v2, 0
	v_dual_mov_b32 v3, 0 :: v_dual_mov_b32 v4, 0
	s_and_saveexec_b32 s71, s5
	s_cbranch_execnz .LBB8_47
; %bb.45:                               ;   in Loop: Header=BB8_7 Depth=1
	s_wait_alu 0xfffe
	s_or_b32 exec_lo, exec_lo, s71
	v_mov_b32_e32 v30, 0
	s_and_saveexec_b32 s9, s6
	s_cbranch_execnz .LBB8_50
.LBB8_46:                               ;   in Loop: Header=BB8_7 Depth=1
	s_wait_alu 0xfffe
	s_or_b32 exec_lo, exec_lo, s9
	s_and_saveexec_b32 s13, s7
	s_cbranch_execnz .LBB8_51
	s_branch .LBB8_56
.LBB8_47:                               ;   in Loop: Header=BB8_7 Depth=1
	v_mov_b32_e32 v27, v13
	s_mov_b32 s72, 0
	s_mov_b32 s73, 0
	;; [unrolled: 1-line block ×6, first 2 shown]
.LBB8_48:                               ;   Parent Loop BB8_7 Depth=1
                                        ; =>  This Inner Loop Header: Depth=2
	s_wait_alu 0xfffe
	v_add_nc_u32_e32 v2, s73, v20
	v_add_nc_u32_e32 v1, s73, v9
	;; [unrolled: 1-line block ×5, first 2 shown]
	v_ashrrev_i32_e32 v29, 31, v2
	v_ashrrev_i32_e32 v32, 31, v1
	;; [unrolled: 1-line block ×4, first 2 shown]
	v_add_co_u32 v30, s11, s42, v2
	v_add_co_u32 v1, vcc_lo, s42, v1
	v_add_co_u32 v3, s9, s42, v3
	s_wait_alu 0xf1ff
	v_add_co_ci_u32_e64 v31, null, s43, v29, s11
	v_add_co_u32 v28, s10, s42, v4
	s_wait_alu 0xfffd
	v_add_co_ci_u32_e64 v2, null, s43, v32, vcc_lo
	v_add_co_ci_u32_e64 v4, null, s43, v33, s9
	s_wait_alu 0xf1ff
	v_add_co_ci_u32_e64 v29, null, s43, v34, s10
	s_clause 0x3
	global_load_i8 v30, v[30:31], off
	global_load_i8 v1, v[1:2], off
	;; [unrolled: 1-line block ×4, first 2 shown]
	v_cmp_le_i32_e32 vcc_lo, s61, v27
	s_add_co_i32 s73, s73, s37
	s_wait_loadcnt 0x3
	v_add_nc_u32_e32 v4, 0x80, v30
	s_wait_loadcnt 0x2
	v_add_nc_u32_e32 v1, 0x80, v1
	s_wait_loadcnt 0x1
	v_add_nc_u32_e32 v2, 0x80, v2
	s_wait_loadcnt 0x0
	v_add_nc_u32_e32 v3, 0x80, v3
	v_and_b32_e32 v28, v4, v24
	v_bfe_u32 v4, v4, s70, 2
	v_and_b32_e32 v29, v1, v24
	v_bfe_u32 v1, v1, s70, 2
	;; [unrolled: 2-line block ×3, first 2 shown]
	v_cmp_eq_u32_e64 s9, v28, v10
	v_cmp_eq_u32_e64 s13, 0, v4
	v_and_b32_e32 v31, v3, v24
	v_bfe_u32 v3, v3, s70, 2
	v_cmp_eq_u32_e64 s10, v29, v10
	v_cmp_eq_u32_e64 s14, 0, v1
	;; [unrolled: 1-line block ×4, first 2 shown]
	s_and_b32 s13, s9, s13
	v_cmp_eq_u32_e64 s12, v31, v10
	v_cmp_eq_u32_e64 s16, 0, v3
	;; [unrolled: 1-line block ×5, first 2 shown]
	s_wait_alu 0xfffe
	v_cndmask_b32_e64 v1, 0, 1, s13
	s_and_b32 s13, s10, s14
	v_cmp_eq_u32_e64 s17, 1, v4
	v_cmp_eq_u32_e64 s19, 1, v2
	;; [unrolled: 1-line block ×4, first 2 shown]
	s_wait_alu 0xfffe
	v_cndmask_b32_e64 v2, 0, 1, s13
	s_and_b32 s13, s11, s15
	v_cmp_eq_u32_e64 s20, 1, v3
	v_cmp_eq_u32_e64 s24, 2, v3
	;; [unrolled: 1-line block ×3, first 2 shown]
	s_wait_alu 0xfffe
	v_cndmask_b32_e64 v3, 0, 1, s13
	s_and_b32 s13, s12, s16
	v_cmp_eq_u32_e64 s21, 2, v4
	v_cmp_eq_u32_e64 s25, 3, v4
	s_wait_alu 0xfffe
	v_cndmask_b32_e64 v4, 0, 1, s13
	s_and_b32 s13, s9, s17
	s_wait_alu 0xfffe
	v_cndmask_b32_e64 v28, 0, 1, s13
	s_and_b32 s13, s10, s18
	;; [unrolled: 3-line block ×4, first 2 shown]
	v_cmp_ne_u32_e64 s14, 0, v29
	s_wait_alu 0xfffe
	v_cndmask_b32_e64 v31, 0, 1, s13
	s_and_b32 s13, s9, s21
	s_and_b32 s9, s9, s25
	s_wait_alu 0xfffe
	v_cndmask_b32_e64 v32, 0, 1, s13
	s_and_b32 s13, s10, s22
	v_cndmask_b32_e64 v36, 0, 1, s9
	s_and_b32 s9, s10, s26
	s_wait_alu 0xfffe
	v_cndmask_b32_e64 v33, 0, 1, s13
	s_and_b32 s13, s11, s23
	v_cndmask_b32_e64 v37, 0, 1, s9
	;; [unrolled: 5-line block ×3, first 2 shown]
	s_and_b32 s9, s12, s28
	s_wait_alu 0xfffe
	v_cndmask_b32_e64 v35, 0, 1, s13
	v_cndmask_b32_e64 v39, 0, 1, s9
	v_cmp_ne_u32_e64 s9, 0, v1
	v_cmp_ne_u32_e64 s13, 0, v28
	;; [unrolled: 1-line block ×11, first 2 shown]
	s_bcnt1_i32_b32 s9, s9
	s_bcnt1_i32_b32 s13, s13
	;; [unrolled: 1-line block ×4, first 2 shown]
	v_cmp_ne_u32_e64 s12, 0, v4
	v_cmp_ne_u32_e64 s16, 0, v31
	;; [unrolled: 1-line block ×4, first 2 shown]
	s_bcnt1_i32_b32 s10, s10
	s_bcnt1_i32_b32 s14, s14
	s_bcnt1_i32_b32 s18, s18
	s_bcnt1_i32_b32 s22, s22
	s_wait_alu 0xfffe
	s_add_co_i32 s9, s9, s77
	s_add_co_i32 s13, s13, s76
	s_add_co_i32 s17, s17, s75
	s_add_co_i32 s21, s21, s74
	s_bcnt1_i32_b32 s11, s11
	s_bcnt1_i32_b32 s15, s15
	s_bcnt1_i32_b32 s19, s19
	s_bcnt1_i32_b32 s23, s23
	s_wait_alu 0xfffe
	s_add_co_i32 s9, s9, s10
	s_add_co_i32 s10, s13, s14
	s_add_co_i32 s13, s17, s18
	s_add_co_i32 s14, s21, s22
	;; [unrolled: 9-line block ×3, first 2 shown]
	s_wait_alu 0xfffe
	s_add_co_i32 s77, s9, s12
	s_add_co_i32 s76, s10, s16
	;; [unrolled: 1-line block ×4, first 2 shown]
	s_wait_alu 0xfffe
	v_dual_mov_b32 v1, s77 :: v_dual_mov_b32 v2, s76
	v_dual_mov_b32 v3, s75 :: v_dual_mov_b32 v4, s74
	s_or_b32 s72, vcc_lo, s72
	s_wait_alu 0xfffe
	s_and_not1_b32 exec_lo, exec_lo, s72
	s_cbranch_execnz .LBB8_48
; %bb.49:                               ;   in Loop: Header=BB8_7 Depth=1
	s_or_b32 exec_lo, exec_lo, s72
	s_delay_alu instid0(SALU_CYCLE_1)
	s_or_b32 exec_lo, exec_lo, s71
	v_mov_b32_e32 v30, 0
	s_and_saveexec_b32 s9, s6
	s_cbranch_execz .LBB8_46
.LBB8_50:                               ;   in Loop: Header=BB8_7 Depth=1
	global_load_u8 v30, v[7:8], off
	s_wait_alu 0xfffe
	s_or_b32 exec_lo, exec_lo, s9
	s_and_saveexec_b32 s13, s7
	s_cbranch_execz .LBB8_56
.LBB8_51:                               ;   in Loop: Header=BB8_7 Depth=1
	v_dual_mov_b32 v27, v21 :: v_dual_mov_b32 v28, v16
	s_mov_b32 s14, 0
	s_branch .LBB8_53
.LBB8_52:                               ;   in Loop: Header=BB8_53 Depth=2
	s_wait_alu 0xfffe
	s_or_b32 exec_lo, exec_lo, s9
	s_wait_loadcnt 0x0
	v_bfe_i32 v30, v30, 0, 8
	v_add_nc_u32_e32 v27, s54, v27
	s_delay_alu instid0(VALU_DEP_2) | instskip(NEXT) | instid1(VALU_DEP_1)
	v_add_nc_u32_e32 v30, 0x80, v30
	v_and_b32_e32 v31, v30, v24
	v_bfe_u32 v30, v30, s70, 2
	s_delay_alu instid0(VALU_DEP_2) | instskip(NEXT) | instid1(VALU_DEP_2)
	v_cmp_eq_u32_e32 vcc_lo, v31, v10
	v_cmp_eq_u32_e64 s9, 0, v30
	v_cmp_eq_u32_e64 s10, 1, v30
	;; [unrolled: 1-line block ×4, first 2 shown]
	s_and_b32 s9, vcc_lo, s9
	s_wait_alu 0xfffe
	v_cndmask_b32_e64 v30, 0, 1, s9
	s_and_b32 s9, vcc_lo, s10
	s_wait_alu 0xfffe
	v_cndmask_b32_e64 v31, 0, 1, s9
	s_and_b32 s9, vcc_lo, s11
	s_wait_alu 0xfffe
	v_cndmask_b32_e64 v32, 0, 1, s9
	s_and_b32 s9, vcc_lo, s12
	v_cmp_ne_u32_e32 vcc_lo, 0, v30
	s_wait_alu 0xfffe
	v_cndmask_b32_e64 v33, 0, 1, s9
	v_cmp_ne_u32_e64 s9, 0, v31
	v_cmp_ne_u32_e64 s10, 0, v32
	v_cmp_le_i32_e64 s12, s36, v28
	s_bcnt1_i32_b32 s15, vcc_lo
	v_cmp_ne_u32_e64 s11, 0, v33
	s_bcnt1_i32_b32 s9, s9
	s_bcnt1_i32_b32 s10, s10
	s_wait_alu 0xfffe
	v_add_nc_u32_e32 v1, s15, v1
	v_add_nc_u32_e32 v2, s9, v2
	s_bcnt1_i32_b32 s11, s11
	v_add_nc_u32_e32 v3, s10, v3
	s_wait_alu 0xfffe
	v_add_nc_u32_e32 v4, s11, v4
	v_mov_b32_e32 v30, v29
	s_or_b32 s14, s12, s14
	s_wait_alu 0xfffe
	s_and_not1_b32 exec_lo, exec_lo, s14
	s_cbranch_execz .LBB8_55
.LBB8_53:                               ;   Parent Loop BB8_7 Depth=1
                                        ; =>  This Inner Loop Header: Depth=2
	s_delay_alu instid0(VALU_DEP_1) | instskip(SKIP_1) | instid1(VALU_DEP_1)
	v_dual_mov_b32 v29, 0 :: v_dual_add_nc_u32 v28, s50, v28
	s_mov_b32 s9, exec_lo
	v_cmpx_gt_u32_e64 s36, v28
	s_cbranch_execz .LBB8_52
; %bb.54:                               ;   in Loop: Header=BB8_53 Depth=2
	v_ashrrev_i32_e32 v29, 31, v27
	v_add_co_u32 v31, vcc_lo, s42, v27
	s_wait_alu 0xfffd
	s_delay_alu instid0(VALU_DEP_2)
	v_add_co_ci_u32_e64 v32, null, s43, v29, vcc_lo
	global_load_u8 v29, v[31:32], off
	s_branch .LBB8_52
.LBB8_55:                               ;   in Loop: Header=BB8_7 Depth=1
	s_or_b32 exec_lo, exec_lo, s14
.LBB8_56:                               ;   in Loop: Header=BB8_7 Depth=1
	s_wait_alu 0xfffe
	s_or_b32 exec_lo, exec_lo, s13
	s_branch .LBB8_36
.LBB8_57:                               ;   in Loop: Header=BB8_7 Depth=1
	s_mul_u64 s[10:11], s[40:41], s[44:45]
	v_dual_mov_b32 v1, 0 :: v_dual_mov_b32 v2, 0
	s_wait_alu 0xfffe
	s_mul_i32 s9, s11, s52
	v_dual_mov_b32 v3, 0 :: v_dual_mov_b32 v4, 0
	s_wait_alu 0xfffe
	s_sub_co_i32 s9, s40, s9
	s_mov_b32 s72, exec_lo
	s_wait_alu 0xfffe
	s_sub_co_i32 s10, s9, s52
	s_cmp_ge_u32 s9, s52
	s_wait_alu 0xfffe
	s_cselect_b32 s9, s10, s9
	s_wait_alu 0xfffe
	s_sub_co_i32 s10, s9, s52
	s_cmp_ge_u32 s9, s52
	s_wait_alu 0xfffe
	s_cselect_b32 s9, s10, s9
	s_wait_alu 0xfffe
	s_sub_co_i32 s71, s40, s9
	s_wait_alu 0xfffe
	v_cmpx_gt_u32_e64 s71, v13
	s_cbranch_execz .LBB8_61
; %bb.58:                               ;   in Loop: Header=BB8_7 Depth=1
	v_mov_b32_e32 v27, v13
	s_mov_b32 s73, 0
	s_mov_b32 s74, 0
	;; [unrolled: 1-line block ×5, first 2 shown]
.LBB8_59:                               ;   Parent Loop BB8_7 Depth=1
                                        ; =>  This Inner Loop Header: Depth=2
	ds_load_b32 v1, v27
	s_wait_dscnt 0x0
	v_bfe_i32 v2, v1, 0, 8
	v_bfe_i32 v3, v1, 8, 8
	;; [unrolled: 1-line block ×3, first 2 shown]
	v_ashrrev_i32_e32 v1, 24, v1
	s_delay_alu instid0(VALU_DEP_4) | instskip(NEXT) | instid1(VALU_DEP_4)
	v_add_nc_u32_e32 v2, 0x80, v2
	v_add_nc_u32_e32 v3, 0x80, v3
	s_delay_alu instid0(VALU_DEP_4) | instskip(NEXT) | instid1(VALU_DEP_4)
	v_add_nc_u32_e32 v4, 0x80, v4
	v_add_nc_u32_e32 v1, 0x80, v1
	s_delay_alu instid0(VALU_DEP_4)
	v_and_b32_e32 v28, v2, v24
	v_bfe_u32 v2, v2, s70, 2
	v_and_b32_e32 v29, v3, v24
	v_bfe_u32 v3, v3, s70, 2
	s_wait_loadcnt 0x0
	v_and_b32_e32 v30, v4, v24
	v_bfe_u32 v4, v4, s70, 2
	v_cmp_eq_u32_e64 s9, v28, v10
	v_cmp_eq_u32_e64 s13, 0, v2
	v_and_b32_e32 v31, v1, v24
	v_bfe_u32 v1, v1, s70, 2
	v_cmp_eq_u32_e64 s10, v29, v10
	v_cmp_eq_u32_e64 s14, 0, v3
	;; [unrolled: 1-line block ×4, first 2 shown]
	s_and_b32 s13, s9, s13
	v_cmp_eq_u32_e64 s12, v31, v10
	v_cmp_eq_u32_e64 s16, 0, v1
	;; [unrolled: 1-line block ×5, first 2 shown]
	s_wait_alu 0xfffe
	v_cndmask_b32_e64 v1, 0, 1, s13
	s_and_b32 s13, s10, s14
	v_cmp_eq_u32_e64 s17, 1, v2
	v_cmp_eq_u32_e64 s21, 2, v2
	v_cmp_eq_u32_e64 s25, 3, v2
	s_wait_alu 0xfffe
	v_cndmask_b32_e64 v2, 0, 1, s13
	s_and_b32 s13, s11, s15
	v_cmp_eq_u32_e64 s18, 1, v3
	v_cmp_eq_u32_e64 s22, 2, v3
	v_cmp_eq_u32_e64 s26, 3, v3
	;; [unrolled: 6-line block ×3, first 2 shown]
	s_wait_alu 0xfffe
	v_cndmask_b32_e64 v4, 0, 1, s13
	s_and_b32 s13, s9, s17
	s_wait_alu 0xfffe
	v_cndmask_b32_e64 v28, 0, 1, s13
	s_and_b32 s13, s10, s18
	;; [unrolled: 3-line block ×4, first 2 shown]
	v_cmp_ne_u32_e64 s14, 0, v29
	s_wait_alu 0xfffe
	v_cndmask_b32_e64 v31, 0, 1, s13
	s_and_b32 s13, s9, s21
	s_and_b32 s9, s9, s25
	s_wait_alu 0xfffe
	v_cndmask_b32_e64 v32, 0, 1, s13
	s_and_b32 s13, s10, s22
	v_cndmask_b32_e64 v36, 0, 1, s9
	s_and_b32 s9, s10, s26
	s_wait_alu 0xfffe
	v_cndmask_b32_e64 v33, 0, 1, s13
	s_and_b32 s13, s11, s23
	v_cndmask_b32_e64 v37, 0, 1, s9
	;; [unrolled: 5-line block ×3, first 2 shown]
	s_and_b32 s9, s12, s28
	s_wait_alu 0xfffe
	v_cndmask_b32_e64 v35, 0, 1, s13
	v_cndmask_b32_e64 v39, 0, 1, s9
	v_cmp_ne_u32_e64 s9, 0, v1
	v_cmp_ne_u32_e64 s13, 0, v28
	;; [unrolled: 1-line block ×6, first 2 shown]
	s_bcnt1_i32_b32 s9, s9
	s_bcnt1_i32_b32 s13, s13
	v_cmp_ne_u32_e64 s16, 0, v31
	v_cmp_ne_u32_e64 s18, 0, v33
	v_cmp_ne_u32_e64 s22, 0, v37
	s_bcnt1_i32_b32 s10, s10
	s_bcnt1_i32_b32 s14, s14
	s_wait_alu 0xfffe
	s_add_co_i32 s9, s9, s77
	s_add_co_i32 s13, s13, s76
	v_cmp_ne_u32_e64 s11, 0, v3
	v_cmp_ne_u32_e64 s19, 0, v34
	;; [unrolled: 1-line block ×3, first 2 shown]
	s_bcnt1_i32_b32 s15, s15
	s_wait_alu 0xfffe
	s_add_co_i32 s9, s9, s10
	s_add_co_i32 s10, s13, s14
	s_bcnt1_i32_b32 s17, s17
	s_bcnt1_i32_b32 s21, s21
	v_cmp_ne_u32_e64 s12, 0, v4
	v_cmp_ne_u32_e64 s20, 0, v35
	;; [unrolled: 1-line block ×3, first 2 shown]
	s_bcnt1_i32_b32 s16, s16
	s_wait_alu 0xfffe
	s_add_co_i32 s10, s10, s15
	s_bcnt1_i32_b32 s18, s18
	s_bcnt1_i32_b32 s22, s22
	s_add_co_i32 s17, s17, s75
	s_add_co_i32 s21, s21, s74
	s_wait_alu 0xfffe
	s_add_co_i32 s76, s10, s16
	s_wait_alu 0xfffe
	v_dual_mov_b32 v2, s76 :: v_dual_add_nc_u32 v27, s52, v27
	s_bcnt1_i32_b32 s11, s11
	s_bcnt1_i32_b32 s19, s19
	;; [unrolled: 1-line block ×3, first 2 shown]
	s_add_co_i32 s13, s17, s18
	s_add_co_i32 s14, s21, s22
	s_bcnt1_i32_b32 s12, s12
	s_bcnt1_i32_b32 s20, s20
	s_bcnt1_i32_b32 s24, s24
	s_wait_alu 0xfffe
	s_add_co_i32 s9, s9, s11
	s_add_co_i32 s11, s13, s19
	;; [unrolled: 1-line block ×3, first 2 shown]
	v_cmp_le_i32_e32 vcc_lo, s71, v27
	s_wait_alu 0xfffe
	s_add_co_i32 s77, s9, s12
	s_add_co_i32 s75, s11, s20
	;; [unrolled: 1-line block ×3, first 2 shown]
	s_wait_alu 0xfffe
	v_mov_b32_e32 v1, s77
	v_dual_mov_b32 v3, s75 :: v_dual_mov_b32 v4, s74
	s_or_b32 s73, vcc_lo, s73
	s_wait_alu 0xfffe
	s_and_not1_b32 exec_lo, exec_lo, s73
	s_cbranch_execnz .LBB8_59
; %bb.60:                               ;   in Loop: Header=BB8_7 Depth=1
	s_or_b32 exec_lo, exec_lo, s73
.LBB8_61:                               ;   in Loop: Header=BB8_7 Depth=1
	s_delay_alu instid0(SALU_CYCLE_1) | instskip(SKIP_2) | instid1(VALU_DEP_1)
	s_or_b32 exec_lo, exec_lo, s72
	v_add_nc_u32_e32 v27, s71, v0
	s_mov_b32 s14, exec_lo
	v_cmpx_gt_i32_e64 s40, v27
	s_cbranch_execz .LBB8_65
; %bb.62:                               ;   in Loop: Header=BB8_7 Depth=1
	s_mov_b32 s15, 0
.LBB8_63:                               ;   Parent Loop BB8_7 Depth=1
                                        ; =>  This Inner Loop Header: Depth=2
	ds_load_i8 v28, v27
	v_add_nc_u32_e32 v27, s50, v27
	s_delay_alu instid0(VALU_DEP_1) | instskip(SKIP_2) | instid1(VALU_DEP_1)
	v_cmp_le_i32_e32 vcc_lo, s40, v27
	s_wait_dscnt 0x0
	v_add_nc_u32_e32 v28, 0x80, v28
	v_and_b32_e32 v29, v28, v24
	v_bfe_u32 v28, v28, s70, 2
	s_delay_alu instid0(VALU_DEP_2) | instskip(NEXT) | instid1(VALU_DEP_2)
	v_cmp_eq_u32_e64 s9, v29, v10
	v_cmp_eq_u32_e64 s10, 0, v28
	;; [unrolled: 1-line block ×5, first 2 shown]
	s_and_b32 s10, s9, s10
	s_wait_alu 0xfffe
	v_cndmask_b32_e64 v28, 0, 1, s10
	s_and_b32 s10, s9, s11
	s_wait_alu 0xfffe
	v_cndmask_b32_e64 v29, 0, 1, s10
	s_and_b32 s10, s9, s12
	s_and_b32 s9, s9, s13
	s_wait_loadcnt 0x0
	s_wait_alu 0xfffe
	v_cndmask_b32_e64 v30, 0, 1, s10
	v_cndmask_b32_e64 v31, 0, 1, s9
	v_cmp_ne_u32_e64 s9, 0, v28
	v_cmp_ne_u32_e64 s10, 0, v29
	s_delay_alu instid0(VALU_DEP_4) | instskip(NEXT) | instid1(VALU_DEP_4)
	v_cmp_ne_u32_e64 s11, 0, v30
	v_cmp_ne_u32_e64 s12, 0, v31
	s_bcnt1_i32_b32 s9, s9
	s_bcnt1_i32_b32 s10, s10
	s_wait_alu 0xfffe
	v_add_nc_u32_e32 v1, s9, v1
	s_bcnt1_i32_b32 s11, s11
	s_bcnt1_i32_b32 s12, s12
	v_add_nc_u32_e32 v2, s10, v2
	s_wait_alu 0xfffe
	v_add_nc_u32_e32 v3, s11, v3
	v_add_nc_u32_e32 v4, s12, v4
	s_or_b32 s15, vcc_lo, s15
	s_wait_alu 0xfffe
	s_and_not1_b32 exec_lo, exec_lo, s15
	s_cbranch_execnz .LBB8_63
; %bb.64:                               ;   in Loop: Header=BB8_7 Depth=1
	s_or_b32 exec_lo, exec_lo, s15
.LBB8_65:                               ;   in Loop: Header=BB8_7 Depth=1
	s_wait_alu 0xfffe
	s_or_b32 exec_lo, exec_lo, s14
	v_lshlrev_b32_e32 v27, 7, v23
	s_and_saveexec_b32 s9, s4
	s_cbranch_execnz .LBB8_37
	s_branch .LBB8_38
.LBB8_66:                               ;   in Loop: Header=BB8_7 Depth=1
	s_or_b32 exec_lo, exec_lo, s12
	s_wait_dscnt 0x0
	s_barrier_signal -1
	s_barrier_wait -1
	global_inv scope:SCOPE_SE
	s_and_saveexec_b32 s9, s2
	s_cbranch_execz .LBB8_68
; %bb.67:                               ;   in Loop: Header=BB8_7 Depth=1
	ds_load_b32 v1, v14 offset:4104
	s_wait_dscnt 0x0
	ds_store_b32 v14, v1 offset:4096
.LBB8_68:                               ;   in Loop: Header=BB8_7 Depth=1
	s_wait_alu 0xfffe
	s_or_b32 exec_lo, exec_lo, s9
	s_wait_loadcnt_dscnt 0x0
	s_barrier_signal -1
	s_mov_b32 s9, -1
	s_barrier_wait -1
	s_and_b32 vcc_lo, exec_lo, s10
	s_wait_alu 0xfffe
	s_cbranch_vccnz .LBB8_22
	s_branch .LBB8_32
.LBB8_69:                               ;   in Loop: Header=BB8_7 Depth=1
	v_mov_b32_e32 v1, 0
	s_mov_b32 s10, 0
	s_and_not1_b32 vcc_lo, exec_lo, s60
	s_wait_alu 0xfffe
	s_cbranch_vccnz .LBB8_72
.LBB8_70:                               ;   in Loop: Header=BB8_7 Depth=1
	v_lshlrev_b32_e32 v2, 9, v23
	s_lshl_b32 s10, s10, 4
	s_wait_alu 0xfffe
	s_delay_alu instid0(VALU_DEP_1)
	v_add3_u32 v2, v2, s10, v22
	s_mov_b32 s10, s57
.LBB8_71:                               ;   Parent Loop BB8_7 Depth=1
                                        ; =>  This Inner Loop Header: Depth=2
	ds_load_b32 v3, v2
	v_add_nc_u32_e32 v2, 16, v2
	s_wait_alu 0xfffe
	s_add_co_i32 s10, s10, -1
	s_wait_alu 0xfffe
	s_cmp_lg_u32 s10, 0
	s_wait_dscnt 0x0
	v_add_nc_u32_e32 v1, v3, v1
	s_cbranch_scc1 .LBB8_71
.LBB8_72:                               ;   in Loop: Header=BB8_7 Depth=1
	v_add_lshl_u32 v2, v27, v12, 2
	ds_store_b32 v2, v1 offset:3072
.LBB8_73:                               ;   in Loop: Header=BB8_7 Depth=1
	s_wait_alu 0xfffe
	s_or_b32 exec_lo, exec_lo, s9
	v_lshlrev_b32_e32 v1, 2, v27
	s_wait_loadcnt_dscnt 0x0
	s_barrier_signal -1
	s_barrier_wait -1
	global_inv scope:SCOPE_SE
	ds_load_b128 v[1:4], v1 offset:3072
	s_lshl_b32 s10, 3, s70
	v_cmp_eq_u32_e32 vcc_lo, 1, v26
	s_wait_alu 0xfffe
	s_not_b32 s17, s10
	s_mov_b32 s13, -1
	s_mov_b32 s15, -1
                                        ; implicit-def: $sgpr20
                                        ; implicit-def: $sgpr18
	s_wait_dscnt 0x0
	v_readfirstlane_b32 s12, v1
	v_readfirstlane_b32 s19, v2
	;; [unrolled: 1-line block ×4, first 2 shown]
	s_cmp_eq_u32 s12, 1
	s_cselect_b32 s11, -1, 0
	s_wait_alu 0xfffe
	s_and_b32 s14, s11, vcc_lo
	s_wait_alu 0xfffe
	s_and_saveexec_b32 s11, s14
	s_cbranch_execz .LBB8_99
; %bb.74:                               ;   in Loop: Header=BB8_7 Depth=1
	ds_load_b32 v1, v14 offset:4096
	s_wait_loadcnt_dscnt 0x0
	s_barrier_signal -1
	s_barrier_wait -1
	global_inv scope:SCOPE_SE
	v_readfirstlane_b32 s15, v1
	s_and_saveexec_b32 s18, s0
; %bb.75:                               ;   in Loop: Header=BB8_7 Depth=1
	ds_store_b8 v0, v14 offset:3072
; %bb.76:                               ;   in Loop: Header=BB8_7 Depth=1
	s_wait_alu 0xfffe
	s_or_b32 exec_lo, exec_lo, s18
	v_and_b32_e32 v10, s17, v10
	v_or_b32_e32 v24, s10, v24
	s_mov_b32 s18, -1
	s_mov_b32 s20, 0
	s_cmp_lt_i32 s15, 1
	s_mov_b32 s21, 0
	s_mov_b32 s22, -1
	s_wait_loadcnt_dscnt 0x0
	s_barrier_signal -1
	s_barrier_wait -1
	global_inv scope:SCOPE_SE
                                        ; implicit-def: $vgpr25
	s_cbranch_scc0 .LBB8_87
; %bb.77:                               ;   in Loop: Header=BB8_7 Depth=1
	s_mov_b32 s22, 0
                                        ; implicit-def: $vgpr25
	s_and_saveexec_b32 s23, s8
	s_cbranch_execz .LBB8_86
; %bb.78:                               ;   in Loop: Header=BB8_7 Depth=1
	v_dual_mov_b32 v1, v11 :: v_dual_mov_b32 v2, v0
                                        ; implicit-def: $sgpr24
	s_branch .LBB8_81
.LBB8_79:                               ;   in Loop: Header=BB8_81 Depth=2
	s_wait_alu 0xfffe
	s_or_b32 exec_lo, exec_lo, s25
	s_wait_loadcnt_dscnt 0x0
	s_barrier_signal -1
	s_barrier_wait -1
	global_inv scope:SCOPE_SE
	ds_load_u16 v3, v14 offset:3072
	s_mov_b32 s25, -1
	s_mov_b32 s26, -1
	s_wait_loadcnt_dscnt 0x0
	s_barrier_signal -1
	s_barrier_wait -1
	global_inv scope:SCOPE_SE
	v_and_b32_e32 v4, 0xff, v3
	s_delay_alu instid0(VALU_DEP_1)
	v_cmp_ne_u32_e32 vcc_lo, 0, v4
	s_cbranch_vccz .LBB8_84
.LBB8_80:                               ;   in Loop: Header=BB8_81 Depth=2
	s_wait_alu 0xfffe
	s_and_b32 s25, exec_lo, s25
	s_wait_alu 0xfffe
	s_or_b32 s21, s25, s21
	s_and_not1_b32 s24, s24, exec_lo
	s_and_b32 s25, s26, exec_lo
	s_wait_alu 0xfffe
	s_or_b32 s24, s24, s25
	s_and_not1_b32 exec_lo, exec_lo, s21
	s_cbranch_execz .LBB8_85
.LBB8_81:                               ;   Parent Loop BB8_7 Depth=1
                                        ; =>  This Inner Loop Header: Depth=2
	s_mov_b32 s25, exec_lo
	s_delay_alu instid0(VALU_DEP_1)
	v_cmpx_gt_i32_e64 s36, v2
	s_cbranch_execz .LBB8_79
; %bb.82:                               ;   in Loop: Header=BB8_81 Depth=2
	v_ashrrev_i32_e32 v4, 31, v1
	v_add_co_u32 v3, vcc_lo, s42, v1
	s_wait_alu 0xfffd
	s_delay_alu instid0(VALU_DEP_2) | instskip(SKIP_3) | instid1(VALU_DEP_1)
	v_add_co_ci_u32_e64 v4, null, s43, v4, vcc_lo
	global_load_u8 v3, v[3:4], off
	s_wait_loadcnt 0x0
	v_bfe_i32 v4, v3, 0, 8
	v_add_nc_u32_e32 v4, 0x80, v4
	s_delay_alu instid0(VALU_DEP_1) | instskip(NEXT) | instid1(VALU_DEP_1)
	v_and_b32_e32 v4, v4, v24
	v_cmp_eq_u32_e32 vcc_lo, v4, v10
	s_and_b32 exec_lo, exec_lo, vcc_lo
	s_cbranch_execz .LBB8_79
; %bb.83:                               ;   in Loop: Header=BB8_81 Depth=2
	v_lshlrev_b16 v3, 8, v3
	s_delay_alu instid0(VALU_DEP_1)
	v_or_b32_e32 v3, 1, v3
	ds_store_b16 v14, v3 offset:3072
	s_branch .LBB8_79
.LBB8_84:                               ;   in Loop: Header=BB8_81 Depth=2
	v_add_nc_u32_e32 v2, s50, v2
	v_add_nc_u32_e32 v1, s54, v1
	s_mov_b32 s26, 0
	s_delay_alu instid0(VALU_DEP_2)
	v_cmp_le_i32_e32 vcc_lo, s62, v2
	s_or_not1_b32 s25, vcc_lo, exec_lo
	s_branch .LBB8_80
.LBB8_85:                               ;   in Loop: Header=BB8_7 Depth=1
	s_or_b32 exec_lo, exec_lo, s21
	v_and_b32_e32 v1, 0xffff, v3
	s_wait_alu 0xfffe
	s_and_b32 s21, s24, exec_lo
	s_delay_alu instid0(VALU_DEP_1)
	v_lshrrev_b32_e32 v25, 8, v1
.LBB8_86:                               ;   in Loop: Header=BB8_7 Depth=1
	s_wait_alu 0xfffe
	s_or_b32 exec_lo, exec_lo, s23
.LBB8_87:                               ;   in Loop: Header=BB8_7 Depth=1
	s_wait_alu 0xfffe
	s_and_b32 vcc_lo, exec_lo, s22
	s_wait_alu 0xfffe
	s_cbranch_vccz .LBB8_98
; %bb.88:                               ;   in Loop: Header=BB8_7 Depth=1
	s_add_co_i32 s20, s15, s53
                                        ; implicit-def: $vgpr25
	s_wait_alu 0xfffe
	s_abs_i32 s40, s20
	s_wait_alu 0xfffe
	s_mul_u64 s[22:23], s[40:41], s[46:47]
	s_ashr_i32 s22, s20, 31
	s_wait_alu 0xfffe
	s_mul_i32 s18, s23, s50
	s_wait_alu 0xfffe
	s_sub_co_i32 s18, s40, s18
	s_wait_alu 0xfffe
	s_sub_co_i32 s23, s18, s50
	s_cmp_ge_u32 s18, s50
	s_wait_alu 0xfffe
	s_cselect_b32 s18, s23, s18
	s_wait_alu 0xfffe
	s_sub_co_i32 s23, s18, s50
	s_cmp_ge_u32 s18, s50
	s_wait_alu 0xfffe
	s_cselect_b32 s18, s23, s18
	s_wait_alu 0xfffe
	s_xor_b32 s18, s18, s22
	s_wait_alu 0xfffe
	s_sub_co_i32 s18, s22, s18
	s_wait_alu 0xfffe
	s_add_co_i32 s20, s20, s18
	s_mov_b32 s18, exec_lo
	s_wait_alu 0xfffe
	v_cmpx_gt_i32_e64 s20, v0
	s_cbranch_execz .LBB8_97
; %bb.89:                               ;   in Loop: Header=BB8_7 Depth=1
	v_mov_b32_e32 v1, v0
	s_mov_b32 s23, 0
                                        ; implicit-def: $sgpr22
	s_branch .LBB8_92
.LBB8_90:                               ;   in Loop: Header=BB8_92 Depth=2
	s_wait_alu 0xfffe
	s_or_b32 exec_lo, exec_lo, s24
	s_wait_loadcnt_dscnt 0x0
	s_barrier_signal -1
	s_barrier_wait -1
	global_inv scope:SCOPE_SE
	ds_load_u16 v2, v14 offset:3072
	s_mov_b32 s25, -1
	s_mov_b32 s24, -1
	s_wait_loadcnt_dscnt 0x0
	s_barrier_signal -1
	s_barrier_wait -1
	global_inv scope:SCOPE_SE
	v_and_b32_e32 v3, 0xff, v2
	s_delay_alu instid0(VALU_DEP_1)
	v_cmp_ne_u32_e32 vcc_lo, 0, v3
	s_cbranch_vccz .LBB8_95
.LBB8_91:                               ;   in Loop: Header=BB8_92 Depth=2
	s_wait_alu 0xfffe
	s_and_b32 s25, exec_lo, s25
	s_wait_alu 0xfffe
	s_or_b32 s23, s25, s23
	s_and_not1_b32 s22, s22, exec_lo
	s_and_b32 s24, s24, exec_lo
	s_wait_alu 0xfffe
	s_or_b32 s22, s22, s24
	s_and_not1_b32 exec_lo, exec_lo, s23
	s_cbranch_execz .LBB8_96
.LBB8_92:                               ;   Parent Loop BB8_7 Depth=1
                                        ; =>  This Inner Loop Header: Depth=2
	s_mov_b32 s24, exec_lo
	s_delay_alu instid0(VALU_DEP_1)
	v_cmpx_gt_i32_e64 s15, v1
	s_cbranch_execz .LBB8_90
; %bb.93:                               ;   in Loop: Header=BB8_92 Depth=2
	ds_load_u8 v2, v1
	s_wait_dscnt 0x0
	v_bfe_i32 v3, v2, 0, 8
	s_delay_alu instid0(VALU_DEP_1) | instskip(NEXT) | instid1(VALU_DEP_1)
	v_add_nc_u32_e32 v3, 0x80, v3
	v_and_b32_e32 v3, v3, v24
	s_delay_alu instid0(VALU_DEP_1)
	v_cmp_eq_u32_e32 vcc_lo, v3, v10
	s_and_b32 exec_lo, exec_lo, vcc_lo
	s_cbranch_execz .LBB8_90
; %bb.94:                               ;   in Loop: Header=BB8_92 Depth=2
	v_lshlrev_b16 v2, 8, v2
	s_delay_alu instid0(VALU_DEP_1)
	v_or_b32_e32 v2, 1, v2
	ds_store_b16 v14, v2 offset:3072
	s_branch .LBB8_90
.LBB8_95:                               ;   in Loop: Header=BB8_92 Depth=2
	v_add_nc_u32_e32 v1, s50, v1
	s_mov_b32 s24, 0
	s_delay_alu instid0(VALU_DEP_1)
	v_cmp_le_i32_e32 vcc_lo, s20, v1
	s_or_not1_b32 s25, vcc_lo, exec_lo
	s_branch .LBB8_91
.LBB8_96:                               ;   in Loop: Header=BB8_7 Depth=1
	s_or_b32 exec_lo, exec_lo, s23
	v_and_b32_e32 v1, 0xffff, v2
	s_and_not1_b32 s15, s21, exec_lo
	s_wait_alu 0xfffe
	s_and_b32 s20, s22, exec_lo
	s_wait_alu 0xfffe
	s_or_b32 s21, s15, s20
	v_lshrrev_b32_e32 v25, 8, v1
.LBB8_97:                               ;   in Loop: Header=BB8_7 Depth=1
	s_or_b32 exec_lo, exec_lo, s18
	s_mov_b32 s18, 0
	s_mov_b32 s20, -1
.LBB8_98:                               ;   in Loop: Header=BB8_7 Depth=1
	s_wait_alu 0xfffe
	s_or_not1_b32 s15, s21, exec_lo
.LBB8_99:                               ;   in Loop: Header=BB8_7 Depth=1
	s_wait_alu 0xfffe
	s_or_b32 exec_lo, exec_lo, s11
	v_readfirstlane_b32 s21, v0
	s_and_not1_b32 s11, s68, exec_lo
	s_and_b32 s20, s20, exec_lo
	s_and_not1_b32 s22, s66, exec_lo
	s_and_b32 s18, s18, exec_lo
	s_and_not1_b32 s65, s65, exec_lo
	s_wait_alu 0xfffe
	s_or_b32 s68, s11, s20
	s_or_b32 s66, s22, s18
                                        ; implicit-def: $vgpr2
	s_and_saveexec_b32 s11, s15
	s_cbranch_execz .LBB8_6
; %bb.100:                              ;   in Loop: Header=BB8_7 Depth=1
	v_dual_mov_b32 v2, 1 :: v_dual_mov_b32 v1, 1
	s_xor_b32 s14, s14, -1
	s_mov_b32 s20, 0
	s_wait_alu 0xfffe
	s_and_saveexec_b32 s13, s14
	s_cbranch_execz .LBB8_109
; %bb.101:                              ;   in Loop: Header=BB8_7 Depth=1
	s_mov_b32 s14, exec_lo
	v_cmpx_ge_i32_e64 s12, v26
	s_wait_alu 0xfffe
	s_xor_b32 s14, exec_lo, s14
	s_cbranch_execz .LBB8_106
; %bb.102:                              ;   in Loop: Header=BB8_7 Depth=1
	ds_load_b32 v1, v14 offset:4096
	v_and_b32_e32 v10, s17, v10
	v_or_b32_e32 v24, s10, v24
	s_wait_dscnt 0x0
	v_cmp_ne_u32_e32 vcc_lo, 0, v1
	s_cbranch_vccnz .LBB8_106
; %bb.103:                              ;   in Loop: Header=BB8_7 Depth=1
	s_and_saveexec_b32 s15, s2
; %bb.104:                              ;   in Loop: Header=BB8_7 Depth=1
	v_mov_b32_e32 v1, s12
	ds_store_b32 v14, v1 offset:4100
; %bb.105:                              ;   in Loop: Header=BB8_7 Depth=1
	s_wait_alu 0xfffe
	s_or_b32 exec_lo, exec_lo, s15
	s_wait_loadcnt_dscnt 0x0
	s_barrier_signal -1
	s_barrier_wait -1
	global_inv scope:SCOPE_SE
.LBB8_106:                              ;   in Loop: Header=BB8_7 Depth=1
	s_wait_alu 0xfffe
	s_or_saveexec_b32 s14, s14
	v_mov_b32_e32 v1, 8
	s_mov_b32 s15, 0
	s_wait_alu 0xfffe
	s_xor_b32 exec_lo, exec_lo, s14
; %bb.107:                              ;   in Loop: Header=BB8_7 Depth=1
	v_subrev_nc_u32_e32 v26, s12, v26
	v_mov_b32_e32 v1, 0
	s_mov_b32 s15, exec_lo
; %bb.108:                              ;   in Loop: Header=BB8_7 Depth=1
	s_or_b32 exec_lo, exec_lo, s14
	s_delay_alu instid0(VALU_DEP_2)
	v_mov_b32_e32 v2, v26
	s_wait_alu 0xfffe
	s_and_b32 s20, s15, exec_lo
.LBB8_109:                              ;   in Loop: Header=BB8_7 Depth=1
	s_wait_alu 0xfffe
	s_or_b32 exec_lo, exec_lo, s13
	s_mov_b32 s12, -1
	s_mov_b32 s18, -1
                                        ; implicit-def: $sgpr14
                                        ; implicit-def: $sgpr15
	s_and_saveexec_b32 s13, s20
	s_wait_alu 0xfffe
	s_xor_b32 s13, exec_lo, s13
	s_cbranch_execz .LBB8_226
; %bb.110:                              ;   in Loop: Header=BB8_7 Depth=1
	v_cmp_eq_u32_e32 vcc_lo, 1, v2
	s_cmp_eq_u32 s19, 1
	s_mov_b32 s21, -1
	s_cselect_b32 s14, -1, 0
                                        ; implicit-def: $sgpr15
	s_wait_alu 0xfffe
	s_and_b32 s20, s14, vcc_lo
                                        ; implicit-def: $sgpr14
	s_wait_alu 0xfffe
	s_and_saveexec_b32 s18, s20
	s_cbranch_execz .LBB8_136
; %bb.111:                              ;   in Loop: Header=BB8_7 Depth=1
	ds_load_b32 v3, v14 offset:4096
	s_wait_loadcnt_dscnt 0x0
	s_barrier_signal -1
	s_barrier_wait -1
	global_inv scope:SCOPE_SE
	v_readfirstlane_b32 s21, v3
	s_and_saveexec_b32 s14, s0
; %bb.112:                              ;   in Loop: Header=BB8_7 Depth=1
	ds_store_b8 v0, v14 offset:3072
; %bb.113:                              ;   in Loop: Header=BB8_7 Depth=1
	s_wait_alu 0xfffe
	s_or_b32 exec_lo, exec_lo, s14
	s_lshl_b32 s14, 1, s70
	v_or_b32_e32 v24, s10, v24
	s_wait_alu 0xfffe
	v_and_or_b32 v10, v10, s17, s14
	s_mov_b32 s14, -1
	s_mov_b32 s15, 0
	s_cmp_gt_i32 s21, 0
	s_mov_b32 s22, 0
	s_mov_b32 s23, -1
	s_wait_loadcnt_dscnt 0x0
	s_barrier_signal -1
	s_barrier_wait -1
	global_inv scope:SCOPE_SE
                                        ; implicit-def: $vgpr25
	s_cbranch_scc1 .LBB8_124
; %bb.114:                              ;   in Loop: Header=BB8_7 Depth=1
	s_mov_b32 s23, 0
                                        ; implicit-def: $vgpr25
	s_and_saveexec_b32 s24, s8
	s_cbranch_execz .LBB8_123
; %bb.115:                              ;   in Loop: Header=BB8_7 Depth=1
	v_dual_mov_b32 v3, v11 :: v_dual_mov_b32 v4, v0
                                        ; implicit-def: $sgpr25
	s_branch .LBB8_118
.LBB8_116:                              ;   in Loop: Header=BB8_118 Depth=2
	s_wait_alu 0xfffe
	s_or_b32 exec_lo, exec_lo, s26
	s_wait_loadcnt_dscnt 0x0
	s_barrier_signal -1
	s_barrier_wait -1
	global_inv scope:SCOPE_SE
	ds_load_u16 v25, v14 offset:3072
	s_mov_b32 s26, -1
	s_mov_b32 s27, -1
	s_wait_loadcnt_dscnt 0x0
	s_barrier_signal -1
	s_barrier_wait -1
	global_inv scope:SCOPE_SE
	v_and_b32_e32 v26, 0xff, v25
	s_delay_alu instid0(VALU_DEP_1)
	v_cmp_ne_u32_e32 vcc_lo, 0, v26
	s_cbranch_vccz .LBB8_121
.LBB8_117:                              ;   in Loop: Header=BB8_118 Depth=2
	s_wait_alu 0xfffe
	s_and_b32 s26, exec_lo, s26
	s_wait_alu 0xfffe
	s_or_b32 s22, s26, s22
	s_and_not1_b32 s25, s25, exec_lo
	s_and_b32 s26, s27, exec_lo
	s_wait_alu 0xfffe
	s_or_b32 s25, s25, s26
	s_and_not1_b32 exec_lo, exec_lo, s22
	s_cbranch_execz .LBB8_122
.LBB8_118:                              ;   Parent Loop BB8_7 Depth=1
                                        ; =>  This Inner Loop Header: Depth=2
	s_mov_b32 s26, exec_lo
	s_delay_alu instid0(VALU_DEP_1)
	v_cmpx_gt_i32_e64 s36, v4
	s_cbranch_execz .LBB8_116
; %bb.119:                              ;   in Loop: Header=BB8_118 Depth=2
	v_ashrrev_i32_e32 v26, 31, v3
	v_add_co_u32 v25, vcc_lo, s42, v3
	s_wait_alu 0xfffd
	s_delay_alu instid0(VALU_DEP_2) | instskip(SKIP_3) | instid1(VALU_DEP_1)
	v_add_co_ci_u32_e64 v26, null, s43, v26, vcc_lo
	global_load_u8 v25, v[25:26], off
	s_wait_loadcnt 0x0
	v_bfe_i32 v26, v25, 0, 8
	v_add_nc_u32_e32 v26, 0x80, v26
	s_delay_alu instid0(VALU_DEP_1) | instskip(NEXT) | instid1(VALU_DEP_1)
	v_and_b32_e32 v26, v26, v24
	v_cmp_eq_u32_e32 vcc_lo, v26, v10
	s_and_b32 exec_lo, exec_lo, vcc_lo
	s_cbranch_execz .LBB8_116
; %bb.120:                              ;   in Loop: Header=BB8_118 Depth=2
	v_lshlrev_b16 v25, 8, v25
	s_delay_alu instid0(VALU_DEP_1)
	v_or_b32_e32 v25, 1, v25
	ds_store_b16 v14, v25 offset:3072
	s_branch .LBB8_116
.LBB8_121:                              ;   in Loop: Header=BB8_118 Depth=2
	v_add_nc_u32_e32 v4, s50, v4
	v_add_nc_u32_e32 v3, s54, v3
	s_mov_b32 s27, 0
	s_delay_alu instid0(VALU_DEP_2)
	v_cmp_le_i32_e32 vcc_lo, s62, v4
	s_or_not1_b32 s26, vcc_lo, exec_lo
	s_branch .LBB8_117
.LBB8_122:                              ;   in Loop: Header=BB8_7 Depth=1
	s_or_b32 exec_lo, exec_lo, s22
	v_and_b32_e32 v3, 0xffff, v25
	s_wait_alu 0xfffe
	s_and_b32 s22, s25, exec_lo
	s_delay_alu instid0(VALU_DEP_1)
	v_lshrrev_b32_e32 v25, 8, v3
.LBB8_123:                              ;   in Loop: Header=BB8_7 Depth=1
	s_wait_alu 0xfffe
	s_or_b32 exec_lo, exec_lo, s24
.LBB8_124:                              ;   in Loop: Header=BB8_7 Depth=1
	s_wait_alu 0xfffe
	s_and_b32 vcc_lo, exec_lo, s23
	s_wait_alu 0xfffe
	s_cbranch_vccz .LBB8_135
; %bb.125:                              ;   in Loop: Header=BB8_7 Depth=1
	s_add_co_i32 s23, s21, s53
                                        ; implicit-def: $vgpr25
	s_wait_alu 0xfffe
	s_abs_i32 s40, s23
	s_wait_alu 0xfffe
	s_mul_u64 s[14:15], s[40:41], s[46:47]
	s_wait_alu 0xfffe
	s_mul_i32 s14, s15, s50
	s_ashr_i32 s15, s23, 31
	s_wait_alu 0xfffe
	s_sub_co_i32 s14, s40, s14
	s_wait_alu 0xfffe
	s_sub_co_i32 s24, s14, s50
	s_cmp_ge_u32 s14, s50
	s_wait_alu 0xfffe
	s_cselect_b32 s14, s24, s14
	s_wait_alu 0xfffe
	s_sub_co_i32 s24, s14, s50
	s_cmp_ge_u32 s14, s50
	s_wait_alu 0xfffe
	s_cselect_b32 s14, s24, s14
	s_wait_alu 0xfffe
	s_xor_b32 s14, s14, s15
	s_wait_alu 0xfffe
	s_sub_co_i32 s14, s15, s14
	s_wait_alu 0xfffe
	s_add_co_i32 s15, s23, s14
	s_mov_b32 s14, exec_lo
	s_wait_alu 0xfffe
	v_cmpx_gt_i32_e64 s15, v0
	s_cbranch_execz .LBB8_134
; %bb.126:                              ;   in Loop: Header=BB8_7 Depth=1
	v_mov_b32_e32 v3, v0
	s_mov_b32 s23, 0
                                        ; implicit-def: $sgpr24
	s_branch .LBB8_129
.LBB8_127:                              ;   in Loop: Header=BB8_129 Depth=2
	s_wait_alu 0xfffe
	s_or_b32 exec_lo, exec_lo, s25
	s_wait_loadcnt_dscnt 0x0
	s_barrier_signal -1
	s_barrier_wait -1
	global_inv scope:SCOPE_SE
	ds_load_u16 v4, v14 offset:3072
	s_mov_b32 s26, -1
	s_mov_b32 s25, -1
	s_wait_loadcnt_dscnt 0x0
	s_barrier_signal -1
	s_barrier_wait -1
	global_inv scope:SCOPE_SE
	v_and_b32_e32 v25, 0xff, v4
	s_delay_alu instid0(VALU_DEP_1)
	v_cmp_eq_u32_e32 vcc_lo, 0, v25
	s_cbranch_vccnz .LBB8_132
.LBB8_128:                              ;   in Loop: Header=BB8_129 Depth=2
	s_wait_alu 0xfffe
	s_and_b32 s26, exec_lo, s26
	s_wait_alu 0xfffe
	s_or_b32 s23, s26, s23
	s_and_not1_b32 s24, s24, exec_lo
	s_and_b32 s25, s25, exec_lo
	s_wait_alu 0xfffe
	s_or_b32 s24, s24, s25
	s_and_not1_b32 exec_lo, exec_lo, s23
	s_cbranch_execz .LBB8_133
.LBB8_129:                              ;   Parent Loop BB8_7 Depth=1
                                        ; =>  This Inner Loop Header: Depth=2
	s_mov_b32 s25, exec_lo
	s_delay_alu instid0(VALU_DEP_1)
	v_cmpx_gt_i32_e64 s21, v3
	s_cbranch_execz .LBB8_127
; %bb.130:                              ;   in Loop: Header=BB8_129 Depth=2
	ds_load_u8 v4, v3
	s_wait_dscnt 0x0
	v_bfe_i32 v25, v4, 0, 8
	s_delay_alu instid0(VALU_DEP_1) | instskip(NEXT) | instid1(VALU_DEP_1)
	v_add_nc_u32_e32 v25, 0x80, v25
	v_and_b32_e32 v25, v25, v24
	s_delay_alu instid0(VALU_DEP_1)
	v_cmp_eq_u32_e32 vcc_lo, v25, v10
	s_and_b32 exec_lo, exec_lo, vcc_lo
	s_cbranch_execz .LBB8_127
; %bb.131:                              ;   in Loop: Header=BB8_129 Depth=2
	v_lshlrev_b16 v4, 8, v4
	s_delay_alu instid0(VALU_DEP_1)
	v_or_b32_e32 v4, 1, v4
	ds_store_b16 v14, v4 offset:3072
	s_branch .LBB8_127
.LBB8_132:                              ;   in Loop: Header=BB8_129 Depth=2
	v_add_nc_u32_e32 v3, s50, v3
	s_mov_b32 s25, 0
	s_delay_alu instid0(VALU_DEP_1)
	v_cmp_le_i32_e32 vcc_lo, s15, v3
	s_or_not1_b32 s26, vcc_lo, exec_lo
	s_branch .LBB8_128
.LBB8_133:                              ;   in Loop: Header=BB8_7 Depth=1
	s_or_b32 exec_lo, exec_lo, s23
	v_and_b32_e32 v3, 0xffff, v4
	s_and_not1_b32 s15, s22, exec_lo
	s_wait_alu 0xfffe
	s_and_b32 s21, s24, exec_lo
	s_wait_alu 0xfffe
	s_or_b32 s22, s15, s21
	v_lshrrev_b32_e32 v25, 8, v3
.LBB8_134:                              ;   in Loop: Header=BB8_7 Depth=1
	s_or_b32 exec_lo, exec_lo, s14
	s_mov_b32 s14, 0
	s_mov_b32 s15, -1
.LBB8_135:                              ;   in Loop: Header=BB8_7 Depth=1
	s_wait_alu 0xfffe
	s_or_not1_b32 s21, s22, exec_lo
.LBB8_136:                              ;   in Loop: Header=BB8_7 Depth=1
	s_wait_alu 0xfffe
	s_or_b32 exec_lo, exec_lo, s18
	s_mov_b32 s22, 0
	s_and_saveexec_b32 s18, s21
	s_cbranch_execz .LBB8_225
; %bb.137:                              ;   in Loop: Header=BB8_7 Depth=1
	v_mov_b32_e32 v3, 1
	v_mov_b32_e32 v1, 1
	s_xor_b32 s21, s20, -1
	s_mov_b32 s23, 0
	s_wait_alu 0xfffe
	s_and_saveexec_b32 s20, s21
	s_cbranch_execz .LBB8_146
; %bb.138:                              ;   in Loop: Header=BB8_7 Depth=1
	s_mov_b32 s21, exec_lo
	v_cmpx_ge_i32_e64 s19, v2
	s_wait_alu 0xfffe
	s_xor_b32 s21, exec_lo, s21
	s_cbranch_execz .LBB8_143
; %bb.139:                              ;   in Loop: Header=BB8_7 Depth=1
	ds_load_b32 v1, v14 offset:4096
	s_lshl_b32 s22, 1, s70
	v_or_b32_e32 v24, s10, v24
	s_wait_alu 0xfffe
	v_and_or_b32 v10, v10, s17, s22
	s_wait_dscnt 0x0
	v_cmp_ne_u32_e32 vcc_lo, 0, v1
	s_cbranch_vccnz .LBB8_143
; %bb.140:                              ;   in Loop: Header=BB8_7 Depth=1
	s_and_saveexec_b32 s22, s2
; %bb.141:                              ;   in Loop: Header=BB8_7 Depth=1
	v_mov_b32_e32 v1, s19
	ds_store_b32 v14, v1 offset:4100
; %bb.142:                              ;   in Loop: Header=BB8_7 Depth=1
	s_wait_alu 0xfffe
	s_or_b32 exec_lo, exec_lo, s22
	s_wait_loadcnt_dscnt 0x0
	s_barrier_signal -1
	s_barrier_wait -1
	global_inv scope:SCOPE_SE
.LBB8_143:                              ;   in Loop: Header=BB8_7 Depth=1
	s_wait_alu 0xfffe
	s_or_saveexec_b32 s21, s21
	v_mov_b32_e32 v1, 8
	s_mov_b32 s22, 0
	s_wait_alu 0xfffe
	s_xor_b32 exec_lo, exec_lo, s21
; %bb.144:                              ;   in Loop: Header=BB8_7 Depth=1
	v_subrev_nc_u32_e32 v2, s19, v2
	v_mov_b32_e32 v1, 0
	s_mov_b32 s22, exec_lo
; %bb.145:                              ;   in Loop: Header=BB8_7 Depth=1
	s_or_b32 exec_lo, exec_lo, s21
	s_delay_alu instid0(VALU_DEP_2)
	v_mov_b32_e32 v3, v2
	s_wait_alu 0xfffe
	s_and_b32 s23, s22, exec_lo
.LBB8_146:                              ;   in Loop: Header=BB8_7 Depth=1
	s_wait_alu 0xfffe
	s_or_b32 exec_lo, exec_lo, s20
	s_mov_b32 s22, -1
                                        ; implicit-def: $sgpr20
                                        ; implicit-def: $sgpr21
	s_and_saveexec_b32 s19, s23
	s_cbranch_execz .LBB8_224
; %bb.147:                              ;   in Loop: Header=BB8_7 Depth=1
	v_cmp_eq_u32_e32 vcc_lo, 1, v3
	s_cmp_eq_u32 s16, 1
	s_mov_b32 s24, -1
	s_cselect_b32 s20, -1, 0
                                        ; implicit-def: $sgpr21
	s_wait_alu 0xfffe
	s_and_b32 s23, s20, vcc_lo
                                        ; implicit-def: $sgpr20
	s_wait_alu 0xfffe
	s_and_saveexec_b32 s22, s23
	s_cbranch_execz .LBB8_173
; %bb.148:                              ;   in Loop: Header=BB8_7 Depth=1
	ds_load_b32 v2, v14 offset:4096
	s_wait_loadcnt_dscnt 0x0
	s_barrier_signal -1
	s_barrier_wait -1
	global_inv scope:SCOPE_SE
	v_readfirstlane_b32 s24, v2
	s_and_saveexec_b32 s20, s0
; %bb.149:                              ;   in Loop: Header=BB8_7 Depth=1
	ds_store_b8 v0, v14 offset:3072
; %bb.150:                              ;   in Loop: Header=BB8_7 Depth=1
	s_wait_alu 0xfffe
	s_or_b32 exec_lo, exec_lo, s20
	s_lshl_b32 s20, 2, s70
	v_or_b32_e32 v24, s10, v24
	s_wait_alu 0xfffe
	v_and_or_b32 v10, v10, s17, s20
	s_mov_b32 s20, -1
	s_mov_b32 s21, 0
	s_cmp_gt_i32 s24, 0
	s_mov_b32 s25, 0
	s_mov_b32 s26, -1
	s_wait_loadcnt_dscnt 0x0
	s_barrier_signal -1
	s_barrier_wait -1
	global_inv scope:SCOPE_SE
                                        ; implicit-def: $vgpr25
	s_cbranch_scc1 .LBB8_161
; %bb.151:                              ;   in Loop: Header=BB8_7 Depth=1
	s_mov_b32 s26, 0
                                        ; implicit-def: $vgpr25
	s_and_saveexec_b32 s27, s8
	s_cbranch_execz .LBB8_160
; %bb.152:                              ;   in Loop: Header=BB8_7 Depth=1
	v_mov_b32_e32 v2, v11
	v_mov_b32_e32 v4, v0
                                        ; implicit-def: $sgpr28
	s_branch .LBB8_155
.LBB8_153:                              ;   in Loop: Header=BB8_155 Depth=2
	s_wait_alu 0xfffe
	s_or_b32 exec_lo, exec_lo, s40
	s_wait_loadcnt_dscnt 0x0
	s_barrier_signal -1
	s_barrier_wait -1
	global_inv scope:SCOPE_SE
	ds_load_u16 v25, v14 offset:3072
	s_mov_b32 s40, -1
	s_mov_b32 s71, -1
	s_wait_loadcnt_dscnt 0x0
	s_barrier_signal -1
	s_barrier_wait -1
	global_inv scope:SCOPE_SE
	v_and_b32_e32 v26, 0xff, v25
	s_delay_alu instid0(VALU_DEP_1)
	v_cmp_ne_u32_e32 vcc_lo, 0, v26
	s_cbranch_vccz .LBB8_158
.LBB8_154:                              ;   in Loop: Header=BB8_155 Depth=2
	s_wait_alu 0xfffe
	s_and_b32 s40, exec_lo, s40
	s_wait_alu 0xfffe
	s_or_b32 s25, s40, s25
	s_and_not1_b32 s28, s28, exec_lo
	s_and_b32 s40, s71, exec_lo
	s_wait_alu 0xfffe
	s_or_b32 s28, s28, s40
	s_and_not1_b32 exec_lo, exec_lo, s25
	s_cbranch_execz .LBB8_159
.LBB8_155:                              ;   Parent Loop BB8_7 Depth=1
                                        ; =>  This Inner Loop Header: Depth=2
	s_mov_b32 s40, exec_lo
	s_delay_alu instid0(VALU_DEP_1)
	v_cmpx_gt_i32_e64 s36, v4
	s_cbranch_execz .LBB8_153
; %bb.156:                              ;   in Loop: Header=BB8_155 Depth=2
	v_ashrrev_i32_e32 v26, 31, v2
	v_add_co_u32 v25, vcc_lo, s42, v2
	s_wait_alu 0xfffd
	s_delay_alu instid0(VALU_DEP_2) | instskip(SKIP_3) | instid1(VALU_DEP_1)
	v_add_co_ci_u32_e64 v26, null, s43, v26, vcc_lo
	global_load_u8 v25, v[25:26], off
	s_wait_loadcnt 0x0
	v_bfe_i32 v26, v25, 0, 8
	v_add_nc_u32_e32 v26, 0x80, v26
	s_delay_alu instid0(VALU_DEP_1) | instskip(NEXT) | instid1(VALU_DEP_1)
	v_and_b32_e32 v26, v26, v24
	v_cmp_eq_u32_e32 vcc_lo, v26, v10
	s_and_b32 exec_lo, exec_lo, vcc_lo
	s_cbranch_execz .LBB8_153
; %bb.157:                              ;   in Loop: Header=BB8_155 Depth=2
	v_lshlrev_b16 v25, 8, v25
	s_delay_alu instid0(VALU_DEP_1)
	v_or_b32_e32 v25, 1, v25
	ds_store_b16 v14, v25 offset:3072
	s_branch .LBB8_153
.LBB8_158:                              ;   in Loop: Header=BB8_155 Depth=2
	v_add_nc_u32_e32 v4, s50, v4
	v_add_nc_u32_e32 v2, s54, v2
	s_mov_b32 s71, 0
	s_delay_alu instid0(VALU_DEP_2)
	v_cmp_le_i32_e32 vcc_lo, s62, v4
	s_or_not1_b32 s40, vcc_lo, exec_lo
	s_branch .LBB8_154
.LBB8_159:                              ;   in Loop: Header=BB8_7 Depth=1
	s_or_b32 exec_lo, exec_lo, s25
	v_and_b32_e32 v2, 0xffff, v25
	s_and_b32 s25, s28, exec_lo
	s_delay_alu instid0(VALU_DEP_1)
	v_lshrrev_b32_e32 v25, 8, v2
.LBB8_160:                              ;   in Loop: Header=BB8_7 Depth=1
	s_wait_alu 0xfffe
	s_or_b32 exec_lo, exec_lo, s27
.LBB8_161:                              ;   in Loop: Header=BB8_7 Depth=1
	s_wait_alu 0xfffe
	s_and_b32 vcc_lo, exec_lo, s26
	s_wait_alu 0xfffe
	s_cbranch_vccz .LBB8_172
; %bb.162:                              ;   in Loop: Header=BB8_7 Depth=1
	s_add_co_i32 s26, s24, s53
                                        ; implicit-def: $vgpr25
	s_wait_alu 0xfffe
	s_abs_i32 s40, s26
	s_wait_alu 0xfffe
	s_mul_u64 s[20:21], s[40:41], s[46:47]
	s_wait_alu 0xfffe
	s_mul_i32 s20, s21, s50
	s_ashr_i32 s21, s26, 31
	s_wait_alu 0xfffe
	s_sub_co_i32 s20, s40, s20
	s_wait_alu 0xfffe
	s_sub_co_i32 s27, s20, s50
	s_cmp_ge_u32 s20, s50
	s_wait_alu 0xfffe
	s_cselect_b32 s20, s27, s20
	s_wait_alu 0xfffe
	s_sub_co_i32 s27, s20, s50
	s_cmp_ge_u32 s20, s50
	s_wait_alu 0xfffe
	s_cselect_b32 s20, s27, s20
	s_wait_alu 0xfffe
	s_xor_b32 s20, s20, s21
	s_wait_alu 0xfffe
	s_sub_co_i32 s20, s21, s20
	s_wait_alu 0xfffe
	s_add_co_i32 s21, s26, s20
	s_mov_b32 s20, exec_lo
	s_wait_alu 0xfffe
	v_cmpx_gt_i32_e64 s21, v0
	s_cbranch_execz .LBB8_171
; %bb.163:                              ;   in Loop: Header=BB8_7 Depth=1
	v_mov_b32_e32 v2, v0
	s_mov_b32 s26, 0
                                        ; implicit-def: $sgpr27
	s_branch .LBB8_166
.LBB8_164:                              ;   in Loop: Header=BB8_166 Depth=2
	s_or_b32 exec_lo, exec_lo, s28
	s_wait_loadcnt_dscnt 0x0
	s_barrier_signal -1
	s_barrier_wait -1
	global_inv scope:SCOPE_SE
	ds_load_u16 v4, v14 offset:3072
	s_mov_b32 s40, -1
	s_mov_b32 s28, -1
	s_wait_loadcnt_dscnt 0x0
	s_barrier_signal -1
	s_barrier_wait -1
	global_inv scope:SCOPE_SE
	v_and_b32_e32 v25, 0xff, v4
	s_delay_alu instid0(VALU_DEP_1)
	v_cmp_eq_u32_e32 vcc_lo, 0, v25
	s_cbranch_vccnz .LBB8_169
.LBB8_165:                              ;   in Loop: Header=BB8_166 Depth=2
	s_wait_alu 0xfffe
	s_and_b32 s40, exec_lo, s40
	s_wait_alu 0xfffe
	s_or_b32 s26, s40, s26
	s_and_not1_b32 s27, s27, exec_lo
	s_and_b32 s28, s28, exec_lo
	s_wait_alu 0xfffe
	s_or_b32 s27, s27, s28
	s_and_not1_b32 exec_lo, exec_lo, s26
	s_cbranch_execz .LBB8_170
.LBB8_166:                              ;   Parent Loop BB8_7 Depth=1
                                        ; =>  This Inner Loop Header: Depth=2
	s_mov_b32 s28, exec_lo
	s_delay_alu instid0(VALU_DEP_1)
	v_cmpx_gt_i32_e64 s24, v2
	s_cbranch_execz .LBB8_164
; %bb.167:                              ;   in Loop: Header=BB8_166 Depth=2
	ds_load_u8 v4, v2
	s_wait_dscnt 0x0
	v_bfe_i32 v25, v4, 0, 8
	s_delay_alu instid0(VALU_DEP_1) | instskip(NEXT) | instid1(VALU_DEP_1)
	v_add_nc_u32_e32 v25, 0x80, v25
	v_and_b32_e32 v25, v25, v24
	s_delay_alu instid0(VALU_DEP_1)
	v_cmp_eq_u32_e32 vcc_lo, v25, v10
	s_and_b32 exec_lo, exec_lo, vcc_lo
	s_cbranch_execz .LBB8_164
; %bb.168:                              ;   in Loop: Header=BB8_166 Depth=2
	v_lshlrev_b16 v4, 8, v4
	s_delay_alu instid0(VALU_DEP_1)
	v_or_b32_e32 v4, 1, v4
	ds_store_b16 v14, v4 offset:3072
	s_branch .LBB8_164
.LBB8_169:                              ;   in Loop: Header=BB8_166 Depth=2
	v_add_nc_u32_e32 v2, s50, v2
	s_mov_b32 s28, 0
	s_delay_alu instid0(VALU_DEP_1)
	v_cmp_le_i32_e32 vcc_lo, s21, v2
	s_or_not1_b32 s40, vcc_lo, exec_lo
	s_branch .LBB8_165
.LBB8_170:                              ;   in Loop: Header=BB8_7 Depth=1
	s_or_b32 exec_lo, exec_lo, s26
	v_and_b32_e32 v2, 0xffff, v4
	s_and_not1_b32 s21, s25, exec_lo
	s_wait_alu 0xfffe
	s_and_b32 s24, s27, exec_lo
	s_wait_alu 0xfffe
	s_or_b32 s25, s21, s24
	v_lshrrev_b32_e32 v25, 8, v2
.LBB8_171:                              ;   in Loop: Header=BB8_7 Depth=1
	s_or_b32 exec_lo, exec_lo, s20
	s_mov_b32 s20, 0
	s_mov_b32 s21, -1
.LBB8_172:                              ;   in Loop: Header=BB8_7 Depth=1
	s_wait_alu 0xfffe
	s_or_not1_b32 s24, s25, exec_lo
.LBB8_173:                              ;   in Loop: Header=BB8_7 Depth=1
	s_wait_alu 0xfffe
	s_or_b32 exec_lo, exec_lo, s22
	s_mov_b32 s25, 0
	s_and_saveexec_b32 s22, s24
	s_cbranch_execz .LBB8_223
; %bb.174:                              ;   in Loop: Header=BB8_7 Depth=1
	v_dual_mov_b32 v2, 1 :: v_dual_mov_b32 v1, 1
	s_xor_b32 s24, s23, -1
	s_wait_alu 0xfffe
	s_and_saveexec_b32 s23, s24
	s_cbranch_execz .LBB8_183
; %bb.175:                              ;   in Loop: Header=BB8_7 Depth=1
	s_mov_b32 s24, exec_lo
	v_cmpx_ge_i32_e64 s16, v3
	s_wait_alu 0xfffe
	s_xor_b32 s24, exec_lo, s24
	s_cbranch_execz .LBB8_180
; %bb.176:                              ;   in Loop: Header=BB8_7 Depth=1
	ds_load_b32 v1, v14 offset:4096
	s_lshl_b32 s25, 2, s70
	v_or_b32_e32 v24, s10, v24
	s_wait_alu 0xfffe
	v_and_or_b32 v10, v10, s17, s25
	s_wait_dscnt 0x0
	v_cmp_ne_u32_e32 vcc_lo, 0, v1
	s_cbranch_vccnz .LBB8_180
; %bb.177:                              ;   in Loop: Header=BB8_7 Depth=1
	s_and_saveexec_b32 s17, s2
; %bb.178:                              ;   in Loop: Header=BB8_7 Depth=1
	v_mov_b32_e32 v1, s16
	ds_store_b32 v14, v1 offset:4100
; %bb.179:                              ;   in Loop: Header=BB8_7 Depth=1
	s_wait_alu 0xfffe
	s_or_b32 exec_lo, exec_lo, s17
	s_wait_loadcnt_dscnt 0x0
	s_barrier_signal -1
	s_barrier_wait -1
	global_inv scope:SCOPE_SE
.LBB8_180:                              ;   in Loop: Header=BB8_7 Depth=1
	s_wait_alu 0xfffe
	s_or_saveexec_b32 s17, s24
	v_mov_b32_e32 v1, 8
	s_mov_b32 s24, 0
	s_wait_alu 0xfffe
	s_xor_b32 exec_lo, exec_lo, s17
; %bb.181:                              ;   in Loop: Header=BB8_7 Depth=1
	v_subrev_nc_u32_e32 v3, s16, v3
	v_mov_b32_e32 v1, 0
	s_mov_b32 s24, exec_lo
; %bb.182:                              ;   in Loop: Header=BB8_7 Depth=1
	s_or_b32 exec_lo, exec_lo, s17
	s_delay_alu instid0(VALU_DEP_2)
	v_mov_b32_e32 v2, v3
	s_wait_alu 0xfffe
	s_and_b32 s25, s24, exec_lo
.LBB8_183:                              ;   in Loop: Header=BB8_7 Depth=1
	s_wait_alu 0xfffe
	s_or_b32 exec_lo, exec_lo, s23
	s_mov_b32 s17, -1
                                        ; implicit-def: $sgpr24
                                        ; implicit-def: $sgpr23
	s_and_saveexec_b32 s16, s25
	s_cbranch_execz .LBB8_222
; %bb.184:                              ;   in Loop: Header=BB8_7 Depth=1
	v_cmp_eq_u32_e32 vcc_lo, 1, v2
	s_cmp_eq_u32 s9, 1
	s_mov_b32 s26, -1
	s_cselect_b32 s17, -1, 0
                                        ; implicit-def: $sgpr24
                                        ; implicit-def: $sgpr23
	s_wait_alu 0xfffe
	s_and_b32 s17, s17, vcc_lo
	s_wait_alu 0xfffe
	s_and_saveexec_b32 s25, s17
	s_cbranch_execz .LBB8_210
; %bb.185:                              ;   in Loop: Header=BB8_7 Depth=1
	ds_load_b32 v3, v14 offset:4096
	s_wait_loadcnt_dscnt 0x0
	s_barrier_signal -1
	s_barrier_wait -1
	global_inv scope:SCOPE_SE
	v_readfirstlane_b32 s26, v3
	s_and_saveexec_b32 s23, s0
; %bb.186:                              ;   in Loop: Header=BB8_7 Depth=1
	ds_store_b8 v0, v14 offset:3072
; %bb.187:                              ;   in Loop: Header=BB8_7 Depth=1
	s_wait_alu 0xfffe
	s_or_b32 exec_lo, exec_lo, s23
	v_or_b32_e32 v10, s10, v10
	v_or_b32_e32 v24, s10, v24
	s_mov_b32 s23, -1
	s_mov_b32 s24, 0
	s_cmp_gt_i32 s26, 0
	s_mov_b32 s27, 0
	s_mov_b32 s28, -1
	s_wait_loadcnt_dscnt 0x0
	s_barrier_signal -1
	s_barrier_wait -1
	global_inv scope:SCOPE_SE
                                        ; implicit-def: $vgpr25
	s_cbranch_scc1 .LBB8_198
; %bb.188:                              ;   in Loop: Header=BB8_7 Depth=1
	s_mov_b32 s28, 0
                                        ; implicit-def: $vgpr25
	s_and_saveexec_b32 s40, s8
	s_cbranch_execz .LBB8_197
; %bb.189:                              ;   in Loop: Header=BB8_7 Depth=1
	v_dual_mov_b32 v3, v11 :: v_dual_mov_b32 v4, v0
                                        ; implicit-def: $sgpr71
	s_branch .LBB8_192
.LBB8_190:                              ;   in Loop: Header=BB8_192 Depth=2
	s_wait_alu 0xfffe
	s_or_b32 exec_lo, exec_lo, s72
	s_wait_loadcnt_dscnt 0x0
	s_barrier_signal -1
	s_barrier_wait -1
	global_inv scope:SCOPE_SE
	ds_load_u16 v25, v14 offset:3072
	s_mov_b32 s72, -1
	s_mov_b32 s73, -1
	s_wait_loadcnt_dscnt 0x0
	s_barrier_signal -1
	s_barrier_wait -1
	global_inv scope:SCOPE_SE
	v_and_b32_e32 v26, 0xff, v25
	s_delay_alu instid0(VALU_DEP_1)
	v_cmp_ne_u32_e32 vcc_lo, 0, v26
	s_cbranch_vccz .LBB8_195
.LBB8_191:                              ;   in Loop: Header=BB8_192 Depth=2
	s_wait_alu 0xfffe
	s_and_b32 s72, exec_lo, s72
	s_wait_alu 0xfffe
	s_or_b32 s27, s72, s27
	s_and_not1_b32 s71, s71, exec_lo
	s_and_b32 s72, s73, exec_lo
	s_wait_alu 0xfffe
	s_or_b32 s71, s71, s72
	s_and_not1_b32 exec_lo, exec_lo, s27
	s_cbranch_execz .LBB8_196
.LBB8_192:                              ;   Parent Loop BB8_7 Depth=1
                                        ; =>  This Inner Loop Header: Depth=2
	s_mov_b32 s72, exec_lo
	s_delay_alu instid0(VALU_DEP_1)
	v_cmpx_gt_i32_e64 s36, v4
	s_cbranch_execz .LBB8_190
; %bb.193:                              ;   in Loop: Header=BB8_192 Depth=2
	v_ashrrev_i32_e32 v26, 31, v3
	v_add_co_u32 v25, vcc_lo, s42, v3
	s_wait_alu 0xfffd
	s_delay_alu instid0(VALU_DEP_2) | instskip(SKIP_3) | instid1(VALU_DEP_1)
	v_add_co_ci_u32_e64 v26, null, s43, v26, vcc_lo
	global_load_u8 v25, v[25:26], off
	s_wait_loadcnt 0x0
	v_bfe_i32 v26, v25, 0, 8
	v_add_nc_u32_e32 v26, 0x80, v26
	s_delay_alu instid0(VALU_DEP_1) | instskip(NEXT) | instid1(VALU_DEP_1)
	v_and_b32_e32 v26, v26, v24
	v_cmp_eq_u32_e32 vcc_lo, v26, v10
	s_and_b32 exec_lo, exec_lo, vcc_lo
	s_cbranch_execz .LBB8_190
; %bb.194:                              ;   in Loop: Header=BB8_192 Depth=2
	v_lshlrev_b16 v25, 8, v25
	s_delay_alu instid0(VALU_DEP_1)
	v_or_b32_e32 v25, 1, v25
	ds_store_b16 v14, v25 offset:3072
	s_branch .LBB8_190
.LBB8_195:                              ;   in Loop: Header=BB8_192 Depth=2
	v_add_nc_u32_e32 v4, s50, v4
	v_add_nc_u32_e32 v3, s54, v3
	s_mov_b32 s73, 0
	s_delay_alu instid0(VALU_DEP_2)
	v_cmp_le_i32_e32 vcc_lo, s62, v4
	s_or_not1_b32 s72, vcc_lo, exec_lo
	s_branch .LBB8_191
.LBB8_196:                              ;   in Loop: Header=BB8_7 Depth=1
	s_or_b32 exec_lo, exec_lo, s27
	v_and_b32_e32 v3, 0xffff, v25
	s_wait_alu 0xfffe
	s_and_b32 s27, s71, exec_lo
	s_delay_alu instid0(VALU_DEP_1)
	v_lshrrev_b32_e32 v25, 8, v3
.LBB8_197:                              ;   in Loop: Header=BB8_7 Depth=1
	s_wait_alu 0xfffe
	s_or_b32 exec_lo, exec_lo, s40
.LBB8_198:                              ;   in Loop: Header=BB8_7 Depth=1
	s_delay_alu instid0(SALU_CYCLE_1)
	s_and_b32 vcc_lo, exec_lo, s28
	s_wait_alu 0xfffe
	s_cbranch_vccz .LBB8_209
; %bb.199:                              ;   in Loop: Header=BB8_7 Depth=1
	s_add_co_i32 s24, s26, s53
                                        ; implicit-def: $vgpr25
	s_wait_alu 0xfffe
	s_abs_i32 s40, s24
	s_ashr_i32 s28, s24, 31
	s_wait_alu 0xfffe
	s_mul_u64 s[72:73], s[40:41], s[46:47]
	s_wait_alu 0xfffe
	s_mul_i32 s23, s73, s50
	s_wait_alu 0xfffe
	s_sub_co_i32 s23, s40, s23
	s_wait_alu 0xfffe
	s_sub_co_i32 s40, s23, s50
	s_cmp_ge_u32 s23, s50
	s_wait_alu 0xfffe
	s_cselect_b32 s23, s40, s23
	s_wait_alu 0xfffe
	s_sub_co_i32 s40, s23, s50
	s_cmp_ge_u32 s23, s50
	s_wait_alu 0xfffe
	s_cselect_b32 s23, s40, s23
	s_wait_alu 0xfffe
	s_xor_b32 s23, s23, s28
	s_wait_alu 0xfffe
	s_sub_co_i32 s23, s28, s23
	s_wait_alu 0xfffe
	s_add_co_i32 s24, s24, s23
	s_mov_b32 s23, exec_lo
	s_wait_alu 0xfffe
	v_cmpx_gt_i32_e64 s24, v0
	s_cbranch_execz .LBB8_208
; %bb.200:                              ;   in Loop: Header=BB8_7 Depth=1
	v_mov_b32_e32 v3, v0
	s_mov_b32 s28, 0
                                        ; implicit-def: $sgpr40
	s_branch .LBB8_203
.LBB8_201:                              ;   in Loop: Header=BB8_203 Depth=2
	s_wait_alu 0xfffe
	s_or_b32 exec_lo, exec_lo, s71
	s_wait_loadcnt_dscnt 0x0
	s_barrier_signal -1
	s_barrier_wait -1
	global_inv scope:SCOPE_SE
	ds_load_u16 v4, v14 offset:3072
	s_mov_b32 s72, -1
	s_mov_b32 s71, -1
	s_wait_loadcnt_dscnt 0x0
	s_barrier_signal -1
	s_barrier_wait -1
	global_inv scope:SCOPE_SE
	v_and_b32_e32 v25, 0xff, v4
	s_delay_alu instid0(VALU_DEP_1)
	v_cmp_eq_u32_e32 vcc_lo, 0, v25
	s_cbranch_vccnz .LBB8_206
.LBB8_202:                              ;   in Loop: Header=BB8_203 Depth=2
	s_wait_alu 0xfffe
	s_and_b32 s72, exec_lo, s72
	s_wait_alu 0xfffe
	s_or_b32 s28, s72, s28
	s_and_not1_b32 s40, s40, exec_lo
	s_and_b32 s71, s71, exec_lo
	s_wait_alu 0xfffe
	s_or_b32 s40, s40, s71
	s_and_not1_b32 exec_lo, exec_lo, s28
	s_cbranch_execz .LBB8_207
.LBB8_203:                              ;   Parent Loop BB8_7 Depth=1
                                        ; =>  This Inner Loop Header: Depth=2
	s_mov_b32 s71, exec_lo
	s_delay_alu instid0(VALU_DEP_1)
	v_cmpx_gt_i32_e64 s26, v3
	s_cbranch_execz .LBB8_201
; %bb.204:                              ;   in Loop: Header=BB8_203 Depth=2
	ds_load_u8 v4, v3
	s_wait_dscnt 0x0
	v_bfe_i32 v25, v4, 0, 8
	s_delay_alu instid0(VALU_DEP_1) | instskip(NEXT) | instid1(VALU_DEP_1)
	v_add_nc_u32_e32 v25, 0x80, v25
	v_and_b32_e32 v25, v25, v24
	s_delay_alu instid0(VALU_DEP_1)
	v_cmp_eq_u32_e32 vcc_lo, v25, v10
	s_and_b32 exec_lo, exec_lo, vcc_lo
	s_cbranch_execz .LBB8_201
; %bb.205:                              ;   in Loop: Header=BB8_203 Depth=2
	v_lshlrev_b16 v4, 8, v4
	s_delay_alu instid0(VALU_DEP_1)
	v_or_b32_e32 v4, 1, v4
	ds_store_b16 v14, v4 offset:3072
	s_branch .LBB8_201
.LBB8_206:                              ;   in Loop: Header=BB8_203 Depth=2
	v_add_nc_u32_e32 v3, s50, v3
	s_mov_b32 s71, 0
	s_delay_alu instid0(VALU_DEP_1)
	v_cmp_le_i32_e32 vcc_lo, s24, v3
	s_or_not1_b32 s72, vcc_lo, exec_lo
	s_branch .LBB8_202
.LBB8_207:                              ;   in Loop: Header=BB8_7 Depth=1
	s_or_b32 exec_lo, exec_lo, s28
	v_and_b32_e32 v3, 0xffff, v4
	s_and_not1_b32 s24, s27, exec_lo
	s_wait_alu 0xfffe
	s_and_b32 s26, s40, exec_lo
	s_wait_alu 0xfffe
	s_or_b32 s27, s24, s26
	v_lshrrev_b32_e32 v25, 8, v3
.LBB8_208:                              ;   in Loop: Header=BB8_7 Depth=1
	s_or_b32 exec_lo, exec_lo, s23
	s_mov_b32 s23, 0
	s_mov_b32 s24, -1
.LBB8_209:                              ;   in Loop: Header=BB8_7 Depth=1
	s_wait_alu 0xfffe
	s_or_not1_b32 s26, s27, exec_lo
.LBB8_210:                              ;   in Loop: Header=BB8_7 Depth=1
	s_wait_alu 0xfffe
	s_or_b32 exec_lo, exec_lo, s25
	s_mov_b32 s27, 0
	s_and_saveexec_b32 s25, s26
	s_cbranch_execz .LBB8_221
; %bb.211:                              ;   in Loop: Header=BB8_7 Depth=1
	v_mov_b32_e32 v1, 1
	v_mov_b32_e32 v3, 1
	s_xor_b32 s26, s17, -1
	s_wait_alu 0xfffe
	s_and_saveexec_b32 s17, s26
	s_cbranch_execz .LBB8_220
; %bb.212:                              ;   in Loop: Header=BB8_7 Depth=1
	s_mov_b32 s26, exec_lo
	v_cmpx_ge_i32_e64 s9, v2
	s_wait_alu 0xfffe
	s_xor_b32 s26, exec_lo, s26
	s_cbranch_execz .LBB8_217
; %bb.213:                              ;   in Loop: Header=BB8_7 Depth=1
	ds_load_b32 v1, v14 offset:4096
	v_or_b32_e32 v10, s10, v10
	v_or_b32_e32 v24, s10, v24
	s_wait_dscnt 0x0
	v_cmp_ne_u32_e32 vcc_lo, 0, v1
	s_cbranch_vccnz .LBB8_217
; %bb.214:                              ;   in Loop: Header=BB8_7 Depth=1
	s_and_saveexec_b32 s10, s2
; %bb.215:                              ;   in Loop: Header=BB8_7 Depth=1
	v_mov_b32_e32 v1, s9
	ds_store_b32 v14, v1 offset:4100
; %bb.216:                              ;   in Loop: Header=BB8_7 Depth=1
	s_wait_alu 0xfffe
	s_or_b32 exec_lo, exec_lo, s10
	s_wait_loadcnt_dscnt 0x0
	s_barrier_signal -1
	s_barrier_wait -1
	global_inv scope:SCOPE_SE
.LBB8_217:                              ;   in Loop: Header=BB8_7 Depth=1
	s_wait_alu 0xfffe
	s_and_not1_saveexec_b32 s10, s26
; %bb.218:                              ;   in Loop: Header=BB8_7 Depth=1
	v_subrev_nc_u32_e32 v2, s9, v2
; %bb.219:                              ;   in Loop: Header=BB8_7 Depth=1
	s_wait_alu 0xfffe
	s_or_b32 exec_lo, exec_lo, s10
	v_mov_b32_e32 v1, 8
	s_delay_alu instid0(VALU_DEP_2)
	v_mov_b32_e32 v3, v2
.LBB8_220:                              ;   in Loop: Header=BB8_7 Depth=1
	s_wait_alu 0xfffe
	s_or_b32 exec_lo, exec_lo, s17
	s_delay_alu instid0(VALU_DEP_1)
	v_mov_b32_e32 v2, v3
	s_mov_b32 s27, exec_lo
.LBB8_221:                              ;   in Loop: Header=BB8_7 Depth=1
	s_wait_alu 0xfffe
	s_or_b32 exec_lo, exec_lo, s25
	s_delay_alu instid0(SALU_CYCLE_1)
	s_or_not1_b32 s17, s27, exec_lo
.LBB8_222:                              ;   in Loop: Header=BB8_7 Depth=1
	s_wait_alu 0xfffe
	s_or_b32 exec_lo, exec_lo, s16
	v_mov_b32_e32 v3, v2
	s_and_not1_b32 s9, s21, exec_lo
	s_and_b32 s10, s24, exec_lo
	s_and_not1_b32 s16, s20, exec_lo
	s_and_b32 s20, s23, exec_lo
	s_wait_alu 0xfffe
	s_or_b32 s21, s9, s10
	s_or_b32 s20, s16, s20
	s_and_b32 s25, s17, exec_lo
.LBB8_223:                              ;   in Loop: Header=BB8_7 Depth=1
	s_wait_alu 0xfffe
	s_or_b32 exec_lo, exec_lo, s22
	s_delay_alu instid0(SALU_CYCLE_1)
	s_or_not1_b32 s22, s25, exec_lo
.LBB8_224:                              ;   in Loop: Header=BB8_7 Depth=1
	s_wait_alu 0xfffe
	s_or_b32 exec_lo, exec_lo, s19
	v_mov_b32_e32 v2, v3
	s_and_not1_b32 s9, s15, exec_lo
	s_and_b32 s10, s21, exec_lo
	s_and_not1_b32 s14, s14, exec_lo
	s_and_b32 s16, s20, exec_lo
	s_wait_alu 0xfffe
	s_or_b32 s15, s9, s10
	s_or_b32 s14, s14, s16
	s_and_b32 s22, s22, exec_lo
.LBB8_225:                              ;   in Loop: Header=BB8_7 Depth=1
	s_wait_alu 0xfffe
	s_or_b32 exec_lo, exec_lo, s18
	s_delay_alu instid0(SALU_CYCLE_1)
	s_or_not1_b32 s18, s22, exec_lo
.LBB8_226:                              ;   in Loop: Header=BB8_7 Depth=1
	s_wait_alu 0xfffe
	s_or_b32 exec_lo, exec_lo, s13
	s_mov_b32 s10, 0
                                        ; implicit-def: $sgpr21
	s_and_saveexec_b32 s9, s18
	s_wait_alu 0xfffe
	s_xor_b32 s9, exec_lo, s9
	s_cbranch_execz .LBB8_5
; %bb.227:                              ;   in Loop: Header=BB8_7 Depth=1
	v_and_b32_e32 v1, 7, v1
	s_mov_b32 s12, -1
	s_mov_b32 s10, -1
	s_mov_b32 s13, exec_lo
                                        ; implicit-def: $sgpr21
	s_delay_alu instid0(VALU_DEP_1)
	v_cmpx_eq_u32_e32 0, v1
	s_cbranch_execz .LBB8_4
; %bb.228:                              ;   in Loop: Header=BB8_7 Depth=1
	s_add_co_i32 s21, s70, -2
	s_cmp_eq_u32 s70, 0
	v_xor_b32_e32 v23, 1, v23
	s_cselect_b32 s12, -1, 0
	s_xor_b32 s10, exec_lo, -1
	s_wait_alu 0xfffe
	s_or_not1_b32 s12, s12, exec_lo
	s_branch .LBB8_4
.LBB8_229:
	s_or_b32 exec_lo, exec_lo, s63
	s_xor_b32 s4, s69, -1
	s_xor_b32 s0, s67, -1
	;; [unrolled: 1-line block ×3, first 2 shown]
	s_mov_b32 s1, 0
	s_wait_alu 0xfffe
	s_and_saveexec_b32 s5, s0
	s_delay_alu instid0(SALU_CYCLE_1)
	s_xor_b32 s0, exec_lo, s5
	s_cbranch_execnz .LBB8_234
; %bb.230:
	s_wait_alu 0xfffe
	s_and_not1_saveexec_b32 s0, s0
	s_cbranch_execnz .LBB8_254
.LBB8_231:
	s_wait_alu 0xfffe
	s_or_b32 exec_lo, exec_lo, s0
	s_and_saveexec_b32 s0, s1
.LBB8_232:
	; divergent unreachable
.LBB8_233:
	s_endpgm
.LBB8_234:
	s_and_saveexec_b32 s1, s4
	s_wait_alu 0xfffe
	s_xor_b32 s1, exec_lo, s1
	s_cbranch_execz .LBB8_252
; %bb.235:
	s_and_saveexec_b32 s4, s3
	s_delay_alu instid0(SALU_CYCLE_1)
	s_xor_b32 s3, exec_lo, s4
; %bb.236:
	v_xor_b32_e32 v25, 0xffffff80, v10
; %bb.237:
	s_or_b32 exec_lo, exec_lo, s3
	s_and_saveexec_b32 s3, s2
; %bb.238:
	v_dual_mov_b32 v1, 0 :: v_dual_mov_b32 v2, s36
	ds_store_b32 v1, v2 offset:4108
; %bb.239:
	s_or_b32 exec_lo, exec_lo, s3
	v_mov_b32_e32 v1, 0
	s_wait_loadcnt_dscnt 0x0
	s_barrier_signal -1
	s_barrier_wait -1
	global_inv scope:SCOPE_SE
	ds_load_b32 v1, v1 offset:4108
	s_mov_b32 s3, exec_lo
	s_wait_dscnt 0x0
	v_min_i32_e32 v1, s36, v1
	s_delay_alu instid0(VALU_DEP_1)
	v_cmpx_lt_i32_e64 v0, v1
	s_cbranch_execz .LBB8_249
; %bb.240:
	v_and_b32_e32 v3, 0xff, v25
	s_mov_b32 s4, 0
                                        ; implicit-def: $sgpr5
                                        ; implicit-def: $sgpr7
                                        ; implicit-def: $sgpr6
	s_branch .LBB8_242
.LBB8_241:                              ;   in Loop: Header=BB8_242 Depth=1
	s_wait_alu 0xfffe
	s_or_b32 exec_lo, exec_lo, s8
	s_delay_alu instid0(SALU_CYCLE_1)
	s_and_b32 s8, exec_lo, s7
	s_wait_alu 0xfffe
	s_or_b32 s4, s8, s4
	s_and_not1_b32 s5, s5, exec_lo
	s_and_b32 s8, s6, exec_lo
	s_wait_alu 0xfffe
	s_or_b32 s5, s5, s8
	s_and_not1_b32 exec_lo, exec_lo, s4
	s_cbranch_execz .LBB8_244
.LBB8_242:                              ; =>This Inner Loop Header: Depth=1
	v_ashrrev_i32_e32 v2, 31, v11
	v_add_co_u32 v4, vcc_lo, s42, v11
	s_or_b32 s6, s6, exec_lo
	s_or_b32 s7, s7, exec_lo
	s_wait_alu 0xfffd
	v_add_co_ci_u32_e64 v5, null, s43, v2, vcc_lo
	v_mov_b32_e32 v2, v0
	s_mov_b32 s8, exec_lo
                                        ; implicit-def: $vgpr0
	global_load_u8 v4, v[4:5], off
	s_wait_loadcnt 0x0
	v_cmpx_ne_u16_e64 v4, v3
	s_cbranch_execz .LBB8_241
; %bb.243:                              ;   in Loop: Header=BB8_242 Depth=1
	v_add_nc_u32_e32 v0, s50, v2
	v_add_nc_u32_e32 v11, s54, v11
	s_wait_alu 0xfffe
	s_and_not1_b32 s7, s7, exec_lo
	s_and_not1_b32 s6, s6, exec_lo
	v_cmp_ge_i32_e32 vcc_lo, v0, v1
	s_and_b32 s9, vcc_lo, exec_lo
	s_wait_alu 0xfffe
	s_or_b32 s7, s7, s9
	s_branch .LBB8_241
.LBB8_244:
	s_or_b32 exec_lo, exec_lo, s4
	s_and_saveexec_b32 s4, s5
	s_delay_alu instid0(SALU_CYCLE_1)
	s_xor_b32 s4, exec_lo, s4
	s_cbranch_execz .LBB8_249
; %bb.245:
	s_mov_b32 s5, exec_lo
	s_brev_b32 s4, -2
.LBB8_246:                              ; =>This Inner Loop Header: Depth=1
	s_ctz_i32_b32 s6, s5
	s_wait_alu 0xfffe
	v_readlane_b32 s7, v2, s6
	s_lshl_b32 s6, 1, s6
	s_wait_alu 0xfffe
	s_and_not1_b32 s5, s5, s6
	s_min_i32 s4, s4, s7
	s_cmp_lg_u32 s5, 0
	s_cbranch_scc1 .LBB8_246
; %bb.247:
	v_mbcnt_lo_u32_b32 v0, exec_lo, 0
	s_mov_b32 s5, exec_lo
	s_delay_alu instid0(VALU_DEP_1)
	v_cmpx_eq_u32_e32 0, v0
	s_xor_b32 s5, exec_lo, s5
; %bb.248:
	v_dual_mov_b32 v0, 0 :: v_dual_mov_b32 v1, s4
	ds_min_i32 v0, v1 offset:4108
.LBB8_249:
	s_or_b32 exec_lo, exec_lo, s3
	s_wait_loadcnt_dscnt 0x0
	s_barrier_signal -1
	s_barrier_wait -1
	global_inv scope:SCOPE_SE
	s_and_saveexec_b32 s3, s2
	s_cbranch_execz .LBB8_251
; %bb.250:
	v_mov_b32_e32 v2, 0
	s_mul_i32 s4, s33, s29
	s_mul_i32 s6, s38, s29
	s_wait_alu 0xfffe
	s_ashr_i32 s5, s4, 31
	s_ashr_i32 s7, s6, 31
	ds_load_b32 v0, v2 offset:4108
	s_wait_alu 0xfffe
	s_lshl_b64 s[4:5], s[4:5], 3
	s_add_nc_u64 s[6:7], s[34:35], s[6:7]
	s_wait_alu 0xfffe
	s_add_nc_u64 s[4:5], s[30:31], s[4:5]
	s_wait_dscnt 0x0
	v_ashrrev_i32_e32 v1, 31, v0
	s_clause 0x1
	global_store_b64 v2, v[0:1], s[4:5]
	global_store_b8 v2, v25, s[6:7]
.LBB8_251:
	s_or_b32 exec_lo, exec_lo, s3
.LBB8_252:
	s_wait_alu 0xfffe
	s_or_saveexec_b32 s1, s1
	s_mov_b32 s2, 0
	s_wait_alu 0xfffe
	s_xor_b32 exec_lo, exec_lo, s1
	s_cbranch_execnz .LBB8_255
.LBB8_253:
	s_or_b32 exec_lo, exec_lo, s1
	s_delay_alu instid0(SALU_CYCLE_1)
	s_and_b32 s1, s2, exec_lo
	s_and_not1_saveexec_b32 s0, s0
	s_cbranch_execz .LBB8_231
.LBB8_254:
	s_wait_alu 0xfffe
	s_or_b32 s1, s1, exec_lo
	s_trap 2
	s_or_b32 exec_lo, exec_lo, s0
	s_wait_alu 0xfffe
	s_and_saveexec_b32 s0, s1
	s_cbranch_execnz .LBB8_232
	s_branch .LBB8_233
.LBB8_255:
	s_mov_b32 s2, exec_lo
	s_trap 2
	s_branch .LBB8_253
	.section	.rodata,"a",@progbits
	.p2align	6, 0x0
	.amdhsa_kernel _ZN2at6native12_GLOBAL__N_114gatherKthValueIaiLi1EEEvNS_4cuda6detail10TensorInfoIKT_T0_EES8_S8_S8_S8_NS5_IS6_S8_EENS5_IlS8_EE
		.amdhsa_group_segment_fixed_size 4112
		.amdhsa_private_segment_fixed_size 0
		.amdhsa_kernarg_size 920
		.amdhsa_user_sgpr_count 2
		.amdhsa_user_sgpr_dispatch_ptr 0
		.amdhsa_user_sgpr_queue_ptr 0
		.amdhsa_user_sgpr_kernarg_segment_ptr 1
		.amdhsa_user_sgpr_dispatch_id 0
		.amdhsa_user_sgpr_private_segment_size 0
		.amdhsa_wavefront_size32 1
		.amdhsa_uses_dynamic_stack 0
		.amdhsa_enable_private_segment 0
		.amdhsa_system_sgpr_workgroup_id_x 1
		.amdhsa_system_sgpr_workgroup_id_y 1
		.amdhsa_system_sgpr_workgroup_id_z 1
		.amdhsa_system_sgpr_workgroup_info 0
		.amdhsa_system_vgpr_workitem_id 0
		.amdhsa_next_free_vgpr 40
		.amdhsa_next_free_sgpr 78
		.amdhsa_reserve_vcc 1
		.amdhsa_float_round_mode_32 0
		.amdhsa_float_round_mode_16_64 0
		.amdhsa_float_denorm_mode_32 3
		.amdhsa_float_denorm_mode_16_64 3
		.amdhsa_fp16_overflow 0
		.amdhsa_workgroup_processor_mode 1
		.amdhsa_memory_ordered 1
		.amdhsa_forward_progress 1
		.amdhsa_inst_pref_size 85
		.amdhsa_round_robin_scheduling 0
		.amdhsa_exception_fp_ieee_invalid_op 0
		.amdhsa_exception_fp_denorm_src 0
		.amdhsa_exception_fp_ieee_div_zero 0
		.amdhsa_exception_fp_ieee_overflow 0
		.amdhsa_exception_fp_ieee_underflow 0
		.amdhsa_exception_fp_ieee_inexact 0
		.amdhsa_exception_int_div_zero 0
	.end_amdhsa_kernel
	.section	.text._ZN2at6native12_GLOBAL__N_114gatherKthValueIaiLi1EEEvNS_4cuda6detail10TensorInfoIKT_T0_EES8_S8_S8_S8_NS5_IS6_S8_EENS5_IlS8_EE,"axG",@progbits,_ZN2at6native12_GLOBAL__N_114gatherKthValueIaiLi1EEEvNS_4cuda6detail10TensorInfoIKT_T0_EES8_S8_S8_S8_NS5_IS6_S8_EENS5_IlS8_EE,comdat
.Lfunc_end8:
	.size	_ZN2at6native12_GLOBAL__N_114gatherKthValueIaiLi1EEEvNS_4cuda6detail10TensorInfoIKT_T0_EES8_S8_S8_S8_NS5_IS6_S8_EENS5_IlS8_EE, .Lfunc_end8-_ZN2at6native12_GLOBAL__N_114gatherKthValueIaiLi1EEEvNS_4cuda6detail10TensorInfoIKT_T0_EES8_S8_S8_S8_NS5_IS6_S8_EENS5_IlS8_EE
                                        ; -- End function
	.set _ZN2at6native12_GLOBAL__N_114gatherKthValueIaiLi1EEEvNS_4cuda6detail10TensorInfoIKT_T0_EES8_S8_S8_S8_NS5_IS6_S8_EENS5_IlS8_EE.num_vgpr, 40
	.set _ZN2at6native12_GLOBAL__N_114gatherKthValueIaiLi1EEEvNS_4cuda6detail10TensorInfoIKT_T0_EES8_S8_S8_S8_NS5_IS6_S8_EENS5_IlS8_EE.num_agpr, 0
	.set _ZN2at6native12_GLOBAL__N_114gatherKthValueIaiLi1EEEvNS_4cuda6detail10TensorInfoIKT_T0_EES8_S8_S8_S8_NS5_IS6_S8_EENS5_IlS8_EE.numbered_sgpr, 78
	.set _ZN2at6native12_GLOBAL__N_114gatherKthValueIaiLi1EEEvNS_4cuda6detail10TensorInfoIKT_T0_EES8_S8_S8_S8_NS5_IS6_S8_EENS5_IlS8_EE.num_named_barrier, 0
	.set _ZN2at6native12_GLOBAL__N_114gatherKthValueIaiLi1EEEvNS_4cuda6detail10TensorInfoIKT_T0_EES8_S8_S8_S8_NS5_IS6_S8_EENS5_IlS8_EE.private_seg_size, 0
	.set _ZN2at6native12_GLOBAL__N_114gatherKthValueIaiLi1EEEvNS_4cuda6detail10TensorInfoIKT_T0_EES8_S8_S8_S8_NS5_IS6_S8_EENS5_IlS8_EE.uses_vcc, 1
	.set _ZN2at6native12_GLOBAL__N_114gatherKthValueIaiLi1EEEvNS_4cuda6detail10TensorInfoIKT_T0_EES8_S8_S8_S8_NS5_IS6_S8_EENS5_IlS8_EE.uses_flat_scratch, 0
	.set _ZN2at6native12_GLOBAL__N_114gatherKthValueIaiLi1EEEvNS_4cuda6detail10TensorInfoIKT_T0_EES8_S8_S8_S8_NS5_IS6_S8_EENS5_IlS8_EE.has_dyn_sized_stack, 0
	.set _ZN2at6native12_GLOBAL__N_114gatherKthValueIaiLi1EEEvNS_4cuda6detail10TensorInfoIKT_T0_EES8_S8_S8_S8_NS5_IS6_S8_EENS5_IlS8_EE.has_recursion, 0
	.set _ZN2at6native12_GLOBAL__N_114gatherKthValueIaiLi1EEEvNS_4cuda6detail10TensorInfoIKT_T0_EES8_S8_S8_S8_NS5_IS6_S8_EENS5_IlS8_EE.has_indirect_call, 0
	.section	.AMDGPU.csdata,"",@progbits
; Kernel info:
; codeLenInByte = 10784
; TotalNumSgprs: 80
; NumVgprs: 40
; ScratchSize: 0
; MemoryBound: 0
; FloatMode: 240
; IeeeMode: 1
; LDSByteSize: 4112 bytes/workgroup (compile time only)
; SGPRBlocks: 0
; VGPRBlocks: 4
; NumSGPRsForWavesPerEU: 80
; NumVGPRsForWavesPerEU: 40
; Occupancy: 16
; WaveLimiterHint : 1
; COMPUTE_PGM_RSRC2:SCRATCH_EN: 0
; COMPUTE_PGM_RSRC2:USER_SGPR: 2
; COMPUTE_PGM_RSRC2:TRAP_HANDLER: 0
; COMPUTE_PGM_RSRC2:TGID_X_EN: 1
; COMPUTE_PGM_RSRC2:TGID_Y_EN: 1
; COMPUTE_PGM_RSRC2:TGID_Z_EN: 1
; COMPUTE_PGM_RSRC2:TIDIG_COMP_CNT: 0
	.section	.text._ZN2at6native12_GLOBAL__N_114gatherKthValueIaiLi2EEEvNS_4cuda6detail10TensorInfoIKT_T0_EES8_S8_S8_S8_NS5_IS6_S8_EENS5_IlS8_EE,"axG",@progbits,_ZN2at6native12_GLOBAL__N_114gatherKthValueIaiLi2EEEvNS_4cuda6detail10TensorInfoIKT_T0_EES8_S8_S8_S8_NS5_IS6_S8_EENS5_IlS8_EE,comdat
	.globl	_ZN2at6native12_GLOBAL__N_114gatherKthValueIaiLi2EEEvNS_4cuda6detail10TensorInfoIKT_T0_EES8_S8_S8_S8_NS5_IS6_S8_EENS5_IlS8_EE ; -- Begin function _ZN2at6native12_GLOBAL__N_114gatherKthValueIaiLi2EEEvNS_4cuda6detail10TensorInfoIKT_T0_EES8_S8_S8_S8_NS5_IS6_S8_EENS5_IlS8_EE
	.p2align	8
	.type	_ZN2at6native12_GLOBAL__N_114gatherKthValueIaiLi2EEEvNS_4cuda6detail10TensorInfoIKT_T0_EES8_S8_S8_S8_NS5_IS6_S8_EENS5_IlS8_EE,@function
_ZN2at6native12_GLOBAL__N_114gatherKthValueIaiLi2EEEvNS_4cuda6detail10TensorInfoIKT_T0_EES8_S8_S8_S8_NS5_IS6_S8_EENS5_IlS8_EE: ; @_ZN2at6native12_GLOBAL__N_114gatherKthValueIaiLi2EEEvNS_4cuda6detail10TensorInfoIKT_T0_EES8_S8_S8_S8_NS5_IS6_S8_EENS5_IlS8_EE
; %bb.0:
	s_clause 0x1
	s_load_b64 s[4:5], s[0:1], 0x298
	s_load_b128 s[36:39], s[0:1], 0xd8
	s_lshr_b32 s2, ttmp7, 16
	s_and_b32 s3, ttmp7, 0xffff
	s_wait_kmcnt 0x0
	s_mul_i32 s2, s5, s2
	s_delay_alu instid0(SALU_CYCLE_1) | instskip(NEXT) | instid1(SALU_CYCLE_1)
	s_add_co_i32 s2, s2, s3
	s_mul_i32 s33, s2, s4
	s_delay_alu instid0(SALU_CYCLE_1) | instskip(NEXT) | instid1(SALU_CYCLE_1)
	s_add_co_i32 s33, s33, ttmp9
	s_cmp_ge_i32 s33, s38
	s_cbranch_scc1 .LBB9_233
; %bb.1:
	s_clause 0x4
	s_load_b32 s5, s[0:1], 0xc
	s_load_b32 s58, s[0:1], 0xf4
	;; [unrolled: 1-line block ×3, first 2 shown]
	s_load_b64 s[6:7], s[0:1], 0x6c
	s_load_b64 s[30:31], s[0:1], 0x154
	s_mov_b32 s51, 0
	s_abs_i32 s40, s33
	s_mov_b32 s41, s51
	s_add_nc_u64 s[10:11], s[0:1], 0x298
	s_ashr_i32 s60, s33, 31
	s_wait_kmcnt 0x0
	s_abs_i32 s14, s5
	s_abs_i32 s61, s58
	s_cvt_f32_u32 s2, s14
	s_abs_i32 s59, s38
	s_cvt_f32_u32 s3, s61
	s_cvt_f32_u32 s8, s59
	v_rcp_iflag_f32_e32 v1, s2
	s_sub_co_i32 s13, 0, s14
	v_rcp_iflag_f32_e32 v2, s3
	v_rcp_iflag_f32_e32 v3, s8
	s_clause 0x1
	s_load_b64 s[8:9], s[0:1], 0x0
	s_load_b64 s[34:35], s[0:1], 0x22c
	s_sub_co_i32 s16, 0, s61
	s_ashr_i32 s15, s5, 31
	s_delay_alu instid0(TRANS32_DEP_3) | instskip(NEXT) | instid1(TRANS32_DEP_2)
	v_readfirstlane_b32 s2, v1
	v_readfirstlane_b32 s3, v2
	s_delay_alu instid0(TRANS32_DEP_1)
	v_readfirstlane_b32 s12, v3
	s_mul_f32 s2, s2, 0x4f7ffffe
	s_mul_f32 s3, s3, 0x4f7ffffe
	s_mul_f32 s12, s12, 0x4f7ffffe
	s_wait_alu 0xfffe
	s_cvt_u32_f32 s2, s2
	s_cvt_u32_f32 s17, s3
	s_cvt_u32_f32 s12, s12
	s_wait_alu 0xfffe
	s_mul_i32 s13, s13, s2
	s_sub_co_i32 s3, 0, s59
	s_mul_hi_u32 s13, s2, s13
	s_wait_alu 0xfffe
	s_mul_i32 s3, s3, s12
	s_add_co_i32 s50, s2, s13
	s_mul_i32 s16, s16, s17
	s_wait_alu 0xfffe
	s_mul_hi_u32 s13, s12, s3
	s_mul_u64 s[2:3], s[40:41], s[50:51]
	v_cmp_eq_u32_e64 s2, 0, v0
	s_mul_hi_u32 s16, s17, s16
	s_add_co_i32 s12, s12, s13
	s_add_co_i32 s50, s17, s16
	s_mov_b32 s13, s51
	s_wait_alu 0xfffe
	s_and_saveexec_b32 s16, s2
; %bb.2:
	v_dual_mov_b32 v1, 0 :: v_dual_mov_b32 v2, s36
	s_delay_alu instid0(VALU_DEP_1)
	v_mov_b32_e32 v3, v1
	ds_store_b96 v1, v[1:3] offset:4096
; %bb.3:
	s_or_b32 exec_lo, exec_lo, s16
	s_mul_i32 s16, s3, s14
	s_ashr_i32 s63, s58, 31
	s_sub_co_i32 s16, s40, s16
	s_ashr_i32 s62, s38, 31
	s_xor_b32 s15, s60, s15
	s_add_co_i32 s17, s3, 1
	s_sub_co_i32 s18, s16, s14
	s_cmp_ge_u32 s16, s14
	s_wait_dscnt 0x0
	s_cselect_b32 s3, s17, s3
	s_cselect_b32 s16, s18, s16
	s_wait_alu 0xfffe
	s_add_co_i32 s17, s3, 1
	s_cmp_ge_u32 s16, s14
	s_barrier_signal -1
	s_barrier_wait -1
	global_inv scope:SCOPE_SE
	s_load_b32 s14, s[10:11], 0xc
	s_cselect_b32 s3, s17, s3
	v_mbcnt_lo_u32_b32 v12, -1, 0
	s_wait_alu 0xfffe
	s_xor_b32 s3, s3, s15
	s_clause 0x1
	s_load_b64 s[42:43], s[0:1], 0x1c0
	s_load_b64 s[44:45], s[0:1], 0xe8
	s_sub_co_i32 s3, s3, s15
	v_cmp_gt_u32_e32 vcc_lo, 32, v0
	s_wait_alu 0xfffe
	s_mul_i32 s5, s3, s5
	s_mul_i32 s0, s3, s6
	s_sub_co_i32 s5, s33, s5
	s_mul_u64 s[46:47], s[40:41], s[50:51]
	s_mul_i32 s5, s5, s7
	s_mul_u64 s[28:29], s[40:41], s[12:13]
	s_add_co_i32 s6, s0, s5
	v_cmp_gt_i32_e64 s0, 4, v12
	s_ashr_i32 s7, s6, 31
	v_mul_lo_u32 v11, s39, v0
	s_wait_kmcnt 0x0
	s_add_nc_u64 s[48:49], s[8:9], s[6:7]
	v_dual_mov_b32 v14, 0 :: v_dual_lshlrev_b32 v13, 2, v0
	s_and_b32 s41, s14, 0xffff
	s_and_b32 s65, vcc_lo, s0
	s_lshl_b32 s46, s41, 2
	s_add_co_i32 s64, s41, -1
	s_cvt_f32_u32 s0, s46
	s_bfe_u32 s3, s14, 0xb0005
	s_add_co_i32 s74, s64, s36
	s_cmp_gt_i32 s36, 0xc00
	v_rcp_iflag_f32_e32 v1, s0
	s_cselect_b32 s67, -1, 0
	s_cmp_gt_u32 s41, 31
	v_add_co_u32 v5, s6, s48, v11
	s_cselect_b32 s68, -1, 0
	s_cmp_lt_u32 ttmp9, s4
	v_add_co_ci_u32_e64 v6, null, s49, 0, s6
	s_cselect_b32 s50, 12, 18
	s_wait_alu 0xfffe
	s_add_co_i32 s4, s3, -1
	v_readfirstlane_b32 s5, v1
	s_and_b32 s4, s4, 0xffff
	s_bfe_u32 s69, s41, 0x30005
	s_cmp_gt_u32 s4, 6
	v_lshlrev_b64_e64 v[1:2], v12, -1
	s_cselect_b32 s70, -1, 0
	s_and_b32 s71, s3, 0x7f8
	s_mul_f32 s3, s5, 0x4f7ffffe
	s_cvt_f32_u32 s5, s41
	s_cmp_lg_u32 s69, 0
	v_not_b32_e32 v15, v1
	s_wait_alu 0xfffe
	s_cvt_u32_f32 s3, s3
	s_cselect_b32 s72, -1, 0
	s_sub_co_i32 s4, 0, s46
	v_rcp_iflag_f32_e32 v3, s5
	s_wait_alu 0xfffe
	s_mul_i32 s4, s4, s3
	v_lshrrev_b32_e32 v1, 1, v0
	s_wait_alu 0xfffe
	s_mul_hi_u32 s4, s3, s4
	v_cmp_eq_u32_e64 s0, 0, v12
	s_wait_alu 0xfffe
	s_add_co_i32 s52, s3, s4
	v_cmp_gt_u32_e64 s1, 2, v0
	s_mul_hi_u32 s5, s36, s52
	v_cmp_gt_u32_e64 s3, s36, v0
	s_wait_alu 0xfffe
	s_mul_i32 s5, s5, s46
	v_readfirstlane_b32 s6, v3
	s_wait_alu 0xfffe
	s_sub_co_i32 s5, s36, s5
	v_or_b32_e32 v3, 3, v13
	s_wait_alu 0xfffe
	s_sub_co_i32 s7, s5, s46
	s_cmp_ge_u32 s5, s46
	s_mul_f32 s6, s6, 0x4f7ffffe
	s_wait_alu 0xfffe
	s_cselect_b32 s5, s7, s5
	s_movk_i32 s7, 0x1f0
	s_wait_alu 0xfffe
	s_sub_co_i32 s8, s5, s46
	s_cmp_ge_u32 s5, s46
	s_cvt_u32_f32 s6, s6
	s_wait_alu 0xfffe
	s_cselect_b32 s9, s8, s5
	s_sub_co_i32 s5, 0, s41
	s_wait_alu 0xfffe
	s_sub_co_i32 s73, s36, s9
	s_mul_i32 s5, s5, s6
	v_dual_mov_b32 v25, 0 :: v_dual_add_nc_u32 v16, s73, v0
	s_wait_alu 0xfffe
	s_mul_hi_u32 s5, s6, s5
	s_abs_i32 s8, s74
	s_wait_alu 0xfffe
	s_add_co_i32 s54, s6, s5
	v_and_or_b32 v17, v1, s7, 0xc00
	s_mul_hi_u32 s5, s8, s54
	v_mul_lo_u32 v1, v16, s39
	s_wait_alu 0xfffe
	s_mul_i32 s5, s5, s41
	s_ashr_i32 s7, s74, 31
	s_wait_alu 0xfffe
	s_sub_co_i32 s5, s8, s5
	v_mul_lo_u32 v19, s39, v3
	s_wait_alu 0xfffe
	s_sub_co_i32 s6, s5, s41
	s_cmp_ge_u32 s5, s41
	v_cmp_gt_i32_e64 s4, s36, v0
	s_wait_alu 0xfffe
	s_cselect_b32 s8, s6, s5
	v_ashrrev_i32_e32 v2, 31, v1
	v_add_co_u32 v7, vcc_lo, s48, v1
	v_add3_u32 v1, s41, s36, v0
	s_wait_alu 0xfffe
	s_sub_co_i32 s12, s8, s41
	s_cmp_ge_u32 s8, s41
	v_add_co_ci_u32_e64 v8, null, s49, v2, vcc_lo
	s_cselect_b32 s8, s12, s8
	v_or_b32_e32 v2, 2, v13
	v_subrev_nc_u32_e32 v1, s9, v1
	s_wait_alu 0xfffe
	s_xor_b32 s8, s8, s7
	s_mov_b32 s12, s39
	s_wait_alu 0xfffe
	s_sub_co_i32 s8, s7, s8
	v_mad_co_u64_u32 v[9:10], null, s39, v13, s[12:13]
	v_mul_lo_u32 v18, s39, v2
	v_mul_lo_u32 v21, s39, v1
	s_wait_alu 0xfffe
	s_add_co_i32 s74, s74, s8
	v_cmp_gt_i32_e64 s5, s73, v13
	v_cmp_gt_u32_e64 s6, s36, v16
	v_cmp_gt_i32_e64 s7, s36, v16
	v_cmp_gt_i32_e64 s8, s74, v0
	v_dual_mov_b32 v23, 0 :: v_dual_lshlrev_b32 v20, 2, v11
	v_lshl_or_b32 v22, v12, 2, 0xc00
	v_mov_b32_e32 v26, s37
	v_mov_b32_e32 v10, 0
	;; [unrolled: 1-line block ×3, first 2 shown]
	s_mul_i32 s66, s39, s41
	s_mov_b32 s82, 6
	s_mov_b32 s53, s51
	;; [unrolled: 1-line block ×3, first 2 shown]
	s_lshl_b32 s37, s66, 2
	s_add_nc_u64 s[56:57], s[10:11], s[50:51]
	s_mov_b32 s75, s51
                                        ; implicit-def: $sgpr79
                                        ; implicit-def: $sgpr81
                                        ; implicit-def: $sgpr76
                                        ; implicit-def: $sgpr78
                                        ; implicit-def: $sgpr80
                                        ; implicit-def: $sgpr77
	s_branch .LBB9_7
.LBB9_4:                                ;   in Loop: Header=BB9_7 Depth=1
	s_wait_alu 0xfffe
	s_or_b32 exec_lo, exec_lo, s13
	s_delay_alu instid0(SALU_CYCLE_1)
	s_and_b32 s10, s10, exec_lo
	s_and_not1_b32 s15, s15, exec_lo
	s_and_not1_b32 s14, s14, exec_lo
	s_or_not1_b32 s12, s12, exec_lo
.LBB9_5:                                ;   in Loop: Header=BB9_7 Depth=1
	s_wait_alu 0xfffe
	s_or_b32 exec_lo, exec_lo, s9
	s_delay_alu instid0(SALU_CYCLE_1)
	s_and_not1_b32 s9, s77, exec_lo
	s_and_b32 s10, s10, exec_lo
	s_and_not1_b32 s13, s78, exec_lo
	s_wait_alu 0xfffe
	s_or_b32 s77, s9, s10
	s_and_not1_b32 s9, s80, exec_lo
	s_and_b32 s10, s15, exec_lo
	s_and_b32 s14, s14, exec_lo
	s_wait_alu 0xfffe
	s_or_b32 s80, s9, s10
	s_or_b32 s78, s13, s14
	s_or_not1_b32 s13, s12, exec_lo
.LBB9_6:                                ;   in Loop: Header=BB9_7 Depth=1
	s_wait_alu 0xfffe
	s_or_b32 exec_lo, exec_lo, s11
	s_delay_alu instid0(SALU_CYCLE_1)
	s_and_b32 s9, exec_lo, s13
	v_mov_b32_e32 v26, v2
	s_wait_alu 0xfffe
	s_or_b32 s75, s9, s75
	s_and_not1_b32 s9, s76, exec_lo
	s_and_b32 s10, s77, exec_lo
	s_and_not1_b32 s11, s81, exec_lo
	s_wait_alu 0xfffe
	s_or_b32 s76, s9, s10
	s_and_b32 s9, s80, exec_lo
	s_and_not1_b32 s10, s79, exec_lo
	s_and_b32 s12, s78, exec_lo
	s_wait_alu 0xfffe
	s_or_b32 s81, s11, s9
	s_or_b32 s79, s10, s12
	s_mov_b32 s82, s21
	s_and_not1_b32 exec_lo, exec_lo, s75
	s_cbranch_execz .LBB9_229
.LBB9_7:                                ; =>This Loop Header: Depth=1
                                        ;     Child Loop BB9_12 Depth 2
                                        ;     Child Loop BB9_27 Depth 2
	;; [unrolled: 1-line block ×16, first 2 shown]
	ds_load_b64 v[1:2], v14 offset:4096
	s_wait_dscnt 0x0
	v_readfirstlane_b32 s50, v1
	s_cmp_gt_i32 s50, 0
	s_cbranch_scc1 .LBB9_34
; %bb.8:                                ;   in Loop: Header=BB9_7 Depth=1
	s_and_b32 vcc_lo, exec_lo, s67
	s_wait_alu 0xfffe
	s_cbranch_vccz .LBB9_20
; %bb.9:                                ;   in Loop: Header=BB9_7 Depth=1
	v_cmp_gt_i32_e32 vcc_lo, 0xc01, v2
	s_mov_b32 s10, 0
	s_mov_b32 s9, 0
	s_cbranch_vccz .LBB9_21
; %bb.10:                               ;   in Loop: Header=BB9_7 Depth=1
	global_load_u8 v2, v[5:6], off
	s_load_u16 s11, s[56:57], 0x0
	v_mov_b32_e32 v3, v0
	s_mov_b32 s12, 0
	s_wait_kmcnt 0x0
	v_add_nc_u32_e32 v1, s11, v0
	s_mul_i32 s13, s39, s11
	s_delay_alu instid0(VALU_DEP_1)
	v_mul_lo_u32 v1, s39, v1
	s_branch .LBB9_12
.LBB9_11:                               ;   in Loop: Header=BB9_12 Depth=2
	s_wait_alu 0xfffe
	s_or_b32 exec_lo, exec_lo, s9
	v_cmp_le_i32_e32 vcc_lo, s36, v3
	v_dual_mov_b32 v2, v4 :: v_dual_add_nc_u32 v1, s13, v1
	s_or_b32 s12, vcc_lo, s12
	s_wait_alu 0xfffe
	s_and_not1_b32 exec_lo, exec_lo, s12
	s_cbranch_execz .LBB9_66
.LBB9_12:                               ;   Parent Loop BB9_7 Depth=1
                                        ; =>  This Inner Loop Header: Depth=2
	v_dual_mov_b32 v4, 0 :: v_dual_add_nc_u32 v3, s11, v3
	s_wait_dscnt 0x0
	v_mov_b32_e32 v27, 0
	s_mov_b32 s9, exec_lo
	s_delay_alu instid0(VALU_DEP_2)
	v_cmpx_gt_u32_e64 s36, v3
	s_cbranch_execz .LBB9_14
; %bb.13:                               ;   in Loop: Header=BB9_12 Depth=2
	global_load_u8 v4, v1, s[48:49]
.LBB9_14:                               ;   in Loop: Header=BB9_12 Depth=2
	s_wait_alu 0xfffe
	s_or_b32 exec_lo, exec_lo, s9
	s_wait_loadcnt 0x0
	v_bfe_i32 v28, v2, 0, 8
	s_delay_alu instid0(VALU_DEP_1) | instskip(NEXT) | instid1(VALU_DEP_1)
	v_add_nc_u32_e32 v28, 0x80, v28
	v_and_b32_e32 v28, v28, v24
	s_delay_alu instid0(VALU_DEP_1)
	v_cmp_eq_u32_e32 vcc_lo, v28, v10
	s_cmp_lg_u32 vcc_lo, 0
	s_cselect_b32 s9, -1, 0
	s_wait_alu 0xfffe
	s_and_b32 s9, s0, s9
	s_wait_alu 0xfffe
	s_and_saveexec_b32 s14, s9
	s_cbranch_execz .LBB9_18
; %bb.15:                               ;   in Loop: Header=BB9_12 Depth=2
	s_mov_b32 s17, exec_lo
	s_bcnt1_i32_b32 s15, vcc_lo
	s_wait_alu 0xfffe
	v_mbcnt_lo_u32_b32 v27, s17, 0
	s_mov_b32 s16, exec_lo
                                        ; implicit-def: $vgpr28
	s_delay_alu instid0(VALU_DEP_1)
	v_cmpx_eq_u32_e32 0, v27
; %bb.16:                               ;   in Loop: Header=BB9_12 Depth=2
	s_bcnt1_i32_b32 s9, s17
	s_wait_alu 0xfffe
	s_mul_i32 s9, s15, s9
	s_wait_alu 0xfffe
	v_mov_b32_e32 v28, s9
	ds_add_rtn_u32 v28, v14, v28 offset:4104
; %bb.17:                               ;   in Loop: Header=BB9_12 Depth=2
	s_or_b32 exec_lo, exec_lo, s16
	s_wait_dscnt 0x0
	v_readfirstlane_b32 s9, v28
	s_wait_alu 0xf1ff
	s_delay_alu instid0(VALU_DEP_1)
	v_mad_u32_u24 v27, s15, v27, s9
.LBB9_18:                               ;   in Loop: Header=BB9_12 Depth=2
	s_wait_alu 0xfffe
	s_or_b32 exec_lo, exec_lo, s14
	ds_bpermute_b32 v27, v14, v27
	s_and_saveexec_b32 s9, vcc_lo
	s_cbranch_execz .LBB9_11
; %bb.19:                               ;   in Loop: Header=BB9_12 Depth=2
	v_and_b32_e32 v28, vcc_lo, v15
	s_wait_dscnt 0x0
	s_delay_alu instid0(VALU_DEP_1)
	v_bcnt_u32_b32 v27, v28, v27
	ds_store_b8 v27, v2
	s_branch .LBB9_11
.LBB9_20:                               ;   in Loop: Header=BB9_7 Depth=1
	s_mov_b32 s10, -1
	s_mov_b32 s9, 0
.LBB9_21:                               ;   in Loop: Header=BB9_7 Depth=1
	s_wait_alu 0xfffe
	s_and_b32 vcc_lo, exec_lo, s10
	s_wait_alu 0xfffe
	s_cbranch_vccz .LBB9_32
.LBB9_22:                               ;   in Loop: Header=BB9_7 Depth=1
	v_mov_b32_e32 v1, 0
	s_and_saveexec_b32 s9, s3
	s_cbranch_execz .LBB9_24
; %bb.23:                               ;   in Loop: Header=BB9_7 Depth=1
	global_load_u8 v1, v[5:6], off
.LBB9_24:                               ;   in Loop: Header=BB9_7 Depth=1
	s_wait_alu 0xfffe
	s_or_b32 exec_lo, exec_lo, s9
	s_and_saveexec_b32 s9, s4
	s_cbranch_execz .LBB9_29
; %bb.25:                               ;   in Loop: Header=BB9_7 Depth=1
	s_load_u16 s10, s[56:57], 0x0
	s_mov_b32 s12, 0
	s_wait_kmcnt 0x0
	v_dual_mov_b32 v3, v0 :: v_dual_add_nc_u32 v2, s10, v0
	s_mul_i32 s11, s39, s10
	s_delay_alu instid0(VALU_DEP_1)
	v_mul_lo_u32 v2, s39, v2
	s_branch .LBB9_27
.LBB9_26:                               ;   in Loop: Header=BB9_27 Depth=2
	s_wait_alu 0xfffe
	s_or_b32 exec_lo, exec_lo, s13
	v_cmp_le_i32_e32 vcc_lo, s36, v4
	s_wait_loadcnt 0x0
	ds_store_b8 v3, v1
	v_dual_mov_b32 v1, v27 :: v_dual_add_nc_u32 v2, s11, v2
	v_mov_b32_e32 v3, v4
	s_or_b32 s12, vcc_lo, s12
	s_wait_alu 0xfffe
	s_and_not1_b32 exec_lo, exec_lo, s12
	s_cbranch_execz .LBB9_29
.LBB9_27:                               ;   Parent Loop BB9_7 Depth=1
                                        ; =>  This Inner Loop Header: Depth=2
	s_delay_alu instid0(VALU_DEP_2) | instskip(SKIP_1) | instid1(VALU_DEP_1)
	v_dual_mov_b32 v27, 0 :: v_dual_add_nc_u32 v4, s10, v3
	s_mov_b32 s13, exec_lo
	v_cmpx_gt_u32_e64 s36, v4
	s_cbranch_execz .LBB9_26
; %bb.28:                               ;   in Loop: Header=BB9_27 Depth=2
	global_load_u8 v27, v2, s[48:49]
	s_branch .LBB9_26
.LBB9_29:                               ;   in Loop: Header=BB9_7 Depth=1
	s_wait_alu 0xfffe
	s_or_b32 exec_lo, exec_lo, s9
	s_wait_loadcnt_dscnt 0x0
	s_barrier_signal -1
	s_barrier_wait -1
	global_inv scope:SCOPE_SE
	s_and_saveexec_b32 s9, s2
; %bb.30:                               ;   in Loop: Header=BB9_7 Depth=1
	v_mov_b32_e32 v1, s36
	ds_store_b32 v14, v1 offset:4096
; %bb.31:                               ;   in Loop: Header=BB9_7 Depth=1
	s_wait_alu 0xfffe
	s_or_b32 exec_lo, exec_lo, s9
	s_mov_b32 s9, -1
	s_wait_loadcnt_dscnt 0x0
	s_barrier_signal -1
	s_barrier_wait -1
.LBB9_32:                               ;   in Loop: Header=BB9_7 Depth=1
	s_wait_alu 0xfffe
	s_and_b32 vcc_lo, exec_lo, s9
	s_wait_alu 0xfffe
	s_cbranch_vccz .LBB9_34
; %bb.33:                               ;   in Loop: Header=BB9_7 Depth=1
	s_wait_loadcnt 0x0
	global_inv scope:SCOPE_SE
	ds_load_b32 v1, v14 offset:4096
	s_wait_dscnt 0x0
	v_readfirstlane_b32 s50, v1
.LBB9_34:                               ;   in Loop: Header=BB9_7 Depth=1
	s_delay_alu instid0(VALU_DEP_1)
	s_cmp_lt_i32 s50, 1
	s_mov_b32 s9, -1
                                        ; implicit-def: $vgpr4
	s_cbranch_scc1 .LBB9_44
; %bb.35:                               ;   in Loop: Header=BB9_7 Depth=1
	s_wait_alu 0xfffe
	s_and_b32 vcc_lo, exec_lo, s9
	s_wait_alu 0xfffe
	s_cbranch_vccnz .LBB9_57
.LBB9_36:                               ;   in Loop: Header=BB9_7 Depth=1
	v_lshlrev_b32_e32 v27, 7, v23
	s_and_saveexec_b32 s9, s0
.LBB9_37:                               ;   in Loop: Header=BB9_7 Depth=1
	s_delay_alu instid0(VALU_DEP_1)
	v_lshl_add_u32 v28, v27, 2, v17
	ds_store_b128 v28, v[1:4]
.LBB9_38:                               ;   in Loop: Header=BB9_7 Depth=1
	s_wait_alu 0xfffe
	s_or_b32 exec_lo, exec_lo, s9
	s_wait_loadcnt_dscnt 0x0
	s_barrier_signal -1
	s_barrier_wait -1
	global_inv scope:SCOPE_SE
	s_and_saveexec_b32 s9, s65
	s_cbranch_execz .LBB9_73
; %bb.39:                               ;   in Loop: Header=BB9_7 Depth=1
	v_mov_b32_e32 v1, 0
	s_and_not1_b32 vcc_lo, exec_lo, s68
	s_wait_alu 0xfffe
	s_cbranch_vccnz .LBB9_72
; %bb.40:                               ;   in Loop: Header=BB9_7 Depth=1
	s_and_not1_b32 vcc_lo, exec_lo, s70
	s_wait_alu 0xfffe
	s_cbranch_vccnz .LBB9_69
; %bb.41:                               ;   in Loop: Header=BB9_7 Depth=1
	v_lshl_add_u32 v2, v23, 9, v22
	v_mov_b32_e32 v1, 0
	s_mov_b32 s10, 0
.LBB9_42:                               ;   Parent Loop BB9_7 Depth=1
                                        ; =>  This Inner Loop Header: Depth=2
	ds_load_2addr_b32 v[3:4], v2 offset1:4
	ds_load_2addr_b32 v[28:29], v2 offset0:8 offset1:12
	ds_load_2addr_b32 v[30:31], v2 offset0:16 offset1:20
	;; [unrolled: 1-line block ×3, first 2 shown]
	v_add_nc_u32_e32 v2, 0x80, v2
	s_wait_alu 0xfffe
	s_add_co_i32 s10, s10, 8
	s_wait_alu 0xfffe
	s_cmp_eq_u32 s71, s10
	s_wait_dscnt 0x3
	v_add3_u32 v1, v3, v1, v4
	s_wait_dscnt 0x2
	s_delay_alu instid0(VALU_DEP_1) | instskip(SKIP_1) | instid1(VALU_DEP_1)
	v_add3_u32 v1, v28, v1, v29
	s_wait_dscnt 0x1
	v_add3_u32 v1, v30, v1, v31
	s_wait_dscnt 0x0
	s_delay_alu instid0(VALU_DEP_1)
	v_add3_u32 v1, v32, v1, v33
	s_cbranch_scc0 .LBB9_42
; %bb.43:                               ;   in Loop: Header=BB9_7 Depth=1
	s_mov_b32 s10, s71
	s_and_not1_b32 vcc_lo, exec_lo, s72
	s_wait_alu 0xfffe
	s_cbranch_vccz .LBB9_70
	s_branch .LBB9_72
.LBB9_44:                               ;   in Loop: Header=BB9_7 Depth=1
	v_dual_mov_b32 v1, 0 :: v_dual_mov_b32 v2, 0
	v_dual_mov_b32 v3, 0 :: v_dual_mov_b32 v4, 0
	s_and_saveexec_b32 s83, s5
	s_cbranch_execnz .LBB9_47
; %bb.45:                               ;   in Loop: Header=BB9_7 Depth=1
	s_wait_alu 0xfffe
	s_or_b32 exec_lo, exec_lo, s83
	v_mov_b32_e32 v30, 0
	s_and_saveexec_b32 s9, s6
	s_cbranch_execnz .LBB9_50
.LBB9_46:                               ;   in Loop: Header=BB9_7 Depth=1
	s_wait_alu 0xfffe
	s_or_b32 exec_lo, exec_lo, s9
	s_and_saveexec_b32 s13, s7
	s_cbranch_execnz .LBB9_51
	s_branch .LBB9_56
.LBB9_47:                               ;   in Loop: Header=BB9_7 Depth=1
	v_mov_b32_e32 v27, v13
	s_mov_b32 s84, 0
	s_mov_b32 s85, 0
	;; [unrolled: 1-line block ×6, first 2 shown]
.LBB9_48:                               ;   Parent Loop BB9_7 Depth=1
                                        ; =>  This Inner Loop Header: Depth=2
	s_wait_alu 0xfffe
	v_add_nc_u32_e32 v2, s85, v20
	v_add_nc_u32_e32 v1, s85, v9
	;; [unrolled: 1-line block ×5, first 2 shown]
	v_ashrrev_i32_e32 v29, 31, v2
	v_ashrrev_i32_e32 v32, 31, v1
	;; [unrolled: 1-line block ×4, first 2 shown]
	v_add_co_u32 v30, s11, s48, v2
	v_add_co_u32 v1, vcc_lo, s48, v1
	v_add_co_u32 v3, s9, s48, v3
	s_wait_alu 0xf1ff
	v_add_co_ci_u32_e64 v31, null, s49, v29, s11
	v_add_co_u32 v28, s10, s48, v4
	s_wait_alu 0xfffd
	v_add_co_ci_u32_e64 v2, null, s49, v32, vcc_lo
	v_add_co_ci_u32_e64 v4, null, s49, v33, s9
	s_wait_alu 0xf1ff
	v_add_co_ci_u32_e64 v29, null, s49, v34, s10
	s_clause 0x3
	global_load_i8 v30, v[30:31], off
	global_load_i8 v1, v[1:2], off
	;; [unrolled: 1-line block ×4, first 2 shown]
	v_cmp_le_i32_e32 vcc_lo, s73, v27
	s_add_co_i32 s85, s85, s37
	s_wait_loadcnt 0x3
	v_add_nc_u32_e32 v4, 0x80, v30
	s_wait_loadcnt 0x2
	v_add_nc_u32_e32 v1, 0x80, v1
	;; [unrolled: 2-line block ×4, first 2 shown]
	v_and_b32_e32 v28, v4, v24
	v_bfe_u32 v4, v4, s82, 2
	v_and_b32_e32 v29, v1, v24
	v_bfe_u32 v1, v1, s82, 2
	;; [unrolled: 2-line block ×3, first 2 shown]
	v_cmp_eq_u32_e64 s9, v28, v10
	v_cmp_eq_u32_e64 s13, 0, v4
	v_and_b32_e32 v31, v3, v24
	v_bfe_u32 v3, v3, s82, 2
	v_cmp_eq_u32_e64 s10, v29, v10
	v_cmp_eq_u32_e64 s14, 0, v1
	v_cmp_eq_u32_e64 s11, v30, v10
	v_cmp_eq_u32_e64 s15, 0, v2
	s_and_b32 s13, s9, s13
	v_cmp_eq_u32_e64 s12, v31, v10
	v_cmp_eq_u32_e64 s16, 0, v3
	;; [unrolled: 1-line block ×5, first 2 shown]
	s_wait_alu 0xfffe
	v_cndmask_b32_e64 v1, 0, 1, s13
	s_and_b32 s13, s10, s14
	v_cmp_eq_u32_e64 s17, 1, v4
	v_cmp_eq_u32_e64 s19, 1, v2
	;; [unrolled: 1-line block ×4, first 2 shown]
	s_wait_alu 0xfffe
	v_cndmask_b32_e64 v2, 0, 1, s13
	s_and_b32 s13, s11, s15
	v_cmp_eq_u32_e64 s20, 1, v3
	v_cmp_eq_u32_e64 s24, 2, v3
	;; [unrolled: 1-line block ×3, first 2 shown]
	s_wait_alu 0xfffe
	v_cndmask_b32_e64 v3, 0, 1, s13
	s_and_b32 s13, s12, s16
	v_cmp_eq_u32_e64 s21, 2, v4
	v_cmp_eq_u32_e64 s25, 3, v4
	s_wait_alu 0xfffe
	v_cndmask_b32_e64 v4, 0, 1, s13
	s_and_b32 s13, s9, s17
	s_wait_alu 0xfffe
	v_cndmask_b32_e64 v28, 0, 1, s13
	s_and_b32 s13, s10, s18
	;; [unrolled: 3-line block ×4, first 2 shown]
	v_cmp_ne_u32_e64 s14, 0, v29
	s_wait_alu 0xfffe
	v_cndmask_b32_e64 v31, 0, 1, s13
	s_and_b32 s13, s9, s21
	s_and_b32 s9, s9, s25
	s_wait_alu 0xfffe
	v_cndmask_b32_e64 v32, 0, 1, s13
	s_and_b32 s13, s10, s22
	v_cndmask_b32_e64 v36, 0, 1, s9
	s_and_b32 s9, s10, s26
	s_wait_alu 0xfffe
	v_cndmask_b32_e64 v33, 0, 1, s13
	s_and_b32 s13, s11, s23
	v_cndmask_b32_e64 v37, 0, 1, s9
	;; [unrolled: 5-line block ×3, first 2 shown]
	s_and_b32 s9, s12, s28
	s_wait_alu 0xfffe
	v_cndmask_b32_e64 v35, 0, 1, s13
	v_cndmask_b32_e64 v39, 0, 1, s9
	v_cmp_ne_u32_e64 s9, 0, v1
	v_cmp_ne_u32_e64 s13, 0, v28
	;; [unrolled: 1-line block ×11, first 2 shown]
	s_bcnt1_i32_b32 s9, s9
	s_bcnt1_i32_b32 s13, s13
	s_bcnt1_i32_b32 s17, s17
	s_bcnt1_i32_b32 s21, s21
	v_cmp_ne_u32_e64 s12, 0, v4
	v_cmp_ne_u32_e64 s16, 0, v31
	;; [unrolled: 1-line block ×4, first 2 shown]
	s_bcnt1_i32_b32 s10, s10
	s_bcnt1_i32_b32 s14, s14
	s_bcnt1_i32_b32 s18, s18
	s_bcnt1_i32_b32 s22, s22
	s_wait_alu 0xfffe
	s_add_co_i32 s9, s9, s89
	s_add_co_i32 s13, s13, s88
	s_add_co_i32 s17, s17, s87
	s_add_co_i32 s21, s21, s86
	s_bcnt1_i32_b32 s11, s11
	s_bcnt1_i32_b32 s15, s15
	s_bcnt1_i32_b32 s19, s19
	s_bcnt1_i32_b32 s23, s23
	s_wait_alu 0xfffe
	s_add_co_i32 s9, s9, s10
	s_add_co_i32 s10, s13, s14
	s_add_co_i32 s13, s17, s18
	s_add_co_i32 s14, s21, s22
	;; [unrolled: 9-line block ×3, first 2 shown]
	s_wait_alu 0xfffe
	s_add_co_i32 s89, s9, s12
	s_add_co_i32 s88, s10, s16
	;; [unrolled: 1-line block ×4, first 2 shown]
	s_wait_alu 0xfffe
	v_dual_mov_b32 v1, s89 :: v_dual_mov_b32 v2, s88
	v_dual_mov_b32 v3, s87 :: v_dual_mov_b32 v4, s86
	s_or_b32 s84, vcc_lo, s84
	s_wait_alu 0xfffe
	s_and_not1_b32 exec_lo, exec_lo, s84
	s_cbranch_execnz .LBB9_48
; %bb.49:                               ;   in Loop: Header=BB9_7 Depth=1
	s_or_b32 exec_lo, exec_lo, s84
	s_delay_alu instid0(SALU_CYCLE_1)
	s_or_b32 exec_lo, exec_lo, s83
	v_mov_b32_e32 v30, 0
	s_and_saveexec_b32 s9, s6
	s_cbranch_execz .LBB9_46
.LBB9_50:                               ;   in Loop: Header=BB9_7 Depth=1
	global_load_u8 v30, v[7:8], off
	s_wait_alu 0xfffe
	s_or_b32 exec_lo, exec_lo, s9
	s_and_saveexec_b32 s13, s7
	s_cbranch_execz .LBB9_56
.LBB9_51:                               ;   in Loop: Header=BB9_7 Depth=1
	v_dual_mov_b32 v27, v21 :: v_dual_mov_b32 v28, v16
	s_mov_b32 s14, 0
	s_branch .LBB9_53
.LBB9_52:                               ;   in Loop: Header=BB9_53 Depth=2
	s_wait_alu 0xfffe
	s_or_b32 exec_lo, exec_lo, s9
	s_wait_loadcnt 0x0
	v_bfe_i32 v30, v30, 0, 8
	v_add_nc_u32_e32 v27, s66, v27
	s_delay_alu instid0(VALU_DEP_2) | instskip(NEXT) | instid1(VALU_DEP_1)
	v_add_nc_u32_e32 v30, 0x80, v30
	v_and_b32_e32 v31, v30, v24
	v_bfe_u32 v30, v30, s82, 2
	s_delay_alu instid0(VALU_DEP_2) | instskip(NEXT) | instid1(VALU_DEP_2)
	v_cmp_eq_u32_e32 vcc_lo, v31, v10
	v_cmp_eq_u32_e64 s9, 0, v30
	v_cmp_eq_u32_e64 s10, 1, v30
	;; [unrolled: 1-line block ×4, first 2 shown]
	s_and_b32 s9, vcc_lo, s9
	s_wait_alu 0xfffe
	v_cndmask_b32_e64 v30, 0, 1, s9
	s_and_b32 s9, vcc_lo, s10
	s_wait_alu 0xfffe
	v_cndmask_b32_e64 v31, 0, 1, s9
	;; [unrolled: 3-line block ×3, first 2 shown]
	s_and_b32 s9, vcc_lo, s12
	v_cmp_ne_u32_e32 vcc_lo, 0, v30
	s_wait_alu 0xfffe
	v_cndmask_b32_e64 v33, 0, 1, s9
	v_cmp_ne_u32_e64 s9, 0, v31
	v_cmp_ne_u32_e64 s10, 0, v32
	v_cmp_le_i32_e64 s12, s36, v28
	s_bcnt1_i32_b32 s15, vcc_lo
	v_cmp_ne_u32_e64 s11, 0, v33
	s_bcnt1_i32_b32 s9, s9
	s_bcnt1_i32_b32 s10, s10
	s_wait_alu 0xfffe
	v_add_nc_u32_e32 v1, s15, v1
	v_add_nc_u32_e32 v2, s9, v2
	s_bcnt1_i32_b32 s11, s11
	v_add_nc_u32_e32 v3, s10, v3
	s_wait_alu 0xfffe
	v_add_nc_u32_e32 v4, s11, v4
	v_mov_b32_e32 v30, v29
	s_or_b32 s14, s12, s14
	s_wait_alu 0xfffe
	s_and_not1_b32 exec_lo, exec_lo, s14
	s_cbranch_execz .LBB9_55
.LBB9_53:                               ;   Parent Loop BB9_7 Depth=1
                                        ; =>  This Inner Loop Header: Depth=2
	s_delay_alu instid0(VALU_DEP_1) | instskip(SKIP_1) | instid1(VALU_DEP_1)
	v_dual_mov_b32 v29, 0 :: v_dual_add_nc_u32 v28, s41, v28
	s_mov_b32 s9, exec_lo
	v_cmpx_gt_u32_e64 s36, v28
	s_cbranch_execz .LBB9_52
; %bb.54:                               ;   in Loop: Header=BB9_53 Depth=2
	v_ashrrev_i32_e32 v29, 31, v27
	v_add_co_u32 v31, vcc_lo, s48, v27
	s_wait_alu 0xfffd
	s_delay_alu instid0(VALU_DEP_2)
	v_add_co_ci_u32_e64 v32, null, s49, v29, vcc_lo
	global_load_u8 v29, v[31:32], off
	s_branch .LBB9_52
.LBB9_55:                               ;   in Loop: Header=BB9_7 Depth=1
	s_or_b32 exec_lo, exec_lo, s14
.LBB9_56:                               ;   in Loop: Header=BB9_7 Depth=1
	s_wait_alu 0xfffe
	s_or_b32 exec_lo, exec_lo, s13
	s_branch .LBB9_36
.LBB9_57:                               ;   in Loop: Header=BB9_7 Depth=1
	s_mul_u64 s[10:11], s[50:51], s[52:53]
	v_dual_mov_b32 v1, 0 :: v_dual_mov_b32 v2, 0
	s_wait_alu 0xfffe
	s_mul_i32 s9, s11, s46
	v_dual_mov_b32 v3, 0 :: v_dual_mov_b32 v4, 0
	s_wait_alu 0xfffe
	s_sub_co_i32 s9, s50, s9
	s_mov_b32 s84, exec_lo
	s_wait_alu 0xfffe
	s_sub_co_i32 s10, s9, s46
	s_cmp_ge_u32 s9, s46
	s_wait_alu 0xfffe
	s_cselect_b32 s9, s10, s9
	s_wait_alu 0xfffe
	s_sub_co_i32 s10, s9, s46
	s_cmp_ge_u32 s9, s46
	s_wait_alu 0xfffe
	s_cselect_b32 s9, s10, s9
	s_wait_alu 0xfffe
	s_sub_co_i32 s83, s50, s9
	s_wait_alu 0xfffe
	v_cmpx_gt_u32_e64 s83, v13
	s_cbranch_execz .LBB9_61
; %bb.58:                               ;   in Loop: Header=BB9_7 Depth=1
	v_mov_b32_e32 v27, v13
	s_mov_b32 s85, 0
	s_mov_b32 s86, 0
	;; [unrolled: 1-line block ×5, first 2 shown]
.LBB9_59:                               ;   Parent Loop BB9_7 Depth=1
                                        ; =>  This Inner Loop Header: Depth=2
	ds_load_b32 v1, v27
	s_wait_dscnt 0x0
	v_bfe_i32 v2, v1, 0, 8
	v_bfe_i32 v3, v1, 8, 8
	v_bfe_i32 v4, v1, 16, 8
	v_ashrrev_i32_e32 v1, 24, v1
	s_delay_alu instid0(VALU_DEP_4) | instskip(NEXT) | instid1(VALU_DEP_4)
	v_add_nc_u32_e32 v2, 0x80, v2
	v_add_nc_u32_e32 v3, 0x80, v3
	s_delay_alu instid0(VALU_DEP_4) | instskip(NEXT) | instid1(VALU_DEP_4)
	v_add_nc_u32_e32 v4, 0x80, v4
	v_add_nc_u32_e32 v1, 0x80, v1
	s_delay_alu instid0(VALU_DEP_4)
	v_and_b32_e32 v28, v2, v24
	v_bfe_u32 v2, v2, s82, 2
	v_and_b32_e32 v29, v3, v24
	v_bfe_u32 v3, v3, s82, 2
	s_wait_loadcnt 0x0
	v_and_b32_e32 v30, v4, v24
	v_bfe_u32 v4, v4, s82, 2
	v_cmp_eq_u32_e64 s9, v28, v10
	v_cmp_eq_u32_e64 s13, 0, v2
	v_and_b32_e32 v31, v1, v24
	v_bfe_u32 v1, v1, s82, 2
	v_cmp_eq_u32_e64 s10, v29, v10
	v_cmp_eq_u32_e64 s14, 0, v3
	;; [unrolled: 1-line block ×4, first 2 shown]
	s_and_b32 s13, s9, s13
	v_cmp_eq_u32_e64 s12, v31, v10
	v_cmp_eq_u32_e64 s16, 0, v1
	;; [unrolled: 1-line block ×5, first 2 shown]
	s_wait_alu 0xfffe
	v_cndmask_b32_e64 v1, 0, 1, s13
	s_and_b32 s13, s10, s14
	v_cmp_eq_u32_e64 s17, 1, v2
	v_cmp_eq_u32_e64 s21, 2, v2
	v_cmp_eq_u32_e64 s25, 3, v2
	s_wait_alu 0xfffe
	v_cndmask_b32_e64 v2, 0, 1, s13
	s_and_b32 s13, s11, s15
	v_cmp_eq_u32_e64 s18, 1, v3
	v_cmp_eq_u32_e64 s22, 2, v3
	v_cmp_eq_u32_e64 s26, 3, v3
	s_wait_alu 0xfffe
	v_cndmask_b32_e64 v3, 0, 1, s13
	s_and_b32 s13, s12, s16
	v_cmp_eq_u32_e64 s19, 1, v4
	v_cmp_eq_u32_e64 s23, 2, v4
	v_cmp_eq_u32_e64 s27, 3, v4
	s_wait_alu 0xfffe
	v_cndmask_b32_e64 v4, 0, 1, s13
	s_and_b32 s13, s9, s17
	s_wait_alu 0xfffe
	v_cndmask_b32_e64 v28, 0, 1, s13
	s_and_b32 s13, s10, s18
	;; [unrolled: 3-line block ×4, first 2 shown]
	v_cmp_ne_u32_e64 s14, 0, v29
	s_wait_alu 0xfffe
	v_cndmask_b32_e64 v31, 0, 1, s13
	s_and_b32 s13, s9, s21
	s_and_b32 s9, s9, s25
	s_wait_alu 0xfffe
	v_cndmask_b32_e64 v32, 0, 1, s13
	s_and_b32 s13, s10, s22
	v_cndmask_b32_e64 v36, 0, 1, s9
	s_and_b32 s9, s10, s26
	s_wait_alu 0xfffe
	v_cndmask_b32_e64 v33, 0, 1, s13
	s_and_b32 s13, s11, s23
	v_cndmask_b32_e64 v37, 0, 1, s9
	;; [unrolled: 5-line block ×3, first 2 shown]
	s_and_b32 s9, s12, s28
	s_wait_alu 0xfffe
	v_cndmask_b32_e64 v35, 0, 1, s13
	v_cndmask_b32_e64 v39, 0, 1, s9
	v_cmp_ne_u32_e64 s9, 0, v1
	v_cmp_ne_u32_e64 s13, 0, v28
	;; [unrolled: 1-line block ×6, first 2 shown]
	s_bcnt1_i32_b32 s9, s9
	s_bcnt1_i32_b32 s13, s13
	v_cmp_ne_u32_e64 s16, 0, v31
	v_cmp_ne_u32_e64 s18, 0, v33
	;; [unrolled: 1-line block ×3, first 2 shown]
	s_bcnt1_i32_b32 s10, s10
	s_bcnt1_i32_b32 s14, s14
	s_wait_alu 0xfffe
	s_add_co_i32 s9, s9, s89
	s_add_co_i32 s13, s13, s88
	v_cmp_ne_u32_e64 s11, 0, v3
	v_cmp_ne_u32_e64 s19, 0, v34
	;; [unrolled: 1-line block ×3, first 2 shown]
	s_bcnt1_i32_b32 s15, s15
	s_wait_alu 0xfffe
	s_add_co_i32 s9, s9, s10
	s_add_co_i32 s10, s13, s14
	s_bcnt1_i32_b32 s17, s17
	s_bcnt1_i32_b32 s21, s21
	v_cmp_ne_u32_e64 s12, 0, v4
	v_cmp_ne_u32_e64 s20, 0, v35
	;; [unrolled: 1-line block ×3, first 2 shown]
	s_bcnt1_i32_b32 s16, s16
	s_wait_alu 0xfffe
	s_add_co_i32 s10, s10, s15
	s_bcnt1_i32_b32 s18, s18
	s_bcnt1_i32_b32 s22, s22
	s_add_co_i32 s17, s17, s87
	s_add_co_i32 s21, s21, s86
	s_wait_alu 0xfffe
	s_add_co_i32 s88, s10, s16
	s_wait_alu 0xfffe
	v_dual_mov_b32 v2, s88 :: v_dual_add_nc_u32 v27, s46, v27
	s_bcnt1_i32_b32 s11, s11
	s_bcnt1_i32_b32 s19, s19
	;; [unrolled: 1-line block ×3, first 2 shown]
	s_add_co_i32 s13, s17, s18
	s_add_co_i32 s14, s21, s22
	s_bcnt1_i32_b32 s12, s12
	s_bcnt1_i32_b32 s20, s20
	;; [unrolled: 1-line block ×3, first 2 shown]
	s_wait_alu 0xfffe
	s_add_co_i32 s9, s9, s11
	s_add_co_i32 s11, s13, s19
	;; [unrolled: 1-line block ×3, first 2 shown]
	v_cmp_le_i32_e32 vcc_lo, s83, v27
	s_wait_alu 0xfffe
	s_add_co_i32 s89, s9, s12
	s_add_co_i32 s87, s11, s20
	s_add_co_i32 s86, s13, s24
	s_wait_alu 0xfffe
	v_mov_b32_e32 v1, s89
	v_dual_mov_b32 v3, s87 :: v_dual_mov_b32 v4, s86
	s_or_b32 s85, vcc_lo, s85
	s_wait_alu 0xfffe
	s_and_not1_b32 exec_lo, exec_lo, s85
	s_cbranch_execnz .LBB9_59
; %bb.60:                               ;   in Loop: Header=BB9_7 Depth=1
	s_or_b32 exec_lo, exec_lo, s85
.LBB9_61:                               ;   in Loop: Header=BB9_7 Depth=1
	s_delay_alu instid0(SALU_CYCLE_1) | instskip(SKIP_2) | instid1(VALU_DEP_1)
	s_or_b32 exec_lo, exec_lo, s84
	v_add_nc_u32_e32 v27, s83, v0
	s_mov_b32 s14, exec_lo
	v_cmpx_gt_i32_e64 s50, v27
	s_cbranch_execz .LBB9_65
; %bb.62:                               ;   in Loop: Header=BB9_7 Depth=1
	s_mov_b32 s15, 0
.LBB9_63:                               ;   Parent Loop BB9_7 Depth=1
                                        ; =>  This Inner Loop Header: Depth=2
	ds_load_i8 v28, v27
	v_add_nc_u32_e32 v27, s41, v27
	s_delay_alu instid0(VALU_DEP_1) | instskip(SKIP_2) | instid1(VALU_DEP_1)
	v_cmp_le_i32_e32 vcc_lo, s50, v27
	s_wait_dscnt 0x0
	v_add_nc_u32_e32 v28, 0x80, v28
	v_and_b32_e32 v29, v28, v24
	v_bfe_u32 v28, v28, s82, 2
	s_delay_alu instid0(VALU_DEP_2) | instskip(NEXT) | instid1(VALU_DEP_2)
	v_cmp_eq_u32_e64 s9, v29, v10
	v_cmp_eq_u32_e64 s10, 0, v28
	;; [unrolled: 1-line block ×5, first 2 shown]
	s_and_b32 s10, s9, s10
	s_wait_alu 0xfffe
	v_cndmask_b32_e64 v28, 0, 1, s10
	s_and_b32 s10, s9, s11
	s_wait_alu 0xfffe
	v_cndmask_b32_e64 v29, 0, 1, s10
	s_and_b32 s10, s9, s12
	s_and_b32 s9, s9, s13
	s_wait_loadcnt 0x0
	s_wait_alu 0xfffe
	v_cndmask_b32_e64 v30, 0, 1, s10
	v_cndmask_b32_e64 v31, 0, 1, s9
	v_cmp_ne_u32_e64 s9, 0, v28
	v_cmp_ne_u32_e64 s10, 0, v29
	s_delay_alu instid0(VALU_DEP_4) | instskip(NEXT) | instid1(VALU_DEP_4)
	v_cmp_ne_u32_e64 s11, 0, v30
	v_cmp_ne_u32_e64 s12, 0, v31
	s_bcnt1_i32_b32 s9, s9
	s_bcnt1_i32_b32 s10, s10
	s_wait_alu 0xfffe
	v_add_nc_u32_e32 v1, s9, v1
	s_bcnt1_i32_b32 s11, s11
	s_bcnt1_i32_b32 s12, s12
	v_add_nc_u32_e32 v2, s10, v2
	s_wait_alu 0xfffe
	v_add_nc_u32_e32 v3, s11, v3
	v_add_nc_u32_e32 v4, s12, v4
	s_or_b32 s15, vcc_lo, s15
	s_wait_alu 0xfffe
	s_and_not1_b32 exec_lo, exec_lo, s15
	s_cbranch_execnz .LBB9_63
; %bb.64:                               ;   in Loop: Header=BB9_7 Depth=1
	s_or_b32 exec_lo, exec_lo, s15
.LBB9_65:                               ;   in Loop: Header=BB9_7 Depth=1
	s_wait_alu 0xfffe
	s_or_b32 exec_lo, exec_lo, s14
	v_lshlrev_b32_e32 v27, 7, v23
	s_and_saveexec_b32 s9, s0
	s_cbranch_execnz .LBB9_37
	s_branch .LBB9_38
.LBB9_66:                               ;   in Loop: Header=BB9_7 Depth=1
	s_or_b32 exec_lo, exec_lo, s12
	s_wait_dscnt 0x0
	s_barrier_signal -1
	s_barrier_wait -1
	global_inv scope:SCOPE_SE
	s_and_saveexec_b32 s9, s2
	s_cbranch_execz .LBB9_68
; %bb.67:                               ;   in Loop: Header=BB9_7 Depth=1
	ds_load_b32 v1, v14 offset:4104
	s_wait_dscnt 0x0
	ds_store_b32 v14, v1 offset:4096
.LBB9_68:                               ;   in Loop: Header=BB9_7 Depth=1
	s_wait_alu 0xfffe
	s_or_b32 exec_lo, exec_lo, s9
	s_wait_loadcnt_dscnt 0x0
	s_barrier_signal -1
	s_mov_b32 s9, -1
	s_barrier_wait -1
	s_and_b32 vcc_lo, exec_lo, s10
	s_wait_alu 0xfffe
	s_cbranch_vccnz .LBB9_22
	s_branch .LBB9_32
.LBB9_69:                               ;   in Loop: Header=BB9_7 Depth=1
	v_mov_b32_e32 v1, 0
	s_mov_b32 s10, 0
	s_and_not1_b32 vcc_lo, exec_lo, s72
	s_wait_alu 0xfffe
	s_cbranch_vccnz .LBB9_72
.LBB9_70:                               ;   in Loop: Header=BB9_7 Depth=1
	v_lshlrev_b32_e32 v2, 9, v23
	s_lshl_b32 s10, s10, 4
	s_wait_alu 0xfffe
	s_delay_alu instid0(VALU_DEP_1)
	v_add3_u32 v2, v2, s10, v22
	s_mov_b32 s10, s69
.LBB9_71:                               ;   Parent Loop BB9_7 Depth=1
                                        ; =>  This Inner Loop Header: Depth=2
	ds_load_b32 v3, v2
	v_add_nc_u32_e32 v2, 16, v2
	s_wait_alu 0xfffe
	s_add_co_i32 s10, s10, -1
	s_wait_alu 0xfffe
	s_cmp_lg_u32 s10, 0
	s_wait_dscnt 0x0
	v_add_nc_u32_e32 v1, v3, v1
	s_cbranch_scc1 .LBB9_71
.LBB9_72:                               ;   in Loop: Header=BB9_7 Depth=1
	v_add_lshl_u32 v2, v27, v12, 2
	ds_store_b32 v2, v1 offset:3072
.LBB9_73:                               ;   in Loop: Header=BB9_7 Depth=1
	s_wait_alu 0xfffe
	s_or_b32 exec_lo, exec_lo, s9
	v_lshlrev_b32_e32 v1, 2, v27
	s_wait_loadcnt_dscnt 0x0
	s_barrier_signal -1
	s_barrier_wait -1
	global_inv scope:SCOPE_SE
	ds_load_b128 v[1:4], v1 offset:3072
	s_lshl_b32 s10, 3, s82
	v_cmp_eq_u32_e32 vcc_lo, 1, v26
	s_wait_alu 0xfffe
	s_not_b32 s17, s10
	s_mov_b32 s13, -1
	s_mov_b32 s15, -1
                                        ; implicit-def: $sgpr20
                                        ; implicit-def: $sgpr18
	s_wait_dscnt 0x0
	v_readfirstlane_b32 s12, v1
	v_readfirstlane_b32 s19, v2
	;; [unrolled: 1-line block ×4, first 2 shown]
	s_cmp_eq_u32 s12, 1
	s_cselect_b32 s11, -1, 0
	s_wait_alu 0xfffe
	s_and_b32 s14, s11, vcc_lo
	s_wait_alu 0xfffe
	s_and_saveexec_b32 s11, s14
	s_cbranch_execz .LBB9_99
; %bb.74:                               ;   in Loop: Header=BB9_7 Depth=1
	ds_load_b32 v1, v14 offset:4096
	s_wait_loadcnt_dscnt 0x0
	s_barrier_signal -1
	s_barrier_wait -1
	global_inv scope:SCOPE_SE
	v_readfirstlane_b32 s15, v1
	s_and_saveexec_b32 s18, s1
; %bb.75:                               ;   in Loop: Header=BB9_7 Depth=1
	ds_store_b8 v0, v14 offset:3072
; %bb.76:                               ;   in Loop: Header=BB9_7 Depth=1
	s_wait_alu 0xfffe
	s_or_b32 exec_lo, exec_lo, s18
	v_and_b32_e32 v10, s17, v10
	v_or_b32_e32 v24, s10, v24
	s_mov_b32 s18, -1
	s_mov_b32 s20, 0
	s_cmp_lt_i32 s15, 1
	s_mov_b32 s21, 0
	s_mov_b32 s22, -1
	s_wait_loadcnt_dscnt 0x0
	s_barrier_signal -1
	s_barrier_wait -1
	global_inv scope:SCOPE_SE
                                        ; implicit-def: $vgpr25
	s_cbranch_scc0 .LBB9_87
; %bb.77:                               ;   in Loop: Header=BB9_7 Depth=1
	s_mov_b32 s22, 0
                                        ; implicit-def: $vgpr25
	s_and_saveexec_b32 s23, s8
	s_cbranch_execz .LBB9_86
; %bb.78:                               ;   in Loop: Header=BB9_7 Depth=1
	v_dual_mov_b32 v1, v11 :: v_dual_mov_b32 v2, v0
                                        ; implicit-def: $sgpr24
	s_branch .LBB9_81
.LBB9_79:                               ;   in Loop: Header=BB9_81 Depth=2
	s_wait_alu 0xfffe
	s_or_b32 exec_lo, exec_lo, s25
	s_wait_loadcnt_dscnt 0x0
	s_barrier_signal -1
	s_barrier_wait -1
	global_inv scope:SCOPE_SE
	ds_load_u16 v3, v14 offset:3072
	s_mov_b32 s25, -1
	s_mov_b32 s26, -1
	s_wait_loadcnt_dscnt 0x0
	s_barrier_signal -1
	s_barrier_wait -1
	global_inv scope:SCOPE_SE
	v_and_b32_e32 v4, 0xff, v3
	s_delay_alu instid0(VALU_DEP_1)
	v_cmp_ne_u32_e32 vcc_lo, 0, v4
	s_cbranch_vccz .LBB9_84
.LBB9_80:                               ;   in Loop: Header=BB9_81 Depth=2
	s_wait_alu 0xfffe
	s_and_b32 s25, exec_lo, s25
	s_wait_alu 0xfffe
	s_or_b32 s21, s25, s21
	s_and_not1_b32 s24, s24, exec_lo
	s_and_b32 s25, s26, exec_lo
	s_wait_alu 0xfffe
	s_or_b32 s24, s24, s25
	s_and_not1_b32 exec_lo, exec_lo, s21
	s_cbranch_execz .LBB9_85
.LBB9_81:                               ;   Parent Loop BB9_7 Depth=1
                                        ; =>  This Inner Loop Header: Depth=2
	s_mov_b32 s25, exec_lo
	s_delay_alu instid0(VALU_DEP_1)
	v_cmpx_gt_i32_e64 s36, v2
	s_cbranch_execz .LBB9_79
; %bb.82:                               ;   in Loop: Header=BB9_81 Depth=2
	v_ashrrev_i32_e32 v4, 31, v1
	v_add_co_u32 v3, vcc_lo, s48, v1
	s_wait_alu 0xfffd
	s_delay_alu instid0(VALU_DEP_2) | instskip(SKIP_3) | instid1(VALU_DEP_1)
	v_add_co_ci_u32_e64 v4, null, s49, v4, vcc_lo
	global_load_u8 v3, v[3:4], off
	s_wait_loadcnt 0x0
	v_bfe_i32 v4, v3, 0, 8
	v_add_nc_u32_e32 v4, 0x80, v4
	s_delay_alu instid0(VALU_DEP_1) | instskip(NEXT) | instid1(VALU_DEP_1)
	v_and_b32_e32 v4, v4, v24
	v_cmp_eq_u32_e32 vcc_lo, v4, v10
	s_and_b32 exec_lo, exec_lo, vcc_lo
	s_cbranch_execz .LBB9_79
; %bb.83:                               ;   in Loop: Header=BB9_81 Depth=2
	v_lshlrev_b16 v3, 8, v3
	s_delay_alu instid0(VALU_DEP_1)
	v_or_b32_e32 v3, 1, v3
	ds_store_b16 v14, v3 offset:3072
	s_branch .LBB9_79
.LBB9_84:                               ;   in Loop: Header=BB9_81 Depth=2
	v_add_nc_u32_e32 v2, s41, v2
	v_add_nc_u32_e32 v1, s66, v1
	s_mov_b32 s26, 0
	s_delay_alu instid0(VALU_DEP_2)
	v_cmp_le_i32_e32 vcc_lo, s74, v2
	s_or_not1_b32 s25, vcc_lo, exec_lo
	s_branch .LBB9_80
.LBB9_85:                               ;   in Loop: Header=BB9_7 Depth=1
	s_or_b32 exec_lo, exec_lo, s21
	v_and_b32_e32 v1, 0xffff, v3
	s_wait_alu 0xfffe
	s_and_b32 s21, s24, exec_lo
	s_delay_alu instid0(VALU_DEP_1)
	v_lshrrev_b32_e32 v25, 8, v1
.LBB9_86:                               ;   in Loop: Header=BB9_7 Depth=1
	s_wait_alu 0xfffe
	s_or_b32 exec_lo, exec_lo, s23
.LBB9_87:                               ;   in Loop: Header=BB9_7 Depth=1
	s_wait_alu 0xfffe
	s_and_b32 vcc_lo, exec_lo, s22
	s_wait_alu 0xfffe
	s_cbranch_vccz .LBB9_98
; %bb.88:                               ;   in Loop: Header=BB9_7 Depth=1
	s_add_co_i32 s20, s15, s64
                                        ; implicit-def: $vgpr25
	s_wait_alu 0xfffe
	s_abs_i32 s50, s20
	s_wait_alu 0xfffe
	s_mul_u64 s[22:23], s[50:51], s[54:55]
	s_ashr_i32 s22, s20, 31
	s_wait_alu 0xfffe
	s_mul_i32 s18, s23, s41
	s_wait_alu 0xfffe
	s_sub_co_i32 s18, s50, s18
	s_wait_alu 0xfffe
	s_sub_co_i32 s23, s18, s41
	s_cmp_ge_u32 s18, s41
	s_wait_alu 0xfffe
	s_cselect_b32 s18, s23, s18
	s_wait_alu 0xfffe
	s_sub_co_i32 s23, s18, s41
	s_cmp_ge_u32 s18, s41
	s_wait_alu 0xfffe
	s_cselect_b32 s18, s23, s18
	s_wait_alu 0xfffe
	s_xor_b32 s18, s18, s22
	s_wait_alu 0xfffe
	s_sub_co_i32 s18, s22, s18
	s_wait_alu 0xfffe
	s_add_co_i32 s20, s20, s18
	s_mov_b32 s18, exec_lo
	s_wait_alu 0xfffe
	v_cmpx_gt_i32_e64 s20, v0
	s_cbranch_execz .LBB9_97
; %bb.89:                               ;   in Loop: Header=BB9_7 Depth=1
	v_mov_b32_e32 v1, v0
	s_mov_b32 s23, 0
                                        ; implicit-def: $sgpr22
	s_branch .LBB9_92
.LBB9_90:                               ;   in Loop: Header=BB9_92 Depth=2
	s_wait_alu 0xfffe
	s_or_b32 exec_lo, exec_lo, s24
	s_wait_loadcnt_dscnt 0x0
	s_barrier_signal -1
	s_barrier_wait -1
	global_inv scope:SCOPE_SE
	ds_load_u16 v2, v14 offset:3072
	s_mov_b32 s25, -1
	s_mov_b32 s24, -1
	s_wait_loadcnt_dscnt 0x0
	s_barrier_signal -1
	s_barrier_wait -1
	global_inv scope:SCOPE_SE
	v_and_b32_e32 v3, 0xff, v2
	s_delay_alu instid0(VALU_DEP_1)
	v_cmp_ne_u32_e32 vcc_lo, 0, v3
	s_cbranch_vccz .LBB9_95
.LBB9_91:                               ;   in Loop: Header=BB9_92 Depth=2
	s_wait_alu 0xfffe
	s_and_b32 s25, exec_lo, s25
	s_wait_alu 0xfffe
	s_or_b32 s23, s25, s23
	s_and_not1_b32 s22, s22, exec_lo
	s_and_b32 s24, s24, exec_lo
	s_wait_alu 0xfffe
	s_or_b32 s22, s22, s24
	s_and_not1_b32 exec_lo, exec_lo, s23
	s_cbranch_execz .LBB9_96
.LBB9_92:                               ;   Parent Loop BB9_7 Depth=1
                                        ; =>  This Inner Loop Header: Depth=2
	s_mov_b32 s24, exec_lo
	s_delay_alu instid0(VALU_DEP_1)
	v_cmpx_gt_i32_e64 s15, v1
	s_cbranch_execz .LBB9_90
; %bb.93:                               ;   in Loop: Header=BB9_92 Depth=2
	ds_load_u8 v2, v1
	s_wait_dscnt 0x0
	v_bfe_i32 v3, v2, 0, 8
	s_delay_alu instid0(VALU_DEP_1) | instskip(NEXT) | instid1(VALU_DEP_1)
	v_add_nc_u32_e32 v3, 0x80, v3
	v_and_b32_e32 v3, v3, v24
	s_delay_alu instid0(VALU_DEP_1)
	v_cmp_eq_u32_e32 vcc_lo, v3, v10
	s_and_b32 exec_lo, exec_lo, vcc_lo
	s_cbranch_execz .LBB9_90
; %bb.94:                               ;   in Loop: Header=BB9_92 Depth=2
	v_lshlrev_b16 v2, 8, v2
	s_delay_alu instid0(VALU_DEP_1)
	v_or_b32_e32 v2, 1, v2
	ds_store_b16 v14, v2 offset:3072
	s_branch .LBB9_90
.LBB9_95:                               ;   in Loop: Header=BB9_92 Depth=2
	v_add_nc_u32_e32 v1, s41, v1
	s_mov_b32 s24, 0
	s_delay_alu instid0(VALU_DEP_1)
	v_cmp_le_i32_e32 vcc_lo, s20, v1
	s_or_not1_b32 s25, vcc_lo, exec_lo
	s_branch .LBB9_91
.LBB9_96:                               ;   in Loop: Header=BB9_7 Depth=1
	s_or_b32 exec_lo, exec_lo, s23
	v_and_b32_e32 v1, 0xffff, v2
	s_and_not1_b32 s15, s21, exec_lo
	s_wait_alu 0xfffe
	s_and_b32 s20, s22, exec_lo
	s_wait_alu 0xfffe
	s_or_b32 s21, s15, s20
	v_lshrrev_b32_e32 v25, 8, v1
.LBB9_97:                               ;   in Loop: Header=BB9_7 Depth=1
	s_or_b32 exec_lo, exec_lo, s18
	s_mov_b32 s18, 0
	s_mov_b32 s20, -1
.LBB9_98:                               ;   in Loop: Header=BB9_7 Depth=1
	s_wait_alu 0xfffe
	s_or_not1_b32 s15, s21, exec_lo
.LBB9_99:                               ;   in Loop: Header=BB9_7 Depth=1
	s_wait_alu 0xfffe
	s_or_b32 exec_lo, exec_lo, s11
	v_readfirstlane_b32 s21, v0
	s_and_not1_b32 s11, s80, exec_lo
	s_and_b32 s20, s20, exec_lo
	s_and_not1_b32 s22, s78, exec_lo
	s_and_b32 s18, s18, exec_lo
	s_and_not1_b32 s77, s77, exec_lo
	s_wait_alu 0xfffe
	s_or_b32 s80, s11, s20
	s_or_b32 s78, s22, s18
                                        ; implicit-def: $vgpr2
	s_and_saveexec_b32 s11, s15
	s_cbranch_execz .LBB9_6
; %bb.100:                              ;   in Loop: Header=BB9_7 Depth=1
	v_dual_mov_b32 v2, 1 :: v_dual_mov_b32 v1, 1
	s_xor_b32 s14, s14, -1
	s_mov_b32 s20, 0
	s_wait_alu 0xfffe
	s_and_saveexec_b32 s13, s14
	s_cbranch_execz .LBB9_109
; %bb.101:                              ;   in Loop: Header=BB9_7 Depth=1
	s_mov_b32 s14, exec_lo
	v_cmpx_ge_i32_e64 s12, v26
	s_wait_alu 0xfffe
	s_xor_b32 s14, exec_lo, s14
	s_cbranch_execz .LBB9_106
; %bb.102:                              ;   in Loop: Header=BB9_7 Depth=1
	ds_load_b32 v1, v14 offset:4096
	v_and_b32_e32 v10, s17, v10
	v_or_b32_e32 v24, s10, v24
	s_wait_dscnt 0x0
	v_cmp_ne_u32_e32 vcc_lo, 0, v1
	s_cbranch_vccnz .LBB9_106
; %bb.103:                              ;   in Loop: Header=BB9_7 Depth=1
	s_and_saveexec_b32 s15, s2
; %bb.104:                              ;   in Loop: Header=BB9_7 Depth=1
	v_mov_b32_e32 v1, s12
	ds_store_b32 v14, v1 offset:4100
; %bb.105:                              ;   in Loop: Header=BB9_7 Depth=1
	s_wait_alu 0xfffe
	s_or_b32 exec_lo, exec_lo, s15
	s_wait_loadcnt_dscnt 0x0
	s_barrier_signal -1
	s_barrier_wait -1
	global_inv scope:SCOPE_SE
.LBB9_106:                              ;   in Loop: Header=BB9_7 Depth=1
	s_wait_alu 0xfffe
	s_or_saveexec_b32 s14, s14
	v_mov_b32_e32 v1, 8
	s_mov_b32 s15, 0
	s_wait_alu 0xfffe
	s_xor_b32 exec_lo, exec_lo, s14
; %bb.107:                              ;   in Loop: Header=BB9_7 Depth=1
	v_subrev_nc_u32_e32 v26, s12, v26
	v_mov_b32_e32 v1, 0
	s_mov_b32 s15, exec_lo
; %bb.108:                              ;   in Loop: Header=BB9_7 Depth=1
	s_or_b32 exec_lo, exec_lo, s14
	s_delay_alu instid0(VALU_DEP_2)
	v_mov_b32_e32 v2, v26
	s_wait_alu 0xfffe
	s_and_b32 s20, s15, exec_lo
.LBB9_109:                              ;   in Loop: Header=BB9_7 Depth=1
	s_wait_alu 0xfffe
	s_or_b32 exec_lo, exec_lo, s13
	s_mov_b32 s12, -1
	s_mov_b32 s18, -1
                                        ; implicit-def: $sgpr14
                                        ; implicit-def: $sgpr15
	s_and_saveexec_b32 s13, s20
	s_wait_alu 0xfffe
	s_xor_b32 s13, exec_lo, s13
	s_cbranch_execz .LBB9_226
; %bb.110:                              ;   in Loop: Header=BB9_7 Depth=1
	v_cmp_eq_u32_e32 vcc_lo, 1, v2
	s_cmp_eq_u32 s19, 1
	s_mov_b32 s21, -1
	s_cselect_b32 s14, -1, 0
                                        ; implicit-def: $sgpr15
	s_wait_alu 0xfffe
	s_and_b32 s20, s14, vcc_lo
                                        ; implicit-def: $sgpr14
	s_wait_alu 0xfffe
	s_and_saveexec_b32 s18, s20
	s_cbranch_execz .LBB9_136
; %bb.111:                              ;   in Loop: Header=BB9_7 Depth=1
	ds_load_b32 v3, v14 offset:4096
	s_wait_loadcnt_dscnt 0x0
	s_barrier_signal -1
	s_barrier_wait -1
	global_inv scope:SCOPE_SE
	v_readfirstlane_b32 s21, v3
	s_and_saveexec_b32 s14, s1
; %bb.112:                              ;   in Loop: Header=BB9_7 Depth=1
	ds_store_b8 v0, v14 offset:3072
; %bb.113:                              ;   in Loop: Header=BB9_7 Depth=1
	s_wait_alu 0xfffe
	s_or_b32 exec_lo, exec_lo, s14
	s_lshl_b32 s14, 1, s82
	v_or_b32_e32 v24, s10, v24
	s_wait_alu 0xfffe
	v_and_or_b32 v10, v10, s17, s14
	s_mov_b32 s14, -1
	s_mov_b32 s15, 0
	s_cmp_gt_i32 s21, 0
	s_mov_b32 s22, 0
	s_mov_b32 s23, -1
	s_wait_loadcnt_dscnt 0x0
	s_barrier_signal -1
	s_barrier_wait -1
	global_inv scope:SCOPE_SE
                                        ; implicit-def: $vgpr25
	s_cbranch_scc1 .LBB9_124
; %bb.114:                              ;   in Loop: Header=BB9_7 Depth=1
	s_mov_b32 s23, 0
                                        ; implicit-def: $vgpr25
	s_and_saveexec_b32 s24, s8
	s_cbranch_execz .LBB9_123
; %bb.115:                              ;   in Loop: Header=BB9_7 Depth=1
	v_dual_mov_b32 v3, v11 :: v_dual_mov_b32 v4, v0
                                        ; implicit-def: $sgpr25
	s_branch .LBB9_118
.LBB9_116:                              ;   in Loop: Header=BB9_118 Depth=2
	s_wait_alu 0xfffe
	s_or_b32 exec_lo, exec_lo, s26
	s_wait_loadcnt_dscnt 0x0
	s_barrier_signal -1
	s_barrier_wait -1
	global_inv scope:SCOPE_SE
	ds_load_u16 v25, v14 offset:3072
	s_mov_b32 s26, -1
	s_mov_b32 s27, -1
	s_wait_loadcnt_dscnt 0x0
	s_barrier_signal -1
	s_barrier_wait -1
	global_inv scope:SCOPE_SE
	v_and_b32_e32 v26, 0xff, v25
	s_delay_alu instid0(VALU_DEP_1)
	v_cmp_ne_u32_e32 vcc_lo, 0, v26
	s_cbranch_vccz .LBB9_121
.LBB9_117:                              ;   in Loop: Header=BB9_118 Depth=2
	s_wait_alu 0xfffe
	s_and_b32 s26, exec_lo, s26
	s_wait_alu 0xfffe
	s_or_b32 s22, s26, s22
	s_and_not1_b32 s25, s25, exec_lo
	s_and_b32 s26, s27, exec_lo
	s_wait_alu 0xfffe
	s_or_b32 s25, s25, s26
	s_and_not1_b32 exec_lo, exec_lo, s22
	s_cbranch_execz .LBB9_122
.LBB9_118:                              ;   Parent Loop BB9_7 Depth=1
                                        ; =>  This Inner Loop Header: Depth=2
	s_mov_b32 s26, exec_lo
	s_delay_alu instid0(VALU_DEP_1)
	v_cmpx_gt_i32_e64 s36, v4
	s_cbranch_execz .LBB9_116
; %bb.119:                              ;   in Loop: Header=BB9_118 Depth=2
	v_ashrrev_i32_e32 v26, 31, v3
	v_add_co_u32 v25, vcc_lo, s48, v3
	s_wait_alu 0xfffd
	s_delay_alu instid0(VALU_DEP_2) | instskip(SKIP_3) | instid1(VALU_DEP_1)
	v_add_co_ci_u32_e64 v26, null, s49, v26, vcc_lo
	global_load_u8 v25, v[25:26], off
	s_wait_loadcnt 0x0
	v_bfe_i32 v26, v25, 0, 8
	v_add_nc_u32_e32 v26, 0x80, v26
	s_delay_alu instid0(VALU_DEP_1) | instskip(NEXT) | instid1(VALU_DEP_1)
	v_and_b32_e32 v26, v26, v24
	v_cmp_eq_u32_e32 vcc_lo, v26, v10
	s_and_b32 exec_lo, exec_lo, vcc_lo
	s_cbranch_execz .LBB9_116
; %bb.120:                              ;   in Loop: Header=BB9_118 Depth=2
	v_lshlrev_b16 v25, 8, v25
	s_delay_alu instid0(VALU_DEP_1)
	v_or_b32_e32 v25, 1, v25
	ds_store_b16 v14, v25 offset:3072
	s_branch .LBB9_116
.LBB9_121:                              ;   in Loop: Header=BB9_118 Depth=2
	v_add_nc_u32_e32 v4, s41, v4
	v_add_nc_u32_e32 v3, s66, v3
	s_mov_b32 s27, 0
	s_delay_alu instid0(VALU_DEP_2)
	v_cmp_le_i32_e32 vcc_lo, s74, v4
	s_or_not1_b32 s26, vcc_lo, exec_lo
	s_branch .LBB9_117
.LBB9_122:                              ;   in Loop: Header=BB9_7 Depth=1
	s_or_b32 exec_lo, exec_lo, s22
	v_and_b32_e32 v3, 0xffff, v25
	s_wait_alu 0xfffe
	s_and_b32 s22, s25, exec_lo
	s_delay_alu instid0(VALU_DEP_1)
	v_lshrrev_b32_e32 v25, 8, v3
.LBB9_123:                              ;   in Loop: Header=BB9_7 Depth=1
	s_wait_alu 0xfffe
	s_or_b32 exec_lo, exec_lo, s24
.LBB9_124:                              ;   in Loop: Header=BB9_7 Depth=1
	s_wait_alu 0xfffe
	s_and_b32 vcc_lo, exec_lo, s23
	s_wait_alu 0xfffe
	s_cbranch_vccz .LBB9_135
; %bb.125:                              ;   in Loop: Header=BB9_7 Depth=1
	s_add_co_i32 s23, s21, s64
                                        ; implicit-def: $vgpr25
	s_wait_alu 0xfffe
	s_abs_i32 s50, s23
	s_wait_alu 0xfffe
	s_mul_u64 s[14:15], s[50:51], s[54:55]
	s_wait_alu 0xfffe
	s_mul_i32 s14, s15, s41
	s_ashr_i32 s15, s23, 31
	s_wait_alu 0xfffe
	s_sub_co_i32 s14, s50, s14
	s_wait_alu 0xfffe
	s_sub_co_i32 s24, s14, s41
	s_cmp_ge_u32 s14, s41
	s_wait_alu 0xfffe
	s_cselect_b32 s14, s24, s14
	s_wait_alu 0xfffe
	s_sub_co_i32 s24, s14, s41
	s_cmp_ge_u32 s14, s41
	s_wait_alu 0xfffe
	s_cselect_b32 s14, s24, s14
	s_wait_alu 0xfffe
	s_xor_b32 s14, s14, s15
	s_wait_alu 0xfffe
	s_sub_co_i32 s14, s15, s14
	s_wait_alu 0xfffe
	s_add_co_i32 s15, s23, s14
	s_mov_b32 s14, exec_lo
	s_wait_alu 0xfffe
	v_cmpx_gt_i32_e64 s15, v0
	s_cbranch_execz .LBB9_134
; %bb.126:                              ;   in Loop: Header=BB9_7 Depth=1
	v_mov_b32_e32 v3, v0
	s_mov_b32 s23, 0
                                        ; implicit-def: $sgpr24
	s_branch .LBB9_129
.LBB9_127:                              ;   in Loop: Header=BB9_129 Depth=2
	s_wait_alu 0xfffe
	s_or_b32 exec_lo, exec_lo, s25
	s_wait_loadcnt_dscnt 0x0
	s_barrier_signal -1
	s_barrier_wait -1
	global_inv scope:SCOPE_SE
	ds_load_u16 v4, v14 offset:3072
	s_mov_b32 s26, -1
	s_mov_b32 s25, -1
	s_wait_loadcnt_dscnt 0x0
	s_barrier_signal -1
	s_barrier_wait -1
	global_inv scope:SCOPE_SE
	v_and_b32_e32 v25, 0xff, v4
	s_delay_alu instid0(VALU_DEP_1)
	v_cmp_eq_u32_e32 vcc_lo, 0, v25
	s_cbranch_vccnz .LBB9_132
.LBB9_128:                              ;   in Loop: Header=BB9_129 Depth=2
	s_wait_alu 0xfffe
	s_and_b32 s26, exec_lo, s26
	s_wait_alu 0xfffe
	s_or_b32 s23, s26, s23
	s_and_not1_b32 s24, s24, exec_lo
	s_and_b32 s25, s25, exec_lo
	s_wait_alu 0xfffe
	s_or_b32 s24, s24, s25
	s_and_not1_b32 exec_lo, exec_lo, s23
	s_cbranch_execz .LBB9_133
.LBB9_129:                              ;   Parent Loop BB9_7 Depth=1
                                        ; =>  This Inner Loop Header: Depth=2
	s_mov_b32 s25, exec_lo
	s_delay_alu instid0(VALU_DEP_1)
	v_cmpx_gt_i32_e64 s21, v3
	s_cbranch_execz .LBB9_127
; %bb.130:                              ;   in Loop: Header=BB9_129 Depth=2
	ds_load_u8 v4, v3
	s_wait_dscnt 0x0
	v_bfe_i32 v25, v4, 0, 8
	s_delay_alu instid0(VALU_DEP_1) | instskip(NEXT) | instid1(VALU_DEP_1)
	v_add_nc_u32_e32 v25, 0x80, v25
	v_and_b32_e32 v25, v25, v24
	s_delay_alu instid0(VALU_DEP_1)
	v_cmp_eq_u32_e32 vcc_lo, v25, v10
	s_and_b32 exec_lo, exec_lo, vcc_lo
	s_cbranch_execz .LBB9_127
; %bb.131:                              ;   in Loop: Header=BB9_129 Depth=2
	v_lshlrev_b16 v4, 8, v4
	s_delay_alu instid0(VALU_DEP_1)
	v_or_b32_e32 v4, 1, v4
	ds_store_b16 v14, v4 offset:3072
	s_branch .LBB9_127
.LBB9_132:                              ;   in Loop: Header=BB9_129 Depth=2
	v_add_nc_u32_e32 v3, s41, v3
	s_mov_b32 s25, 0
	s_delay_alu instid0(VALU_DEP_1)
	v_cmp_le_i32_e32 vcc_lo, s15, v3
	s_or_not1_b32 s26, vcc_lo, exec_lo
	s_branch .LBB9_128
.LBB9_133:                              ;   in Loop: Header=BB9_7 Depth=1
	s_or_b32 exec_lo, exec_lo, s23
	v_and_b32_e32 v3, 0xffff, v4
	s_and_not1_b32 s15, s22, exec_lo
	s_wait_alu 0xfffe
	s_and_b32 s21, s24, exec_lo
	s_wait_alu 0xfffe
	s_or_b32 s22, s15, s21
	v_lshrrev_b32_e32 v25, 8, v3
.LBB9_134:                              ;   in Loop: Header=BB9_7 Depth=1
	s_or_b32 exec_lo, exec_lo, s14
	s_mov_b32 s14, 0
	s_mov_b32 s15, -1
.LBB9_135:                              ;   in Loop: Header=BB9_7 Depth=1
	s_wait_alu 0xfffe
	s_or_not1_b32 s21, s22, exec_lo
.LBB9_136:                              ;   in Loop: Header=BB9_7 Depth=1
	s_wait_alu 0xfffe
	s_or_b32 exec_lo, exec_lo, s18
	s_mov_b32 s22, 0
	s_and_saveexec_b32 s18, s21
	s_cbranch_execz .LBB9_225
; %bb.137:                              ;   in Loop: Header=BB9_7 Depth=1
	v_mov_b32_e32 v3, 1
	v_mov_b32_e32 v1, 1
	s_xor_b32 s21, s20, -1
	s_mov_b32 s23, 0
	s_wait_alu 0xfffe
	s_and_saveexec_b32 s20, s21
	s_cbranch_execz .LBB9_146
; %bb.138:                              ;   in Loop: Header=BB9_7 Depth=1
	s_mov_b32 s21, exec_lo
	v_cmpx_ge_i32_e64 s19, v2
	s_wait_alu 0xfffe
	s_xor_b32 s21, exec_lo, s21
	s_cbranch_execz .LBB9_143
; %bb.139:                              ;   in Loop: Header=BB9_7 Depth=1
	ds_load_b32 v1, v14 offset:4096
	s_lshl_b32 s22, 1, s82
	v_or_b32_e32 v24, s10, v24
	s_wait_alu 0xfffe
	v_and_or_b32 v10, v10, s17, s22
	s_wait_dscnt 0x0
	v_cmp_ne_u32_e32 vcc_lo, 0, v1
	s_cbranch_vccnz .LBB9_143
; %bb.140:                              ;   in Loop: Header=BB9_7 Depth=1
	s_and_saveexec_b32 s22, s2
; %bb.141:                              ;   in Loop: Header=BB9_7 Depth=1
	v_mov_b32_e32 v1, s19
	ds_store_b32 v14, v1 offset:4100
; %bb.142:                              ;   in Loop: Header=BB9_7 Depth=1
	s_wait_alu 0xfffe
	s_or_b32 exec_lo, exec_lo, s22
	s_wait_loadcnt_dscnt 0x0
	s_barrier_signal -1
	s_barrier_wait -1
	global_inv scope:SCOPE_SE
.LBB9_143:                              ;   in Loop: Header=BB9_7 Depth=1
	s_wait_alu 0xfffe
	s_or_saveexec_b32 s21, s21
	v_mov_b32_e32 v1, 8
	s_mov_b32 s22, 0
	s_wait_alu 0xfffe
	s_xor_b32 exec_lo, exec_lo, s21
; %bb.144:                              ;   in Loop: Header=BB9_7 Depth=1
	v_subrev_nc_u32_e32 v2, s19, v2
	v_mov_b32_e32 v1, 0
	s_mov_b32 s22, exec_lo
; %bb.145:                              ;   in Loop: Header=BB9_7 Depth=1
	s_or_b32 exec_lo, exec_lo, s21
	s_delay_alu instid0(VALU_DEP_2)
	v_mov_b32_e32 v3, v2
	s_wait_alu 0xfffe
	s_and_b32 s23, s22, exec_lo
.LBB9_146:                              ;   in Loop: Header=BB9_7 Depth=1
	s_wait_alu 0xfffe
	s_or_b32 exec_lo, exec_lo, s20
	s_mov_b32 s22, -1
                                        ; implicit-def: $sgpr20
                                        ; implicit-def: $sgpr21
	s_and_saveexec_b32 s19, s23
	s_cbranch_execz .LBB9_224
; %bb.147:                              ;   in Loop: Header=BB9_7 Depth=1
	v_cmp_eq_u32_e32 vcc_lo, 1, v3
	s_cmp_eq_u32 s16, 1
	s_mov_b32 s24, -1
	s_cselect_b32 s20, -1, 0
                                        ; implicit-def: $sgpr21
	s_wait_alu 0xfffe
	s_and_b32 s23, s20, vcc_lo
                                        ; implicit-def: $sgpr20
	s_wait_alu 0xfffe
	s_and_saveexec_b32 s22, s23
	s_cbranch_execz .LBB9_173
; %bb.148:                              ;   in Loop: Header=BB9_7 Depth=1
	ds_load_b32 v2, v14 offset:4096
	s_wait_loadcnt_dscnt 0x0
	s_barrier_signal -1
	s_barrier_wait -1
	global_inv scope:SCOPE_SE
	v_readfirstlane_b32 s24, v2
	s_and_saveexec_b32 s20, s1
; %bb.149:                              ;   in Loop: Header=BB9_7 Depth=1
	ds_store_b8 v0, v14 offset:3072
; %bb.150:                              ;   in Loop: Header=BB9_7 Depth=1
	s_wait_alu 0xfffe
	s_or_b32 exec_lo, exec_lo, s20
	s_lshl_b32 s20, 2, s82
	v_or_b32_e32 v24, s10, v24
	s_wait_alu 0xfffe
	v_and_or_b32 v10, v10, s17, s20
	s_mov_b32 s20, -1
	s_mov_b32 s21, 0
	s_cmp_gt_i32 s24, 0
	s_mov_b32 s25, 0
	s_mov_b32 s26, -1
	s_wait_loadcnt_dscnt 0x0
	s_barrier_signal -1
	s_barrier_wait -1
	global_inv scope:SCOPE_SE
                                        ; implicit-def: $vgpr25
	s_cbranch_scc1 .LBB9_161
; %bb.151:                              ;   in Loop: Header=BB9_7 Depth=1
	s_mov_b32 s26, 0
                                        ; implicit-def: $vgpr25
	s_and_saveexec_b32 s27, s8
	s_cbranch_execz .LBB9_160
; %bb.152:                              ;   in Loop: Header=BB9_7 Depth=1
	v_mov_b32_e32 v2, v11
	v_mov_b32_e32 v4, v0
                                        ; implicit-def: $sgpr28
	s_branch .LBB9_155
.LBB9_153:                              ;   in Loop: Header=BB9_155 Depth=2
	s_wait_alu 0xfffe
	s_or_b32 exec_lo, exec_lo, s50
	s_wait_loadcnt_dscnt 0x0
	s_barrier_signal -1
	s_barrier_wait -1
	global_inv scope:SCOPE_SE
	ds_load_u16 v25, v14 offset:3072
	s_mov_b32 s50, -1
	s_mov_b32 s83, -1
	s_wait_loadcnt_dscnt 0x0
	s_barrier_signal -1
	s_barrier_wait -1
	global_inv scope:SCOPE_SE
	v_and_b32_e32 v26, 0xff, v25
	s_delay_alu instid0(VALU_DEP_1)
	v_cmp_ne_u32_e32 vcc_lo, 0, v26
	s_cbranch_vccz .LBB9_158
.LBB9_154:                              ;   in Loop: Header=BB9_155 Depth=2
	s_wait_alu 0xfffe
	s_and_b32 s50, exec_lo, s50
	s_wait_alu 0xfffe
	s_or_b32 s25, s50, s25
	s_and_not1_b32 s28, s28, exec_lo
	s_and_b32 s50, s83, exec_lo
	s_wait_alu 0xfffe
	s_or_b32 s28, s28, s50
	s_and_not1_b32 exec_lo, exec_lo, s25
	s_cbranch_execz .LBB9_159
.LBB9_155:                              ;   Parent Loop BB9_7 Depth=1
                                        ; =>  This Inner Loop Header: Depth=2
	s_mov_b32 s50, exec_lo
	s_delay_alu instid0(VALU_DEP_1)
	v_cmpx_gt_i32_e64 s36, v4
	s_cbranch_execz .LBB9_153
; %bb.156:                              ;   in Loop: Header=BB9_155 Depth=2
	v_ashrrev_i32_e32 v26, 31, v2
	v_add_co_u32 v25, vcc_lo, s48, v2
	s_wait_alu 0xfffd
	s_delay_alu instid0(VALU_DEP_2) | instskip(SKIP_3) | instid1(VALU_DEP_1)
	v_add_co_ci_u32_e64 v26, null, s49, v26, vcc_lo
	global_load_u8 v25, v[25:26], off
	s_wait_loadcnt 0x0
	v_bfe_i32 v26, v25, 0, 8
	v_add_nc_u32_e32 v26, 0x80, v26
	s_delay_alu instid0(VALU_DEP_1) | instskip(NEXT) | instid1(VALU_DEP_1)
	v_and_b32_e32 v26, v26, v24
	v_cmp_eq_u32_e32 vcc_lo, v26, v10
	s_and_b32 exec_lo, exec_lo, vcc_lo
	s_cbranch_execz .LBB9_153
; %bb.157:                              ;   in Loop: Header=BB9_155 Depth=2
	v_lshlrev_b16 v25, 8, v25
	s_delay_alu instid0(VALU_DEP_1)
	v_or_b32_e32 v25, 1, v25
	ds_store_b16 v14, v25 offset:3072
	s_branch .LBB9_153
.LBB9_158:                              ;   in Loop: Header=BB9_155 Depth=2
	v_add_nc_u32_e32 v4, s41, v4
	v_add_nc_u32_e32 v2, s66, v2
	s_mov_b32 s83, 0
	s_delay_alu instid0(VALU_DEP_2)
	v_cmp_le_i32_e32 vcc_lo, s74, v4
	s_or_not1_b32 s50, vcc_lo, exec_lo
	s_branch .LBB9_154
.LBB9_159:                              ;   in Loop: Header=BB9_7 Depth=1
	s_or_b32 exec_lo, exec_lo, s25
	v_and_b32_e32 v2, 0xffff, v25
	s_and_b32 s25, s28, exec_lo
	s_delay_alu instid0(VALU_DEP_1)
	v_lshrrev_b32_e32 v25, 8, v2
.LBB9_160:                              ;   in Loop: Header=BB9_7 Depth=1
	s_wait_alu 0xfffe
	s_or_b32 exec_lo, exec_lo, s27
.LBB9_161:                              ;   in Loop: Header=BB9_7 Depth=1
	s_wait_alu 0xfffe
	s_and_b32 vcc_lo, exec_lo, s26
	s_wait_alu 0xfffe
	s_cbranch_vccz .LBB9_172
; %bb.162:                              ;   in Loop: Header=BB9_7 Depth=1
	s_add_co_i32 s26, s24, s64
                                        ; implicit-def: $vgpr25
	s_wait_alu 0xfffe
	s_abs_i32 s50, s26
	s_wait_alu 0xfffe
	s_mul_u64 s[20:21], s[50:51], s[54:55]
	s_wait_alu 0xfffe
	s_mul_i32 s20, s21, s41
	s_ashr_i32 s21, s26, 31
	s_wait_alu 0xfffe
	s_sub_co_i32 s20, s50, s20
	s_wait_alu 0xfffe
	s_sub_co_i32 s27, s20, s41
	s_cmp_ge_u32 s20, s41
	s_wait_alu 0xfffe
	s_cselect_b32 s20, s27, s20
	s_wait_alu 0xfffe
	s_sub_co_i32 s27, s20, s41
	s_cmp_ge_u32 s20, s41
	s_wait_alu 0xfffe
	s_cselect_b32 s20, s27, s20
	s_wait_alu 0xfffe
	s_xor_b32 s20, s20, s21
	s_wait_alu 0xfffe
	s_sub_co_i32 s20, s21, s20
	s_wait_alu 0xfffe
	s_add_co_i32 s21, s26, s20
	s_mov_b32 s20, exec_lo
	s_wait_alu 0xfffe
	v_cmpx_gt_i32_e64 s21, v0
	s_cbranch_execz .LBB9_171
; %bb.163:                              ;   in Loop: Header=BB9_7 Depth=1
	v_mov_b32_e32 v2, v0
	s_mov_b32 s26, 0
                                        ; implicit-def: $sgpr27
	s_branch .LBB9_166
.LBB9_164:                              ;   in Loop: Header=BB9_166 Depth=2
	s_or_b32 exec_lo, exec_lo, s28
	s_wait_loadcnt_dscnt 0x0
	s_barrier_signal -1
	s_barrier_wait -1
	global_inv scope:SCOPE_SE
	ds_load_u16 v4, v14 offset:3072
	s_mov_b32 s50, -1
	s_mov_b32 s28, -1
	s_wait_loadcnt_dscnt 0x0
	s_barrier_signal -1
	s_barrier_wait -1
	global_inv scope:SCOPE_SE
	v_and_b32_e32 v25, 0xff, v4
	s_delay_alu instid0(VALU_DEP_1)
	v_cmp_eq_u32_e32 vcc_lo, 0, v25
	s_cbranch_vccnz .LBB9_169
.LBB9_165:                              ;   in Loop: Header=BB9_166 Depth=2
	s_wait_alu 0xfffe
	s_and_b32 s50, exec_lo, s50
	s_wait_alu 0xfffe
	s_or_b32 s26, s50, s26
	s_and_not1_b32 s27, s27, exec_lo
	s_and_b32 s28, s28, exec_lo
	s_wait_alu 0xfffe
	s_or_b32 s27, s27, s28
	s_and_not1_b32 exec_lo, exec_lo, s26
	s_cbranch_execz .LBB9_170
.LBB9_166:                              ;   Parent Loop BB9_7 Depth=1
                                        ; =>  This Inner Loop Header: Depth=2
	s_mov_b32 s28, exec_lo
	s_delay_alu instid0(VALU_DEP_1)
	v_cmpx_gt_i32_e64 s24, v2
	s_cbranch_execz .LBB9_164
; %bb.167:                              ;   in Loop: Header=BB9_166 Depth=2
	ds_load_u8 v4, v2
	s_wait_dscnt 0x0
	v_bfe_i32 v25, v4, 0, 8
	s_delay_alu instid0(VALU_DEP_1) | instskip(NEXT) | instid1(VALU_DEP_1)
	v_add_nc_u32_e32 v25, 0x80, v25
	v_and_b32_e32 v25, v25, v24
	s_delay_alu instid0(VALU_DEP_1)
	v_cmp_eq_u32_e32 vcc_lo, v25, v10
	s_and_b32 exec_lo, exec_lo, vcc_lo
	s_cbranch_execz .LBB9_164
; %bb.168:                              ;   in Loop: Header=BB9_166 Depth=2
	v_lshlrev_b16 v4, 8, v4
	s_delay_alu instid0(VALU_DEP_1)
	v_or_b32_e32 v4, 1, v4
	ds_store_b16 v14, v4 offset:3072
	s_branch .LBB9_164
.LBB9_169:                              ;   in Loop: Header=BB9_166 Depth=2
	v_add_nc_u32_e32 v2, s41, v2
	s_mov_b32 s28, 0
	s_delay_alu instid0(VALU_DEP_1)
	v_cmp_le_i32_e32 vcc_lo, s21, v2
	s_or_not1_b32 s50, vcc_lo, exec_lo
	s_branch .LBB9_165
.LBB9_170:                              ;   in Loop: Header=BB9_7 Depth=1
	s_or_b32 exec_lo, exec_lo, s26
	v_and_b32_e32 v2, 0xffff, v4
	s_and_not1_b32 s21, s25, exec_lo
	s_wait_alu 0xfffe
	s_and_b32 s24, s27, exec_lo
	s_wait_alu 0xfffe
	s_or_b32 s25, s21, s24
	v_lshrrev_b32_e32 v25, 8, v2
.LBB9_171:                              ;   in Loop: Header=BB9_7 Depth=1
	s_or_b32 exec_lo, exec_lo, s20
	s_mov_b32 s20, 0
	s_mov_b32 s21, -1
.LBB9_172:                              ;   in Loop: Header=BB9_7 Depth=1
	s_wait_alu 0xfffe
	s_or_not1_b32 s24, s25, exec_lo
.LBB9_173:                              ;   in Loop: Header=BB9_7 Depth=1
	s_wait_alu 0xfffe
	s_or_b32 exec_lo, exec_lo, s22
	s_mov_b32 s25, 0
	s_and_saveexec_b32 s22, s24
	s_cbranch_execz .LBB9_223
; %bb.174:                              ;   in Loop: Header=BB9_7 Depth=1
	v_dual_mov_b32 v2, 1 :: v_dual_mov_b32 v1, 1
	s_xor_b32 s24, s23, -1
	s_wait_alu 0xfffe
	s_and_saveexec_b32 s23, s24
	s_cbranch_execz .LBB9_183
; %bb.175:                              ;   in Loop: Header=BB9_7 Depth=1
	s_mov_b32 s24, exec_lo
	v_cmpx_ge_i32_e64 s16, v3
	s_wait_alu 0xfffe
	s_xor_b32 s24, exec_lo, s24
	s_cbranch_execz .LBB9_180
; %bb.176:                              ;   in Loop: Header=BB9_7 Depth=1
	ds_load_b32 v1, v14 offset:4096
	s_lshl_b32 s25, 2, s82
	v_or_b32_e32 v24, s10, v24
	s_wait_alu 0xfffe
	v_and_or_b32 v10, v10, s17, s25
	s_wait_dscnt 0x0
	v_cmp_ne_u32_e32 vcc_lo, 0, v1
	s_cbranch_vccnz .LBB9_180
; %bb.177:                              ;   in Loop: Header=BB9_7 Depth=1
	s_and_saveexec_b32 s17, s2
; %bb.178:                              ;   in Loop: Header=BB9_7 Depth=1
	v_mov_b32_e32 v1, s16
	ds_store_b32 v14, v1 offset:4100
; %bb.179:                              ;   in Loop: Header=BB9_7 Depth=1
	s_wait_alu 0xfffe
	s_or_b32 exec_lo, exec_lo, s17
	s_wait_loadcnt_dscnt 0x0
	s_barrier_signal -1
	s_barrier_wait -1
	global_inv scope:SCOPE_SE
.LBB9_180:                              ;   in Loop: Header=BB9_7 Depth=1
	s_wait_alu 0xfffe
	s_or_saveexec_b32 s17, s24
	v_mov_b32_e32 v1, 8
	s_mov_b32 s24, 0
	s_wait_alu 0xfffe
	s_xor_b32 exec_lo, exec_lo, s17
; %bb.181:                              ;   in Loop: Header=BB9_7 Depth=1
	v_subrev_nc_u32_e32 v3, s16, v3
	v_mov_b32_e32 v1, 0
	s_mov_b32 s24, exec_lo
; %bb.182:                              ;   in Loop: Header=BB9_7 Depth=1
	s_or_b32 exec_lo, exec_lo, s17
	s_delay_alu instid0(VALU_DEP_2)
	v_mov_b32_e32 v2, v3
	s_wait_alu 0xfffe
	s_and_b32 s25, s24, exec_lo
.LBB9_183:                              ;   in Loop: Header=BB9_7 Depth=1
	s_wait_alu 0xfffe
	s_or_b32 exec_lo, exec_lo, s23
	s_mov_b32 s17, -1
                                        ; implicit-def: $sgpr24
                                        ; implicit-def: $sgpr23
	s_and_saveexec_b32 s16, s25
	s_cbranch_execz .LBB9_222
; %bb.184:                              ;   in Loop: Header=BB9_7 Depth=1
	v_cmp_eq_u32_e32 vcc_lo, 1, v2
	s_cmp_eq_u32 s9, 1
	s_mov_b32 s26, -1
	s_cselect_b32 s17, -1, 0
                                        ; implicit-def: $sgpr24
                                        ; implicit-def: $sgpr23
	s_wait_alu 0xfffe
	s_and_b32 s17, s17, vcc_lo
	s_wait_alu 0xfffe
	s_and_saveexec_b32 s25, s17
	s_cbranch_execz .LBB9_210
; %bb.185:                              ;   in Loop: Header=BB9_7 Depth=1
	ds_load_b32 v3, v14 offset:4096
	s_wait_loadcnt_dscnt 0x0
	s_barrier_signal -1
	s_barrier_wait -1
	global_inv scope:SCOPE_SE
	v_readfirstlane_b32 s26, v3
	s_and_saveexec_b32 s23, s1
; %bb.186:                              ;   in Loop: Header=BB9_7 Depth=1
	ds_store_b8 v0, v14 offset:3072
; %bb.187:                              ;   in Loop: Header=BB9_7 Depth=1
	s_wait_alu 0xfffe
	s_or_b32 exec_lo, exec_lo, s23
	v_or_b32_e32 v10, s10, v10
	v_or_b32_e32 v24, s10, v24
	s_mov_b32 s23, -1
	s_mov_b32 s24, 0
	s_cmp_gt_i32 s26, 0
	s_mov_b32 s27, 0
	s_mov_b32 s28, -1
	s_wait_loadcnt_dscnt 0x0
	s_barrier_signal -1
	s_barrier_wait -1
	global_inv scope:SCOPE_SE
                                        ; implicit-def: $vgpr25
	s_cbranch_scc1 .LBB9_198
; %bb.188:                              ;   in Loop: Header=BB9_7 Depth=1
	s_mov_b32 s28, 0
                                        ; implicit-def: $vgpr25
	s_and_saveexec_b32 s50, s8
	s_cbranch_execz .LBB9_197
; %bb.189:                              ;   in Loop: Header=BB9_7 Depth=1
	v_dual_mov_b32 v3, v11 :: v_dual_mov_b32 v4, v0
                                        ; implicit-def: $sgpr83
	s_branch .LBB9_192
.LBB9_190:                              ;   in Loop: Header=BB9_192 Depth=2
	s_wait_alu 0xfffe
	s_or_b32 exec_lo, exec_lo, s84
	s_wait_loadcnt_dscnt 0x0
	s_barrier_signal -1
	s_barrier_wait -1
	global_inv scope:SCOPE_SE
	ds_load_u16 v25, v14 offset:3072
	s_mov_b32 s84, -1
	s_mov_b32 s85, -1
	s_wait_loadcnt_dscnt 0x0
	s_barrier_signal -1
	s_barrier_wait -1
	global_inv scope:SCOPE_SE
	v_and_b32_e32 v26, 0xff, v25
	s_delay_alu instid0(VALU_DEP_1)
	v_cmp_ne_u32_e32 vcc_lo, 0, v26
	s_cbranch_vccz .LBB9_195
.LBB9_191:                              ;   in Loop: Header=BB9_192 Depth=2
	s_wait_alu 0xfffe
	s_and_b32 s84, exec_lo, s84
	s_wait_alu 0xfffe
	s_or_b32 s27, s84, s27
	s_and_not1_b32 s83, s83, exec_lo
	s_and_b32 s84, s85, exec_lo
	s_wait_alu 0xfffe
	s_or_b32 s83, s83, s84
	s_and_not1_b32 exec_lo, exec_lo, s27
	s_cbranch_execz .LBB9_196
.LBB9_192:                              ;   Parent Loop BB9_7 Depth=1
                                        ; =>  This Inner Loop Header: Depth=2
	s_mov_b32 s84, exec_lo
	s_delay_alu instid0(VALU_DEP_1)
	v_cmpx_gt_i32_e64 s36, v4
	s_cbranch_execz .LBB9_190
; %bb.193:                              ;   in Loop: Header=BB9_192 Depth=2
	v_ashrrev_i32_e32 v26, 31, v3
	v_add_co_u32 v25, vcc_lo, s48, v3
	s_wait_alu 0xfffd
	s_delay_alu instid0(VALU_DEP_2) | instskip(SKIP_3) | instid1(VALU_DEP_1)
	v_add_co_ci_u32_e64 v26, null, s49, v26, vcc_lo
	global_load_u8 v25, v[25:26], off
	s_wait_loadcnt 0x0
	v_bfe_i32 v26, v25, 0, 8
	v_add_nc_u32_e32 v26, 0x80, v26
	s_delay_alu instid0(VALU_DEP_1) | instskip(NEXT) | instid1(VALU_DEP_1)
	v_and_b32_e32 v26, v26, v24
	v_cmp_eq_u32_e32 vcc_lo, v26, v10
	s_and_b32 exec_lo, exec_lo, vcc_lo
	s_cbranch_execz .LBB9_190
; %bb.194:                              ;   in Loop: Header=BB9_192 Depth=2
	v_lshlrev_b16 v25, 8, v25
	s_delay_alu instid0(VALU_DEP_1)
	v_or_b32_e32 v25, 1, v25
	ds_store_b16 v14, v25 offset:3072
	s_branch .LBB9_190
.LBB9_195:                              ;   in Loop: Header=BB9_192 Depth=2
	v_add_nc_u32_e32 v4, s41, v4
	v_add_nc_u32_e32 v3, s66, v3
	s_mov_b32 s85, 0
	s_delay_alu instid0(VALU_DEP_2)
	v_cmp_le_i32_e32 vcc_lo, s74, v4
	s_or_not1_b32 s84, vcc_lo, exec_lo
	s_branch .LBB9_191
.LBB9_196:                              ;   in Loop: Header=BB9_7 Depth=1
	s_or_b32 exec_lo, exec_lo, s27
	v_and_b32_e32 v3, 0xffff, v25
	s_wait_alu 0xfffe
	s_and_b32 s27, s83, exec_lo
	s_delay_alu instid0(VALU_DEP_1)
	v_lshrrev_b32_e32 v25, 8, v3
.LBB9_197:                              ;   in Loop: Header=BB9_7 Depth=1
	s_wait_alu 0xfffe
	s_or_b32 exec_lo, exec_lo, s50
.LBB9_198:                              ;   in Loop: Header=BB9_7 Depth=1
	s_delay_alu instid0(SALU_CYCLE_1)
	s_and_b32 vcc_lo, exec_lo, s28
	s_wait_alu 0xfffe
	s_cbranch_vccz .LBB9_209
; %bb.199:                              ;   in Loop: Header=BB9_7 Depth=1
	s_add_co_i32 s24, s26, s64
                                        ; implicit-def: $vgpr25
	s_wait_alu 0xfffe
	s_abs_i32 s50, s24
	s_ashr_i32 s28, s24, 31
	s_wait_alu 0xfffe
	s_mul_u64 s[84:85], s[50:51], s[54:55]
	s_wait_alu 0xfffe
	s_mul_i32 s23, s85, s41
	s_wait_alu 0xfffe
	s_sub_co_i32 s23, s50, s23
	s_wait_alu 0xfffe
	s_sub_co_i32 s50, s23, s41
	s_cmp_ge_u32 s23, s41
	s_wait_alu 0xfffe
	s_cselect_b32 s23, s50, s23
	s_wait_alu 0xfffe
	s_sub_co_i32 s50, s23, s41
	s_cmp_ge_u32 s23, s41
	s_wait_alu 0xfffe
	s_cselect_b32 s23, s50, s23
	s_wait_alu 0xfffe
	s_xor_b32 s23, s23, s28
	s_wait_alu 0xfffe
	s_sub_co_i32 s23, s28, s23
	s_wait_alu 0xfffe
	s_add_co_i32 s24, s24, s23
	s_mov_b32 s23, exec_lo
	s_wait_alu 0xfffe
	v_cmpx_gt_i32_e64 s24, v0
	s_cbranch_execz .LBB9_208
; %bb.200:                              ;   in Loop: Header=BB9_7 Depth=1
	v_mov_b32_e32 v3, v0
	s_mov_b32 s28, 0
                                        ; implicit-def: $sgpr50
	s_branch .LBB9_203
.LBB9_201:                              ;   in Loop: Header=BB9_203 Depth=2
	s_wait_alu 0xfffe
	s_or_b32 exec_lo, exec_lo, s83
	s_wait_loadcnt_dscnt 0x0
	s_barrier_signal -1
	s_barrier_wait -1
	global_inv scope:SCOPE_SE
	ds_load_u16 v4, v14 offset:3072
	s_mov_b32 s84, -1
	s_mov_b32 s83, -1
	s_wait_loadcnt_dscnt 0x0
	s_barrier_signal -1
	s_barrier_wait -1
	global_inv scope:SCOPE_SE
	v_and_b32_e32 v25, 0xff, v4
	s_delay_alu instid0(VALU_DEP_1)
	v_cmp_eq_u32_e32 vcc_lo, 0, v25
	s_cbranch_vccnz .LBB9_206
.LBB9_202:                              ;   in Loop: Header=BB9_203 Depth=2
	s_wait_alu 0xfffe
	s_and_b32 s84, exec_lo, s84
	s_wait_alu 0xfffe
	s_or_b32 s28, s84, s28
	s_and_not1_b32 s50, s50, exec_lo
	s_and_b32 s83, s83, exec_lo
	s_wait_alu 0xfffe
	s_or_b32 s50, s50, s83
	s_and_not1_b32 exec_lo, exec_lo, s28
	s_cbranch_execz .LBB9_207
.LBB9_203:                              ;   Parent Loop BB9_7 Depth=1
                                        ; =>  This Inner Loop Header: Depth=2
	s_mov_b32 s83, exec_lo
	s_delay_alu instid0(VALU_DEP_1)
	v_cmpx_gt_i32_e64 s26, v3
	s_cbranch_execz .LBB9_201
; %bb.204:                              ;   in Loop: Header=BB9_203 Depth=2
	ds_load_u8 v4, v3
	s_wait_dscnt 0x0
	v_bfe_i32 v25, v4, 0, 8
	s_delay_alu instid0(VALU_DEP_1) | instskip(NEXT) | instid1(VALU_DEP_1)
	v_add_nc_u32_e32 v25, 0x80, v25
	v_and_b32_e32 v25, v25, v24
	s_delay_alu instid0(VALU_DEP_1)
	v_cmp_eq_u32_e32 vcc_lo, v25, v10
	s_and_b32 exec_lo, exec_lo, vcc_lo
	s_cbranch_execz .LBB9_201
; %bb.205:                              ;   in Loop: Header=BB9_203 Depth=2
	v_lshlrev_b16 v4, 8, v4
	s_delay_alu instid0(VALU_DEP_1)
	v_or_b32_e32 v4, 1, v4
	ds_store_b16 v14, v4 offset:3072
	s_branch .LBB9_201
.LBB9_206:                              ;   in Loop: Header=BB9_203 Depth=2
	v_add_nc_u32_e32 v3, s41, v3
	s_mov_b32 s83, 0
	s_delay_alu instid0(VALU_DEP_1)
	v_cmp_le_i32_e32 vcc_lo, s24, v3
	s_or_not1_b32 s84, vcc_lo, exec_lo
	s_branch .LBB9_202
.LBB9_207:                              ;   in Loop: Header=BB9_7 Depth=1
	s_or_b32 exec_lo, exec_lo, s28
	v_and_b32_e32 v3, 0xffff, v4
	s_and_not1_b32 s24, s27, exec_lo
	s_wait_alu 0xfffe
	s_and_b32 s26, s50, exec_lo
	s_wait_alu 0xfffe
	s_or_b32 s27, s24, s26
	v_lshrrev_b32_e32 v25, 8, v3
.LBB9_208:                              ;   in Loop: Header=BB9_7 Depth=1
	s_or_b32 exec_lo, exec_lo, s23
	s_mov_b32 s23, 0
	s_mov_b32 s24, -1
.LBB9_209:                              ;   in Loop: Header=BB9_7 Depth=1
	s_wait_alu 0xfffe
	s_or_not1_b32 s26, s27, exec_lo
.LBB9_210:                              ;   in Loop: Header=BB9_7 Depth=1
	s_wait_alu 0xfffe
	s_or_b32 exec_lo, exec_lo, s25
	s_mov_b32 s27, 0
	s_and_saveexec_b32 s25, s26
	s_cbranch_execz .LBB9_221
; %bb.211:                              ;   in Loop: Header=BB9_7 Depth=1
	v_mov_b32_e32 v1, 1
	v_mov_b32_e32 v3, 1
	s_xor_b32 s26, s17, -1
	s_wait_alu 0xfffe
	s_and_saveexec_b32 s17, s26
	s_cbranch_execz .LBB9_220
; %bb.212:                              ;   in Loop: Header=BB9_7 Depth=1
	s_mov_b32 s26, exec_lo
	v_cmpx_ge_i32_e64 s9, v2
	s_wait_alu 0xfffe
	s_xor_b32 s26, exec_lo, s26
	s_cbranch_execz .LBB9_217
; %bb.213:                              ;   in Loop: Header=BB9_7 Depth=1
	ds_load_b32 v1, v14 offset:4096
	v_or_b32_e32 v10, s10, v10
	v_or_b32_e32 v24, s10, v24
	s_wait_dscnt 0x0
	v_cmp_ne_u32_e32 vcc_lo, 0, v1
	s_cbranch_vccnz .LBB9_217
; %bb.214:                              ;   in Loop: Header=BB9_7 Depth=1
	s_and_saveexec_b32 s10, s2
; %bb.215:                              ;   in Loop: Header=BB9_7 Depth=1
	v_mov_b32_e32 v1, s9
	ds_store_b32 v14, v1 offset:4100
; %bb.216:                              ;   in Loop: Header=BB9_7 Depth=1
	s_wait_alu 0xfffe
	s_or_b32 exec_lo, exec_lo, s10
	s_wait_loadcnt_dscnt 0x0
	s_barrier_signal -1
	s_barrier_wait -1
	global_inv scope:SCOPE_SE
.LBB9_217:                              ;   in Loop: Header=BB9_7 Depth=1
	s_wait_alu 0xfffe
	s_and_not1_saveexec_b32 s10, s26
; %bb.218:                              ;   in Loop: Header=BB9_7 Depth=1
	v_subrev_nc_u32_e32 v2, s9, v2
; %bb.219:                              ;   in Loop: Header=BB9_7 Depth=1
	s_wait_alu 0xfffe
	s_or_b32 exec_lo, exec_lo, s10
	v_mov_b32_e32 v1, 8
	s_delay_alu instid0(VALU_DEP_2)
	v_mov_b32_e32 v3, v2
.LBB9_220:                              ;   in Loop: Header=BB9_7 Depth=1
	s_wait_alu 0xfffe
	s_or_b32 exec_lo, exec_lo, s17
	s_delay_alu instid0(VALU_DEP_1)
	v_mov_b32_e32 v2, v3
	s_mov_b32 s27, exec_lo
.LBB9_221:                              ;   in Loop: Header=BB9_7 Depth=1
	s_wait_alu 0xfffe
	s_or_b32 exec_lo, exec_lo, s25
	s_delay_alu instid0(SALU_CYCLE_1)
	s_or_not1_b32 s17, s27, exec_lo
.LBB9_222:                              ;   in Loop: Header=BB9_7 Depth=1
	s_wait_alu 0xfffe
	s_or_b32 exec_lo, exec_lo, s16
	v_mov_b32_e32 v3, v2
	s_and_not1_b32 s9, s21, exec_lo
	s_and_b32 s10, s24, exec_lo
	s_and_not1_b32 s16, s20, exec_lo
	s_and_b32 s20, s23, exec_lo
	s_wait_alu 0xfffe
	s_or_b32 s21, s9, s10
	s_or_b32 s20, s16, s20
	s_and_b32 s25, s17, exec_lo
.LBB9_223:                              ;   in Loop: Header=BB9_7 Depth=1
	s_wait_alu 0xfffe
	s_or_b32 exec_lo, exec_lo, s22
	s_delay_alu instid0(SALU_CYCLE_1)
	s_or_not1_b32 s22, s25, exec_lo
.LBB9_224:                              ;   in Loop: Header=BB9_7 Depth=1
	s_wait_alu 0xfffe
	s_or_b32 exec_lo, exec_lo, s19
	v_mov_b32_e32 v2, v3
	s_and_not1_b32 s9, s15, exec_lo
	s_and_b32 s10, s21, exec_lo
	s_and_not1_b32 s14, s14, exec_lo
	s_and_b32 s16, s20, exec_lo
	s_wait_alu 0xfffe
	s_or_b32 s15, s9, s10
	s_or_b32 s14, s14, s16
	s_and_b32 s22, s22, exec_lo
.LBB9_225:                              ;   in Loop: Header=BB9_7 Depth=1
	s_wait_alu 0xfffe
	s_or_b32 exec_lo, exec_lo, s18
	s_delay_alu instid0(SALU_CYCLE_1)
	s_or_not1_b32 s18, s22, exec_lo
.LBB9_226:                              ;   in Loop: Header=BB9_7 Depth=1
	s_wait_alu 0xfffe
	s_or_b32 exec_lo, exec_lo, s13
	s_mov_b32 s10, 0
                                        ; implicit-def: $sgpr21
	s_and_saveexec_b32 s9, s18
	s_wait_alu 0xfffe
	s_xor_b32 s9, exec_lo, s9
	s_cbranch_execz .LBB9_5
; %bb.227:                              ;   in Loop: Header=BB9_7 Depth=1
	v_and_b32_e32 v1, 7, v1
	s_mov_b32 s12, -1
	s_mov_b32 s10, -1
	s_mov_b32 s13, exec_lo
                                        ; implicit-def: $sgpr21
	s_delay_alu instid0(VALU_DEP_1)
	v_cmpx_eq_u32_e32 0, v1
	s_cbranch_execz .LBB9_4
; %bb.228:                              ;   in Loop: Header=BB9_7 Depth=1
	s_add_co_i32 s21, s82, -2
	s_cmp_eq_u32 s82, 0
	v_xor_b32_e32 v23, 1, v23
	s_cselect_b32 s12, -1, 0
	s_xor_b32 s10, exec_lo, -1
	s_wait_alu 0xfffe
	s_or_not1_b32 s12, s12, exec_lo
	s_branch .LBB9_4
.LBB9_229:
	s_or_b32 exec_lo, exec_lo, s75
	s_xor_b32 s4, s81, -1
	s_xor_b32 s0, s79, -1
	;; [unrolled: 1-line block ×3, first 2 shown]
	s_mov_b32 s1, 0
	s_wait_alu 0xfffe
	s_and_saveexec_b32 s5, s0
	s_wait_alu 0xfffe
	s_xor_b32 s0, exec_lo, s5
	s_cbranch_execnz .LBB9_234
; %bb.230:
	s_wait_alu 0xfffe
	s_and_not1_saveexec_b32 s0, s0
	s_cbranch_execnz .LBB9_254
.LBB9_231:
	s_wait_alu 0xfffe
	s_or_b32 exec_lo, exec_lo, s0
	s_and_saveexec_b32 s0, s1
.LBB9_232:
	; divergent unreachable
.LBB9_233:
	s_endpgm
.LBB9_234:
	s_and_saveexec_b32 s1, s4
	s_wait_alu 0xfffe
	s_xor_b32 s1, exec_lo, s1
	s_cbranch_execz .LBB9_252
; %bb.235:
	s_and_saveexec_b32 s4, s3
	s_wait_alu 0xfffe
	s_xor_b32 s3, exec_lo, s4
; %bb.236:
	v_xor_b32_e32 v25, 0xffffff80, v10
; %bb.237:
	s_wait_alu 0xfffe
	s_or_b32 exec_lo, exec_lo, s3
	s_and_saveexec_b32 s3, s2
; %bb.238:
	v_dual_mov_b32 v1, 0 :: v_dual_mov_b32 v2, s36
	ds_store_b32 v1, v2 offset:4108
; %bb.239:
	s_wait_alu 0xfffe
	s_or_b32 exec_lo, exec_lo, s3
	v_mov_b32_e32 v1, 0
	s_wait_loadcnt_dscnt 0x0
	s_barrier_signal -1
	s_barrier_wait -1
	global_inv scope:SCOPE_SE
	ds_load_b32 v1, v1 offset:4108
	s_mov_b32 s3, exec_lo
	s_wait_dscnt 0x0
	v_min_i32_e32 v1, s36, v1
	s_delay_alu instid0(VALU_DEP_1)
	v_cmpx_lt_i32_e64 v0, v1
	s_cbranch_execz .LBB9_249
; %bb.240:
	v_and_b32_e32 v3, 0xff, v25
	s_mov_b32 s4, 0
                                        ; implicit-def: $sgpr5
                                        ; implicit-def: $sgpr7
                                        ; implicit-def: $sgpr6
	s_branch .LBB9_242
.LBB9_241:                              ;   in Loop: Header=BB9_242 Depth=1
	s_wait_alu 0xfffe
	s_or_b32 exec_lo, exec_lo, s8
	s_delay_alu instid0(SALU_CYCLE_1)
	s_and_b32 s8, exec_lo, s7
	s_wait_alu 0xfffe
	s_or_b32 s4, s8, s4
	s_and_not1_b32 s5, s5, exec_lo
	s_and_b32 s8, s6, exec_lo
	s_wait_alu 0xfffe
	s_or_b32 s5, s5, s8
	s_and_not1_b32 exec_lo, exec_lo, s4
	s_cbranch_execz .LBB9_244
.LBB9_242:                              ; =>This Inner Loop Header: Depth=1
	v_ashrrev_i32_e32 v2, 31, v11
	v_add_co_u32 v4, vcc_lo, s48, v11
	s_or_b32 s6, s6, exec_lo
	s_or_b32 s7, s7, exec_lo
	s_wait_alu 0xfffd
	v_add_co_ci_u32_e64 v5, null, s49, v2, vcc_lo
	v_mov_b32_e32 v2, v0
	s_mov_b32 s8, exec_lo
                                        ; implicit-def: $vgpr0
	global_load_u8 v4, v[4:5], off
	s_wait_loadcnt 0x0
	v_cmpx_ne_u16_e64 v4, v3
	s_cbranch_execz .LBB9_241
; %bb.243:                              ;   in Loop: Header=BB9_242 Depth=1
	v_add_nc_u32_e32 v0, s41, v2
	v_add_nc_u32_e32 v11, s66, v11
	s_wait_alu 0xfffe
	s_and_not1_b32 s7, s7, exec_lo
	s_and_not1_b32 s6, s6, exec_lo
	v_cmp_ge_i32_e32 vcc_lo, v0, v1
	s_and_b32 s9, vcc_lo, exec_lo
	s_wait_alu 0xfffe
	s_or_b32 s7, s7, s9
	s_branch .LBB9_241
.LBB9_244:
	s_or_b32 exec_lo, exec_lo, s4
	s_wait_alu 0xfffe
	s_and_saveexec_b32 s4, s5
	s_wait_alu 0xfffe
	s_xor_b32 s4, exec_lo, s4
	s_cbranch_execz .LBB9_249
; %bb.245:
	s_mov_b32 s5, exec_lo
	s_brev_b32 s4, -2
.LBB9_246:                              ; =>This Inner Loop Header: Depth=1
	s_wait_alu 0xfffe
	s_ctz_i32_b32 s6, s5
	s_wait_alu 0xfffe
	v_readlane_b32 s7, v2, s6
	s_lshl_b32 s6, 1, s6
	s_wait_alu 0xfffe
	s_and_not1_b32 s5, s5, s6
	s_min_i32 s4, s4, s7
	s_wait_alu 0xfffe
	s_cmp_lg_u32 s5, 0
	s_cbranch_scc1 .LBB9_246
; %bb.247:
	v_mbcnt_lo_u32_b32 v0, exec_lo, 0
	s_mov_b32 s5, exec_lo
	s_delay_alu instid0(VALU_DEP_1)
	v_cmpx_eq_u32_e32 0, v0
	s_wait_alu 0xfffe
	s_xor_b32 s5, exec_lo, s5
; %bb.248:
	v_dual_mov_b32 v0, 0 :: v_dual_mov_b32 v1, s4
	ds_min_i32 v0, v1 offset:4108
.LBB9_249:
	s_wait_alu 0xfffe
	s_or_b32 exec_lo, exec_lo, s3
	s_wait_loadcnt_dscnt 0x0
	s_barrier_signal -1
	s_barrier_wait -1
	global_inv scope:SCOPE_SE
	s_and_saveexec_b32 s3, s2
	s_cbranch_execz .LBB9_251
; %bb.250:
	s_mul_i32 s2, s47, s61
	s_xor_b32 s4, s60, s63
	s_wait_alu 0xfffe
	s_sub_co_i32 s2, s40, s2
	s_add_co_i32 s5, s47, 1
	s_wait_alu 0xfffe
	s_sub_co_i32 s6, s2, s61
	s_cmp_ge_u32 s2, s61
	v_mov_b32_e32 v2, 0
	s_cselect_b32 s5, s5, s47
	s_wait_alu 0xfffe
	s_cselect_b32 s2, s6, s2
	s_add_co_i32 s6, s5, 1
	s_wait_alu 0xfffe
	s_cmp_ge_u32 s2, s61
	s_mul_i32 s2, s29, s59
	s_cselect_b32 s5, s6, s5
	s_wait_alu 0xfffe
	s_sub_co_i32 s2, s40, s2
	s_xor_b32 s5, s5, s4
	s_xor_b32 s6, s60, s62
	s_wait_alu 0xfffe
	s_sub_co_i32 s4, s5, s4
	s_add_co_i32 s7, s29, 1
	s_wait_alu 0xfffe
	s_mul_i32 s5, s4, s58
	s_mul_i32 s4, s4, s30
	s_wait_alu 0xfffe
	s_sub_co_i32 s5, s33, s5
	s_sub_co_i32 s8, s2, s59
	s_wait_alu 0xfffe
	s_mul_i32 s5, s5, s31
	ds_load_b32 v0, v2 offset:4108
	s_wait_alu 0xfffe
	s_add_co_i32 s4, s4, s5
	s_cmp_ge_u32 s2, s59
	s_cselect_b32 s5, s7, s29
	s_cselect_b32 s2, s8, s2
	s_wait_alu 0xfffe
	s_add_co_i32 s7, s5, 1
	s_cmp_ge_u32 s2, s59
	s_wait_alu 0xfffe
	s_cselect_b32 s2, s7, s5
	s_wait_alu 0xfffe
	s_xor_b32 s2, s2, s6
	s_wait_alu 0xfffe
	s_sub_co_i32 s2, s2, s6
	s_wait_alu 0xfffe
	s_mul_i32 s5, s2, s38
	s_mul_i32 s2, s2, s34
	s_wait_alu 0xfffe
	s_sub_co_i32 s5, s33, s5
	s_wait_alu 0xfffe
	s_mul_i32 s5, s5, s35
	s_wait_dscnt 0x0
	v_ashrrev_i32_e32 v1, 31, v0
	s_wait_alu 0xfffe
	s_add_co_i32 s6, s2, s5
	s_ashr_i32 s5, s4, 31
	s_wait_alu 0xfffe
	s_ashr_i32 s7, s6, 31
	s_add_nc_u64 s[4:5], s[44:45], s[4:5]
	s_wait_alu 0xfffe
	s_lshl_b64 s[6:7], s[6:7], 3
	s_wait_alu 0xfffe
	s_add_nc_u64 s[6:7], s[42:43], s[6:7]
	s_clause 0x1
	global_store_b64 v2, v[0:1], s[6:7]
	global_store_b8 v2, v25, s[4:5]
.LBB9_251:
	s_wait_alu 0xfffe
	s_or_b32 exec_lo, exec_lo, s3
.LBB9_252:
	s_wait_alu 0xfffe
	s_or_saveexec_b32 s1, s1
	s_mov_b32 s2, 0
	s_wait_alu 0xfffe
	s_xor_b32 exec_lo, exec_lo, s1
	s_cbranch_execnz .LBB9_255
.LBB9_253:
	s_or_b32 exec_lo, exec_lo, s1
	s_wait_alu 0xfffe
	s_and_b32 s1, s2, exec_lo
	s_and_not1_saveexec_b32 s0, s0
	s_cbranch_execz .LBB9_231
.LBB9_254:
	s_wait_alu 0xfffe
	s_or_b32 s1, s1, exec_lo
	s_trap 2
	s_or_b32 exec_lo, exec_lo, s0
	s_wait_alu 0xfffe
	s_and_saveexec_b32 s0, s1
	s_cbranch_execnz .LBB9_232
	s_branch .LBB9_233
.LBB9_255:
	s_mov_b32 s2, exec_lo
	s_trap 2
	s_branch .LBB9_253
	.section	.rodata,"a",@progbits
	.p2align	6, 0x0
	.amdhsa_kernel _ZN2at6native12_GLOBAL__N_114gatherKthValueIaiLi2EEEvNS_4cuda6detail10TensorInfoIKT_T0_EES8_S8_S8_S8_NS5_IS6_S8_EENS5_IlS8_EE
		.amdhsa_group_segment_fixed_size 4112
		.amdhsa_private_segment_fixed_size 0
		.amdhsa_kernarg_size 920
		.amdhsa_user_sgpr_count 2
		.amdhsa_user_sgpr_dispatch_ptr 0
		.amdhsa_user_sgpr_queue_ptr 0
		.amdhsa_user_sgpr_kernarg_segment_ptr 1
		.amdhsa_user_sgpr_dispatch_id 0
		.amdhsa_user_sgpr_private_segment_size 0
		.amdhsa_wavefront_size32 1
		.amdhsa_uses_dynamic_stack 0
		.amdhsa_enable_private_segment 0
		.amdhsa_system_sgpr_workgroup_id_x 1
		.amdhsa_system_sgpr_workgroup_id_y 1
		.amdhsa_system_sgpr_workgroup_id_z 1
		.amdhsa_system_sgpr_workgroup_info 0
		.amdhsa_system_vgpr_workitem_id 0
		.amdhsa_next_free_vgpr 40
		.amdhsa_next_free_sgpr 90
		.amdhsa_reserve_vcc 1
		.amdhsa_float_round_mode_32 0
		.amdhsa_float_round_mode_16_64 0
		.amdhsa_float_denorm_mode_32 3
		.amdhsa_float_denorm_mode_16_64 3
		.amdhsa_fp16_overflow 0
		.amdhsa_workgroup_processor_mode 1
		.amdhsa_memory_ordered 1
		.amdhsa_forward_progress 1
		.amdhsa_inst_pref_size 90
		.amdhsa_round_robin_scheduling 0
		.amdhsa_exception_fp_ieee_invalid_op 0
		.amdhsa_exception_fp_denorm_src 0
		.amdhsa_exception_fp_ieee_div_zero 0
		.amdhsa_exception_fp_ieee_overflow 0
		.amdhsa_exception_fp_ieee_underflow 0
		.amdhsa_exception_fp_ieee_inexact 0
		.amdhsa_exception_int_div_zero 0
	.end_amdhsa_kernel
	.section	.text._ZN2at6native12_GLOBAL__N_114gatherKthValueIaiLi2EEEvNS_4cuda6detail10TensorInfoIKT_T0_EES8_S8_S8_S8_NS5_IS6_S8_EENS5_IlS8_EE,"axG",@progbits,_ZN2at6native12_GLOBAL__N_114gatherKthValueIaiLi2EEEvNS_4cuda6detail10TensorInfoIKT_T0_EES8_S8_S8_S8_NS5_IS6_S8_EENS5_IlS8_EE,comdat
.Lfunc_end9:
	.size	_ZN2at6native12_GLOBAL__N_114gatherKthValueIaiLi2EEEvNS_4cuda6detail10TensorInfoIKT_T0_EES8_S8_S8_S8_NS5_IS6_S8_EENS5_IlS8_EE, .Lfunc_end9-_ZN2at6native12_GLOBAL__N_114gatherKthValueIaiLi2EEEvNS_4cuda6detail10TensorInfoIKT_T0_EES8_S8_S8_S8_NS5_IS6_S8_EENS5_IlS8_EE
                                        ; -- End function
	.set _ZN2at6native12_GLOBAL__N_114gatherKthValueIaiLi2EEEvNS_4cuda6detail10TensorInfoIKT_T0_EES8_S8_S8_S8_NS5_IS6_S8_EENS5_IlS8_EE.num_vgpr, 40
	.set _ZN2at6native12_GLOBAL__N_114gatherKthValueIaiLi2EEEvNS_4cuda6detail10TensorInfoIKT_T0_EES8_S8_S8_S8_NS5_IS6_S8_EENS5_IlS8_EE.num_agpr, 0
	.set _ZN2at6native12_GLOBAL__N_114gatherKthValueIaiLi2EEEvNS_4cuda6detail10TensorInfoIKT_T0_EES8_S8_S8_S8_NS5_IS6_S8_EENS5_IlS8_EE.numbered_sgpr, 90
	.set _ZN2at6native12_GLOBAL__N_114gatherKthValueIaiLi2EEEvNS_4cuda6detail10TensorInfoIKT_T0_EES8_S8_S8_S8_NS5_IS6_S8_EENS5_IlS8_EE.num_named_barrier, 0
	.set _ZN2at6native12_GLOBAL__N_114gatherKthValueIaiLi2EEEvNS_4cuda6detail10TensorInfoIKT_T0_EES8_S8_S8_S8_NS5_IS6_S8_EENS5_IlS8_EE.private_seg_size, 0
	.set _ZN2at6native12_GLOBAL__N_114gatherKthValueIaiLi2EEEvNS_4cuda6detail10TensorInfoIKT_T0_EES8_S8_S8_S8_NS5_IS6_S8_EENS5_IlS8_EE.uses_vcc, 1
	.set _ZN2at6native12_GLOBAL__N_114gatherKthValueIaiLi2EEEvNS_4cuda6detail10TensorInfoIKT_T0_EES8_S8_S8_S8_NS5_IS6_S8_EENS5_IlS8_EE.uses_flat_scratch, 0
	.set _ZN2at6native12_GLOBAL__N_114gatherKthValueIaiLi2EEEvNS_4cuda6detail10TensorInfoIKT_T0_EES8_S8_S8_S8_NS5_IS6_S8_EENS5_IlS8_EE.has_dyn_sized_stack, 0
	.set _ZN2at6native12_GLOBAL__N_114gatherKthValueIaiLi2EEEvNS_4cuda6detail10TensorInfoIKT_T0_EES8_S8_S8_S8_NS5_IS6_S8_EENS5_IlS8_EE.has_recursion, 0
	.set _ZN2at6native12_GLOBAL__N_114gatherKthValueIaiLi2EEEvNS_4cuda6detail10TensorInfoIKT_T0_EES8_S8_S8_S8_NS5_IS6_S8_EENS5_IlS8_EE.has_indirect_call, 0
	.section	.AMDGPU.csdata,"",@progbits
; Kernel info:
; codeLenInByte = 11396
; TotalNumSgprs: 92
; NumVgprs: 40
; ScratchSize: 0
; MemoryBound: 0
; FloatMode: 240
; IeeeMode: 1
; LDSByteSize: 4112 bytes/workgroup (compile time only)
; SGPRBlocks: 0
; VGPRBlocks: 4
; NumSGPRsForWavesPerEU: 92
; NumVGPRsForWavesPerEU: 40
; Occupancy: 16
; WaveLimiterHint : 1
; COMPUTE_PGM_RSRC2:SCRATCH_EN: 0
; COMPUTE_PGM_RSRC2:USER_SGPR: 2
; COMPUTE_PGM_RSRC2:TRAP_HANDLER: 0
; COMPUTE_PGM_RSRC2:TGID_X_EN: 1
; COMPUTE_PGM_RSRC2:TGID_Y_EN: 1
; COMPUTE_PGM_RSRC2:TGID_Z_EN: 1
; COMPUTE_PGM_RSRC2:TIDIG_COMP_CNT: 0
	.section	.text._ZN2at6native12_GLOBAL__N_114gatherKthValueIaiLi3EEEvNS_4cuda6detail10TensorInfoIKT_T0_EES8_S8_S8_S8_NS5_IS6_S8_EENS5_IlS8_EE,"axG",@progbits,_ZN2at6native12_GLOBAL__N_114gatherKthValueIaiLi3EEEvNS_4cuda6detail10TensorInfoIKT_T0_EES8_S8_S8_S8_NS5_IS6_S8_EENS5_IlS8_EE,comdat
	.globl	_ZN2at6native12_GLOBAL__N_114gatherKthValueIaiLi3EEEvNS_4cuda6detail10TensorInfoIKT_T0_EES8_S8_S8_S8_NS5_IS6_S8_EENS5_IlS8_EE ; -- Begin function _ZN2at6native12_GLOBAL__N_114gatherKthValueIaiLi3EEEvNS_4cuda6detail10TensorInfoIKT_T0_EES8_S8_S8_S8_NS5_IS6_S8_EENS5_IlS8_EE
	.p2align	8
	.type	_ZN2at6native12_GLOBAL__N_114gatherKthValueIaiLi3EEEvNS_4cuda6detail10TensorInfoIKT_T0_EES8_S8_S8_S8_NS5_IS6_S8_EENS5_IlS8_EE,@function
_ZN2at6native12_GLOBAL__N_114gatherKthValueIaiLi3EEEvNS_4cuda6detail10TensorInfoIKT_T0_EES8_S8_S8_S8_NS5_IS6_S8_EENS5_IlS8_EE: ; @_ZN2at6native12_GLOBAL__N_114gatherKthValueIaiLi3EEEvNS_4cuda6detail10TensorInfoIKT_T0_EES8_S8_S8_S8_NS5_IS6_S8_EENS5_IlS8_EE
; %bb.0:
	s_clause 0x1
	s_load_b64 s[8:9], s[0:1], 0x298
	s_load_b128 s[36:39], s[0:1], 0xd8
	s_lshr_b32 s2, ttmp7, 16
	s_and_b32 s3, ttmp7, 0xffff
	s_wait_kmcnt 0x0
	s_mul_i32 s2, s9, s2
	s_delay_alu instid0(SALU_CYCLE_1) | instskip(NEXT) | instid1(SALU_CYCLE_1)
	s_add_co_i32 s2, s2, s3
	s_mul_i32 s33, s2, s8
	s_delay_alu instid0(SALU_CYCLE_1) | instskip(NEXT) | instid1(SALU_CYCLE_1)
	s_add_co_i32 s33, s33, ttmp9
	s_cmp_ge_i32 s33, s38
	s_cbranch_scc1 .LBB10_233
; %bb.1:
	s_clause 0x2
	s_load_b64 s[12:13], s[0:1], 0xc
	s_load_b64 s[30:31], s[0:1], 0xf4
	;; [unrolled: 1-line block ×3, first 2 shown]
	s_abs_i32 s10, s33
	s_ashr_i32 s11, s33, 31
	s_mov_b32 s59, 0
	s_delay_alu instid0(SALU_CYCLE_1) | instskip(SKIP_3) | instid1(SALU_CYCLE_1)
	s_mov_b32 s49, s59
	s_mov_b32 s51, s59
	s_wait_kmcnt 0x0
	s_abs_i32 s2, s13
	s_cvt_f32_u32 s3, s2
	s_sub_co_i32 s4, 0, s2
	s_delay_alu instid0(SALU_CYCLE_2) | instskip(NEXT) | instid1(TRANS32_DEP_1)
	v_rcp_iflag_f32_e32 v1, s3
	v_readfirstlane_b32 s3, v1
	s_mul_f32 s3, s3, 0x4f7ffffe
	s_wait_alu 0xfffe
	s_delay_alu instid0(SALU_CYCLE_2) | instskip(SKIP_1) | instid1(SALU_CYCLE_2)
	s_cvt_u32_f32 s3, s3
	s_wait_alu 0xfffe
	s_mul_i32 s4, s4, s3
	s_delay_alu instid0(SALU_CYCLE_1) | instskip(NEXT) | instid1(SALU_CYCLE_1)
	s_mul_hi_u32 s4, s3, s4
	s_add_co_i32 s3, s3, s4
	s_ashr_i32 s4, s13, 31
	s_wait_alu 0xfffe
	s_mul_hi_u32 s3, s10, s3
	s_xor_b32 s7, s11, s4
	s_wait_alu 0xfffe
	s_mul_i32 s5, s3, s2
	s_delay_alu instid0(SALU_CYCLE_1)
	s_sub_co_i32 s4, s10, s5
	s_add_co_i32 s5, s3, 1
	s_sub_co_i32 s6, s4, s2
	s_cmp_ge_u32 s4, s2
	s_cselect_b32 s3, s5, s3
	s_cselect_b32 s4, s6, s4
	s_wait_alu 0xfffe
	s_add_co_i32 s9, s3, 1
	s_cmp_ge_u32 s4, s2
	s_load_b96 s[4:6], s[0:1], 0x6c
	s_cselect_b32 s2, s9, s3
	s_abs_i32 s3, s31
	s_abs_i32 s9, s12
	s_wait_alu 0xfffe
	s_cvt_f32_u32 s14, s3
	s_cvt_f32_u32 s15, s9
	s_xor_b32 s2, s2, s7
	s_sub_co_i32 s17, 0, s9
	v_rcp_iflag_f32_e32 v1, s14
	v_rcp_iflag_f32_e32 v2, s15
	s_ashr_i32 s15, s31, 31
	s_wait_alu 0xfffe
	s_sub_co_i32 s7, s2, s7
	s_xor_b32 s18, s11, s15
	s_sub_co_i32 s15, 0, s3
	s_ashr_i32 s20, s12, 31
	s_ashr_i32 s21, s7, 31
	s_delay_alu instid0(TRANS32_DEP_2) | instskip(NEXT) | instid1(TRANS32_DEP_1)
	v_readfirstlane_b32 s14, v1
	v_readfirstlane_b32 s16, v2
	s_mul_f32 s14, s14, 0x4f7ffffe
	s_wait_alu 0xfffe
	s_delay_alu instid0(SALU_CYCLE_2) | instskip(SKIP_2) | instid1(SALU_CYCLE_1)
	s_cvt_u32_f32 s2, s14
	s_mul_f32 s14, s16, 0x4f7ffffe
	s_wait_alu 0xfffe
	s_mul_i32 s15, s15, s2
	s_delay_alu instid0(SALU_CYCLE_1)
	s_cvt_u32_f32 s16, s14
	s_wait_alu 0xfffe
	s_mul_hi_u32 s15, s2, s15
	s_abs_i32 s14, s7
	s_wait_alu 0xfffe
	s_add_co_i32 s2, s2, s15
	s_mul_i32 s17, s17, s16
	s_wait_alu 0xfffe
	s_mul_hi_u32 s2, s10, s2
	s_mul_hi_u32 s15, s16, s17
	s_wait_alu 0xfffe
	s_mul_i32 s17, s2, s3
	s_add_co_i32 s58, s16, s15
	s_sub_co_i32 s15, s10, s17
	s_add_co_i32 s16, s2, 1
	s_wait_alu 0xfffe
	s_sub_co_i32 s17, s15, s3
	s_cmp_ge_u32 s15, s3
	s_cselect_b32 s2, s16, s2
	s_cselect_b32 s15, s17, s15
	s_wait_alu 0xfffe
	s_add_co_i32 s16, s2, 1
	s_cmp_ge_u32 s15, s3
	s_mov_b32 s15, s59
	s_cselect_b32 s16, s16, s2
	s_abs_i32 s17, s35
	s_abs_i32 s47, s30
	s_cvt_f32_u32 s2, s17
	s_cvt_f32_u32 s3, s47
	s_xor_b32 s16, s16, s18
	s_sub_co_i32 s22, 0, s47
	s_wait_alu 0xfffe
	v_rcp_iflag_f32_e32 v1, s2
	v_rcp_iflag_f32_e32 v2, s3
	s_mul_u64 s[2:3], s[14:15], s[58:59]
	s_ashr_i32 s2, s35, 31
	s_sub_co_i32 s43, s16, s18
	s_wait_alu 0xfffe
	s_xor_b32 s23, s11, s2
	s_abs_i32 s48, s43
	s_delay_alu instid0(TRANS32_DEP_2) | instskip(NEXT) | instid1(TRANS32_DEP_1)
	v_readfirstlane_b32 s19, v1
	v_readfirstlane_b32 s15, v2
	s_mul_f32 s19, s19, 0x4f7ffffe
	s_mul_f32 s11, s15, 0x4f7ffffe
	s_sub_co_i32 s15, 0, s17
	s_delay_alu instid0(SALU_CYCLE_1) | instskip(NEXT) | instid1(SALU_CYCLE_1)
	s_cvt_u32_f32 s2, s19
	s_cvt_u32_f32 s11, s11
	s_wait_alu 0xfffe
	s_delay_alu instid0(SALU_CYCLE_1) | instskip(NEXT) | instid1(SALU_CYCLE_1)
	s_mul_i32 s15, s15, s2
	s_mul_i32 s22, s22, s11
	s_wait_alu 0xfffe
	s_mul_hi_u32 s15, s2, s15
	s_wait_alu 0xfffe
	s_add_co_i32 s2, s2, s15
	s_mul_hi_u32 s15, s11, s22
	s_wait_alu 0xfffe
	s_mul_hi_u32 s2, s10, s2
	s_add_co_i32 s58, s11, s15
	s_wait_alu 0xfffe
	s_mul_i32 s16, s2, s17
	s_add_co_i32 s11, s2, 1
	s_sub_co_i32 s10, s10, s16
	s_delay_alu instid0(SALU_CYCLE_1)
	s_sub_co_i32 s15, s10, s17
	s_cmp_ge_u32 s10, s17
	s_cselect_b32 s2, s11, s2
	s_wait_alu 0xfffe
	s_cselect_b32 s10, s15, s10
	s_add_co_i32 s11, s2, 1
	s_cmp_ge_u32 s10, s17
	s_load_b64 s[16:17], s[0:1], 0x0
	s_cselect_b32 s15, s11, s2
	s_abs_i32 s38, s34
	s_wait_alu 0xfffe
	s_xor_b32 s15, s15, s23
	s_cvt_f32_u32 s2, s38
	s_sub_co_i32 s19, 0, s38
	s_wait_alu 0xfffe
	s_sub_co_i32 s68, s15, s23
	s_add_nc_u64 s[10:11], s[0:1], 0x298
	v_rcp_iflag_f32_e32 v1, s2
	s_abs_i32 s50, s68
	s_delay_alu instid0(TRANS32_DEP_1) | instskip(SKIP_2) | instid1(SALU_CYCLE_2)
	v_readfirstlane_b32 s2, v1
	s_mul_f32 s18, s2, 0x4f7ffffe
	v_cmp_eq_u32_e64 s2, 0, v0
	s_cvt_u32_f32 s18, s18
	s_delay_alu instid0(SALU_CYCLE_3) | instskip(NEXT) | instid1(SALU_CYCLE_1)
	s_mul_i32 s19, s19, s18
	s_mul_hi_u32 s15, s18, s19
	s_mov_b32 s19, s59
	s_wait_alu 0xfffe
	s_add_co_i32 s18, s18, s15
	s_and_saveexec_b32 s15, s2
; %bb.2:
	v_dual_mov_b32 v1, 0 :: v_dual_mov_b32 v2, s36
	s_delay_alu instid0(VALU_DEP_1)
	v_mov_b32_e32 v3, v1
	ds_store_b96 v1, v[1:3] offset:4096
; %bb.3:
	s_wait_alu 0xfffe
	s_or_b32 exec_lo, exec_lo, s15
	s_mul_i32 s15, s3, s9
	s_mul_i32 s13, s7, s13
	s_wait_alu 0xfffe
	s_sub_co_i32 s14, s14, s15
	s_ashr_i32 s71, s43, 31
	s_ashr_i32 s72, s30, 31
	;; [unrolled: 1-line block ×4, first 2 shown]
	s_sub_co_i32 s13, s33, s13
	s_xor_b32 s20, s21, s20
	s_add_co_i32 s15, s3, 1
	s_wait_alu 0xfffe
	s_sub_co_i32 s21, s14, s9
	s_cmp_ge_u32 s14, s9
	s_wait_dscnt 0x0
	s_cselect_b32 s3, s15, s3
	s_cselect_b32 s14, s21, s14
	s_wait_alu 0xfffe
	s_add_co_i32 s15, s3, 1
	s_cmp_ge_u32 s14, s9
	s_barrier_signal -1
	s_barrier_wait -1
	global_inv scope:SCOPE_SE
	s_load_b32 s9, s[10:11], 0xc
	s_cselect_b32 s3, s15, s3
	v_mbcnt_lo_u32_b32 v12, -1, 0
	s_wait_alu 0xfffe
	s_xor_b32 s3, s3, s20
	s_wait_kmcnt 0x0
	s_mul_i32 s13, s13, s6
	s_wait_alu 0xfffe
	s_sub_co_i32 s3, s3, s20
	s_clause 0x1
	s_load_b96 s[40:42], s[0:1], 0x22c
	s_load_b64 s[52:53], s[0:1], 0x1c0
	s_mul_i32 s12, s3, s12
	s_clause 0x1
	s_load_b96 s[44:46], s[0:1], 0x154
	s_load_b64 s[54:55], s[0:1], 0xe8
	s_sub_co_i32 s7, s7, s12
	s_mul_i32 s3, s3, s4
	s_mul_i32 s5, s7, s5
	v_cmp_gt_u32_e32 vcc_lo, 32, v0
	s_add_co_i32 s0, s5, s13
	s_mul_u64 s[56:57], s[48:49], s[58:59]
	s_wait_alu 0xfffe
	s_add_co_i32 s4, s0, s3
	v_cmp_gt_i32_e64 s0, 4, v12
	s_mul_u64 s[28:29], s[50:51], s[18:19]
	s_ashr_i32 s5, s4, 31
	v_mul_lo_u32 v11, s39, v0
	s_and_b32 s49, s9, 0xffff
	s_and_b32 s73, vcc_lo, s0
	s_lshl_b32 s51, s49, 2
	s_add_co_i32 s56, s49, -1
	s_cvt_f32_u32 s0, s51
	s_bfe_u32 s3, s9, 0xb0005
	s_add_co_i32 s82, s56, s36
	s_cmp_gt_i32 s36, 0xc00
	v_rcp_iflag_f32_e32 v1, s0
	s_cselect_b32 s75, -1, 0
	s_cmp_gt_u32 s49, 31
	s_add_nc_u64 s[60:61], s[16:17], s[4:5]
	s_cselect_b32 s76, -1, 0
	s_cmp_lt_u32 ttmp9, s8
	v_add_co_u32 v5, s6, s60, v11
	s_cselect_b32 s58, 12, 18
	s_wait_alu 0xfffe
	s_add_co_i32 s4, s3, -1
	v_readfirstlane_b32 s5, v1
	s_and_b32 s4, s4, 0xffff
	s_bfe_u32 s77, s49, 0x30005
	s_cmp_gt_u32 s4, 6
	v_add_co_ci_u32_e64 v6, null, s61, 0, s6
	s_cselect_b32 s78, -1, 0
	s_and_b32 s79, s3, 0x7f8
	s_mul_f32 s3, s5, 0x4f7ffffe
	s_cvt_f32_u32 s5, s49
	s_cmp_lg_u32 s77, 0
	v_lshlrev_b64_e64 v[1:2], v12, -1
	s_wait_alu 0xfffe
	s_cvt_u32_f32 s3, s3
	s_cselect_b32 s80, -1, 0
	s_sub_co_i32 s4, 0, s51
	v_rcp_iflag_f32_e32 v3, s5
	s_wait_alu 0xfffe
	s_mul_i32 s4, s4, s3
	v_not_b32_e32 v15, v1
	s_wait_alu 0xfffe
	s_mul_hi_u32 s4, s3, s4
	v_lshrrev_b32_e32 v1, 1, v0
	s_wait_alu 0xfffe
	s_add_co_i32 s62, s3, s4
	v_dual_mov_b32 v14, 0 :: v_dual_lshlrev_b32 v13, 2, v0
	s_mul_hi_u32 s5, s36, s62
	v_cmp_eq_u32_e64 s0, 0, v12
	s_wait_alu 0xfffe
	s_mul_i32 s5, s5, s51
	v_readfirstlane_b32 s6, v3
	s_wait_alu 0xfffe
	s_sub_co_i32 s5, s36, s5
	v_mov_b32_e32 v25, 0
	s_wait_alu 0xfffe
	s_sub_co_i32 s7, s5, s51
	s_cmp_ge_u32 s5, s51
	s_mul_f32 s6, s6, 0x4f7ffffe
	s_wait_alu 0xfffe
	s_cselect_b32 s5, s7, s5
	s_movk_i32 s7, 0x1f0
	s_wait_alu 0xfffe
	s_sub_co_i32 s8, s5, s51
	s_cmp_ge_u32 s5, s51
	s_cvt_u32_f32 s6, s6
	s_cselect_b32 s9, s8, s5
	s_sub_co_i32 s5, 0, s49
	s_sub_co_i32 s81, s36, s9
	s_wait_alu 0xfffe
	s_mul_i32 s5, s5, s6
	v_add_nc_u32_e32 v16, s81, v0
	s_wait_alu 0xfffe
	s_mul_hi_u32 s5, s6, s5
	s_abs_i32 s8, s82
	s_wait_alu 0xfffe
	s_add_co_i32 s64, s6, s5
	v_and_or_b32 v17, v1, s7, 0xc00
	s_mul_hi_u32 s5, s8, s64
	v_mul_lo_u32 v1, v16, s39
	s_wait_alu 0xfffe
	s_mul_i32 s5, s5, s49
	s_ashr_i32 s7, s82, 31
	s_wait_alu 0xfffe
	s_sub_co_i32 s5, s8, s5
	v_or_b32_e32 v3, 3, v13
	s_wait_alu 0xfffe
	s_sub_co_i32 s6, s5, s49
	s_cmp_ge_u32 s5, s49
	v_cmp_gt_u32_e64 s1, 2, v0
	s_wait_alu 0xfffe
	s_cselect_b32 s8, s6, s5
	v_ashrrev_i32_e32 v2, 31, v1
	v_add_co_u32 v7, vcc_lo, s60, v1
	v_add3_u32 v1, s49, s36, v0
	s_sub_co_i32 s12, s8, s49
	s_cmp_ge_u32 s8, s49
	v_add_co_ci_u32_e64 v8, null, s61, v2, vcc_lo
	s_cselect_b32 s8, s12, s8
	v_or_b32_e32 v2, 2, v13
	v_subrev_nc_u32_e32 v1, s9, v1
	s_xor_b32 s8, s8, s7
	s_mov_b32 s12, s39
	s_wait_alu 0xfffe
	s_sub_co_i32 s8, s7, s8
	v_mad_co_u64_u32 v[9:10], null, s39, v13, s[12:13]
	v_mul_lo_u32 v18, s39, v2
	v_mul_lo_u32 v19, s39, v3
	;; [unrolled: 1-line block ×3, first 2 shown]
	s_wait_alu 0xfffe
	s_add_co_i32 s82, s82, s8
	v_cmp_gt_u32_e64 s3, s36, v0
	v_cmp_gt_i32_e64 s4, s36, v0
	v_cmp_gt_i32_e64 s5, s81, v13
	v_cmp_gt_u32_e64 s6, s36, v16
	v_cmp_gt_i32_e64 s7, s36, v16
	v_cmp_gt_i32_e64 s8, s82, v0
	v_dual_mov_b32 v23, 0 :: v_dual_lshlrev_b32 v20, 2, v11
	v_lshl_or_b32 v22, v12, 2, 0xc00
	v_mov_b32_e32 v26, s37
	v_mov_b32_e32 v10, 0
	;; [unrolled: 1-line block ×3, first 2 shown]
	s_mul_i32 s74, s39, s49
	s_mov_b32 s90, 6
	s_mov_b32 s63, s59
	;; [unrolled: 1-line block ×3, first 2 shown]
	s_lshl_b32 s37, s74, 2
	s_add_nc_u64 s[66:67], s[10:11], s[58:59]
	s_mov_b32 s83, s59
                                        ; implicit-def: $sgpr87
                                        ; implicit-def: $sgpr89
                                        ; implicit-def: $sgpr84
                                        ; implicit-def: $sgpr86
                                        ; implicit-def: $sgpr88
                                        ; implicit-def: $sgpr85
	s_branch .LBB10_7
.LBB10_4:                               ;   in Loop: Header=BB10_7 Depth=1
	s_wait_alu 0xfffe
	s_or_b32 exec_lo, exec_lo, s13
	s_delay_alu instid0(SALU_CYCLE_1)
	s_and_b32 s10, s10, exec_lo
	s_and_not1_b32 s15, s15, exec_lo
	s_and_not1_b32 s14, s14, exec_lo
	s_or_not1_b32 s12, s12, exec_lo
.LBB10_5:                               ;   in Loop: Header=BB10_7 Depth=1
	s_wait_alu 0xfffe
	s_or_b32 exec_lo, exec_lo, s9
	s_delay_alu instid0(SALU_CYCLE_1)
	s_and_not1_b32 s9, s85, exec_lo
	s_and_b32 s10, s10, exec_lo
	s_and_not1_b32 s13, s86, exec_lo
	s_wait_alu 0xfffe
	s_or_b32 s85, s9, s10
	s_and_not1_b32 s9, s88, exec_lo
	s_and_b32 s10, s15, exec_lo
	s_and_b32 s14, s14, exec_lo
	s_wait_alu 0xfffe
	s_or_b32 s88, s9, s10
	s_or_b32 s86, s13, s14
	s_or_not1_b32 s13, s12, exec_lo
.LBB10_6:                               ;   in Loop: Header=BB10_7 Depth=1
	s_wait_alu 0xfffe
	s_or_b32 exec_lo, exec_lo, s11
	s_delay_alu instid0(SALU_CYCLE_1)
	s_and_b32 s9, exec_lo, s13
	v_mov_b32_e32 v26, v2
	s_wait_alu 0xfffe
	s_or_b32 s83, s9, s83
	s_and_not1_b32 s9, s84, exec_lo
	s_and_b32 s10, s85, exec_lo
	s_and_not1_b32 s11, s89, exec_lo
	s_wait_alu 0xfffe
	s_or_b32 s84, s9, s10
	s_and_b32 s9, s88, exec_lo
	s_and_not1_b32 s10, s87, exec_lo
	s_and_b32 s12, s86, exec_lo
	s_wait_alu 0xfffe
	s_or_b32 s89, s11, s9
	s_or_b32 s87, s10, s12
	s_mov_b32 s90, s21
	s_and_not1_b32 exec_lo, exec_lo, s83
	s_cbranch_execz .LBB10_229
.LBB10_7:                               ; =>This Loop Header: Depth=1
                                        ;     Child Loop BB10_12 Depth 2
                                        ;     Child Loop BB10_27 Depth 2
	;; [unrolled: 1-line block ×16, first 2 shown]
	ds_load_b64 v[1:2], v14 offset:4096
	s_wait_dscnt 0x0
	v_readfirstlane_b32 s58, v1
	s_cmp_gt_i32 s58, 0
	s_cbranch_scc1 .LBB10_34
; %bb.8:                                ;   in Loop: Header=BB10_7 Depth=1
	s_and_b32 vcc_lo, exec_lo, s75
	s_wait_alu 0xfffe
	s_cbranch_vccz .LBB10_20
; %bb.9:                                ;   in Loop: Header=BB10_7 Depth=1
	v_cmp_gt_i32_e32 vcc_lo, 0xc01, v2
	s_mov_b32 s10, 0
	s_mov_b32 s9, 0
	s_cbranch_vccz .LBB10_21
; %bb.10:                               ;   in Loop: Header=BB10_7 Depth=1
	global_load_u8 v2, v[5:6], off
	s_load_u16 s11, s[66:67], 0x0
	v_mov_b32_e32 v3, v0
	s_mov_b32 s12, 0
	s_wait_kmcnt 0x0
	v_add_nc_u32_e32 v1, s11, v0
	s_mul_i32 s13, s39, s11
	s_delay_alu instid0(VALU_DEP_1)
	v_mul_lo_u32 v1, s39, v1
	s_branch .LBB10_12
.LBB10_11:                              ;   in Loop: Header=BB10_12 Depth=2
	s_wait_alu 0xfffe
	s_or_b32 exec_lo, exec_lo, s9
	v_cmp_le_i32_e32 vcc_lo, s36, v3
	v_dual_mov_b32 v2, v4 :: v_dual_add_nc_u32 v1, s13, v1
	s_or_b32 s12, vcc_lo, s12
	s_wait_alu 0xfffe
	s_and_not1_b32 exec_lo, exec_lo, s12
	s_cbranch_execz .LBB10_66
.LBB10_12:                              ;   Parent Loop BB10_7 Depth=1
                                        ; =>  This Inner Loop Header: Depth=2
	v_dual_mov_b32 v4, 0 :: v_dual_add_nc_u32 v3, s11, v3
	s_wait_dscnt 0x0
	v_mov_b32_e32 v27, 0
	s_mov_b32 s9, exec_lo
	s_delay_alu instid0(VALU_DEP_2)
	v_cmpx_gt_u32_e64 s36, v3
	s_cbranch_execz .LBB10_14
; %bb.13:                               ;   in Loop: Header=BB10_12 Depth=2
	global_load_u8 v4, v1, s[60:61]
.LBB10_14:                              ;   in Loop: Header=BB10_12 Depth=2
	s_wait_alu 0xfffe
	s_or_b32 exec_lo, exec_lo, s9
	s_wait_loadcnt 0x0
	v_bfe_i32 v28, v2, 0, 8
	s_delay_alu instid0(VALU_DEP_1) | instskip(NEXT) | instid1(VALU_DEP_1)
	v_add_nc_u32_e32 v28, 0x80, v28
	v_and_b32_e32 v28, v28, v24
	s_delay_alu instid0(VALU_DEP_1)
	v_cmp_eq_u32_e32 vcc_lo, v28, v10
	s_cmp_lg_u32 vcc_lo, 0
	s_cselect_b32 s9, -1, 0
	s_wait_alu 0xfffe
	s_and_b32 s9, s0, s9
	s_wait_alu 0xfffe
	s_and_saveexec_b32 s14, s9
	s_cbranch_execz .LBB10_18
; %bb.15:                               ;   in Loop: Header=BB10_12 Depth=2
	s_mov_b32 s17, exec_lo
	s_bcnt1_i32_b32 s15, vcc_lo
	s_wait_alu 0xfffe
	v_mbcnt_lo_u32_b32 v27, s17, 0
	s_mov_b32 s16, exec_lo
                                        ; implicit-def: $vgpr28
	s_delay_alu instid0(VALU_DEP_1)
	v_cmpx_eq_u32_e32 0, v27
; %bb.16:                               ;   in Loop: Header=BB10_12 Depth=2
	s_bcnt1_i32_b32 s9, s17
	s_wait_alu 0xfffe
	s_mul_i32 s9, s15, s9
	s_wait_alu 0xfffe
	v_mov_b32_e32 v28, s9
	ds_add_rtn_u32 v28, v14, v28 offset:4104
; %bb.17:                               ;   in Loop: Header=BB10_12 Depth=2
	s_or_b32 exec_lo, exec_lo, s16
	s_wait_dscnt 0x0
	v_readfirstlane_b32 s9, v28
	s_wait_alu 0xf1ff
	s_delay_alu instid0(VALU_DEP_1)
	v_mad_u32_u24 v27, s15, v27, s9
.LBB10_18:                              ;   in Loop: Header=BB10_12 Depth=2
	s_wait_alu 0xfffe
	s_or_b32 exec_lo, exec_lo, s14
	ds_bpermute_b32 v27, v14, v27
	s_and_saveexec_b32 s9, vcc_lo
	s_cbranch_execz .LBB10_11
; %bb.19:                               ;   in Loop: Header=BB10_12 Depth=2
	v_and_b32_e32 v28, vcc_lo, v15
	s_wait_dscnt 0x0
	s_delay_alu instid0(VALU_DEP_1)
	v_bcnt_u32_b32 v27, v28, v27
	ds_store_b8 v27, v2
	s_branch .LBB10_11
.LBB10_20:                              ;   in Loop: Header=BB10_7 Depth=1
	s_mov_b32 s10, -1
	s_mov_b32 s9, 0
.LBB10_21:                              ;   in Loop: Header=BB10_7 Depth=1
	s_wait_alu 0xfffe
	s_and_b32 vcc_lo, exec_lo, s10
	s_wait_alu 0xfffe
	s_cbranch_vccz .LBB10_32
.LBB10_22:                              ;   in Loop: Header=BB10_7 Depth=1
	v_mov_b32_e32 v1, 0
	s_and_saveexec_b32 s9, s3
	s_cbranch_execz .LBB10_24
; %bb.23:                               ;   in Loop: Header=BB10_7 Depth=1
	global_load_u8 v1, v[5:6], off
.LBB10_24:                              ;   in Loop: Header=BB10_7 Depth=1
	s_wait_alu 0xfffe
	s_or_b32 exec_lo, exec_lo, s9
	s_and_saveexec_b32 s9, s4
	s_cbranch_execz .LBB10_29
; %bb.25:                               ;   in Loop: Header=BB10_7 Depth=1
	s_load_u16 s10, s[66:67], 0x0
	s_mov_b32 s12, 0
	s_wait_kmcnt 0x0
	v_dual_mov_b32 v3, v0 :: v_dual_add_nc_u32 v2, s10, v0
	s_mul_i32 s11, s39, s10
	s_delay_alu instid0(VALU_DEP_1)
	v_mul_lo_u32 v2, s39, v2
	s_branch .LBB10_27
.LBB10_26:                              ;   in Loop: Header=BB10_27 Depth=2
	s_wait_alu 0xfffe
	s_or_b32 exec_lo, exec_lo, s13
	v_cmp_le_i32_e32 vcc_lo, s36, v4
	s_wait_loadcnt 0x0
	ds_store_b8 v3, v1
	v_dual_mov_b32 v1, v27 :: v_dual_add_nc_u32 v2, s11, v2
	v_mov_b32_e32 v3, v4
	s_or_b32 s12, vcc_lo, s12
	s_wait_alu 0xfffe
	s_and_not1_b32 exec_lo, exec_lo, s12
	s_cbranch_execz .LBB10_29
.LBB10_27:                              ;   Parent Loop BB10_7 Depth=1
                                        ; =>  This Inner Loop Header: Depth=2
	s_delay_alu instid0(VALU_DEP_2) | instskip(SKIP_1) | instid1(VALU_DEP_1)
	v_dual_mov_b32 v27, 0 :: v_dual_add_nc_u32 v4, s10, v3
	s_mov_b32 s13, exec_lo
	v_cmpx_gt_u32_e64 s36, v4
	s_cbranch_execz .LBB10_26
; %bb.28:                               ;   in Loop: Header=BB10_27 Depth=2
	global_load_u8 v27, v2, s[60:61]
	s_branch .LBB10_26
.LBB10_29:                              ;   in Loop: Header=BB10_7 Depth=1
	s_wait_alu 0xfffe
	s_or_b32 exec_lo, exec_lo, s9
	s_wait_loadcnt_dscnt 0x0
	s_barrier_signal -1
	s_barrier_wait -1
	global_inv scope:SCOPE_SE
	s_and_saveexec_b32 s9, s2
; %bb.30:                               ;   in Loop: Header=BB10_7 Depth=1
	v_mov_b32_e32 v1, s36
	ds_store_b32 v14, v1 offset:4096
; %bb.31:                               ;   in Loop: Header=BB10_7 Depth=1
	s_wait_alu 0xfffe
	s_or_b32 exec_lo, exec_lo, s9
	s_mov_b32 s9, -1
	s_wait_loadcnt_dscnt 0x0
	s_barrier_signal -1
	s_barrier_wait -1
.LBB10_32:                              ;   in Loop: Header=BB10_7 Depth=1
	s_wait_alu 0xfffe
	s_and_b32 vcc_lo, exec_lo, s9
	s_wait_alu 0xfffe
	s_cbranch_vccz .LBB10_34
; %bb.33:                               ;   in Loop: Header=BB10_7 Depth=1
	s_wait_loadcnt 0x0
	global_inv scope:SCOPE_SE
	ds_load_b32 v1, v14 offset:4096
	s_wait_dscnt 0x0
	v_readfirstlane_b32 s58, v1
.LBB10_34:                              ;   in Loop: Header=BB10_7 Depth=1
	s_delay_alu instid0(VALU_DEP_1)
	s_cmp_lt_i32 s58, 1
	s_mov_b32 s9, -1
                                        ; implicit-def: $vgpr4
	s_cbranch_scc1 .LBB10_44
; %bb.35:                               ;   in Loop: Header=BB10_7 Depth=1
	s_wait_alu 0xfffe
	s_and_b32 vcc_lo, exec_lo, s9
	s_wait_alu 0xfffe
	s_cbranch_vccnz .LBB10_57
.LBB10_36:                              ;   in Loop: Header=BB10_7 Depth=1
	v_lshlrev_b32_e32 v27, 7, v23
	s_and_saveexec_b32 s9, s0
.LBB10_37:                              ;   in Loop: Header=BB10_7 Depth=1
	s_delay_alu instid0(VALU_DEP_1)
	v_lshl_add_u32 v28, v27, 2, v17
	ds_store_b128 v28, v[1:4]
.LBB10_38:                              ;   in Loop: Header=BB10_7 Depth=1
	s_wait_alu 0xfffe
	s_or_b32 exec_lo, exec_lo, s9
	s_wait_loadcnt_dscnt 0x0
	s_barrier_signal -1
	s_barrier_wait -1
	global_inv scope:SCOPE_SE
	s_and_saveexec_b32 s9, s73
	s_cbranch_execz .LBB10_73
; %bb.39:                               ;   in Loop: Header=BB10_7 Depth=1
	v_mov_b32_e32 v1, 0
	s_and_not1_b32 vcc_lo, exec_lo, s76
	s_wait_alu 0xfffe
	s_cbranch_vccnz .LBB10_72
; %bb.40:                               ;   in Loop: Header=BB10_7 Depth=1
	s_and_not1_b32 vcc_lo, exec_lo, s78
	s_wait_alu 0xfffe
	s_cbranch_vccnz .LBB10_69
; %bb.41:                               ;   in Loop: Header=BB10_7 Depth=1
	v_lshl_add_u32 v2, v23, 9, v22
	v_mov_b32_e32 v1, 0
	s_mov_b32 s10, 0
.LBB10_42:                              ;   Parent Loop BB10_7 Depth=1
                                        ; =>  This Inner Loop Header: Depth=2
	ds_load_2addr_b32 v[3:4], v2 offset1:4
	ds_load_2addr_b32 v[28:29], v2 offset0:8 offset1:12
	ds_load_2addr_b32 v[30:31], v2 offset0:16 offset1:20
	;; [unrolled: 1-line block ×3, first 2 shown]
	v_add_nc_u32_e32 v2, 0x80, v2
	s_wait_alu 0xfffe
	s_add_co_i32 s10, s10, 8
	s_wait_alu 0xfffe
	s_cmp_eq_u32 s79, s10
	s_wait_dscnt 0x3
	v_add3_u32 v1, v3, v1, v4
	s_wait_dscnt 0x2
	s_delay_alu instid0(VALU_DEP_1) | instskip(SKIP_1) | instid1(VALU_DEP_1)
	v_add3_u32 v1, v28, v1, v29
	s_wait_dscnt 0x1
	v_add3_u32 v1, v30, v1, v31
	s_wait_dscnt 0x0
	s_delay_alu instid0(VALU_DEP_1)
	v_add3_u32 v1, v32, v1, v33
	s_cbranch_scc0 .LBB10_42
; %bb.43:                               ;   in Loop: Header=BB10_7 Depth=1
	s_mov_b32 s10, s79
	s_and_not1_b32 vcc_lo, exec_lo, s80
	s_wait_alu 0xfffe
	s_cbranch_vccz .LBB10_70
	s_branch .LBB10_72
.LBB10_44:                              ;   in Loop: Header=BB10_7 Depth=1
	v_dual_mov_b32 v1, 0 :: v_dual_mov_b32 v2, 0
	v_dual_mov_b32 v3, 0 :: v_dual_mov_b32 v4, 0
	s_and_saveexec_b32 s91, s5
	s_cbranch_execnz .LBB10_47
; %bb.45:                               ;   in Loop: Header=BB10_7 Depth=1
	s_wait_alu 0xfffe
	s_or_b32 exec_lo, exec_lo, s91
	v_mov_b32_e32 v30, 0
	s_and_saveexec_b32 s9, s6
	s_cbranch_execnz .LBB10_50
.LBB10_46:                              ;   in Loop: Header=BB10_7 Depth=1
	s_wait_alu 0xfffe
	s_or_b32 exec_lo, exec_lo, s9
	s_and_saveexec_b32 s13, s7
	s_cbranch_execnz .LBB10_51
	s_branch .LBB10_56
.LBB10_47:                              ;   in Loop: Header=BB10_7 Depth=1
	v_mov_b32_e32 v27, v13
	s_mov_b32 s92, 0
	s_mov_b32 s93, 0
	;; [unrolled: 1-line block ×6, first 2 shown]
.LBB10_48:                              ;   Parent Loop BB10_7 Depth=1
                                        ; =>  This Inner Loop Header: Depth=2
	s_wait_alu 0xfffe
	v_add_nc_u32_e32 v2, s93, v20
	v_add_nc_u32_e32 v1, s93, v9
	;; [unrolled: 1-line block ×5, first 2 shown]
	v_ashrrev_i32_e32 v29, 31, v2
	v_ashrrev_i32_e32 v32, 31, v1
	;; [unrolled: 1-line block ×4, first 2 shown]
	v_add_co_u32 v30, s11, s60, v2
	v_add_co_u32 v1, vcc_lo, s60, v1
	v_add_co_u32 v3, s9, s60, v3
	s_wait_alu 0xf1ff
	v_add_co_ci_u32_e64 v31, null, s61, v29, s11
	v_add_co_u32 v28, s10, s60, v4
	s_wait_alu 0xfffd
	v_add_co_ci_u32_e64 v2, null, s61, v32, vcc_lo
	v_add_co_ci_u32_e64 v4, null, s61, v33, s9
	s_wait_alu 0xf1ff
	v_add_co_ci_u32_e64 v29, null, s61, v34, s10
	s_clause 0x3
	global_load_i8 v30, v[30:31], off
	global_load_i8 v1, v[1:2], off
	global_load_i8 v2, v[3:4], off
	global_load_i8 v3, v[28:29], off
	v_cmp_le_i32_e32 vcc_lo, s81, v27
	s_add_co_i32 s93, s93, s37
	s_wait_loadcnt 0x3
	v_add_nc_u32_e32 v4, 0x80, v30
	s_wait_loadcnt 0x2
	v_add_nc_u32_e32 v1, 0x80, v1
	s_wait_loadcnt 0x1
	v_add_nc_u32_e32 v2, 0x80, v2
	s_wait_loadcnt 0x0
	v_add_nc_u32_e32 v3, 0x80, v3
	v_and_b32_e32 v28, v4, v24
	v_bfe_u32 v4, v4, s90, 2
	v_and_b32_e32 v29, v1, v24
	v_bfe_u32 v1, v1, s90, 2
	;; [unrolled: 2-line block ×3, first 2 shown]
	v_cmp_eq_u32_e64 s9, v28, v10
	v_cmp_eq_u32_e64 s13, 0, v4
	v_and_b32_e32 v31, v3, v24
	v_bfe_u32 v3, v3, s90, 2
	v_cmp_eq_u32_e64 s10, v29, v10
	v_cmp_eq_u32_e64 s14, 0, v1
	;; [unrolled: 1-line block ×4, first 2 shown]
	s_and_b32 s13, s9, s13
	v_cmp_eq_u32_e64 s12, v31, v10
	v_cmp_eq_u32_e64 s16, 0, v3
	;; [unrolled: 1-line block ×5, first 2 shown]
	s_wait_alu 0xfffe
	v_cndmask_b32_e64 v1, 0, 1, s13
	s_and_b32 s13, s10, s14
	v_cmp_eq_u32_e64 s17, 1, v4
	v_cmp_eq_u32_e64 s19, 1, v2
	;; [unrolled: 1-line block ×4, first 2 shown]
	s_wait_alu 0xfffe
	v_cndmask_b32_e64 v2, 0, 1, s13
	s_and_b32 s13, s11, s15
	v_cmp_eq_u32_e64 s20, 1, v3
	v_cmp_eq_u32_e64 s24, 2, v3
	;; [unrolled: 1-line block ×3, first 2 shown]
	s_wait_alu 0xfffe
	v_cndmask_b32_e64 v3, 0, 1, s13
	s_and_b32 s13, s12, s16
	v_cmp_eq_u32_e64 s21, 2, v4
	v_cmp_eq_u32_e64 s25, 3, v4
	s_wait_alu 0xfffe
	v_cndmask_b32_e64 v4, 0, 1, s13
	s_and_b32 s13, s9, s17
	s_wait_alu 0xfffe
	v_cndmask_b32_e64 v28, 0, 1, s13
	s_and_b32 s13, s10, s18
	;; [unrolled: 3-line block ×4, first 2 shown]
	v_cmp_ne_u32_e64 s14, 0, v29
	s_wait_alu 0xfffe
	v_cndmask_b32_e64 v31, 0, 1, s13
	s_and_b32 s13, s9, s21
	s_and_b32 s9, s9, s25
	s_wait_alu 0xfffe
	v_cndmask_b32_e64 v32, 0, 1, s13
	s_and_b32 s13, s10, s22
	v_cndmask_b32_e64 v36, 0, 1, s9
	s_and_b32 s9, s10, s26
	s_wait_alu 0xfffe
	v_cndmask_b32_e64 v33, 0, 1, s13
	s_and_b32 s13, s11, s23
	v_cndmask_b32_e64 v37, 0, 1, s9
	s_and_b32 s9, s11, s27
	s_wait_alu 0xfffe
	v_cndmask_b32_e64 v34, 0, 1, s13
	s_and_b32 s13, s12, s24
	v_cndmask_b32_e64 v38, 0, 1, s9
	s_and_b32 s9, s12, s28
	s_wait_alu 0xfffe
	v_cndmask_b32_e64 v35, 0, 1, s13
	v_cndmask_b32_e64 v39, 0, 1, s9
	v_cmp_ne_u32_e64 s9, 0, v1
	v_cmp_ne_u32_e64 s13, 0, v28
	;; [unrolled: 1-line block ×11, first 2 shown]
	s_bcnt1_i32_b32 s9, s9
	s_bcnt1_i32_b32 s13, s13
	;; [unrolled: 1-line block ×4, first 2 shown]
	v_cmp_ne_u32_e64 s12, 0, v4
	v_cmp_ne_u32_e64 s16, 0, v31
	;; [unrolled: 1-line block ×4, first 2 shown]
	s_bcnt1_i32_b32 s10, s10
	s_bcnt1_i32_b32 s14, s14
	s_bcnt1_i32_b32 s18, s18
	s_bcnt1_i32_b32 s22, s22
	s_wait_alu 0xfffe
	s_add_co_i32 s9, s9, s97
	s_add_co_i32 s13, s13, s96
	s_add_co_i32 s17, s17, s95
	s_add_co_i32 s21, s21, s94
	s_bcnt1_i32_b32 s11, s11
	s_bcnt1_i32_b32 s15, s15
	s_bcnt1_i32_b32 s19, s19
	s_bcnt1_i32_b32 s23, s23
	s_wait_alu 0xfffe
	s_add_co_i32 s9, s9, s10
	s_add_co_i32 s10, s13, s14
	s_add_co_i32 s13, s17, s18
	s_add_co_i32 s14, s21, s22
	;; [unrolled: 9-line block ×3, first 2 shown]
	s_wait_alu 0xfffe
	s_add_co_i32 s97, s9, s12
	s_add_co_i32 s96, s10, s16
	s_add_co_i32 s95, s11, s20
	s_add_co_i32 s94, s13, s24
	s_wait_alu 0xfffe
	v_dual_mov_b32 v1, s97 :: v_dual_mov_b32 v2, s96
	v_dual_mov_b32 v3, s95 :: v_dual_mov_b32 v4, s94
	s_or_b32 s92, vcc_lo, s92
	s_wait_alu 0xfffe
	s_and_not1_b32 exec_lo, exec_lo, s92
	s_cbranch_execnz .LBB10_48
; %bb.49:                               ;   in Loop: Header=BB10_7 Depth=1
	s_or_b32 exec_lo, exec_lo, s92
	s_delay_alu instid0(SALU_CYCLE_1)
	s_or_b32 exec_lo, exec_lo, s91
	v_mov_b32_e32 v30, 0
	s_and_saveexec_b32 s9, s6
	s_cbranch_execz .LBB10_46
.LBB10_50:                              ;   in Loop: Header=BB10_7 Depth=1
	global_load_u8 v30, v[7:8], off
	s_wait_alu 0xfffe
	s_or_b32 exec_lo, exec_lo, s9
	s_and_saveexec_b32 s13, s7
	s_cbranch_execz .LBB10_56
.LBB10_51:                              ;   in Loop: Header=BB10_7 Depth=1
	v_dual_mov_b32 v27, v21 :: v_dual_mov_b32 v28, v16
	s_mov_b32 s14, 0
	s_branch .LBB10_53
.LBB10_52:                              ;   in Loop: Header=BB10_53 Depth=2
	s_wait_alu 0xfffe
	s_or_b32 exec_lo, exec_lo, s9
	s_wait_loadcnt 0x0
	v_bfe_i32 v30, v30, 0, 8
	v_add_nc_u32_e32 v27, s74, v27
	s_delay_alu instid0(VALU_DEP_2) | instskip(NEXT) | instid1(VALU_DEP_1)
	v_add_nc_u32_e32 v30, 0x80, v30
	v_and_b32_e32 v31, v30, v24
	v_bfe_u32 v30, v30, s90, 2
	s_delay_alu instid0(VALU_DEP_2) | instskip(NEXT) | instid1(VALU_DEP_2)
	v_cmp_eq_u32_e32 vcc_lo, v31, v10
	v_cmp_eq_u32_e64 s9, 0, v30
	v_cmp_eq_u32_e64 s10, 1, v30
	;; [unrolled: 1-line block ×4, first 2 shown]
	s_and_b32 s9, vcc_lo, s9
	s_wait_alu 0xfffe
	v_cndmask_b32_e64 v30, 0, 1, s9
	s_and_b32 s9, vcc_lo, s10
	s_wait_alu 0xfffe
	v_cndmask_b32_e64 v31, 0, 1, s9
	;; [unrolled: 3-line block ×3, first 2 shown]
	s_and_b32 s9, vcc_lo, s12
	v_cmp_ne_u32_e32 vcc_lo, 0, v30
	s_wait_alu 0xfffe
	v_cndmask_b32_e64 v33, 0, 1, s9
	v_cmp_ne_u32_e64 s9, 0, v31
	v_cmp_ne_u32_e64 s10, 0, v32
	v_cmp_le_i32_e64 s12, s36, v28
	s_bcnt1_i32_b32 s15, vcc_lo
	v_cmp_ne_u32_e64 s11, 0, v33
	s_bcnt1_i32_b32 s9, s9
	s_bcnt1_i32_b32 s10, s10
	s_wait_alu 0xfffe
	v_add_nc_u32_e32 v1, s15, v1
	v_add_nc_u32_e32 v2, s9, v2
	s_bcnt1_i32_b32 s11, s11
	v_add_nc_u32_e32 v3, s10, v3
	s_wait_alu 0xfffe
	v_add_nc_u32_e32 v4, s11, v4
	v_mov_b32_e32 v30, v29
	s_or_b32 s14, s12, s14
	s_wait_alu 0xfffe
	s_and_not1_b32 exec_lo, exec_lo, s14
	s_cbranch_execz .LBB10_55
.LBB10_53:                              ;   Parent Loop BB10_7 Depth=1
                                        ; =>  This Inner Loop Header: Depth=2
	s_delay_alu instid0(VALU_DEP_1) | instskip(SKIP_1) | instid1(VALU_DEP_1)
	v_dual_mov_b32 v29, 0 :: v_dual_add_nc_u32 v28, s49, v28
	s_mov_b32 s9, exec_lo
	v_cmpx_gt_u32_e64 s36, v28
	s_cbranch_execz .LBB10_52
; %bb.54:                               ;   in Loop: Header=BB10_53 Depth=2
	v_ashrrev_i32_e32 v29, 31, v27
	v_add_co_u32 v31, vcc_lo, s60, v27
	s_wait_alu 0xfffd
	s_delay_alu instid0(VALU_DEP_2)
	v_add_co_ci_u32_e64 v32, null, s61, v29, vcc_lo
	global_load_u8 v29, v[31:32], off
	s_branch .LBB10_52
.LBB10_55:                              ;   in Loop: Header=BB10_7 Depth=1
	s_or_b32 exec_lo, exec_lo, s14
.LBB10_56:                              ;   in Loop: Header=BB10_7 Depth=1
	s_wait_alu 0xfffe
	s_or_b32 exec_lo, exec_lo, s13
	s_branch .LBB10_36
.LBB10_57:                              ;   in Loop: Header=BB10_7 Depth=1
	s_mul_u64 s[10:11], s[58:59], s[62:63]
	v_dual_mov_b32 v1, 0 :: v_dual_mov_b32 v2, 0
	s_wait_alu 0xfffe
	s_mul_i32 s9, s11, s51
	v_dual_mov_b32 v3, 0 :: v_dual_mov_b32 v4, 0
	s_wait_alu 0xfffe
	s_sub_co_i32 s9, s58, s9
	s_mov_b32 s92, exec_lo
	s_wait_alu 0xfffe
	s_sub_co_i32 s10, s9, s51
	s_cmp_ge_u32 s9, s51
	s_wait_alu 0xfffe
	s_cselect_b32 s9, s10, s9
	s_wait_alu 0xfffe
	s_sub_co_i32 s10, s9, s51
	s_cmp_ge_u32 s9, s51
	s_wait_alu 0xfffe
	s_cselect_b32 s9, s10, s9
	s_wait_alu 0xfffe
	s_sub_co_i32 s91, s58, s9
	s_wait_alu 0xfffe
	v_cmpx_gt_u32_e64 s91, v13
	s_cbranch_execz .LBB10_61
; %bb.58:                               ;   in Loop: Header=BB10_7 Depth=1
	v_mov_b32_e32 v27, v13
	s_mov_b32 s93, 0
	s_mov_b32 s94, 0
	;; [unrolled: 1-line block ×5, first 2 shown]
.LBB10_59:                              ;   Parent Loop BB10_7 Depth=1
                                        ; =>  This Inner Loop Header: Depth=2
	ds_load_b32 v1, v27
	s_wait_dscnt 0x0
	v_bfe_i32 v2, v1, 0, 8
	v_bfe_i32 v3, v1, 8, 8
	v_bfe_i32 v4, v1, 16, 8
	v_ashrrev_i32_e32 v1, 24, v1
	s_delay_alu instid0(VALU_DEP_4) | instskip(NEXT) | instid1(VALU_DEP_4)
	v_add_nc_u32_e32 v2, 0x80, v2
	v_add_nc_u32_e32 v3, 0x80, v3
	s_delay_alu instid0(VALU_DEP_4) | instskip(NEXT) | instid1(VALU_DEP_4)
	v_add_nc_u32_e32 v4, 0x80, v4
	v_add_nc_u32_e32 v1, 0x80, v1
	s_delay_alu instid0(VALU_DEP_4)
	v_and_b32_e32 v28, v2, v24
	v_bfe_u32 v2, v2, s90, 2
	v_and_b32_e32 v29, v3, v24
	v_bfe_u32 v3, v3, s90, 2
	s_wait_loadcnt 0x0
	v_and_b32_e32 v30, v4, v24
	v_bfe_u32 v4, v4, s90, 2
	v_cmp_eq_u32_e64 s9, v28, v10
	v_cmp_eq_u32_e64 s13, 0, v2
	v_and_b32_e32 v31, v1, v24
	v_bfe_u32 v1, v1, s90, 2
	v_cmp_eq_u32_e64 s10, v29, v10
	v_cmp_eq_u32_e64 s14, 0, v3
	;; [unrolled: 1-line block ×4, first 2 shown]
	s_and_b32 s13, s9, s13
	v_cmp_eq_u32_e64 s12, v31, v10
	v_cmp_eq_u32_e64 s16, 0, v1
	;; [unrolled: 1-line block ×5, first 2 shown]
	s_wait_alu 0xfffe
	v_cndmask_b32_e64 v1, 0, 1, s13
	s_and_b32 s13, s10, s14
	v_cmp_eq_u32_e64 s17, 1, v2
	v_cmp_eq_u32_e64 s21, 2, v2
	v_cmp_eq_u32_e64 s25, 3, v2
	s_wait_alu 0xfffe
	v_cndmask_b32_e64 v2, 0, 1, s13
	s_and_b32 s13, s11, s15
	v_cmp_eq_u32_e64 s18, 1, v3
	v_cmp_eq_u32_e64 s22, 2, v3
	v_cmp_eq_u32_e64 s26, 3, v3
	s_wait_alu 0xfffe
	v_cndmask_b32_e64 v3, 0, 1, s13
	s_and_b32 s13, s12, s16
	v_cmp_eq_u32_e64 s19, 1, v4
	v_cmp_eq_u32_e64 s23, 2, v4
	v_cmp_eq_u32_e64 s27, 3, v4
	s_wait_alu 0xfffe
	v_cndmask_b32_e64 v4, 0, 1, s13
	s_and_b32 s13, s9, s17
	s_wait_alu 0xfffe
	v_cndmask_b32_e64 v28, 0, 1, s13
	s_and_b32 s13, s10, s18
	;; [unrolled: 3-line block ×4, first 2 shown]
	v_cmp_ne_u32_e64 s14, 0, v29
	s_wait_alu 0xfffe
	v_cndmask_b32_e64 v31, 0, 1, s13
	s_and_b32 s13, s9, s21
	s_and_b32 s9, s9, s25
	s_wait_alu 0xfffe
	v_cndmask_b32_e64 v32, 0, 1, s13
	s_and_b32 s13, s10, s22
	v_cndmask_b32_e64 v36, 0, 1, s9
	s_and_b32 s9, s10, s26
	s_wait_alu 0xfffe
	v_cndmask_b32_e64 v33, 0, 1, s13
	s_and_b32 s13, s11, s23
	v_cndmask_b32_e64 v37, 0, 1, s9
	;; [unrolled: 5-line block ×3, first 2 shown]
	s_and_b32 s9, s12, s28
	s_wait_alu 0xfffe
	v_cndmask_b32_e64 v35, 0, 1, s13
	v_cndmask_b32_e64 v39, 0, 1, s9
	v_cmp_ne_u32_e64 s9, 0, v1
	v_cmp_ne_u32_e64 s13, 0, v28
	;; [unrolled: 1-line block ×6, first 2 shown]
	s_bcnt1_i32_b32 s9, s9
	s_bcnt1_i32_b32 s13, s13
	v_cmp_ne_u32_e64 s16, 0, v31
	v_cmp_ne_u32_e64 s18, 0, v33
	;; [unrolled: 1-line block ×3, first 2 shown]
	s_bcnt1_i32_b32 s10, s10
	s_bcnt1_i32_b32 s14, s14
	s_wait_alu 0xfffe
	s_add_co_i32 s9, s9, s97
	s_add_co_i32 s13, s13, s96
	v_cmp_ne_u32_e64 s11, 0, v3
	v_cmp_ne_u32_e64 s19, 0, v34
	;; [unrolled: 1-line block ×3, first 2 shown]
	s_bcnt1_i32_b32 s15, s15
	s_wait_alu 0xfffe
	s_add_co_i32 s9, s9, s10
	s_add_co_i32 s10, s13, s14
	s_bcnt1_i32_b32 s17, s17
	s_bcnt1_i32_b32 s21, s21
	v_cmp_ne_u32_e64 s12, 0, v4
	v_cmp_ne_u32_e64 s20, 0, v35
	;; [unrolled: 1-line block ×3, first 2 shown]
	s_bcnt1_i32_b32 s16, s16
	s_wait_alu 0xfffe
	s_add_co_i32 s10, s10, s15
	s_bcnt1_i32_b32 s18, s18
	s_bcnt1_i32_b32 s22, s22
	s_add_co_i32 s17, s17, s95
	s_add_co_i32 s21, s21, s94
	s_wait_alu 0xfffe
	s_add_co_i32 s96, s10, s16
	s_wait_alu 0xfffe
	v_dual_mov_b32 v2, s96 :: v_dual_add_nc_u32 v27, s51, v27
	s_bcnt1_i32_b32 s11, s11
	s_bcnt1_i32_b32 s19, s19
	;; [unrolled: 1-line block ×3, first 2 shown]
	s_add_co_i32 s13, s17, s18
	s_add_co_i32 s14, s21, s22
	s_bcnt1_i32_b32 s12, s12
	s_bcnt1_i32_b32 s20, s20
	;; [unrolled: 1-line block ×3, first 2 shown]
	s_wait_alu 0xfffe
	s_add_co_i32 s9, s9, s11
	s_add_co_i32 s11, s13, s19
	;; [unrolled: 1-line block ×3, first 2 shown]
	v_cmp_le_i32_e32 vcc_lo, s91, v27
	s_wait_alu 0xfffe
	s_add_co_i32 s97, s9, s12
	s_add_co_i32 s95, s11, s20
	;; [unrolled: 1-line block ×3, first 2 shown]
	s_wait_alu 0xfffe
	v_mov_b32_e32 v1, s97
	v_dual_mov_b32 v3, s95 :: v_dual_mov_b32 v4, s94
	s_or_b32 s93, vcc_lo, s93
	s_wait_alu 0xfffe
	s_and_not1_b32 exec_lo, exec_lo, s93
	s_cbranch_execnz .LBB10_59
; %bb.60:                               ;   in Loop: Header=BB10_7 Depth=1
	s_or_b32 exec_lo, exec_lo, s93
.LBB10_61:                              ;   in Loop: Header=BB10_7 Depth=1
	s_delay_alu instid0(SALU_CYCLE_1) | instskip(SKIP_2) | instid1(VALU_DEP_1)
	s_or_b32 exec_lo, exec_lo, s92
	v_add_nc_u32_e32 v27, s91, v0
	s_mov_b32 s14, exec_lo
	v_cmpx_gt_i32_e64 s58, v27
	s_cbranch_execz .LBB10_65
; %bb.62:                               ;   in Loop: Header=BB10_7 Depth=1
	s_mov_b32 s15, 0
.LBB10_63:                              ;   Parent Loop BB10_7 Depth=1
                                        ; =>  This Inner Loop Header: Depth=2
	ds_load_i8 v28, v27
	v_add_nc_u32_e32 v27, s49, v27
	s_delay_alu instid0(VALU_DEP_1) | instskip(SKIP_2) | instid1(VALU_DEP_1)
	v_cmp_le_i32_e32 vcc_lo, s58, v27
	s_wait_dscnt 0x0
	v_add_nc_u32_e32 v28, 0x80, v28
	v_and_b32_e32 v29, v28, v24
	v_bfe_u32 v28, v28, s90, 2
	s_delay_alu instid0(VALU_DEP_2) | instskip(NEXT) | instid1(VALU_DEP_2)
	v_cmp_eq_u32_e64 s9, v29, v10
	v_cmp_eq_u32_e64 s10, 0, v28
	;; [unrolled: 1-line block ×5, first 2 shown]
	s_and_b32 s10, s9, s10
	s_wait_alu 0xfffe
	v_cndmask_b32_e64 v28, 0, 1, s10
	s_and_b32 s10, s9, s11
	s_wait_alu 0xfffe
	v_cndmask_b32_e64 v29, 0, 1, s10
	s_and_b32 s10, s9, s12
	s_and_b32 s9, s9, s13
	s_wait_loadcnt 0x0
	s_wait_alu 0xfffe
	v_cndmask_b32_e64 v30, 0, 1, s10
	v_cndmask_b32_e64 v31, 0, 1, s9
	v_cmp_ne_u32_e64 s9, 0, v28
	v_cmp_ne_u32_e64 s10, 0, v29
	s_delay_alu instid0(VALU_DEP_4) | instskip(NEXT) | instid1(VALU_DEP_4)
	v_cmp_ne_u32_e64 s11, 0, v30
	v_cmp_ne_u32_e64 s12, 0, v31
	s_bcnt1_i32_b32 s9, s9
	s_bcnt1_i32_b32 s10, s10
	s_wait_alu 0xfffe
	v_add_nc_u32_e32 v1, s9, v1
	s_bcnt1_i32_b32 s11, s11
	s_bcnt1_i32_b32 s12, s12
	v_add_nc_u32_e32 v2, s10, v2
	s_wait_alu 0xfffe
	v_add_nc_u32_e32 v3, s11, v3
	v_add_nc_u32_e32 v4, s12, v4
	s_or_b32 s15, vcc_lo, s15
	s_wait_alu 0xfffe
	s_and_not1_b32 exec_lo, exec_lo, s15
	s_cbranch_execnz .LBB10_63
; %bb.64:                               ;   in Loop: Header=BB10_7 Depth=1
	s_or_b32 exec_lo, exec_lo, s15
.LBB10_65:                              ;   in Loop: Header=BB10_7 Depth=1
	s_wait_alu 0xfffe
	s_or_b32 exec_lo, exec_lo, s14
	v_lshlrev_b32_e32 v27, 7, v23
	s_and_saveexec_b32 s9, s0
	s_cbranch_execnz .LBB10_37
	s_branch .LBB10_38
.LBB10_66:                              ;   in Loop: Header=BB10_7 Depth=1
	s_or_b32 exec_lo, exec_lo, s12
	s_wait_dscnt 0x0
	s_barrier_signal -1
	s_barrier_wait -1
	global_inv scope:SCOPE_SE
	s_and_saveexec_b32 s9, s2
	s_cbranch_execz .LBB10_68
; %bb.67:                               ;   in Loop: Header=BB10_7 Depth=1
	ds_load_b32 v1, v14 offset:4104
	s_wait_dscnt 0x0
	ds_store_b32 v14, v1 offset:4096
.LBB10_68:                              ;   in Loop: Header=BB10_7 Depth=1
	s_wait_alu 0xfffe
	s_or_b32 exec_lo, exec_lo, s9
	s_wait_loadcnt_dscnt 0x0
	s_barrier_signal -1
	s_mov_b32 s9, -1
	s_barrier_wait -1
	s_and_b32 vcc_lo, exec_lo, s10
	s_wait_alu 0xfffe
	s_cbranch_vccnz .LBB10_22
	s_branch .LBB10_32
.LBB10_69:                              ;   in Loop: Header=BB10_7 Depth=1
	v_mov_b32_e32 v1, 0
	s_mov_b32 s10, 0
	s_and_not1_b32 vcc_lo, exec_lo, s80
	s_wait_alu 0xfffe
	s_cbranch_vccnz .LBB10_72
.LBB10_70:                              ;   in Loop: Header=BB10_7 Depth=1
	v_lshlrev_b32_e32 v2, 9, v23
	s_lshl_b32 s10, s10, 4
	s_wait_alu 0xfffe
	s_delay_alu instid0(VALU_DEP_1)
	v_add3_u32 v2, v2, s10, v22
	s_mov_b32 s10, s77
.LBB10_71:                              ;   Parent Loop BB10_7 Depth=1
                                        ; =>  This Inner Loop Header: Depth=2
	ds_load_b32 v3, v2
	v_add_nc_u32_e32 v2, 16, v2
	s_wait_alu 0xfffe
	s_add_co_i32 s10, s10, -1
	s_wait_alu 0xfffe
	s_cmp_lg_u32 s10, 0
	s_wait_dscnt 0x0
	v_add_nc_u32_e32 v1, v3, v1
	s_cbranch_scc1 .LBB10_71
.LBB10_72:                              ;   in Loop: Header=BB10_7 Depth=1
	v_add_lshl_u32 v2, v27, v12, 2
	ds_store_b32 v2, v1 offset:3072
.LBB10_73:                              ;   in Loop: Header=BB10_7 Depth=1
	s_wait_alu 0xfffe
	s_or_b32 exec_lo, exec_lo, s9
	v_lshlrev_b32_e32 v1, 2, v27
	s_wait_loadcnt_dscnt 0x0
	s_barrier_signal -1
	s_barrier_wait -1
	global_inv scope:SCOPE_SE
	ds_load_b128 v[1:4], v1 offset:3072
	s_lshl_b32 s10, 3, s90
	v_cmp_eq_u32_e32 vcc_lo, 1, v26
	s_wait_alu 0xfffe
	s_not_b32 s17, s10
	s_mov_b32 s13, -1
	s_mov_b32 s15, -1
                                        ; implicit-def: $sgpr20
                                        ; implicit-def: $sgpr18
	s_wait_dscnt 0x0
	v_readfirstlane_b32 s12, v1
	v_readfirstlane_b32 s19, v2
	;; [unrolled: 1-line block ×4, first 2 shown]
	s_cmp_eq_u32 s12, 1
	s_cselect_b32 s11, -1, 0
	s_wait_alu 0xfffe
	s_and_b32 s14, s11, vcc_lo
	s_wait_alu 0xfffe
	s_and_saveexec_b32 s11, s14
	s_cbranch_execz .LBB10_99
; %bb.74:                               ;   in Loop: Header=BB10_7 Depth=1
	ds_load_b32 v1, v14 offset:4096
	s_wait_loadcnt_dscnt 0x0
	s_barrier_signal -1
	s_barrier_wait -1
	global_inv scope:SCOPE_SE
	v_readfirstlane_b32 s15, v1
	s_and_saveexec_b32 s18, s1
; %bb.75:                               ;   in Loop: Header=BB10_7 Depth=1
	ds_store_b8 v0, v14 offset:3072
; %bb.76:                               ;   in Loop: Header=BB10_7 Depth=1
	s_wait_alu 0xfffe
	s_or_b32 exec_lo, exec_lo, s18
	v_and_b32_e32 v10, s17, v10
	v_or_b32_e32 v24, s10, v24
	s_mov_b32 s18, -1
	s_mov_b32 s20, 0
	s_cmp_lt_i32 s15, 1
	s_mov_b32 s21, 0
	s_mov_b32 s22, -1
	s_wait_loadcnt_dscnt 0x0
	s_barrier_signal -1
	s_barrier_wait -1
	global_inv scope:SCOPE_SE
                                        ; implicit-def: $vgpr25
	s_cbranch_scc0 .LBB10_87
; %bb.77:                               ;   in Loop: Header=BB10_7 Depth=1
	s_mov_b32 s22, 0
                                        ; implicit-def: $vgpr25
	s_and_saveexec_b32 s23, s8
	s_cbranch_execz .LBB10_86
; %bb.78:                               ;   in Loop: Header=BB10_7 Depth=1
	v_dual_mov_b32 v1, v11 :: v_dual_mov_b32 v2, v0
                                        ; implicit-def: $sgpr24
	s_branch .LBB10_81
.LBB10_79:                              ;   in Loop: Header=BB10_81 Depth=2
	s_wait_alu 0xfffe
	s_or_b32 exec_lo, exec_lo, s25
	s_wait_loadcnt_dscnt 0x0
	s_barrier_signal -1
	s_barrier_wait -1
	global_inv scope:SCOPE_SE
	ds_load_u16 v3, v14 offset:3072
	s_mov_b32 s25, -1
	s_mov_b32 s26, -1
	s_wait_loadcnt_dscnt 0x0
	s_barrier_signal -1
	s_barrier_wait -1
	global_inv scope:SCOPE_SE
	v_and_b32_e32 v4, 0xff, v3
	s_delay_alu instid0(VALU_DEP_1)
	v_cmp_ne_u32_e32 vcc_lo, 0, v4
	s_cbranch_vccz .LBB10_84
.LBB10_80:                              ;   in Loop: Header=BB10_81 Depth=2
	s_wait_alu 0xfffe
	s_and_b32 s25, exec_lo, s25
	s_wait_alu 0xfffe
	s_or_b32 s21, s25, s21
	s_and_not1_b32 s24, s24, exec_lo
	s_and_b32 s25, s26, exec_lo
	s_wait_alu 0xfffe
	s_or_b32 s24, s24, s25
	s_and_not1_b32 exec_lo, exec_lo, s21
	s_cbranch_execz .LBB10_85
.LBB10_81:                              ;   Parent Loop BB10_7 Depth=1
                                        ; =>  This Inner Loop Header: Depth=2
	s_mov_b32 s25, exec_lo
	s_delay_alu instid0(VALU_DEP_1)
	v_cmpx_gt_i32_e64 s36, v2
	s_cbranch_execz .LBB10_79
; %bb.82:                               ;   in Loop: Header=BB10_81 Depth=2
	v_ashrrev_i32_e32 v4, 31, v1
	v_add_co_u32 v3, vcc_lo, s60, v1
	s_wait_alu 0xfffd
	s_delay_alu instid0(VALU_DEP_2) | instskip(SKIP_3) | instid1(VALU_DEP_1)
	v_add_co_ci_u32_e64 v4, null, s61, v4, vcc_lo
	global_load_u8 v3, v[3:4], off
	s_wait_loadcnt 0x0
	v_bfe_i32 v4, v3, 0, 8
	v_add_nc_u32_e32 v4, 0x80, v4
	s_delay_alu instid0(VALU_DEP_1) | instskip(NEXT) | instid1(VALU_DEP_1)
	v_and_b32_e32 v4, v4, v24
	v_cmp_eq_u32_e32 vcc_lo, v4, v10
	s_and_b32 exec_lo, exec_lo, vcc_lo
	s_cbranch_execz .LBB10_79
; %bb.83:                               ;   in Loop: Header=BB10_81 Depth=2
	v_lshlrev_b16 v3, 8, v3
	s_delay_alu instid0(VALU_DEP_1)
	v_or_b32_e32 v3, 1, v3
	ds_store_b16 v14, v3 offset:3072
	s_branch .LBB10_79
.LBB10_84:                              ;   in Loop: Header=BB10_81 Depth=2
	v_add_nc_u32_e32 v2, s49, v2
	v_add_nc_u32_e32 v1, s74, v1
	s_mov_b32 s26, 0
	s_delay_alu instid0(VALU_DEP_2)
	v_cmp_le_i32_e32 vcc_lo, s82, v2
	s_or_not1_b32 s25, vcc_lo, exec_lo
	s_branch .LBB10_80
.LBB10_85:                              ;   in Loop: Header=BB10_7 Depth=1
	s_or_b32 exec_lo, exec_lo, s21
	v_and_b32_e32 v1, 0xffff, v3
	s_wait_alu 0xfffe
	s_and_b32 s21, s24, exec_lo
	s_delay_alu instid0(VALU_DEP_1)
	v_lshrrev_b32_e32 v25, 8, v1
.LBB10_86:                              ;   in Loop: Header=BB10_7 Depth=1
	s_wait_alu 0xfffe
	s_or_b32 exec_lo, exec_lo, s23
.LBB10_87:                              ;   in Loop: Header=BB10_7 Depth=1
	s_wait_alu 0xfffe
	s_and_b32 vcc_lo, exec_lo, s22
	s_wait_alu 0xfffe
	s_cbranch_vccz .LBB10_98
; %bb.88:                               ;   in Loop: Header=BB10_7 Depth=1
	s_add_co_i32 s20, s15, s56
                                        ; implicit-def: $vgpr25
	s_wait_alu 0xfffe
	s_abs_i32 s58, s20
	s_wait_alu 0xfffe
	s_mul_u64 s[22:23], s[58:59], s[64:65]
	s_ashr_i32 s22, s20, 31
	s_wait_alu 0xfffe
	s_mul_i32 s18, s23, s49
	s_wait_alu 0xfffe
	s_sub_co_i32 s18, s58, s18
	s_wait_alu 0xfffe
	s_sub_co_i32 s23, s18, s49
	s_cmp_ge_u32 s18, s49
	s_wait_alu 0xfffe
	s_cselect_b32 s18, s23, s18
	s_wait_alu 0xfffe
	s_sub_co_i32 s23, s18, s49
	s_cmp_ge_u32 s18, s49
	s_wait_alu 0xfffe
	s_cselect_b32 s18, s23, s18
	s_wait_alu 0xfffe
	s_xor_b32 s18, s18, s22
	s_wait_alu 0xfffe
	s_sub_co_i32 s18, s22, s18
	s_wait_alu 0xfffe
	s_add_co_i32 s20, s20, s18
	s_mov_b32 s18, exec_lo
	s_wait_alu 0xfffe
	v_cmpx_gt_i32_e64 s20, v0
	s_cbranch_execz .LBB10_97
; %bb.89:                               ;   in Loop: Header=BB10_7 Depth=1
	v_mov_b32_e32 v1, v0
	s_mov_b32 s23, 0
                                        ; implicit-def: $sgpr22
	s_branch .LBB10_92
.LBB10_90:                              ;   in Loop: Header=BB10_92 Depth=2
	s_wait_alu 0xfffe
	s_or_b32 exec_lo, exec_lo, s24
	s_wait_loadcnt_dscnt 0x0
	s_barrier_signal -1
	s_barrier_wait -1
	global_inv scope:SCOPE_SE
	ds_load_u16 v2, v14 offset:3072
	s_mov_b32 s25, -1
	s_mov_b32 s24, -1
	s_wait_loadcnt_dscnt 0x0
	s_barrier_signal -1
	s_barrier_wait -1
	global_inv scope:SCOPE_SE
	v_and_b32_e32 v3, 0xff, v2
	s_delay_alu instid0(VALU_DEP_1)
	v_cmp_ne_u32_e32 vcc_lo, 0, v3
	s_cbranch_vccz .LBB10_95
.LBB10_91:                              ;   in Loop: Header=BB10_92 Depth=2
	s_wait_alu 0xfffe
	s_and_b32 s25, exec_lo, s25
	s_wait_alu 0xfffe
	s_or_b32 s23, s25, s23
	s_and_not1_b32 s22, s22, exec_lo
	s_and_b32 s24, s24, exec_lo
	s_wait_alu 0xfffe
	s_or_b32 s22, s22, s24
	s_and_not1_b32 exec_lo, exec_lo, s23
	s_cbranch_execz .LBB10_96
.LBB10_92:                              ;   Parent Loop BB10_7 Depth=1
                                        ; =>  This Inner Loop Header: Depth=2
	s_mov_b32 s24, exec_lo
	s_delay_alu instid0(VALU_DEP_1)
	v_cmpx_gt_i32_e64 s15, v1
	s_cbranch_execz .LBB10_90
; %bb.93:                               ;   in Loop: Header=BB10_92 Depth=2
	ds_load_u8 v2, v1
	s_wait_dscnt 0x0
	v_bfe_i32 v3, v2, 0, 8
	s_delay_alu instid0(VALU_DEP_1) | instskip(NEXT) | instid1(VALU_DEP_1)
	v_add_nc_u32_e32 v3, 0x80, v3
	v_and_b32_e32 v3, v3, v24
	s_delay_alu instid0(VALU_DEP_1)
	v_cmp_eq_u32_e32 vcc_lo, v3, v10
	s_and_b32 exec_lo, exec_lo, vcc_lo
	s_cbranch_execz .LBB10_90
; %bb.94:                               ;   in Loop: Header=BB10_92 Depth=2
	v_lshlrev_b16 v2, 8, v2
	s_delay_alu instid0(VALU_DEP_1)
	v_or_b32_e32 v2, 1, v2
	ds_store_b16 v14, v2 offset:3072
	s_branch .LBB10_90
.LBB10_95:                              ;   in Loop: Header=BB10_92 Depth=2
	v_add_nc_u32_e32 v1, s49, v1
	s_mov_b32 s24, 0
	s_delay_alu instid0(VALU_DEP_1)
	v_cmp_le_i32_e32 vcc_lo, s20, v1
	s_or_not1_b32 s25, vcc_lo, exec_lo
	s_branch .LBB10_91
.LBB10_96:                              ;   in Loop: Header=BB10_7 Depth=1
	s_or_b32 exec_lo, exec_lo, s23
	v_and_b32_e32 v1, 0xffff, v2
	s_and_not1_b32 s15, s21, exec_lo
	s_wait_alu 0xfffe
	s_and_b32 s20, s22, exec_lo
	s_wait_alu 0xfffe
	s_or_b32 s21, s15, s20
	v_lshrrev_b32_e32 v25, 8, v1
.LBB10_97:                              ;   in Loop: Header=BB10_7 Depth=1
	s_or_b32 exec_lo, exec_lo, s18
	s_mov_b32 s18, 0
	s_mov_b32 s20, -1
.LBB10_98:                              ;   in Loop: Header=BB10_7 Depth=1
	s_wait_alu 0xfffe
	s_or_not1_b32 s15, s21, exec_lo
.LBB10_99:                              ;   in Loop: Header=BB10_7 Depth=1
	s_wait_alu 0xfffe
	s_or_b32 exec_lo, exec_lo, s11
	v_readfirstlane_b32 s21, v0
	s_and_not1_b32 s11, s88, exec_lo
	s_and_b32 s20, s20, exec_lo
	s_and_not1_b32 s22, s86, exec_lo
	s_and_b32 s18, s18, exec_lo
	s_and_not1_b32 s85, s85, exec_lo
	s_wait_alu 0xfffe
	s_or_b32 s88, s11, s20
	s_or_b32 s86, s22, s18
                                        ; implicit-def: $vgpr2
	s_and_saveexec_b32 s11, s15
	s_cbranch_execz .LBB10_6
; %bb.100:                              ;   in Loop: Header=BB10_7 Depth=1
	v_dual_mov_b32 v2, 1 :: v_dual_mov_b32 v1, 1
	s_xor_b32 s14, s14, -1
	s_mov_b32 s20, 0
	s_wait_alu 0xfffe
	s_and_saveexec_b32 s13, s14
	s_cbranch_execz .LBB10_109
; %bb.101:                              ;   in Loop: Header=BB10_7 Depth=1
	s_mov_b32 s14, exec_lo
	v_cmpx_ge_i32_e64 s12, v26
	s_wait_alu 0xfffe
	s_xor_b32 s14, exec_lo, s14
	s_cbranch_execz .LBB10_106
; %bb.102:                              ;   in Loop: Header=BB10_7 Depth=1
	ds_load_b32 v1, v14 offset:4096
	v_and_b32_e32 v10, s17, v10
	v_or_b32_e32 v24, s10, v24
	s_wait_dscnt 0x0
	v_cmp_ne_u32_e32 vcc_lo, 0, v1
	s_cbranch_vccnz .LBB10_106
; %bb.103:                              ;   in Loop: Header=BB10_7 Depth=1
	s_and_saveexec_b32 s15, s2
; %bb.104:                              ;   in Loop: Header=BB10_7 Depth=1
	v_mov_b32_e32 v1, s12
	ds_store_b32 v14, v1 offset:4100
; %bb.105:                              ;   in Loop: Header=BB10_7 Depth=1
	s_wait_alu 0xfffe
	s_or_b32 exec_lo, exec_lo, s15
	s_wait_loadcnt_dscnt 0x0
	s_barrier_signal -1
	s_barrier_wait -1
	global_inv scope:SCOPE_SE
.LBB10_106:                             ;   in Loop: Header=BB10_7 Depth=1
	s_wait_alu 0xfffe
	s_or_saveexec_b32 s14, s14
	v_mov_b32_e32 v1, 8
	s_mov_b32 s15, 0
	s_wait_alu 0xfffe
	s_xor_b32 exec_lo, exec_lo, s14
; %bb.107:                              ;   in Loop: Header=BB10_7 Depth=1
	v_subrev_nc_u32_e32 v26, s12, v26
	v_mov_b32_e32 v1, 0
	s_mov_b32 s15, exec_lo
; %bb.108:                              ;   in Loop: Header=BB10_7 Depth=1
	s_or_b32 exec_lo, exec_lo, s14
	s_delay_alu instid0(VALU_DEP_2)
	v_mov_b32_e32 v2, v26
	s_wait_alu 0xfffe
	s_and_b32 s20, s15, exec_lo
.LBB10_109:                             ;   in Loop: Header=BB10_7 Depth=1
	s_wait_alu 0xfffe
	s_or_b32 exec_lo, exec_lo, s13
	s_mov_b32 s12, -1
	s_mov_b32 s18, -1
                                        ; implicit-def: $sgpr14
                                        ; implicit-def: $sgpr15
	s_and_saveexec_b32 s13, s20
	s_wait_alu 0xfffe
	s_xor_b32 s13, exec_lo, s13
	s_cbranch_execz .LBB10_226
; %bb.110:                              ;   in Loop: Header=BB10_7 Depth=1
	v_cmp_eq_u32_e32 vcc_lo, 1, v2
	s_cmp_eq_u32 s19, 1
	s_mov_b32 s21, -1
	s_cselect_b32 s14, -1, 0
                                        ; implicit-def: $sgpr15
	s_wait_alu 0xfffe
	s_and_b32 s20, s14, vcc_lo
                                        ; implicit-def: $sgpr14
	s_wait_alu 0xfffe
	s_and_saveexec_b32 s18, s20
	s_cbranch_execz .LBB10_136
; %bb.111:                              ;   in Loop: Header=BB10_7 Depth=1
	ds_load_b32 v3, v14 offset:4096
	s_wait_loadcnt_dscnt 0x0
	s_barrier_signal -1
	s_barrier_wait -1
	global_inv scope:SCOPE_SE
	v_readfirstlane_b32 s21, v3
	s_and_saveexec_b32 s14, s1
; %bb.112:                              ;   in Loop: Header=BB10_7 Depth=1
	ds_store_b8 v0, v14 offset:3072
; %bb.113:                              ;   in Loop: Header=BB10_7 Depth=1
	s_wait_alu 0xfffe
	s_or_b32 exec_lo, exec_lo, s14
	s_lshl_b32 s14, 1, s90
	v_or_b32_e32 v24, s10, v24
	s_wait_alu 0xfffe
	v_and_or_b32 v10, v10, s17, s14
	s_mov_b32 s14, -1
	s_mov_b32 s15, 0
	s_cmp_gt_i32 s21, 0
	s_mov_b32 s22, 0
	s_mov_b32 s23, -1
	s_wait_loadcnt_dscnt 0x0
	s_barrier_signal -1
	s_barrier_wait -1
	global_inv scope:SCOPE_SE
                                        ; implicit-def: $vgpr25
	s_cbranch_scc1 .LBB10_124
; %bb.114:                              ;   in Loop: Header=BB10_7 Depth=1
	s_mov_b32 s23, 0
                                        ; implicit-def: $vgpr25
	s_and_saveexec_b32 s24, s8
	s_cbranch_execz .LBB10_123
; %bb.115:                              ;   in Loop: Header=BB10_7 Depth=1
	v_dual_mov_b32 v3, v11 :: v_dual_mov_b32 v4, v0
                                        ; implicit-def: $sgpr25
	s_branch .LBB10_118
.LBB10_116:                             ;   in Loop: Header=BB10_118 Depth=2
	s_wait_alu 0xfffe
	s_or_b32 exec_lo, exec_lo, s26
	s_wait_loadcnt_dscnt 0x0
	s_barrier_signal -1
	s_barrier_wait -1
	global_inv scope:SCOPE_SE
	ds_load_u16 v25, v14 offset:3072
	s_mov_b32 s26, -1
	s_mov_b32 s27, -1
	s_wait_loadcnt_dscnt 0x0
	s_barrier_signal -1
	s_barrier_wait -1
	global_inv scope:SCOPE_SE
	v_and_b32_e32 v26, 0xff, v25
	s_delay_alu instid0(VALU_DEP_1)
	v_cmp_ne_u32_e32 vcc_lo, 0, v26
	s_cbranch_vccz .LBB10_121
.LBB10_117:                             ;   in Loop: Header=BB10_118 Depth=2
	s_wait_alu 0xfffe
	s_and_b32 s26, exec_lo, s26
	s_wait_alu 0xfffe
	s_or_b32 s22, s26, s22
	s_and_not1_b32 s25, s25, exec_lo
	s_and_b32 s26, s27, exec_lo
	s_wait_alu 0xfffe
	s_or_b32 s25, s25, s26
	s_and_not1_b32 exec_lo, exec_lo, s22
	s_cbranch_execz .LBB10_122
.LBB10_118:                             ;   Parent Loop BB10_7 Depth=1
                                        ; =>  This Inner Loop Header: Depth=2
	s_mov_b32 s26, exec_lo
	s_delay_alu instid0(VALU_DEP_1)
	v_cmpx_gt_i32_e64 s36, v4
	s_cbranch_execz .LBB10_116
; %bb.119:                              ;   in Loop: Header=BB10_118 Depth=2
	v_ashrrev_i32_e32 v26, 31, v3
	v_add_co_u32 v25, vcc_lo, s60, v3
	s_wait_alu 0xfffd
	s_delay_alu instid0(VALU_DEP_2) | instskip(SKIP_3) | instid1(VALU_DEP_1)
	v_add_co_ci_u32_e64 v26, null, s61, v26, vcc_lo
	global_load_u8 v25, v[25:26], off
	s_wait_loadcnt 0x0
	v_bfe_i32 v26, v25, 0, 8
	v_add_nc_u32_e32 v26, 0x80, v26
	s_delay_alu instid0(VALU_DEP_1) | instskip(NEXT) | instid1(VALU_DEP_1)
	v_and_b32_e32 v26, v26, v24
	v_cmp_eq_u32_e32 vcc_lo, v26, v10
	s_and_b32 exec_lo, exec_lo, vcc_lo
	s_cbranch_execz .LBB10_116
; %bb.120:                              ;   in Loop: Header=BB10_118 Depth=2
	v_lshlrev_b16 v25, 8, v25
	s_delay_alu instid0(VALU_DEP_1)
	v_or_b32_e32 v25, 1, v25
	ds_store_b16 v14, v25 offset:3072
	s_branch .LBB10_116
.LBB10_121:                             ;   in Loop: Header=BB10_118 Depth=2
	v_add_nc_u32_e32 v4, s49, v4
	v_add_nc_u32_e32 v3, s74, v3
	s_mov_b32 s27, 0
	s_delay_alu instid0(VALU_DEP_2)
	v_cmp_le_i32_e32 vcc_lo, s82, v4
	s_or_not1_b32 s26, vcc_lo, exec_lo
	s_branch .LBB10_117
.LBB10_122:                             ;   in Loop: Header=BB10_7 Depth=1
	s_or_b32 exec_lo, exec_lo, s22
	v_and_b32_e32 v3, 0xffff, v25
	s_wait_alu 0xfffe
	s_and_b32 s22, s25, exec_lo
	s_delay_alu instid0(VALU_DEP_1)
	v_lshrrev_b32_e32 v25, 8, v3
.LBB10_123:                             ;   in Loop: Header=BB10_7 Depth=1
	s_wait_alu 0xfffe
	s_or_b32 exec_lo, exec_lo, s24
.LBB10_124:                             ;   in Loop: Header=BB10_7 Depth=1
	s_wait_alu 0xfffe
	s_and_b32 vcc_lo, exec_lo, s23
	s_wait_alu 0xfffe
	s_cbranch_vccz .LBB10_135
; %bb.125:                              ;   in Loop: Header=BB10_7 Depth=1
	s_add_co_i32 s23, s21, s56
                                        ; implicit-def: $vgpr25
	s_wait_alu 0xfffe
	s_abs_i32 s58, s23
	s_wait_alu 0xfffe
	s_mul_u64 s[14:15], s[58:59], s[64:65]
	s_wait_alu 0xfffe
	s_mul_i32 s14, s15, s49
	s_ashr_i32 s15, s23, 31
	s_wait_alu 0xfffe
	s_sub_co_i32 s14, s58, s14
	s_wait_alu 0xfffe
	s_sub_co_i32 s24, s14, s49
	s_cmp_ge_u32 s14, s49
	s_wait_alu 0xfffe
	s_cselect_b32 s14, s24, s14
	s_wait_alu 0xfffe
	s_sub_co_i32 s24, s14, s49
	s_cmp_ge_u32 s14, s49
	s_wait_alu 0xfffe
	s_cselect_b32 s14, s24, s14
	s_wait_alu 0xfffe
	s_xor_b32 s14, s14, s15
	s_wait_alu 0xfffe
	s_sub_co_i32 s14, s15, s14
	s_wait_alu 0xfffe
	s_add_co_i32 s15, s23, s14
	s_mov_b32 s14, exec_lo
	s_wait_alu 0xfffe
	v_cmpx_gt_i32_e64 s15, v0
	s_cbranch_execz .LBB10_134
; %bb.126:                              ;   in Loop: Header=BB10_7 Depth=1
	v_mov_b32_e32 v3, v0
	s_mov_b32 s23, 0
                                        ; implicit-def: $sgpr24
	s_branch .LBB10_129
.LBB10_127:                             ;   in Loop: Header=BB10_129 Depth=2
	s_wait_alu 0xfffe
	s_or_b32 exec_lo, exec_lo, s25
	s_wait_loadcnt_dscnt 0x0
	s_barrier_signal -1
	s_barrier_wait -1
	global_inv scope:SCOPE_SE
	ds_load_u16 v4, v14 offset:3072
	s_mov_b32 s26, -1
	s_mov_b32 s25, -1
	s_wait_loadcnt_dscnt 0x0
	s_barrier_signal -1
	s_barrier_wait -1
	global_inv scope:SCOPE_SE
	v_and_b32_e32 v25, 0xff, v4
	s_delay_alu instid0(VALU_DEP_1)
	v_cmp_eq_u32_e32 vcc_lo, 0, v25
	s_cbranch_vccnz .LBB10_132
.LBB10_128:                             ;   in Loop: Header=BB10_129 Depth=2
	s_wait_alu 0xfffe
	s_and_b32 s26, exec_lo, s26
	s_wait_alu 0xfffe
	s_or_b32 s23, s26, s23
	s_and_not1_b32 s24, s24, exec_lo
	s_and_b32 s25, s25, exec_lo
	s_wait_alu 0xfffe
	s_or_b32 s24, s24, s25
	s_and_not1_b32 exec_lo, exec_lo, s23
	s_cbranch_execz .LBB10_133
.LBB10_129:                             ;   Parent Loop BB10_7 Depth=1
                                        ; =>  This Inner Loop Header: Depth=2
	s_mov_b32 s25, exec_lo
	s_delay_alu instid0(VALU_DEP_1)
	v_cmpx_gt_i32_e64 s21, v3
	s_cbranch_execz .LBB10_127
; %bb.130:                              ;   in Loop: Header=BB10_129 Depth=2
	ds_load_u8 v4, v3
	s_wait_dscnt 0x0
	v_bfe_i32 v25, v4, 0, 8
	s_delay_alu instid0(VALU_DEP_1) | instskip(NEXT) | instid1(VALU_DEP_1)
	v_add_nc_u32_e32 v25, 0x80, v25
	v_and_b32_e32 v25, v25, v24
	s_delay_alu instid0(VALU_DEP_1)
	v_cmp_eq_u32_e32 vcc_lo, v25, v10
	s_and_b32 exec_lo, exec_lo, vcc_lo
	s_cbranch_execz .LBB10_127
; %bb.131:                              ;   in Loop: Header=BB10_129 Depth=2
	v_lshlrev_b16 v4, 8, v4
	s_delay_alu instid0(VALU_DEP_1)
	v_or_b32_e32 v4, 1, v4
	ds_store_b16 v14, v4 offset:3072
	s_branch .LBB10_127
.LBB10_132:                             ;   in Loop: Header=BB10_129 Depth=2
	v_add_nc_u32_e32 v3, s49, v3
	s_mov_b32 s25, 0
	s_delay_alu instid0(VALU_DEP_1)
	v_cmp_le_i32_e32 vcc_lo, s15, v3
	s_or_not1_b32 s26, vcc_lo, exec_lo
	s_branch .LBB10_128
.LBB10_133:                             ;   in Loop: Header=BB10_7 Depth=1
	s_or_b32 exec_lo, exec_lo, s23
	v_and_b32_e32 v3, 0xffff, v4
	s_and_not1_b32 s15, s22, exec_lo
	s_wait_alu 0xfffe
	s_and_b32 s21, s24, exec_lo
	s_wait_alu 0xfffe
	s_or_b32 s22, s15, s21
	v_lshrrev_b32_e32 v25, 8, v3
.LBB10_134:                             ;   in Loop: Header=BB10_7 Depth=1
	s_or_b32 exec_lo, exec_lo, s14
	s_mov_b32 s14, 0
	s_mov_b32 s15, -1
.LBB10_135:                             ;   in Loop: Header=BB10_7 Depth=1
	s_wait_alu 0xfffe
	s_or_not1_b32 s21, s22, exec_lo
.LBB10_136:                             ;   in Loop: Header=BB10_7 Depth=1
	s_wait_alu 0xfffe
	s_or_b32 exec_lo, exec_lo, s18
	s_mov_b32 s22, 0
	s_and_saveexec_b32 s18, s21
	s_cbranch_execz .LBB10_225
; %bb.137:                              ;   in Loop: Header=BB10_7 Depth=1
	v_mov_b32_e32 v3, 1
	v_mov_b32_e32 v1, 1
	s_xor_b32 s21, s20, -1
	s_mov_b32 s23, 0
	s_wait_alu 0xfffe
	s_and_saveexec_b32 s20, s21
	s_cbranch_execz .LBB10_146
; %bb.138:                              ;   in Loop: Header=BB10_7 Depth=1
	s_mov_b32 s21, exec_lo
	v_cmpx_ge_i32_e64 s19, v2
	s_wait_alu 0xfffe
	s_xor_b32 s21, exec_lo, s21
	s_cbranch_execz .LBB10_143
; %bb.139:                              ;   in Loop: Header=BB10_7 Depth=1
	ds_load_b32 v1, v14 offset:4096
	s_lshl_b32 s22, 1, s90
	v_or_b32_e32 v24, s10, v24
	s_wait_alu 0xfffe
	v_and_or_b32 v10, v10, s17, s22
	s_wait_dscnt 0x0
	v_cmp_ne_u32_e32 vcc_lo, 0, v1
	s_cbranch_vccnz .LBB10_143
; %bb.140:                              ;   in Loop: Header=BB10_7 Depth=1
	s_and_saveexec_b32 s22, s2
; %bb.141:                              ;   in Loop: Header=BB10_7 Depth=1
	v_mov_b32_e32 v1, s19
	ds_store_b32 v14, v1 offset:4100
; %bb.142:                              ;   in Loop: Header=BB10_7 Depth=1
	s_wait_alu 0xfffe
	s_or_b32 exec_lo, exec_lo, s22
	s_wait_loadcnt_dscnt 0x0
	s_barrier_signal -1
	s_barrier_wait -1
	global_inv scope:SCOPE_SE
.LBB10_143:                             ;   in Loop: Header=BB10_7 Depth=1
	s_wait_alu 0xfffe
	s_or_saveexec_b32 s21, s21
	v_mov_b32_e32 v1, 8
	s_mov_b32 s22, 0
	s_wait_alu 0xfffe
	s_xor_b32 exec_lo, exec_lo, s21
; %bb.144:                              ;   in Loop: Header=BB10_7 Depth=1
	v_subrev_nc_u32_e32 v2, s19, v2
	v_mov_b32_e32 v1, 0
	s_mov_b32 s22, exec_lo
; %bb.145:                              ;   in Loop: Header=BB10_7 Depth=1
	s_or_b32 exec_lo, exec_lo, s21
	s_delay_alu instid0(VALU_DEP_2)
	v_mov_b32_e32 v3, v2
	s_wait_alu 0xfffe
	s_and_b32 s23, s22, exec_lo
.LBB10_146:                             ;   in Loop: Header=BB10_7 Depth=1
	s_wait_alu 0xfffe
	s_or_b32 exec_lo, exec_lo, s20
	s_mov_b32 s22, -1
                                        ; implicit-def: $sgpr20
                                        ; implicit-def: $sgpr21
	s_and_saveexec_b32 s19, s23
	s_cbranch_execz .LBB10_224
; %bb.147:                              ;   in Loop: Header=BB10_7 Depth=1
	v_cmp_eq_u32_e32 vcc_lo, 1, v3
	s_cmp_eq_u32 s16, 1
	s_mov_b32 s24, -1
	s_cselect_b32 s20, -1, 0
                                        ; implicit-def: $sgpr21
	s_wait_alu 0xfffe
	s_and_b32 s23, s20, vcc_lo
                                        ; implicit-def: $sgpr20
	s_wait_alu 0xfffe
	s_and_saveexec_b32 s22, s23
	s_cbranch_execz .LBB10_173
; %bb.148:                              ;   in Loop: Header=BB10_7 Depth=1
	ds_load_b32 v2, v14 offset:4096
	s_wait_loadcnt_dscnt 0x0
	s_barrier_signal -1
	s_barrier_wait -1
	global_inv scope:SCOPE_SE
	v_readfirstlane_b32 s24, v2
	s_and_saveexec_b32 s20, s1
; %bb.149:                              ;   in Loop: Header=BB10_7 Depth=1
	ds_store_b8 v0, v14 offset:3072
; %bb.150:                              ;   in Loop: Header=BB10_7 Depth=1
	s_wait_alu 0xfffe
	s_or_b32 exec_lo, exec_lo, s20
	s_lshl_b32 s20, 2, s90
	v_or_b32_e32 v24, s10, v24
	s_wait_alu 0xfffe
	v_and_or_b32 v10, v10, s17, s20
	s_mov_b32 s20, -1
	s_mov_b32 s21, 0
	s_cmp_gt_i32 s24, 0
	s_mov_b32 s25, 0
	s_mov_b32 s26, -1
	s_wait_loadcnt_dscnt 0x0
	s_barrier_signal -1
	s_barrier_wait -1
	global_inv scope:SCOPE_SE
                                        ; implicit-def: $vgpr25
	s_cbranch_scc1 .LBB10_161
; %bb.151:                              ;   in Loop: Header=BB10_7 Depth=1
	s_mov_b32 s26, 0
                                        ; implicit-def: $vgpr25
	s_and_saveexec_b32 s27, s8
	s_cbranch_execz .LBB10_160
; %bb.152:                              ;   in Loop: Header=BB10_7 Depth=1
	v_mov_b32_e32 v2, v11
	v_mov_b32_e32 v4, v0
                                        ; implicit-def: $sgpr28
	s_branch .LBB10_155
.LBB10_153:                             ;   in Loop: Header=BB10_155 Depth=2
	s_wait_alu 0xfffe
	s_or_b32 exec_lo, exec_lo, s58
	s_wait_loadcnt_dscnt 0x0
	s_barrier_signal -1
	s_barrier_wait -1
	global_inv scope:SCOPE_SE
	ds_load_u16 v25, v14 offset:3072
	s_mov_b32 s58, -1
	s_mov_b32 s91, -1
	s_wait_loadcnt_dscnt 0x0
	s_barrier_signal -1
	s_barrier_wait -1
	global_inv scope:SCOPE_SE
	v_and_b32_e32 v26, 0xff, v25
	s_delay_alu instid0(VALU_DEP_1)
	v_cmp_ne_u32_e32 vcc_lo, 0, v26
	s_cbranch_vccz .LBB10_158
.LBB10_154:                             ;   in Loop: Header=BB10_155 Depth=2
	s_wait_alu 0xfffe
	s_and_b32 s58, exec_lo, s58
	s_wait_alu 0xfffe
	s_or_b32 s25, s58, s25
	s_and_not1_b32 s28, s28, exec_lo
	s_and_b32 s58, s91, exec_lo
	s_wait_alu 0xfffe
	s_or_b32 s28, s28, s58
	s_and_not1_b32 exec_lo, exec_lo, s25
	s_cbranch_execz .LBB10_159
.LBB10_155:                             ;   Parent Loop BB10_7 Depth=1
                                        ; =>  This Inner Loop Header: Depth=2
	s_mov_b32 s58, exec_lo
	s_delay_alu instid0(VALU_DEP_1)
	v_cmpx_gt_i32_e64 s36, v4
	s_cbranch_execz .LBB10_153
; %bb.156:                              ;   in Loop: Header=BB10_155 Depth=2
	v_ashrrev_i32_e32 v26, 31, v2
	v_add_co_u32 v25, vcc_lo, s60, v2
	s_wait_alu 0xfffd
	s_delay_alu instid0(VALU_DEP_2) | instskip(SKIP_3) | instid1(VALU_DEP_1)
	v_add_co_ci_u32_e64 v26, null, s61, v26, vcc_lo
	global_load_u8 v25, v[25:26], off
	s_wait_loadcnt 0x0
	v_bfe_i32 v26, v25, 0, 8
	v_add_nc_u32_e32 v26, 0x80, v26
	s_delay_alu instid0(VALU_DEP_1) | instskip(NEXT) | instid1(VALU_DEP_1)
	v_and_b32_e32 v26, v26, v24
	v_cmp_eq_u32_e32 vcc_lo, v26, v10
	s_and_b32 exec_lo, exec_lo, vcc_lo
	s_cbranch_execz .LBB10_153
; %bb.157:                              ;   in Loop: Header=BB10_155 Depth=2
	v_lshlrev_b16 v25, 8, v25
	s_delay_alu instid0(VALU_DEP_1)
	v_or_b32_e32 v25, 1, v25
	ds_store_b16 v14, v25 offset:3072
	s_branch .LBB10_153
.LBB10_158:                             ;   in Loop: Header=BB10_155 Depth=2
	v_add_nc_u32_e32 v4, s49, v4
	v_add_nc_u32_e32 v2, s74, v2
	s_mov_b32 s91, 0
	s_delay_alu instid0(VALU_DEP_2)
	v_cmp_le_i32_e32 vcc_lo, s82, v4
	s_or_not1_b32 s58, vcc_lo, exec_lo
	s_branch .LBB10_154
.LBB10_159:                             ;   in Loop: Header=BB10_7 Depth=1
	s_or_b32 exec_lo, exec_lo, s25
	v_and_b32_e32 v2, 0xffff, v25
	s_and_b32 s25, s28, exec_lo
	s_delay_alu instid0(VALU_DEP_1)
	v_lshrrev_b32_e32 v25, 8, v2
.LBB10_160:                             ;   in Loop: Header=BB10_7 Depth=1
	s_wait_alu 0xfffe
	s_or_b32 exec_lo, exec_lo, s27
.LBB10_161:                             ;   in Loop: Header=BB10_7 Depth=1
	s_wait_alu 0xfffe
	s_and_b32 vcc_lo, exec_lo, s26
	s_wait_alu 0xfffe
	s_cbranch_vccz .LBB10_172
; %bb.162:                              ;   in Loop: Header=BB10_7 Depth=1
	s_add_co_i32 s26, s24, s56
                                        ; implicit-def: $vgpr25
	s_wait_alu 0xfffe
	s_abs_i32 s58, s26
	s_wait_alu 0xfffe
	s_mul_u64 s[20:21], s[58:59], s[64:65]
	s_wait_alu 0xfffe
	s_mul_i32 s20, s21, s49
	s_ashr_i32 s21, s26, 31
	s_wait_alu 0xfffe
	s_sub_co_i32 s20, s58, s20
	s_wait_alu 0xfffe
	s_sub_co_i32 s27, s20, s49
	s_cmp_ge_u32 s20, s49
	s_wait_alu 0xfffe
	s_cselect_b32 s20, s27, s20
	s_wait_alu 0xfffe
	s_sub_co_i32 s27, s20, s49
	s_cmp_ge_u32 s20, s49
	s_wait_alu 0xfffe
	s_cselect_b32 s20, s27, s20
	s_wait_alu 0xfffe
	s_xor_b32 s20, s20, s21
	s_wait_alu 0xfffe
	s_sub_co_i32 s20, s21, s20
	s_wait_alu 0xfffe
	s_add_co_i32 s21, s26, s20
	s_mov_b32 s20, exec_lo
	s_wait_alu 0xfffe
	v_cmpx_gt_i32_e64 s21, v0
	s_cbranch_execz .LBB10_171
; %bb.163:                              ;   in Loop: Header=BB10_7 Depth=1
	v_mov_b32_e32 v2, v0
	s_mov_b32 s26, 0
                                        ; implicit-def: $sgpr27
	s_branch .LBB10_166
.LBB10_164:                             ;   in Loop: Header=BB10_166 Depth=2
	s_or_b32 exec_lo, exec_lo, s28
	s_wait_loadcnt_dscnt 0x0
	s_barrier_signal -1
	s_barrier_wait -1
	global_inv scope:SCOPE_SE
	ds_load_u16 v4, v14 offset:3072
	s_mov_b32 s58, -1
	s_mov_b32 s28, -1
	s_wait_loadcnt_dscnt 0x0
	s_barrier_signal -1
	s_barrier_wait -1
	global_inv scope:SCOPE_SE
	v_and_b32_e32 v25, 0xff, v4
	s_delay_alu instid0(VALU_DEP_1)
	v_cmp_eq_u32_e32 vcc_lo, 0, v25
	s_cbranch_vccnz .LBB10_169
.LBB10_165:                             ;   in Loop: Header=BB10_166 Depth=2
	s_wait_alu 0xfffe
	s_and_b32 s58, exec_lo, s58
	s_wait_alu 0xfffe
	s_or_b32 s26, s58, s26
	s_and_not1_b32 s27, s27, exec_lo
	s_and_b32 s28, s28, exec_lo
	s_wait_alu 0xfffe
	s_or_b32 s27, s27, s28
	s_and_not1_b32 exec_lo, exec_lo, s26
	s_cbranch_execz .LBB10_170
.LBB10_166:                             ;   Parent Loop BB10_7 Depth=1
                                        ; =>  This Inner Loop Header: Depth=2
	s_mov_b32 s28, exec_lo
	s_delay_alu instid0(VALU_DEP_1)
	v_cmpx_gt_i32_e64 s24, v2
	s_cbranch_execz .LBB10_164
; %bb.167:                              ;   in Loop: Header=BB10_166 Depth=2
	ds_load_u8 v4, v2
	s_wait_dscnt 0x0
	v_bfe_i32 v25, v4, 0, 8
	s_delay_alu instid0(VALU_DEP_1) | instskip(NEXT) | instid1(VALU_DEP_1)
	v_add_nc_u32_e32 v25, 0x80, v25
	v_and_b32_e32 v25, v25, v24
	s_delay_alu instid0(VALU_DEP_1)
	v_cmp_eq_u32_e32 vcc_lo, v25, v10
	s_and_b32 exec_lo, exec_lo, vcc_lo
	s_cbranch_execz .LBB10_164
; %bb.168:                              ;   in Loop: Header=BB10_166 Depth=2
	v_lshlrev_b16 v4, 8, v4
	s_delay_alu instid0(VALU_DEP_1)
	v_or_b32_e32 v4, 1, v4
	ds_store_b16 v14, v4 offset:3072
	s_branch .LBB10_164
.LBB10_169:                             ;   in Loop: Header=BB10_166 Depth=2
	v_add_nc_u32_e32 v2, s49, v2
	s_mov_b32 s28, 0
	s_delay_alu instid0(VALU_DEP_1)
	v_cmp_le_i32_e32 vcc_lo, s21, v2
	s_or_not1_b32 s58, vcc_lo, exec_lo
	s_branch .LBB10_165
.LBB10_170:                             ;   in Loop: Header=BB10_7 Depth=1
	s_or_b32 exec_lo, exec_lo, s26
	v_and_b32_e32 v2, 0xffff, v4
	s_and_not1_b32 s21, s25, exec_lo
	s_wait_alu 0xfffe
	s_and_b32 s24, s27, exec_lo
	s_wait_alu 0xfffe
	s_or_b32 s25, s21, s24
	v_lshrrev_b32_e32 v25, 8, v2
.LBB10_171:                             ;   in Loop: Header=BB10_7 Depth=1
	s_or_b32 exec_lo, exec_lo, s20
	s_mov_b32 s20, 0
	s_mov_b32 s21, -1
.LBB10_172:                             ;   in Loop: Header=BB10_7 Depth=1
	s_wait_alu 0xfffe
	s_or_not1_b32 s24, s25, exec_lo
.LBB10_173:                             ;   in Loop: Header=BB10_7 Depth=1
	s_wait_alu 0xfffe
	s_or_b32 exec_lo, exec_lo, s22
	s_mov_b32 s25, 0
	s_and_saveexec_b32 s22, s24
	s_cbranch_execz .LBB10_223
; %bb.174:                              ;   in Loop: Header=BB10_7 Depth=1
	v_dual_mov_b32 v2, 1 :: v_dual_mov_b32 v1, 1
	s_xor_b32 s24, s23, -1
	s_wait_alu 0xfffe
	s_and_saveexec_b32 s23, s24
	s_cbranch_execz .LBB10_183
; %bb.175:                              ;   in Loop: Header=BB10_7 Depth=1
	s_mov_b32 s24, exec_lo
	v_cmpx_ge_i32_e64 s16, v3
	s_wait_alu 0xfffe
	s_xor_b32 s24, exec_lo, s24
	s_cbranch_execz .LBB10_180
; %bb.176:                              ;   in Loop: Header=BB10_7 Depth=1
	ds_load_b32 v1, v14 offset:4096
	s_lshl_b32 s25, 2, s90
	v_or_b32_e32 v24, s10, v24
	s_wait_alu 0xfffe
	v_and_or_b32 v10, v10, s17, s25
	s_wait_dscnt 0x0
	v_cmp_ne_u32_e32 vcc_lo, 0, v1
	s_cbranch_vccnz .LBB10_180
; %bb.177:                              ;   in Loop: Header=BB10_7 Depth=1
	s_and_saveexec_b32 s17, s2
; %bb.178:                              ;   in Loop: Header=BB10_7 Depth=1
	v_mov_b32_e32 v1, s16
	ds_store_b32 v14, v1 offset:4100
; %bb.179:                              ;   in Loop: Header=BB10_7 Depth=1
	s_wait_alu 0xfffe
	s_or_b32 exec_lo, exec_lo, s17
	s_wait_loadcnt_dscnt 0x0
	s_barrier_signal -1
	s_barrier_wait -1
	global_inv scope:SCOPE_SE
.LBB10_180:                             ;   in Loop: Header=BB10_7 Depth=1
	s_wait_alu 0xfffe
	s_or_saveexec_b32 s17, s24
	v_mov_b32_e32 v1, 8
	s_mov_b32 s24, 0
	s_wait_alu 0xfffe
	s_xor_b32 exec_lo, exec_lo, s17
; %bb.181:                              ;   in Loop: Header=BB10_7 Depth=1
	v_subrev_nc_u32_e32 v3, s16, v3
	v_mov_b32_e32 v1, 0
	s_mov_b32 s24, exec_lo
; %bb.182:                              ;   in Loop: Header=BB10_7 Depth=1
	s_or_b32 exec_lo, exec_lo, s17
	s_delay_alu instid0(VALU_DEP_2)
	v_mov_b32_e32 v2, v3
	s_wait_alu 0xfffe
	s_and_b32 s25, s24, exec_lo
.LBB10_183:                             ;   in Loop: Header=BB10_7 Depth=1
	s_wait_alu 0xfffe
	s_or_b32 exec_lo, exec_lo, s23
	s_mov_b32 s17, -1
                                        ; implicit-def: $sgpr24
                                        ; implicit-def: $sgpr23
	s_and_saveexec_b32 s16, s25
	s_cbranch_execz .LBB10_222
; %bb.184:                              ;   in Loop: Header=BB10_7 Depth=1
	v_cmp_eq_u32_e32 vcc_lo, 1, v2
	s_cmp_eq_u32 s9, 1
	s_mov_b32 s26, -1
	s_cselect_b32 s17, -1, 0
                                        ; implicit-def: $sgpr24
                                        ; implicit-def: $sgpr23
	s_wait_alu 0xfffe
	s_and_b32 s17, s17, vcc_lo
	s_wait_alu 0xfffe
	s_and_saveexec_b32 s25, s17
	s_cbranch_execz .LBB10_210
; %bb.185:                              ;   in Loop: Header=BB10_7 Depth=1
	ds_load_b32 v3, v14 offset:4096
	s_wait_loadcnt_dscnt 0x0
	s_barrier_signal -1
	s_barrier_wait -1
	global_inv scope:SCOPE_SE
	v_readfirstlane_b32 s26, v3
	s_and_saveexec_b32 s23, s1
; %bb.186:                              ;   in Loop: Header=BB10_7 Depth=1
	ds_store_b8 v0, v14 offset:3072
; %bb.187:                              ;   in Loop: Header=BB10_7 Depth=1
	s_wait_alu 0xfffe
	s_or_b32 exec_lo, exec_lo, s23
	v_or_b32_e32 v10, s10, v10
	v_or_b32_e32 v24, s10, v24
	s_mov_b32 s23, -1
	s_mov_b32 s24, 0
	s_cmp_gt_i32 s26, 0
	s_mov_b32 s27, 0
	s_mov_b32 s28, -1
	s_wait_loadcnt_dscnt 0x0
	s_barrier_signal -1
	s_barrier_wait -1
	global_inv scope:SCOPE_SE
                                        ; implicit-def: $vgpr25
	s_cbranch_scc1 .LBB10_198
; %bb.188:                              ;   in Loop: Header=BB10_7 Depth=1
	s_mov_b32 s28, 0
                                        ; implicit-def: $vgpr25
	s_and_saveexec_b32 s58, s8
	s_cbranch_execz .LBB10_197
; %bb.189:                              ;   in Loop: Header=BB10_7 Depth=1
	v_dual_mov_b32 v3, v11 :: v_dual_mov_b32 v4, v0
                                        ; implicit-def: $sgpr91
	s_branch .LBB10_192
.LBB10_190:                             ;   in Loop: Header=BB10_192 Depth=2
	s_wait_alu 0xfffe
	s_or_b32 exec_lo, exec_lo, s92
	s_wait_loadcnt_dscnt 0x0
	s_barrier_signal -1
	s_barrier_wait -1
	global_inv scope:SCOPE_SE
	ds_load_u16 v25, v14 offset:3072
	s_mov_b32 s92, -1
	s_mov_b32 s93, -1
	s_wait_loadcnt_dscnt 0x0
	s_barrier_signal -1
	s_barrier_wait -1
	global_inv scope:SCOPE_SE
	v_and_b32_e32 v26, 0xff, v25
	s_delay_alu instid0(VALU_DEP_1)
	v_cmp_ne_u32_e32 vcc_lo, 0, v26
	s_cbranch_vccz .LBB10_195
.LBB10_191:                             ;   in Loop: Header=BB10_192 Depth=2
	s_wait_alu 0xfffe
	s_and_b32 s92, exec_lo, s92
	s_wait_alu 0xfffe
	s_or_b32 s27, s92, s27
	s_and_not1_b32 s91, s91, exec_lo
	s_and_b32 s92, s93, exec_lo
	s_wait_alu 0xfffe
	s_or_b32 s91, s91, s92
	s_and_not1_b32 exec_lo, exec_lo, s27
	s_cbranch_execz .LBB10_196
.LBB10_192:                             ;   Parent Loop BB10_7 Depth=1
                                        ; =>  This Inner Loop Header: Depth=2
	s_mov_b32 s92, exec_lo
	s_delay_alu instid0(VALU_DEP_1)
	v_cmpx_gt_i32_e64 s36, v4
	s_cbranch_execz .LBB10_190
; %bb.193:                              ;   in Loop: Header=BB10_192 Depth=2
	v_ashrrev_i32_e32 v26, 31, v3
	v_add_co_u32 v25, vcc_lo, s60, v3
	s_wait_alu 0xfffd
	s_delay_alu instid0(VALU_DEP_2) | instskip(SKIP_3) | instid1(VALU_DEP_1)
	v_add_co_ci_u32_e64 v26, null, s61, v26, vcc_lo
	global_load_u8 v25, v[25:26], off
	s_wait_loadcnt 0x0
	v_bfe_i32 v26, v25, 0, 8
	v_add_nc_u32_e32 v26, 0x80, v26
	s_delay_alu instid0(VALU_DEP_1) | instskip(NEXT) | instid1(VALU_DEP_1)
	v_and_b32_e32 v26, v26, v24
	v_cmp_eq_u32_e32 vcc_lo, v26, v10
	s_and_b32 exec_lo, exec_lo, vcc_lo
	s_cbranch_execz .LBB10_190
; %bb.194:                              ;   in Loop: Header=BB10_192 Depth=2
	v_lshlrev_b16 v25, 8, v25
	s_delay_alu instid0(VALU_DEP_1)
	v_or_b32_e32 v25, 1, v25
	ds_store_b16 v14, v25 offset:3072
	s_branch .LBB10_190
.LBB10_195:                             ;   in Loop: Header=BB10_192 Depth=2
	v_add_nc_u32_e32 v4, s49, v4
	v_add_nc_u32_e32 v3, s74, v3
	s_mov_b32 s93, 0
	s_delay_alu instid0(VALU_DEP_2)
	v_cmp_le_i32_e32 vcc_lo, s82, v4
	s_or_not1_b32 s92, vcc_lo, exec_lo
	s_branch .LBB10_191
.LBB10_196:                             ;   in Loop: Header=BB10_7 Depth=1
	s_or_b32 exec_lo, exec_lo, s27
	v_and_b32_e32 v3, 0xffff, v25
	s_wait_alu 0xfffe
	s_and_b32 s27, s91, exec_lo
	s_delay_alu instid0(VALU_DEP_1)
	v_lshrrev_b32_e32 v25, 8, v3
.LBB10_197:                             ;   in Loop: Header=BB10_7 Depth=1
	s_wait_alu 0xfffe
	s_or_b32 exec_lo, exec_lo, s58
.LBB10_198:                             ;   in Loop: Header=BB10_7 Depth=1
	s_delay_alu instid0(SALU_CYCLE_1)
	s_and_b32 vcc_lo, exec_lo, s28
	s_wait_alu 0xfffe
	s_cbranch_vccz .LBB10_209
; %bb.199:                              ;   in Loop: Header=BB10_7 Depth=1
	s_add_co_i32 s24, s26, s56
                                        ; implicit-def: $vgpr25
	s_wait_alu 0xfffe
	s_abs_i32 s58, s24
	s_ashr_i32 s28, s24, 31
	s_wait_alu 0xfffe
	s_mul_u64 s[92:93], s[58:59], s[64:65]
	s_wait_alu 0xfffe
	s_mul_i32 s23, s93, s49
	s_wait_alu 0xfffe
	s_sub_co_i32 s23, s58, s23
	s_wait_alu 0xfffe
	s_sub_co_i32 s58, s23, s49
	s_cmp_ge_u32 s23, s49
	s_wait_alu 0xfffe
	s_cselect_b32 s23, s58, s23
	s_wait_alu 0xfffe
	s_sub_co_i32 s58, s23, s49
	s_cmp_ge_u32 s23, s49
	s_wait_alu 0xfffe
	s_cselect_b32 s23, s58, s23
	s_wait_alu 0xfffe
	s_xor_b32 s23, s23, s28
	s_wait_alu 0xfffe
	s_sub_co_i32 s23, s28, s23
	s_wait_alu 0xfffe
	s_add_co_i32 s24, s24, s23
	s_mov_b32 s23, exec_lo
	s_wait_alu 0xfffe
	v_cmpx_gt_i32_e64 s24, v0
	s_cbranch_execz .LBB10_208
; %bb.200:                              ;   in Loop: Header=BB10_7 Depth=1
	v_mov_b32_e32 v3, v0
	s_mov_b32 s28, 0
                                        ; implicit-def: $sgpr58
	s_branch .LBB10_203
.LBB10_201:                             ;   in Loop: Header=BB10_203 Depth=2
	s_wait_alu 0xfffe
	s_or_b32 exec_lo, exec_lo, s91
	s_wait_loadcnt_dscnt 0x0
	s_barrier_signal -1
	s_barrier_wait -1
	global_inv scope:SCOPE_SE
	ds_load_u16 v4, v14 offset:3072
	s_mov_b32 s92, -1
	s_mov_b32 s91, -1
	s_wait_loadcnt_dscnt 0x0
	s_barrier_signal -1
	s_barrier_wait -1
	global_inv scope:SCOPE_SE
	v_and_b32_e32 v25, 0xff, v4
	s_delay_alu instid0(VALU_DEP_1)
	v_cmp_eq_u32_e32 vcc_lo, 0, v25
	s_cbranch_vccnz .LBB10_206
.LBB10_202:                             ;   in Loop: Header=BB10_203 Depth=2
	s_wait_alu 0xfffe
	s_and_b32 s92, exec_lo, s92
	s_wait_alu 0xfffe
	s_or_b32 s28, s92, s28
	s_and_not1_b32 s58, s58, exec_lo
	s_and_b32 s91, s91, exec_lo
	s_wait_alu 0xfffe
	s_or_b32 s58, s58, s91
	s_and_not1_b32 exec_lo, exec_lo, s28
	s_cbranch_execz .LBB10_207
.LBB10_203:                             ;   Parent Loop BB10_7 Depth=1
                                        ; =>  This Inner Loop Header: Depth=2
	s_mov_b32 s91, exec_lo
	s_delay_alu instid0(VALU_DEP_1)
	v_cmpx_gt_i32_e64 s26, v3
	s_cbranch_execz .LBB10_201
; %bb.204:                              ;   in Loop: Header=BB10_203 Depth=2
	ds_load_u8 v4, v3
	s_wait_dscnt 0x0
	v_bfe_i32 v25, v4, 0, 8
	s_delay_alu instid0(VALU_DEP_1) | instskip(NEXT) | instid1(VALU_DEP_1)
	v_add_nc_u32_e32 v25, 0x80, v25
	v_and_b32_e32 v25, v25, v24
	s_delay_alu instid0(VALU_DEP_1)
	v_cmp_eq_u32_e32 vcc_lo, v25, v10
	s_and_b32 exec_lo, exec_lo, vcc_lo
	s_cbranch_execz .LBB10_201
; %bb.205:                              ;   in Loop: Header=BB10_203 Depth=2
	v_lshlrev_b16 v4, 8, v4
	s_delay_alu instid0(VALU_DEP_1)
	v_or_b32_e32 v4, 1, v4
	ds_store_b16 v14, v4 offset:3072
	s_branch .LBB10_201
.LBB10_206:                             ;   in Loop: Header=BB10_203 Depth=2
	v_add_nc_u32_e32 v3, s49, v3
	s_mov_b32 s91, 0
	s_delay_alu instid0(VALU_DEP_1)
	v_cmp_le_i32_e32 vcc_lo, s24, v3
	s_or_not1_b32 s92, vcc_lo, exec_lo
	s_branch .LBB10_202
.LBB10_207:                             ;   in Loop: Header=BB10_7 Depth=1
	s_or_b32 exec_lo, exec_lo, s28
	v_and_b32_e32 v3, 0xffff, v4
	s_and_not1_b32 s24, s27, exec_lo
	s_wait_alu 0xfffe
	s_and_b32 s26, s58, exec_lo
	s_wait_alu 0xfffe
	s_or_b32 s27, s24, s26
	v_lshrrev_b32_e32 v25, 8, v3
.LBB10_208:                             ;   in Loop: Header=BB10_7 Depth=1
	s_or_b32 exec_lo, exec_lo, s23
	s_mov_b32 s23, 0
	s_mov_b32 s24, -1
.LBB10_209:                             ;   in Loop: Header=BB10_7 Depth=1
	s_wait_alu 0xfffe
	s_or_not1_b32 s26, s27, exec_lo
.LBB10_210:                             ;   in Loop: Header=BB10_7 Depth=1
	s_wait_alu 0xfffe
	s_or_b32 exec_lo, exec_lo, s25
	s_mov_b32 s27, 0
	s_and_saveexec_b32 s25, s26
	s_cbranch_execz .LBB10_221
; %bb.211:                              ;   in Loop: Header=BB10_7 Depth=1
	v_mov_b32_e32 v1, 1
	v_mov_b32_e32 v3, 1
	s_xor_b32 s26, s17, -1
	s_wait_alu 0xfffe
	s_and_saveexec_b32 s17, s26
	s_cbranch_execz .LBB10_220
; %bb.212:                              ;   in Loop: Header=BB10_7 Depth=1
	s_mov_b32 s26, exec_lo
	v_cmpx_ge_i32_e64 s9, v2
	s_wait_alu 0xfffe
	s_xor_b32 s26, exec_lo, s26
	s_cbranch_execz .LBB10_217
; %bb.213:                              ;   in Loop: Header=BB10_7 Depth=1
	ds_load_b32 v1, v14 offset:4096
	v_or_b32_e32 v10, s10, v10
	v_or_b32_e32 v24, s10, v24
	s_wait_dscnt 0x0
	v_cmp_ne_u32_e32 vcc_lo, 0, v1
	s_cbranch_vccnz .LBB10_217
; %bb.214:                              ;   in Loop: Header=BB10_7 Depth=1
	s_and_saveexec_b32 s10, s2
; %bb.215:                              ;   in Loop: Header=BB10_7 Depth=1
	v_mov_b32_e32 v1, s9
	ds_store_b32 v14, v1 offset:4100
; %bb.216:                              ;   in Loop: Header=BB10_7 Depth=1
	s_wait_alu 0xfffe
	s_or_b32 exec_lo, exec_lo, s10
	s_wait_loadcnt_dscnt 0x0
	s_barrier_signal -1
	s_barrier_wait -1
	global_inv scope:SCOPE_SE
.LBB10_217:                             ;   in Loop: Header=BB10_7 Depth=1
	s_wait_alu 0xfffe
	s_and_not1_saveexec_b32 s10, s26
; %bb.218:                              ;   in Loop: Header=BB10_7 Depth=1
	v_subrev_nc_u32_e32 v2, s9, v2
; %bb.219:                              ;   in Loop: Header=BB10_7 Depth=1
	s_wait_alu 0xfffe
	s_or_b32 exec_lo, exec_lo, s10
	v_mov_b32_e32 v1, 8
	s_delay_alu instid0(VALU_DEP_2)
	v_mov_b32_e32 v3, v2
.LBB10_220:                             ;   in Loop: Header=BB10_7 Depth=1
	s_wait_alu 0xfffe
	s_or_b32 exec_lo, exec_lo, s17
	s_delay_alu instid0(VALU_DEP_1)
	v_mov_b32_e32 v2, v3
	s_mov_b32 s27, exec_lo
.LBB10_221:                             ;   in Loop: Header=BB10_7 Depth=1
	s_wait_alu 0xfffe
	s_or_b32 exec_lo, exec_lo, s25
	s_delay_alu instid0(SALU_CYCLE_1)
	s_or_not1_b32 s17, s27, exec_lo
.LBB10_222:                             ;   in Loop: Header=BB10_7 Depth=1
	s_wait_alu 0xfffe
	s_or_b32 exec_lo, exec_lo, s16
	v_mov_b32_e32 v3, v2
	s_and_not1_b32 s9, s21, exec_lo
	s_and_b32 s10, s24, exec_lo
	s_and_not1_b32 s16, s20, exec_lo
	s_and_b32 s20, s23, exec_lo
	s_wait_alu 0xfffe
	s_or_b32 s21, s9, s10
	s_or_b32 s20, s16, s20
	s_and_b32 s25, s17, exec_lo
.LBB10_223:                             ;   in Loop: Header=BB10_7 Depth=1
	s_wait_alu 0xfffe
	s_or_b32 exec_lo, exec_lo, s22
	s_delay_alu instid0(SALU_CYCLE_1)
	s_or_not1_b32 s22, s25, exec_lo
.LBB10_224:                             ;   in Loop: Header=BB10_7 Depth=1
	s_wait_alu 0xfffe
	s_or_b32 exec_lo, exec_lo, s19
	v_mov_b32_e32 v2, v3
	s_and_not1_b32 s9, s15, exec_lo
	s_and_b32 s10, s21, exec_lo
	s_and_not1_b32 s14, s14, exec_lo
	s_and_b32 s16, s20, exec_lo
	s_wait_alu 0xfffe
	s_or_b32 s15, s9, s10
	s_or_b32 s14, s14, s16
	s_and_b32 s22, s22, exec_lo
.LBB10_225:                             ;   in Loop: Header=BB10_7 Depth=1
	s_wait_alu 0xfffe
	s_or_b32 exec_lo, exec_lo, s18
	s_delay_alu instid0(SALU_CYCLE_1)
	s_or_not1_b32 s18, s22, exec_lo
.LBB10_226:                             ;   in Loop: Header=BB10_7 Depth=1
	s_wait_alu 0xfffe
	s_or_b32 exec_lo, exec_lo, s13
	s_mov_b32 s10, 0
                                        ; implicit-def: $sgpr21
	s_and_saveexec_b32 s9, s18
	s_wait_alu 0xfffe
	s_xor_b32 s9, exec_lo, s9
	s_cbranch_execz .LBB10_5
; %bb.227:                              ;   in Loop: Header=BB10_7 Depth=1
	v_and_b32_e32 v1, 7, v1
	s_mov_b32 s12, -1
	s_mov_b32 s10, -1
	s_mov_b32 s13, exec_lo
                                        ; implicit-def: $sgpr21
	s_delay_alu instid0(VALU_DEP_1)
	v_cmpx_eq_u32_e32 0, v1
	s_cbranch_execz .LBB10_4
; %bb.228:                              ;   in Loop: Header=BB10_7 Depth=1
	s_add_co_i32 s21, s90, -2
	s_cmp_eq_u32 s90, 0
	v_xor_b32_e32 v23, 1, v23
	s_cselect_b32 s12, -1, 0
	s_xor_b32 s10, exec_lo, -1
	s_wait_alu 0xfffe
	s_or_not1_b32 s12, s12, exec_lo
	s_branch .LBB10_4
.LBB10_229:
	s_or_b32 exec_lo, exec_lo, s83
	s_xor_b32 s4, s89, -1
	s_xor_b32 s0, s87, -1
	;; [unrolled: 1-line block ×3, first 2 shown]
	s_mov_b32 s1, 0
	s_wait_alu 0xfffe
	s_and_saveexec_b32 s5, s0
	s_wait_alu 0xfffe
	s_xor_b32 s0, exec_lo, s5
	s_cbranch_execnz .LBB10_234
; %bb.230:
	s_wait_alu 0xfffe
	s_and_not1_saveexec_b32 s0, s0
	s_cbranch_execnz .LBB10_254
.LBB10_231:
	s_wait_alu 0xfffe
	s_or_b32 exec_lo, exec_lo, s0
	s_and_saveexec_b32 s0, s1
.LBB10_232:
	; divergent unreachable
.LBB10_233:
	s_endpgm
.LBB10_234:
	s_and_saveexec_b32 s1, s4
	s_wait_alu 0xfffe
	s_xor_b32 s1, exec_lo, s1
	s_cbranch_execz .LBB10_252
; %bb.235:
	s_and_saveexec_b32 s4, s3
	s_wait_alu 0xfffe
	s_xor_b32 s3, exec_lo, s4
; %bb.236:
	v_xor_b32_e32 v25, 0xffffff80, v10
; %bb.237:
	s_wait_alu 0xfffe
	s_or_b32 exec_lo, exec_lo, s3
	s_and_saveexec_b32 s3, s2
; %bb.238:
	v_dual_mov_b32 v1, 0 :: v_dual_mov_b32 v2, s36
	ds_store_b32 v1, v2 offset:4108
; %bb.239:
	s_wait_alu 0xfffe
	s_or_b32 exec_lo, exec_lo, s3
	v_mov_b32_e32 v1, 0
	s_wait_loadcnt_dscnt 0x0
	s_barrier_signal -1
	s_barrier_wait -1
	global_inv scope:SCOPE_SE
	ds_load_b32 v1, v1 offset:4108
	s_mov_b32 s3, exec_lo
	s_wait_dscnt 0x0
	v_min_i32_e32 v1, s36, v1
	s_delay_alu instid0(VALU_DEP_1)
	v_cmpx_lt_i32_e64 v0, v1
	s_cbranch_execz .LBB10_249
; %bb.240:
	v_and_b32_e32 v3, 0xff, v25
	s_mov_b32 s4, 0
                                        ; implicit-def: $sgpr5
                                        ; implicit-def: $sgpr7
                                        ; implicit-def: $sgpr6
	s_branch .LBB10_242
.LBB10_241:                             ;   in Loop: Header=BB10_242 Depth=1
	s_wait_alu 0xfffe
	s_or_b32 exec_lo, exec_lo, s8
	s_delay_alu instid0(SALU_CYCLE_1)
	s_and_b32 s8, exec_lo, s7
	s_wait_alu 0xfffe
	s_or_b32 s4, s8, s4
	s_and_not1_b32 s5, s5, exec_lo
	s_and_b32 s8, s6, exec_lo
	s_wait_alu 0xfffe
	s_or_b32 s5, s5, s8
	s_and_not1_b32 exec_lo, exec_lo, s4
	s_cbranch_execz .LBB10_244
.LBB10_242:                             ; =>This Inner Loop Header: Depth=1
	v_ashrrev_i32_e32 v2, 31, v11
	v_add_co_u32 v4, vcc_lo, s60, v11
	s_or_b32 s6, s6, exec_lo
	s_or_b32 s7, s7, exec_lo
	s_wait_alu 0xfffd
	v_add_co_ci_u32_e64 v5, null, s61, v2, vcc_lo
	v_mov_b32_e32 v2, v0
	s_mov_b32 s8, exec_lo
                                        ; implicit-def: $vgpr0
	global_load_u8 v4, v[4:5], off
	s_wait_loadcnt 0x0
	v_cmpx_ne_u16_e64 v4, v3
	s_cbranch_execz .LBB10_241
; %bb.243:                              ;   in Loop: Header=BB10_242 Depth=1
	v_add_nc_u32_e32 v0, s49, v2
	v_add_nc_u32_e32 v11, s74, v11
	s_wait_alu 0xfffe
	s_and_not1_b32 s7, s7, exec_lo
	s_and_not1_b32 s6, s6, exec_lo
	v_cmp_ge_i32_e32 vcc_lo, v0, v1
	s_and_b32 s9, vcc_lo, exec_lo
	s_wait_alu 0xfffe
	s_or_b32 s7, s7, s9
	s_branch .LBB10_241
.LBB10_244:
	s_or_b32 exec_lo, exec_lo, s4
	s_wait_alu 0xfffe
	s_and_saveexec_b32 s4, s5
	s_wait_alu 0xfffe
	s_xor_b32 s4, exec_lo, s4
	s_cbranch_execz .LBB10_249
; %bb.245:
	s_mov_b32 s5, exec_lo
	s_brev_b32 s4, -2
.LBB10_246:                             ; =>This Inner Loop Header: Depth=1
	s_wait_alu 0xfffe
	s_ctz_i32_b32 s6, s5
	s_wait_alu 0xfffe
	v_readlane_b32 s7, v2, s6
	s_lshl_b32 s6, 1, s6
	s_wait_alu 0xfffe
	s_and_not1_b32 s5, s5, s6
	s_min_i32 s4, s4, s7
	s_wait_alu 0xfffe
	s_cmp_lg_u32 s5, 0
	s_cbranch_scc1 .LBB10_246
; %bb.247:
	v_mbcnt_lo_u32_b32 v0, exec_lo, 0
	s_mov_b32 s5, exec_lo
	s_delay_alu instid0(VALU_DEP_1)
	v_cmpx_eq_u32_e32 0, v0
	s_wait_alu 0xfffe
	s_xor_b32 s5, exec_lo, s5
; %bb.248:
	v_dual_mov_b32 v0, 0 :: v_dual_mov_b32 v1, s4
	ds_min_i32 v0, v1 offset:4108
.LBB10_249:
	s_wait_alu 0xfffe
	s_or_b32 exec_lo, exec_lo, s3
	s_wait_loadcnt_dscnt 0x0
	s_barrier_signal -1
	s_barrier_wait -1
	global_inv scope:SCOPE_SE
	s_and_saveexec_b32 s3, s2
	s_cbranch_execz .LBB10_251
; %bb.250:
	s_mul_i32 s4, s57, s47
	s_mul_i32 s2, s43, s31
	s_wait_alu 0xfffe
	s_sub_co_i32 s4, s48, s4
	s_sub_co_i32 s2, s33, s2
	s_xor_b32 s5, s71, s72
	s_add_co_i32 s6, s57, 1
	s_wait_alu 0xfffe
	s_sub_co_i32 s7, s4, s47
	s_cmp_ge_u32 s4, s47
	s_wait_kmcnt 0x0
	s_mul_i32 s2, s2, s46
	s_cselect_b32 s6, s6, s57
	s_wait_alu 0xfffe
	s_cselect_b32 s4, s7, s4
	s_add_co_i32 s7, s6, 1
	s_wait_alu 0xfffe
	s_cmp_ge_u32 s4, s47
	v_mov_b32_e32 v2, 0
	s_cselect_b32 s4, s7, s6
	s_mul_i32 s7, s29, s38
	s_wait_alu 0xfffe
	s_xor_b32 s4, s4, s5
	s_mul_i32 s6, s68, s35
	s_wait_alu 0xfffe
	s_sub_co_i32 s4, s4, s5
	s_sub_co_i32 s6, s33, s6
	s_wait_alu 0xfffe
	s_mul_i32 s5, s4, s30
	s_mul_i32 s4, s4, s44
	s_wait_alu 0xfffe
	s_sub_co_i32 s5, s43, s5
	s_xor_b32 s8, s69, s70
	s_wait_alu 0xfffe
	s_mul_i32 s5, s5, s45
	ds_load_b32 v0, v2 offset:4108
	s_wait_alu 0xfffe
	s_add_co_i32 s2, s5, s2
	s_sub_co_i32 s5, s50, s7
	s_wait_alu 0xfffe
	s_add_co_i32 s4, s2, s4
	s_add_co_i32 s2, s29, 1
	s_sub_co_i32 s7, s5, s38
	s_cmp_ge_u32 s5, s38
	s_mul_i32 s6, s6, s42
	s_wait_alu 0xfffe
	s_cselect_b32 s2, s2, s29
	s_cselect_b32 s5, s7, s5
	s_wait_alu 0xfffe
	s_add_co_i32 s7, s2, 1
	s_cmp_ge_u32 s5, s38
	s_wait_alu 0xfffe
	s_cselect_b32 s2, s7, s2
	s_wait_alu 0xfffe
	s_xor_b32 s2, s2, s8
	s_wait_alu 0xfffe
	s_sub_co_i32 s2, s2, s8
	s_wait_alu 0xfffe
	s_mul_i32 s5, s2, s34
	s_mul_i32 s2, s2, s40
	s_wait_alu 0xfffe
	s_sub_co_i32 s5, s68, s5
	s_wait_dscnt 0x0
	v_ashrrev_i32_e32 v1, 31, v0
	s_wait_alu 0xfffe
	s_mul_i32 s5, s5, s41
	s_wait_alu 0xfffe
	s_add_co_i32 s5, s5, s6
	s_wait_alu 0xfffe
	s_add_co_i32 s6, s5, s2
	s_ashr_i32 s5, s4, 31
	s_wait_alu 0xfffe
	s_ashr_i32 s7, s6, 31
	s_add_nc_u64 s[4:5], s[54:55], s[4:5]
	s_wait_alu 0xfffe
	s_lshl_b64 s[6:7], s[6:7], 3
	s_wait_alu 0xfffe
	s_add_nc_u64 s[6:7], s[52:53], s[6:7]
	s_clause 0x1
	global_store_b64 v2, v[0:1], s[6:7]
	global_store_b8 v2, v25, s[4:5]
.LBB10_251:
	s_wait_alu 0xfffe
	s_or_b32 exec_lo, exec_lo, s3
.LBB10_252:
	s_wait_alu 0xfffe
	s_or_saveexec_b32 s1, s1
	s_mov_b32 s2, 0
	s_wait_alu 0xfffe
	s_xor_b32 exec_lo, exec_lo, s1
	s_cbranch_execnz .LBB10_255
.LBB10_253:
	s_or_b32 exec_lo, exec_lo, s1
	s_wait_alu 0xfffe
	s_and_b32 s1, s2, exec_lo
	s_and_not1_saveexec_b32 s0, s0
	s_cbranch_execz .LBB10_231
.LBB10_254:
	s_wait_alu 0xfffe
	s_or_b32 s1, s1, exec_lo
	s_trap 2
	s_or_b32 exec_lo, exec_lo, s0
	s_wait_alu 0xfffe
	s_and_saveexec_b32 s0, s1
	s_cbranch_execnz .LBB10_232
	s_branch .LBB10_233
.LBB10_255:
	s_mov_b32 s2, exec_lo
	s_trap 2
	s_branch .LBB10_253
	.section	.rodata,"a",@progbits
	.p2align	6, 0x0
	.amdhsa_kernel _ZN2at6native12_GLOBAL__N_114gatherKthValueIaiLi3EEEvNS_4cuda6detail10TensorInfoIKT_T0_EES8_S8_S8_S8_NS5_IS6_S8_EENS5_IlS8_EE
		.amdhsa_group_segment_fixed_size 4112
		.amdhsa_private_segment_fixed_size 0
		.amdhsa_kernarg_size 920
		.amdhsa_user_sgpr_count 2
		.amdhsa_user_sgpr_dispatch_ptr 0
		.amdhsa_user_sgpr_queue_ptr 0
		.amdhsa_user_sgpr_kernarg_segment_ptr 1
		.amdhsa_user_sgpr_dispatch_id 0
		.amdhsa_user_sgpr_private_segment_size 0
		.amdhsa_wavefront_size32 1
		.amdhsa_uses_dynamic_stack 0
		.amdhsa_enable_private_segment 0
		.amdhsa_system_sgpr_workgroup_id_x 1
		.amdhsa_system_sgpr_workgroup_id_y 1
		.amdhsa_system_sgpr_workgroup_id_z 1
		.amdhsa_system_sgpr_workgroup_info 0
		.amdhsa_system_vgpr_workitem_id 0
		.amdhsa_next_free_vgpr 40
		.amdhsa_next_free_sgpr 98
		.amdhsa_reserve_vcc 1
		.amdhsa_float_round_mode_32 0
		.amdhsa_float_round_mode_16_64 0
		.amdhsa_float_denorm_mode_32 3
		.amdhsa_float_denorm_mode_16_64 3
		.amdhsa_fp16_overflow 0
		.amdhsa_workgroup_processor_mode 1
		.amdhsa_memory_ordered 1
		.amdhsa_forward_progress 1
		.amdhsa_inst_pref_size 94
		.amdhsa_round_robin_scheduling 0
		.amdhsa_exception_fp_ieee_invalid_op 0
		.amdhsa_exception_fp_denorm_src 0
		.amdhsa_exception_fp_ieee_div_zero 0
		.amdhsa_exception_fp_ieee_overflow 0
		.amdhsa_exception_fp_ieee_underflow 0
		.amdhsa_exception_fp_ieee_inexact 0
		.amdhsa_exception_int_div_zero 0
	.end_amdhsa_kernel
	.section	.text._ZN2at6native12_GLOBAL__N_114gatherKthValueIaiLi3EEEvNS_4cuda6detail10TensorInfoIKT_T0_EES8_S8_S8_S8_NS5_IS6_S8_EENS5_IlS8_EE,"axG",@progbits,_ZN2at6native12_GLOBAL__N_114gatherKthValueIaiLi3EEEvNS_4cuda6detail10TensorInfoIKT_T0_EES8_S8_S8_S8_NS5_IS6_S8_EENS5_IlS8_EE,comdat
.Lfunc_end10:
	.size	_ZN2at6native12_GLOBAL__N_114gatherKthValueIaiLi3EEEvNS_4cuda6detail10TensorInfoIKT_T0_EES8_S8_S8_S8_NS5_IS6_S8_EENS5_IlS8_EE, .Lfunc_end10-_ZN2at6native12_GLOBAL__N_114gatherKthValueIaiLi3EEEvNS_4cuda6detail10TensorInfoIKT_T0_EES8_S8_S8_S8_NS5_IS6_S8_EENS5_IlS8_EE
                                        ; -- End function
	.set _ZN2at6native12_GLOBAL__N_114gatherKthValueIaiLi3EEEvNS_4cuda6detail10TensorInfoIKT_T0_EES8_S8_S8_S8_NS5_IS6_S8_EENS5_IlS8_EE.num_vgpr, 40
	.set _ZN2at6native12_GLOBAL__N_114gatherKthValueIaiLi3EEEvNS_4cuda6detail10TensorInfoIKT_T0_EES8_S8_S8_S8_NS5_IS6_S8_EENS5_IlS8_EE.num_agpr, 0
	.set _ZN2at6native12_GLOBAL__N_114gatherKthValueIaiLi3EEEvNS_4cuda6detail10TensorInfoIKT_T0_EES8_S8_S8_S8_NS5_IS6_S8_EENS5_IlS8_EE.numbered_sgpr, 98
	.set _ZN2at6native12_GLOBAL__N_114gatherKthValueIaiLi3EEEvNS_4cuda6detail10TensorInfoIKT_T0_EES8_S8_S8_S8_NS5_IS6_S8_EENS5_IlS8_EE.num_named_barrier, 0
	.set _ZN2at6native12_GLOBAL__N_114gatherKthValueIaiLi3EEEvNS_4cuda6detail10TensorInfoIKT_T0_EES8_S8_S8_S8_NS5_IS6_S8_EENS5_IlS8_EE.private_seg_size, 0
	.set _ZN2at6native12_GLOBAL__N_114gatherKthValueIaiLi3EEEvNS_4cuda6detail10TensorInfoIKT_T0_EES8_S8_S8_S8_NS5_IS6_S8_EENS5_IlS8_EE.uses_vcc, 1
	.set _ZN2at6native12_GLOBAL__N_114gatherKthValueIaiLi3EEEvNS_4cuda6detail10TensorInfoIKT_T0_EES8_S8_S8_S8_NS5_IS6_S8_EENS5_IlS8_EE.uses_flat_scratch, 0
	.set _ZN2at6native12_GLOBAL__N_114gatherKthValueIaiLi3EEEvNS_4cuda6detail10TensorInfoIKT_T0_EES8_S8_S8_S8_NS5_IS6_S8_EENS5_IlS8_EE.has_dyn_sized_stack, 0
	.set _ZN2at6native12_GLOBAL__N_114gatherKthValueIaiLi3EEEvNS_4cuda6detail10TensorInfoIKT_T0_EES8_S8_S8_S8_NS5_IS6_S8_EENS5_IlS8_EE.has_recursion, 0
	.set _ZN2at6native12_GLOBAL__N_114gatherKthValueIaiLi3EEEvNS_4cuda6detail10TensorInfoIKT_T0_EES8_S8_S8_S8_NS5_IS6_S8_EENS5_IlS8_EE.has_indirect_call, 0
	.section	.AMDGPU.csdata,"",@progbits
; Kernel info:
; codeLenInByte = 11940
; TotalNumSgprs: 100
; NumVgprs: 40
; ScratchSize: 0
; MemoryBound: 0
; FloatMode: 240
; IeeeMode: 1
; LDSByteSize: 4112 bytes/workgroup (compile time only)
; SGPRBlocks: 0
; VGPRBlocks: 4
; NumSGPRsForWavesPerEU: 100
; NumVGPRsForWavesPerEU: 40
; Occupancy: 16
; WaveLimiterHint : 1
; COMPUTE_PGM_RSRC2:SCRATCH_EN: 0
; COMPUTE_PGM_RSRC2:USER_SGPR: 2
; COMPUTE_PGM_RSRC2:TRAP_HANDLER: 0
; COMPUTE_PGM_RSRC2:TGID_X_EN: 1
; COMPUTE_PGM_RSRC2:TGID_Y_EN: 1
; COMPUTE_PGM_RSRC2:TGID_Z_EN: 1
; COMPUTE_PGM_RSRC2:TIDIG_COMP_CNT: 0
	.section	.text._ZN2at6native12_GLOBAL__N_114gatherKthValueIaiLin1EEEvNS_4cuda6detail10TensorInfoIKT_T0_EES8_S8_S8_S8_NS5_IS6_S8_EENS5_IlS8_EE,"axG",@progbits,_ZN2at6native12_GLOBAL__N_114gatherKthValueIaiLin1EEEvNS_4cuda6detail10TensorInfoIKT_T0_EES8_S8_S8_S8_NS5_IS6_S8_EENS5_IlS8_EE,comdat
	.globl	_ZN2at6native12_GLOBAL__N_114gatherKthValueIaiLin1EEEvNS_4cuda6detail10TensorInfoIKT_T0_EES8_S8_S8_S8_NS5_IS6_S8_EENS5_IlS8_EE ; -- Begin function _ZN2at6native12_GLOBAL__N_114gatherKthValueIaiLin1EEEvNS_4cuda6detail10TensorInfoIKT_T0_EES8_S8_S8_S8_NS5_IS6_S8_EENS5_IlS8_EE
	.p2align	8
	.type	_ZN2at6native12_GLOBAL__N_114gatherKthValueIaiLin1EEEvNS_4cuda6detail10TensorInfoIKT_T0_EES8_S8_S8_S8_NS5_IS6_S8_EENS5_IlS8_EE,@function
_ZN2at6native12_GLOBAL__N_114gatherKthValueIaiLin1EEEvNS_4cuda6detail10TensorInfoIKT_T0_EES8_S8_S8_S8_NS5_IS6_S8_EENS5_IlS8_EE: ; @_ZN2at6native12_GLOBAL__N_114gatherKthValueIaiLin1EEEvNS_4cuda6detail10TensorInfoIKT_T0_EES8_S8_S8_S8_NS5_IS6_S8_EENS5_IlS8_EE
; %bb.0:
	s_clause 0x1
	s_load_b64 s[4:5], s[0:1], 0x298
	s_load_b128 s[36:39], s[0:1], 0xd8
	s_lshr_b32 s2, ttmp7, 16
	s_and_b32 s3, ttmp7, 0xffff
	s_wait_kmcnt 0x0
	s_mul_i32 s2, s5, s2
	s_delay_alu instid0(SALU_CYCLE_1) | instskip(NEXT) | instid1(SALU_CYCLE_1)
	s_add_co_i32 s2, s2, s3
	s_mul_i32 s2, s2, s4
	s_delay_alu instid0(SALU_CYCLE_1) | instskip(NEXT) | instid1(SALU_CYCLE_1)
	s_add_co_i32 s33, s2, ttmp9
	s_cmp_ge_i32 s33, s38
	s_cbranch_scc1 .LBB11_242
; %bb.1:
	s_load_b32 s6, s[0:1], 0xd0
	s_mov_b32 s3, 0
	s_mov_b32 s5, s33
	s_wait_kmcnt 0x0
	s_cmp_lt_i32 s6, 2
	s_cbranch_scc1 .LBB11_4
; %bb.2:
	s_add_co_i32 s2, s6, -1
	s_mov_b32 s5, s33
	s_lshl_b64 s[8:9], s[2:3], 2
	s_add_co_i32 s2, s6, 1
	s_add_nc_u64 s[8:9], s[0:1], s[8:9]
	s_delay_alu instid0(SALU_CYCLE_1)
	s_add_nc_u64 s[6:7], s[8:9], 8
.LBB11_3:                               ; =>This Inner Loop Header: Depth=1
	s_clause 0x1
	s_load_b32 s8, s[6:7], 0x0
	s_load_b32 s9, s[6:7], 0x64
	s_mov_b32 s13, s5
	s_add_nc_u64 s[6:7], s[6:7], -4
	s_wait_kmcnt 0x0
	s_abs_i32 s10, s8
	s_wait_alu 0xfffe
	s_cvt_f32_u32 s11, s10
	s_sub_co_i32 s12, 0, s10
	s_wait_alu 0xfffe
	s_delay_alu instid0(SALU_CYCLE_1) | instskip(NEXT) | instid1(TRANS32_DEP_1)
	v_rcp_iflag_f32_e32 v1, s11
	v_readfirstlane_b32 s11, v1
	s_mul_f32 s11, s11, 0x4f7ffffe
	s_wait_alu 0xfffe
	s_delay_alu instid0(SALU_CYCLE_2) | instskip(SKIP_1) | instid1(SALU_CYCLE_2)
	s_cvt_u32_f32 s11, s11
	s_wait_alu 0xfffe
	s_mul_i32 s12, s12, s11
	s_delay_alu instid0(SALU_CYCLE_1)
	s_mul_hi_u32 s5, s11, s12
	s_abs_i32 s12, s13
	s_add_co_i32 s11, s11, s5
	s_wait_alu 0xfffe
	s_mul_hi_u32 s5, s12, s11
	s_xor_b32 s11, s13, s8
	s_mul_i32 s14, s5, s10
	s_wait_alu 0xfffe
	s_ashr_i32 s11, s11, 31
	s_sub_co_i32 s12, s12, s14
	s_add_co_i32 s14, s5, 1
	s_sub_co_i32 s15, s12, s10
	s_cmp_ge_u32 s12, s10
	s_cselect_b32 s5, s14, s5
	s_cselect_b32 s12, s15, s12
	s_add_co_i32 s14, s5, 1
	s_cmp_ge_u32 s12, s10
	s_cselect_b32 s5, s14, s5
	s_add_co_i32 s2, s2, -1
	s_wait_alu 0xfffe
	s_xor_b32 s5, s5, s11
	s_delay_alu instid0(SALU_CYCLE_1) | instskip(NEXT) | instid1(SALU_CYCLE_1)
	s_sub_co_i32 s5, s5, s11
	s_mul_i32 s8, s5, s8
	s_delay_alu instid0(SALU_CYCLE_1) | instskip(NEXT) | instid1(SALU_CYCLE_1)
	s_sub_co_i32 s8, s13, s8
	s_mul_i32 s8, s9, s8
	s_delay_alu instid0(SALU_CYCLE_1)
	s_add_co_i32 s3, s8, s3
	s_cmp_gt_u32 s2, 2
	s_cbranch_scc1 .LBB11_3
.LBB11_4:
	s_load_b32 s2, s[0:1], 0x1b8
	s_add_nc_u64 s[10:11], s[0:1], 0x298
	s_add_nc_u64 s[6:7], s[0:1], 0xe8
	s_mov_b32 s29, 0
	s_mov_b32 s38, s33
	s_wait_kmcnt 0x0
	s_cmp_lt_i32 s2, 2
	s_cbranch_scc1 .LBB11_7
; %bb.5:
	s_add_co_i32 s28, s2, -1
	s_add_co_i32 s2, s2, 1
	s_lshl_b64 s[8:9], s[28:29], 2
	s_mov_b32 s38, s33
	s_add_nc_u64 s[8:9], s[6:7], s[8:9]
	s_delay_alu instid0(SALU_CYCLE_1)
	s_add_nc_u64 s[8:9], s[8:9], 8
.LBB11_6:                               ; =>This Inner Loop Header: Depth=1
	s_clause 0x1
	s_load_b32 s12, s[8:9], 0x0
	s_load_b32 s13, s[8:9], 0x64
	s_abs_i32 s18, s38
	s_mov_b32 s17, s38
	s_add_nc_u64 s[8:9], s[8:9], -4
	s_wait_kmcnt 0x0
	s_abs_i32 s14, s12
	s_wait_alu 0xfffe
	s_cvt_f32_u32 s15, s14
	s_sub_co_i32 s16, 0, s14
	s_wait_alu 0xfffe
	s_delay_alu instid0(SALU_CYCLE_1) | instskip(NEXT) | instid1(TRANS32_DEP_1)
	v_rcp_iflag_f32_e32 v1, s15
	v_readfirstlane_b32 s15, v1
	s_mul_f32 s15, s15, 0x4f7ffffe
	s_wait_alu 0xfffe
	s_delay_alu instid0(SALU_CYCLE_2) | instskip(SKIP_1) | instid1(SALU_CYCLE_2)
	s_cvt_u32_f32 s15, s15
	s_wait_alu 0xfffe
	s_mul_i32 s16, s16, s15
	s_delay_alu instid0(SALU_CYCLE_1) | instskip(NEXT) | instid1(SALU_CYCLE_1)
	s_mul_hi_u32 s16, s15, s16
	s_add_co_i32 s15, s15, s16
	s_xor_b32 s16, s38, s12
	s_wait_alu 0xfffe
	s_mul_hi_u32 s15, s18, s15
	s_ashr_i32 s16, s16, 31
	s_wait_alu 0xfffe
	s_mul_i32 s19, s15, s14
	s_delay_alu instid0(SALU_CYCLE_1)
	s_sub_co_i32 s18, s18, s19
	s_add_co_i32 s19, s15, 1
	s_sub_co_i32 s20, s18, s14
	s_cmp_ge_u32 s18, s14
	s_cselect_b32 s15, s19, s15
	s_cselect_b32 s18, s20, s18
	s_wait_alu 0xfffe
	s_add_co_i32 s19, s15, 1
	s_cmp_ge_u32 s18, s14
	s_cselect_b32 s14, s19, s15
	s_add_co_i32 s2, s2, -1
	s_wait_alu 0xfffe
	s_xor_b32 s14, s14, s16
	s_wait_alu 0xfffe
	s_sub_co_i32 s38, s14, s16
	s_delay_alu instid0(SALU_CYCLE_1) | instskip(NEXT) | instid1(SALU_CYCLE_1)
	s_mul_i32 s12, s38, s12
	s_sub_co_i32 s12, s17, s12
	s_delay_alu instid0(SALU_CYCLE_1) | instskip(NEXT) | instid1(SALU_CYCLE_1)
	s_mul_i32 s12, s13, s12
	s_add_co_i32 s29, s12, s29
	s_cmp_gt_u32 s2, 2
	s_cbranch_scc1 .LBB11_6
.LBB11_7:
	s_clause 0x1
	s_load_b32 s12, s[0:1], 0x6c
	s_load_b32 s2, s[0:1], 0x290
	s_mov_b32 s31, 0
	s_wait_kmcnt 0x0
	s_cmp_lt_i32 s2, 2
	s_cbranch_scc1 .LBB11_10
; %bb.8:
	s_add_co_i32 s30, s2, -1
	s_add_nc_u64 s[8:9], s[0:1], 0x1c0
	s_lshl_b64 s[14:15], s[30:31], 2
	s_add_co_i32 s2, s2, 1
	s_wait_alu 0xfffe
	s_add_nc_u64 s[8:9], s[8:9], s[14:15]
	s_delay_alu instid0(SALU_CYCLE_1)
	s_add_nc_u64 s[8:9], s[8:9], 8
.LBB11_9:                               ; =>This Inner Loop Header: Depth=1
	s_clause 0x1
	s_load_b32 s13, s[8:9], 0x0
	s_load_b32 s14, s[8:9], 0x64
	s_abs_i32 s19, s33
	s_mov_b32 s18, s33
	s_add_nc_u64 s[8:9], s[8:9], -4
	s_wait_kmcnt 0x0
	s_abs_i32 s15, s13
	s_wait_alu 0xfffe
	s_cvt_f32_u32 s16, s15
	s_sub_co_i32 s17, 0, s15
	s_wait_alu 0xfffe
	s_delay_alu instid0(SALU_CYCLE_1) | instskip(NEXT) | instid1(TRANS32_DEP_1)
	v_rcp_iflag_f32_e32 v1, s16
	v_readfirstlane_b32 s16, v1
	s_mul_f32 s16, s16, 0x4f7ffffe
	s_wait_alu 0xfffe
	s_delay_alu instid0(SALU_CYCLE_2) | instskip(SKIP_1) | instid1(SALU_CYCLE_2)
	s_cvt_u32_f32 s16, s16
	s_wait_alu 0xfffe
	s_mul_i32 s17, s17, s16
	s_wait_alu 0xfffe
	s_mul_hi_u32 s17, s16, s17
	s_wait_alu 0xfffe
	s_add_co_i32 s16, s16, s17
	s_xor_b32 s17, s33, s13
	s_wait_alu 0xfffe
	s_mul_hi_u32 s16, s19, s16
	s_ashr_i32 s17, s17, 31
	s_wait_alu 0xfffe
	s_mul_i32 s20, s16, s15
	s_delay_alu instid0(SALU_CYCLE_1)
	s_sub_co_i32 s19, s19, s20
	s_add_co_i32 s20, s16, 1
	s_sub_co_i32 s21, s19, s15
	s_cmp_ge_u32 s19, s15
	s_cselect_b32 s16, s20, s16
	s_cselect_b32 s19, s21, s19
	s_wait_alu 0xfffe
	s_add_co_i32 s20, s16, 1
	s_cmp_ge_u32 s19, s15
	s_cselect_b32 s15, s20, s16
	s_add_co_i32 s2, s2, -1
	s_wait_alu 0xfffe
	s_xor_b32 s15, s15, s17
	s_wait_alu 0xfffe
	s_sub_co_i32 s33, s15, s17
	s_delay_alu instid0(SALU_CYCLE_1) | instskip(NEXT) | instid1(SALU_CYCLE_1)
	s_mul_i32 s13, s33, s13
	s_sub_co_i32 s13, s18, s13
	s_delay_alu instid0(SALU_CYCLE_1) | instskip(NEXT) | instid1(SALU_CYCLE_1)
	s_mul_i32 s13, s14, s13
	s_add_co_i32 s31, s13, s31
	s_cmp_gt_u32 s2, 2
	s_cbranch_scc1 .LBB11_9
.LBB11_10:
	s_clause 0x1
	s_load_b32 s30, s[6:7], 0x6c
	s_load_b64 s[6:7], s[0:1], 0x0
	v_cmp_eq_u32_e64 s2, 0, v0
	s_mov_b32 s43, 0
	s_and_saveexec_b32 s8, s2
; %bb.11:
	v_dual_mov_b32 v1, 0 :: v_dual_mov_b32 v2, s36
	s_delay_alu instid0(VALU_DEP_1)
	v_mov_b32_e32 v3, v1
	ds_store_b96 v1, v[1:3] offset:4096
; %bb.12:
	s_or_b32 exec_lo, exec_lo, s8
	s_wait_dscnt 0x0
	s_barrier_signal -1
	s_barrier_wait -1
	global_inv scope:SCOPE_SE
	s_load_b32 s13, s[10:11], 0xc
	s_clause 0x2
	s_load_b32 s52, s[0:1], 0x22c
	s_load_b64 s[34:35], s[0:1], 0xe8
	s_load_b64 s[40:41], s[0:1], 0x1c0
	v_mbcnt_lo_u32_b32 v12, -1, 0
	v_cmp_gt_u32_e32 vcc_lo, 32, v0
	s_mul_i32 s5, s12, s5
	v_mul_lo_u32 v11, s39, v0
	s_add_co_i32 s8, s5, s3
	v_cmp_gt_i32_e64 s1, 4, v12
	s_ashr_i32 s9, s8, 31
	v_lshrrev_b32_e32 v3, 1, v0
	s_wait_kmcnt 0x0
	s_add_nc_u64 s[44:45], s[6:7], s[8:9]
	v_dual_mov_b32 v14, 0 :: v_dual_lshlrev_b32 v13, 2, v0
	s_and_b32 s54, vcc_lo, s1
	v_add_co_u32 v5, s6, s44, v11
	s_delay_alu instid0(VALU_DEP_1)
	v_add_co_ci_u32_e64 v6, null, s45, 0, s6
	s_and_b32 s53, s13, 0xffff
	s_bfe_u32 s5, s13, 0xb0005
	s_lshl_b32 s55, s53, 2
	s_add_co_i32 s56, s53, -1
	s_cvt_f32_u32 s1, s55
	s_add_co_i32 s65, s56, s36
	s_cmp_gt_i32 s36, 0xc00
	v_cmp_gt_u32_e64 s0, 2, v0
	v_rcp_iflag_f32_e32 v1, s1
	s_cselect_b32 s58, -1, 0
	s_cmp_gt_u32 s53, 31
	v_cmp_gt_u32_e64 s1, s36, v0
	s_cselect_b32 s59, -1, 0
	s_cmp_lt_u32 ttmp9, s4
	v_cmp_gt_i32_e64 s3, s36, v0
	s_cselect_b32 s42, 12, 18
	s_add_co_i32 s4, s5, -1
	s_bfe_u32 s60, s53, 0x30005
	v_readfirstlane_b32 s12, v1
	s_and_b32 s4, s4, 0xffff
	v_lshlrev_b64_e64 v[1:2], v12, -1
	s_cmp_gt_u32 s4, 6
	v_dual_mov_b32 v23, 0 :: v_dual_lshlrev_b32 v20, 2, v11
	s_mul_f32 s4, s12, 0x4f7ffffe
	s_cselect_b32 s61, -1, 0
	s_and_b32 s62, s5, 0x7f8
	s_cvt_f32_u32 s12, s53
	s_cmp_lg_u32 s60, 0
	s_cvt_u32_f32 s5, s4
	s_cselect_b32 s63, -1, 0
	s_sub_co_i32 s4, 0, s55
	v_rcp_iflag_f32_e32 v4, s12
	s_mul_i32 s13, s4, s5
	v_not_b32_e32 v15, v1
	s_wait_alu 0xfffe
	s_mul_hi_u32 s13, s5, s13
	v_cmp_eq_u32_e64 s4, 0, v12
	s_wait_alu 0xfffe
	s_add_co_i32 s46, s5, s13
	v_lshl_or_b32 v22, v12, 2, 0xc00
	s_mul_hi_u32 s5, s36, s46
	v_mov_b32_e32 v26, s37
	s_mul_i32 s5, s5, s55
	v_readfirstlane_b32 s6, v4
	s_sub_co_i32 s5, s36, s5
	v_mov_b32_e32 v24, 0
	s_sub_co_i32 s7, s5, s55
	s_cmp_ge_u32 s5, s55
	s_mul_f32 s6, s6, 0x4f7ffffe
	s_wait_alu 0xfffe
	s_cselect_b32 s5, s7, s5
	s_movk_i32 s7, 0x1f0
	s_sub_co_i32 s8, s5, s55
	s_cmp_ge_u32 s5, s55
	s_cvt_u32_f32 s6, s6
	s_cselect_b32 s9, s8, s5
	s_sub_co_i32 s5, 0, s53
	s_sub_co_i32 s64, s36, s9
	s_wait_alu 0xfffe
	s_mul_i32 s5, s5, s6
	v_dual_mov_b32 v25, 0 :: v_dual_add_nc_u32 v16, s64, v0
	s_mul_hi_u32 s5, s6, s5
	s_abs_i32 s8, s65
	s_add_co_i32 s48, s6, s5
	s_delay_alu instid0(VALU_DEP_1)
	v_mul_lo_u32 v1, v16, s39
	s_mul_hi_u32 s5, s8, s48
	v_and_or_b32 v17, v3, s7, 0xc00
	s_mul_i32 s5, s5, s53
	s_ashr_i32 s7, s65, 31
	s_sub_co_i32 s5, s8, s5
	v_or_b32_e32 v3, 3, v13
	s_sub_co_i32 s6, s5, s53
	s_cmp_ge_u32 s5, s53
	v_ashrrev_i32_e32 v2, 31, v1
	s_wait_alu 0xfffe
	s_cselect_b32 s8, s6, s5
	v_add_co_u32 v7, vcc_lo, s44, v1
	v_add3_u32 v1, s53, s36, v0
	s_sub_co_i32 s12, s8, s53
	s_cmp_ge_u32 s8, s53
	v_add_co_ci_u32_e64 v8, null, s45, v2, vcc_lo
	s_wait_alu 0xfffe
	s_cselect_b32 s8, s12, s8
	v_or_b32_e32 v2, 2, v13
	v_subrev_nc_u32_e32 v1, s9, v1
	s_xor_b32 s8, s8, s7
	s_mov_b32 s12, s39
	s_wait_alu 0xfffe
	s_sub_co_i32 s8, s7, s8
	v_mad_co_u64_u32 v[9:10], null, s39, v13, s[12:13]
	v_mul_lo_u32 v18, s39, v2
	v_mul_lo_u32 v19, s39, v3
	;; [unrolled: 1-line block ×3, first 2 shown]
	s_wait_alu 0xfffe
	s_add_co_i32 s65, s65, s8
	v_cmp_gt_i32_e64 s5, s64, v13
	v_cmp_gt_u32_e64 s6, s36, v16
	v_cmp_gt_i32_e64 s7, s36, v16
	s_wait_alu 0xfffe
	v_cmp_gt_i32_e64 s8, s65, v0
	v_mov_b32_e32 v10, 0
	s_mul_i32 s57, s39, s53
	s_mov_b32 s73, 6
	s_mov_b32 s47, s43
	;; [unrolled: 1-line block ×3, first 2 shown]
	s_lshl_b32 s37, s57, 2
	s_add_nc_u64 s[50:51], s[10:11], s[42:43]
	s_mov_b32 s66, 0
                                        ; implicit-def: $sgpr70
                                        ; implicit-def: $sgpr72
                                        ; implicit-def: $sgpr67
                                        ; implicit-def: $sgpr69
                                        ; implicit-def: $sgpr71
                                        ; implicit-def: $sgpr68
	s_branch .LBB11_16
.LBB11_13:                              ;   in Loop: Header=BB11_16 Depth=1
	s_wait_alu 0xfffe
	s_or_b32 exec_lo, exec_lo, s13
	s_delay_alu instid0(SALU_CYCLE_1)
	s_and_b32 s10, s10, exec_lo
	s_and_not1_b32 s15, s15, exec_lo
	s_and_not1_b32 s14, s14, exec_lo
	s_or_not1_b32 s12, s12, exec_lo
.LBB11_14:                              ;   in Loop: Header=BB11_16 Depth=1
	s_wait_alu 0xfffe
	s_or_b32 exec_lo, exec_lo, s9
	s_delay_alu instid0(SALU_CYCLE_1)
	s_and_not1_b32 s9, s68, exec_lo
	s_and_b32 s10, s10, exec_lo
	s_and_not1_b32 s13, s69, exec_lo
	s_wait_alu 0xfffe
	s_or_b32 s68, s9, s10
	s_and_not1_b32 s9, s71, exec_lo
	s_and_b32 s10, s15, exec_lo
	s_and_b32 s14, s14, exec_lo
	s_wait_alu 0xfffe
	s_or_b32 s71, s9, s10
	s_or_b32 s69, s13, s14
	s_or_not1_b32 s13, s12, exec_lo
.LBB11_15:                              ;   in Loop: Header=BB11_16 Depth=1
	s_wait_alu 0xfffe
	s_or_b32 exec_lo, exec_lo, s11
	s_delay_alu instid0(SALU_CYCLE_1)
	s_and_b32 s9, exec_lo, s13
	v_mov_b32_e32 v26, v2
	s_wait_alu 0xfffe
	s_or_b32 s66, s9, s66
	s_and_not1_b32 s9, s67, exec_lo
	s_and_b32 s10, s68, exec_lo
	s_and_not1_b32 s11, s72, exec_lo
	s_wait_alu 0xfffe
	s_or_b32 s67, s9, s10
	s_and_b32 s9, s71, exec_lo
	s_and_not1_b32 s10, s70, exec_lo
	s_and_b32 s12, s69, exec_lo
	s_wait_alu 0xfffe
	s_or_b32 s72, s11, s9
	s_or_b32 s70, s10, s12
	s_mov_b32 s73, s21
	s_and_not1_b32 exec_lo, exec_lo, s66
	s_cbranch_execz .LBB11_238
.LBB11_16:                              ; =>This Loop Header: Depth=1
                                        ;     Child Loop BB11_21 Depth 2
                                        ;     Child Loop BB11_36 Depth 2
	;; [unrolled: 1-line block ×16, first 2 shown]
	ds_load_b64 v[1:2], v14 offset:4096
	s_wait_dscnt 0x0
	v_readfirstlane_b32 s42, v1
	s_cmp_gt_i32 s42, 0
	s_cbranch_scc1 .LBB11_43
; %bb.17:                               ;   in Loop: Header=BB11_16 Depth=1
	s_and_b32 vcc_lo, exec_lo, s58
	s_wait_alu 0xfffe
	s_cbranch_vccz .LBB11_29
; %bb.18:                               ;   in Loop: Header=BB11_16 Depth=1
	v_cmp_gt_i32_e32 vcc_lo, 0xc01, v2
	s_mov_b32 s10, 0
	s_mov_b32 s9, 0
	s_cbranch_vccz .LBB11_30
; %bb.19:                               ;   in Loop: Header=BB11_16 Depth=1
	global_load_u8 v2, v[5:6], off
	s_load_u16 s11, s[50:51], 0x0
	v_mov_b32_e32 v3, v0
	s_mov_b32 s12, 0
	s_wait_kmcnt 0x0
	v_add_nc_u32_e32 v1, s11, v0
	s_mul_i32 s13, s39, s11
	s_delay_alu instid0(VALU_DEP_1)
	v_mul_lo_u32 v1, s39, v1
	s_branch .LBB11_21
.LBB11_20:                              ;   in Loop: Header=BB11_21 Depth=2
	s_wait_alu 0xfffe
	s_or_b32 exec_lo, exec_lo, s9
	v_cmp_le_i32_e32 vcc_lo, s36, v3
	v_dual_mov_b32 v2, v4 :: v_dual_add_nc_u32 v1, s13, v1
	s_or_b32 s12, vcc_lo, s12
	s_wait_alu 0xfffe
	s_and_not1_b32 exec_lo, exec_lo, s12
	s_cbranch_execz .LBB11_75
.LBB11_21:                              ;   Parent Loop BB11_16 Depth=1
                                        ; =>  This Inner Loop Header: Depth=2
	v_dual_mov_b32 v4, 0 :: v_dual_add_nc_u32 v3, s11, v3
	s_wait_dscnt 0x0
	v_mov_b32_e32 v27, 0
	s_mov_b32 s9, exec_lo
	s_delay_alu instid0(VALU_DEP_2)
	v_cmpx_gt_u32_e64 s36, v3
	s_cbranch_execz .LBB11_23
; %bb.22:                               ;   in Loop: Header=BB11_21 Depth=2
	global_load_u8 v4, v1, s[44:45]
.LBB11_23:                              ;   in Loop: Header=BB11_21 Depth=2
	s_wait_alu 0xfffe
	s_or_b32 exec_lo, exec_lo, s9
	s_wait_loadcnt 0x0
	v_bfe_i32 v28, v2, 0, 8
	s_delay_alu instid0(VALU_DEP_1) | instskip(NEXT) | instid1(VALU_DEP_1)
	v_add_nc_u32_e32 v28, 0x80, v28
	v_and_b32_e32 v28, v28, v24
	s_delay_alu instid0(VALU_DEP_1)
	v_cmp_eq_u32_e32 vcc_lo, v28, v10
	s_cmp_lg_u32 vcc_lo, 0
	s_cselect_b32 s9, -1, 0
	s_wait_alu 0xfffe
	s_and_b32 s9, s4, s9
	s_wait_alu 0xfffe
	s_and_saveexec_b32 s14, s9
	s_cbranch_execz .LBB11_27
; %bb.24:                               ;   in Loop: Header=BB11_21 Depth=2
	s_mov_b32 s17, exec_lo
	s_bcnt1_i32_b32 s15, vcc_lo
	s_wait_alu 0xfffe
	v_mbcnt_lo_u32_b32 v27, s17, 0
	s_mov_b32 s16, exec_lo
                                        ; implicit-def: $vgpr28
	s_delay_alu instid0(VALU_DEP_1)
	v_cmpx_eq_u32_e32 0, v27
; %bb.25:                               ;   in Loop: Header=BB11_21 Depth=2
	s_bcnt1_i32_b32 s9, s17
	s_wait_alu 0xfffe
	s_mul_i32 s9, s15, s9
	s_wait_alu 0xfffe
	v_mov_b32_e32 v28, s9
	ds_add_rtn_u32 v28, v14, v28 offset:4104
; %bb.26:                               ;   in Loop: Header=BB11_21 Depth=2
	s_or_b32 exec_lo, exec_lo, s16
	s_wait_dscnt 0x0
	v_readfirstlane_b32 s9, v28
	s_wait_alu 0xf1ff
	s_delay_alu instid0(VALU_DEP_1)
	v_mad_u32_u24 v27, s15, v27, s9
.LBB11_27:                              ;   in Loop: Header=BB11_21 Depth=2
	s_wait_alu 0xfffe
	s_or_b32 exec_lo, exec_lo, s14
	ds_bpermute_b32 v27, v14, v27
	s_and_saveexec_b32 s9, vcc_lo
	s_cbranch_execz .LBB11_20
; %bb.28:                               ;   in Loop: Header=BB11_21 Depth=2
	v_and_b32_e32 v28, vcc_lo, v15
	s_wait_dscnt 0x0
	s_delay_alu instid0(VALU_DEP_1)
	v_bcnt_u32_b32 v27, v28, v27
	ds_store_b8 v27, v2
	s_branch .LBB11_20
.LBB11_29:                              ;   in Loop: Header=BB11_16 Depth=1
	s_mov_b32 s10, -1
	s_mov_b32 s9, 0
.LBB11_30:                              ;   in Loop: Header=BB11_16 Depth=1
	s_wait_alu 0xfffe
	s_and_b32 vcc_lo, exec_lo, s10
	s_wait_alu 0xfffe
	s_cbranch_vccz .LBB11_41
.LBB11_31:                              ;   in Loop: Header=BB11_16 Depth=1
	v_mov_b32_e32 v1, 0
	s_and_saveexec_b32 s9, s1
	s_cbranch_execz .LBB11_33
; %bb.32:                               ;   in Loop: Header=BB11_16 Depth=1
	global_load_u8 v1, v[5:6], off
.LBB11_33:                              ;   in Loop: Header=BB11_16 Depth=1
	s_wait_alu 0xfffe
	s_or_b32 exec_lo, exec_lo, s9
	s_and_saveexec_b32 s9, s3
	s_cbranch_execz .LBB11_38
; %bb.34:                               ;   in Loop: Header=BB11_16 Depth=1
	s_load_u16 s10, s[50:51], 0x0
	s_mov_b32 s12, 0
	s_wait_kmcnt 0x0
	v_dual_mov_b32 v3, v0 :: v_dual_add_nc_u32 v2, s10, v0
	s_mul_i32 s11, s39, s10
	s_delay_alu instid0(VALU_DEP_1)
	v_mul_lo_u32 v2, s39, v2
	s_branch .LBB11_36
.LBB11_35:                              ;   in Loop: Header=BB11_36 Depth=2
	s_wait_alu 0xfffe
	s_or_b32 exec_lo, exec_lo, s13
	v_cmp_le_i32_e32 vcc_lo, s36, v4
	s_wait_loadcnt 0x0
	ds_store_b8 v3, v1
	v_dual_mov_b32 v1, v27 :: v_dual_add_nc_u32 v2, s11, v2
	v_mov_b32_e32 v3, v4
	s_or_b32 s12, vcc_lo, s12
	s_wait_alu 0xfffe
	s_and_not1_b32 exec_lo, exec_lo, s12
	s_cbranch_execz .LBB11_38
.LBB11_36:                              ;   Parent Loop BB11_16 Depth=1
                                        ; =>  This Inner Loop Header: Depth=2
	s_delay_alu instid0(VALU_DEP_2) | instskip(SKIP_1) | instid1(VALU_DEP_1)
	v_dual_mov_b32 v27, 0 :: v_dual_add_nc_u32 v4, s10, v3
	s_mov_b32 s13, exec_lo
	v_cmpx_gt_u32_e64 s36, v4
	s_cbranch_execz .LBB11_35
; %bb.37:                               ;   in Loop: Header=BB11_36 Depth=2
	global_load_u8 v27, v2, s[44:45]
	s_branch .LBB11_35
.LBB11_38:                              ;   in Loop: Header=BB11_16 Depth=1
	s_wait_alu 0xfffe
	s_or_b32 exec_lo, exec_lo, s9
	s_wait_loadcnt_dscnt 0x0
	s_barrier_signal -1
	s_barrier_wait -1
	global_inv scope:SCOPE_SE
	s_and_saveexec_b32 s9, s2
; %bb.39:                               ;   in Loop: Header=BB11_16 Depth=1
	v_mov_b32_e32 v1, s36
	ds_store_b32 v14, v1 offset:4096
; %bb.40:                               ;   in Loop: Header=BB11_16 Depth=1
	s_wait_alu 0xfffe
	s_or_b32 exec_lo, exec_lo, s9
	s_mov_b32 s9, -1
	s_wait_loadcnt_dscnt 0x0
	s_barrier_signal -1
	s_barrier_wait -1
.LBB11_41:                              ;   in Loop: Header=BB11_16 Depth=1
	s_wait_alu 0xfffe
	s_and_b32 vcc_lo, exec_lo, s9
	s_wait_alu 0xfffe
	s_cbranch_vccz .LBB11_43
; %bb.42:                               ;   in Loop: Header=BB11_16 Depth=1
	s_wait_loadcnt 0x0
	global_inv scope:SCOPE_SE
	ds_load_b32 v1, v14 offset:4096
	s_wait_dscnt 0x0
	v_readfirstlane_b32 s42, v1
.LBB11_43:                              ;   in Loop: Header=BB11_16 Depth=1
	s_delay_alu instid0(VALU_DEP_1)
	s_cmp_lt_i32 s42, 1
	s_mov_b32 s9, -1
                                        ; implicit-def: $vgpr4
	s_cbranch_scc1 .LBB11_53
; %bb.44:                               ;   in Loop: Header=BB11_16 Depth=1
	s_wait_alu 0xfffe
	s_and_b32 vcc_lo, exec_lo, s9
	s_wait_alu 0xfffe
	s_cbranch_vccnz .LBB11_66
.LBB11_45:                              ;   in Loop: Header=BB11_16 Depth=1
	v_lshlrev_b32_e32 v27, 7, v23
	s_and_saveexec_b32 s9, s4
.LBB11_46:                              ;   in Loop: Header=BB11_16 Depth=1
	s_delay_alu instid0(VALU_DEP_1)
	v_lshl_add_u32 v28, v27, 2, v17
	ds_store_b128 v28, v[1:4]
.LBB11_47:                              ;   in Loop: Header=BB11_16 Depth=1
	s_wait_alu 0xfffe
	s_or_b32 exec_lo, exec_lo, s9
	s_wait_loadcnt_dscnt 0x0
	s_barrier_signal -1
	s_barrier_wait -1
	global_inv scope:SCOPE_SE
	s_and_saveexec_b32 s9, s54
	s_cbranch_execz .LBB11_82
; %bb.48:                               ;   in Loop: Header=BB11_16 Depth=1
	v_mov_b32_e32 v1, 0
	s_and_not1_b32 vcc_lo, exec_lo, s59
	s_wait_alu 0xfffe
	s_cbranch_vccnz .LBB11_81
; %bb.49:                               ;   in Loop: Header=BB11_16 Depth=1
	s_and_not1_b32 vcc_lo, exec_lo, s61
	s_wait_alu 0xfffe
	s_cbranch_vccnz .LBB11_78
; %bb.50:                               ;   in Loop: Header=BB11_16 Depth=1
	v_lshl_add_u32 v2, v23, 9, v22
	v_mov_b32_e32 v1, 0
	s_mov_b32 s10, 0
.LBB11_51:                              ;   Parent Loop BB11_16 Depth=1
                                        ; =>  This Inner Loop Header: Depth=2
	ds_load_2addr_b32 v[3:4], v2 offset1:4
	ds_load_2addr_b32 v[28:29], v2 offset0:8 offset1:12
	ds_load_2addr_b32 v[30:31], v2 offset0:16 offset1:20
	;; [unrolled: 1-line block ×3, first 2 shown]
	v_add_nc_u32_e32 v2, 0x80, v2
	s_wait_alu 0xfffe
	s_add_co_i32 s10, s10, 8
	s_wait_alu 0xfffe
	s_cmp_eq_u32 s62, s10
	s_wait_dscnt 0x3
	v_add3_u32 v1, v3, v1, v4
	s_wait_dscnt 0x2
	s_delay_alu instid0(VALU_DEP_1) | instskip(SKIP_1) | instid1(VALU_DEP_1)
	v_add3_u32 v1, v28, v1, v29
	s_wait_dscnt 0x1
	v_add3_u32 v1, v30, v1, v31
	s_wait_dscnt 0x0
	s_delay_alu instid0(VALU_DEP_1)
	v_add3_u32 v1, v32, v1, v33
	s_cbranch_scc0 .LBB11_51
; %bb.52:                               ;   in Loop: Header=BB11_16 Depth=1
	s_mov_b32 s10, s62
	s_and_not1_b32 vcc_lo, exec_lo, s63
	s_wait_alu 0xfffe
	s_cbranch_vccz .LBB11_79
	s_branch .LBB11_81
.LBB11_53:                              ;   in Loop: Header=BB11_16 Depth=1
	v_dual_mov_b32 v1, 0 :: v_dual_mov_b32 v2, 0
	v_dual_mov_b32 v3, 0 :: v_dual_mov_b32 v4, 0
	s_and_saveexec_b32 s74, s5
	s_cbranch_execnz .LBB11_56
; %bb.54:                               ;   in Loop: Header=BB11_16 Depth=1
	s_wait_alu 0xfffe
	s_or_b32 exec_lo, exec_lo, s74
	v_mov_b32_e32 v30, 0
	s_and_saveexec_b32 s9, s6
	s_cbranch_execnz .LBB11_59
.LBB11_55:                              ;   in Loop: Header=BB11_16 Depth=1
	s_wait_alu 0xfffe
	s_or_b32 exec_lo, exec_lo, s9
	s_and_saveexec_b32 s13, s7
	s_cbranch_execnz .LBB11_60
	s_branch .LBB11_65
.LBB11_56:                              ;   in Loop: Header=BB11_16 Depth=1
	v_mov_b32_e32 v27, v13
	s_mov_b32 s75, 0
	s_mov_b32 s76, 0
	;; [unrolled: 1-line block ×6, first 2 shown]
.LBB11_57:                              ;   Parent Loop BB11_16 Depth=1
                                        ; =>  This Inner Loop Header: Depth=2
	s_wait_alu 0xfffe
	v_add_nc_u32_e32 v2, s76, v20
	v_add_nc_u32_e32 v1, s76, v9
	;; [unrolled: 1-line block ×5, first 2 shown]
	v_ashrrev_i32_e32 v29, 31, v2
	v_ashrrev_i32_e32 v32, 31, v1
	v_ashrrev_i32_e32 v33, 31, v3
	v_ashrrev_i32_e32 v34, 31, v4
	v_add_co_u32 v30, s11, s44, v2
	v_add_co_u32 v1, vcc_lo, s44, v1
	v_add_co_u32 v3, s9, s44, v3
	s_wait_alu 0xf1ff
	v_add_co_ci_u32_e64 v31, null, s45, v29, s11
	v_add_co_u32 v28, s10, s44, v4
	s_wait_alu 0xfffd
	v_add_co_ci_u32_e64 v2, null, s45, v32, vcc_lo
	v_add_co_ci_u32_e64 v4, null, s45, v33, s9
	s_wait_alu 0xf1ff
	v_add_co_ci_u32_e64 v29, null, s45, v34, s10
	s_clause 0x3
	global_load_i8 v30, v[30:31], off
	global_load_i8 v1, v[1:2], off
	global_load_i8 v2, v[3:4], off
	global_load_i8 v3, v[28:29], off
	v_cmp_le_i32_e32 vcc_lo, s64, v27
	s_add_co_i32 s76, s76, s37
	s_wait_loadcnt 0x3
	v_add_nc_u32_e32 v4, 0x80, v30
	s_wait_loadcnt 0x2
	v_add_nc_u32_e32 v1, 0x80, v1
	;; [unrolled: 2-line block ×4, first 2 shown]
	v_and_b32_e32 v28, v4, v24
	v_bfe_u32 v4, v4, s73, 2
	v_and_b32_e32 v29, v1, v24
	v_bfe_u32 v1, v1, s73, 2
	;; [unrolled: 2-line block ×3, first 2 shown]
	v_cmp_eq_u32_e64 s9, v28, v10
	v_cmp_eq_u32_e64 s13, 0, v4
	v_and_b32_e32 v31, v3, v24
	v_bfe_u32 v3, v3, s73, 2
	v_cmp_eq_u32_e64 s10, v29, v10
	v_cmp_eq_u32_e64 s14, 0, v1
	;; [unrolled: 1-line block ×4, first 2 shown]
	s_and_b32 s13, s9, s13
	v_cmp_eq_u32_e64 s12, v31, v10
	v_cmp_eq_u32_e64 s16, 0, v3
	;; [unrolled: 1-line block ×5, first 2 shown]
	s_wait_alu 0xfffe
	v_cndmask_b32_e64 v1, 0, 1, s13
	s_and_b32 s13, s10, s14
	v_cmp_eq_u32_e64 s17, 1, v4
	v_cmp_eq_u32_e64 s19, 1, v2
	;; [unrolled: 1-line block ×4, first 2 shown]
	s_wait_alu 0xfffe
	v_cndmask_b32_e64 v2, 0, 1, s13
	s_and_b32 s13, s11, s15
	v_cmp_eq_u32_e64 s20, 1, v3
	v_cmp_eq_u32_e64 s24, 2, v3
	v_cmp_eq_u32_e64 s28, 3, v3
	s_wait_alu 0xfffe
	v_cndmask_b32_e64 v3, 0, 1, s13
	s_and_b32 s13, s12, s16
	v_cmp_eq_u32_e64 s21, 2, v4
	v_cmp_eq_u32_e64 s25, 3, v4
	s_wait_alu 0xfffe
	v_cndmask_b32_e64 v4, 0, 1, s13
	s_and_b32 s13, s9, s17
	s_wait_alu 0xfffe
	v_cndmask_b32_e64 v28, 0, 1, s13
	s_and_b32 s13, s10, s18
	;; [unrolled: 3-line block ×4, first 2 shown]
	v_cmp_ne_u32_e64 s14, 0, v29
	s_wait_alu 0xfffe
	v_cndmask_b32_e64 v31, 0, 1, s13
	s_and_b32 s13, s9, s21
	s_and_b32 s9, s9, s25
	s_wait_alu 0xfffe
	v_cndmask_b32_e64 v32, 0, 1, s13
	s_and_b32 s13, s10, s22
	v_cndmask_b32_e64 v36, 0, 1, s9
	s_and_b32 s9, s10, s26
	s_wait_alu 0xfffe
	v_cndmask_b32_e64 v33, 0, 1, s13
	s_and_b32 s13, s11, s23
	v_cndmask_b32_e64 v37, 0, 1, s9
	;; [unrolled: 5-line block ×3, first 2 shown]
	s_and_b32 s9, s12, s28
	s_wait_alu 0xfffe
	v_cndmask_b32_e64 v35, 0, 1, s13
	v_cndmask_b32_e64 v39, 0, 1, s9
	v_cmp_ne_u32_e64 s9, 0, v1
	v_cmp_ne_u32_e64 s13, 0, v28
	v_cmp_ne_u32_e64 s17, 0, v32
	v_cmp_ne_u32_e64 s21, 0, v36
	v_cmp_ne_u32_e64 s10, 0, v2
	v_cmp_ne_u32_e64 s18, 0, v33
	v_cmp_ne_u32_e64 s22, 0, v37
	v_cmp_ne_u32_e64 s11, 0, v3
	v_cmp_ne_u32_e64 s15, 0, v30
	v_cmp_ne_u32_e64 s19, 0, v34
	v_cmp_ne_u32_e64 s23, 0, v38
	s_bcnt1_i32_b32 s9, s9
	s_bcnt1_i32_b32 s13, s13
	;; [unrolled: 1-line block ×4, first 2 shown]
	v_cmp_ne_u32_e64 s12, 0, v4
	v_cmp_ne_u32_e64 s16, 0, v31
	;; [unrolled: 1-line block ×4, first 2 shown]
	s_bcnt1_i32_b32 s10, s10
	s_bcnt1_i32_b32 s14, s14
	s_bcnt1_i32_b32 s18, s18
	s_bcnt1_i32_b32 s22, s22
	s_wait_alu 0xfffe
	s_add_co_i32 s9, s9, s80
	s_add_co_i32 s13, s13, s79
	s_add_co_i32 s17, s17, s78
	s_add_co_i32 s21, s21, s77
	s_bcnt1_i32_b32 s11, s11
	s_bcnt1_i32_b32 s15, s15
	s_bcnt1_i32_b32 s19, s19
	s_bcnt1_i32_b32 s23, s23
	s_wait_alu 0xfffe
	s_add_co_i32 s9, s9, s10
	s_add_co_i32 s10, s13, s14
	s_add_co_i32 s13, s17, s18
	s_add_co_i32 s14, s21, s22
	;; [unrolled: 9-line block ×3, first 2 shown]
	s_wait_alu 0xfffe
	s_add_co_i32 s80, s9, s12
	s_add_co_i32 s79, s10, s16
	;; [unrolled: 1-line block ×4, first 2 shown]
	s_wait_alu 0xfffe
	v_dual_mov_b32 v1, s80 :: v_dual_mov_b32 v2, s79
	v_dual_mov_b32 v3, s78 :: v_dual_mov_b32 v4, s77
	s_or_b32 s75, vcc_lo, s75
	s_wait_alu 0xfffe
	s_and_not1_b32 exec_lo, exec_lo, s75
	s_cbranch_execnz .LBB11_57
; %bb.58:                               ;   in Loop: Header=BB11_16 Depth=1
	s_or_b32 exec_lo, exec_lo, s75
	s_delay_alu instid0(SALU_CYCLE_1)
	s_or_b32 exec_lo, exec_lo, s74
	v_mov_b32_e32 v30, 0
	s_and_saveexec_b32 s9, s6
	s_cbranch_execz .LBB11_55
.LBB11_59:                              ;   in Loop: Header=BB11_16 Depth=1
	global_load_u8 v30, v[7:8], off
	s_wait_alu 0xfffe
	s_or_b32 exec_lo, exec_lo, s9
	s_and_saveexec_b32 s13, s7
	s_cbranch_execz .LBB11_65
.LBB11_60:                              ;   in Loop: Header=BB11_16 Depth=1
	v_dual_mov_b32 v27, v21 :: v_dual_mov_b32 v28, v16
	s_mov_b32 s14, 0
	s_branch .LBB11_62
.LBB11_61:                              ;   in Loop: Header=BB11_62 Depth=2
	s_wait_alu 0xfffe
	s_or_b32 exec_lo, exec_lo, s9
	s_wait_loadcnt 0x0
	v_bfe_i32 v30, v30, 0, 8
	v_add_nc_u32_e32 v27, s57, v27
	s_delay_alu instid0(VALU_DEP_2) | instskip(NEXT) | instid1(VALU_DEP_1)
	v_add_nc_u32_e32 v30, 0x80, v30
	v_and_b32_e32 v31, v30, v24
	v_bfe_u32 v30, v30, s73, 2
	s_delay_alu instid0(VALU_DEP_2) | instskip(NEXT) | instid1(VALU_DEP_2)
	v_cmp_eq_u32_e32 vcc_lo, v31, v10
	v_cmp_eq_u32_e64 s9, 0, v30
	v_cmp_eq_u32_e64 s10, 1, v30
	;; [unrolled: 1-line block ×4, first 2 shown]
	s_and_b32 s9, vcc_lo, s9
	s_wait_alu 0xfffe
	v_cndmask_b32_e64 v30, 0, 1, s9
	s_and_b32 s9, vcc_lo, s10
	s_wait_alu 0xfffe
	v_cndmask_b32_e64 v31, 0, 1, s9
	;; [unrolled: 3-line block ×3, first 2 shown]
	s_and_b32 s9, vcc_lo, s12
	v_cmp_ne_u32_e32 vcc_lo, 0, v30
	s_wait_alu 0xfffe
	v_cndmask_b32_e64 v33, 0, 1, s9
	v_cmp_ne_u32_e64 s9, 0, v31
	v_cmp_ne_u32_e64 s10, 0, v32
	v_cmp_le_i32_e64 s12, s36, v28
	s_bcnt1_i32_b32 s15, vcc_lo
	v_cmp_ne_u32_e64 s11, 0, v33
	s_bcnt1_i32_b32 s9, s9
	s_bcnt1_i32_b32 s10, s10
	s_wait_alu 0xfffe
	v_add_nc_u32_e32 v1, s15, v1
	v_add_nc_u32_e32 v2, s9, v2
	s_bcnt1_i32_b32 s11, s11
	v_add_nc_u32_e32 v3, s10, v3
	s_wait_alu 0xfffe
	v_add_nc_u32_e32 v4, s11, v4
	v_mov_b32_e32 v30, v29
	s_or_b32 s14, s12, s14
	s_wait_alu 0xfffe
	s_and_not1_b32 exec_lo, exec_lo, s14
	s_cbranch_execz .LBB11_64
.LBB11_62:                              ;   Parent Loop BB11_16 Depth=1
                                        ; =>  This Inner Loop Header: Depth=2
	s_delay_alu instid0(VALU_DEP_1) | instskip(SKIP_1) | instid1(VALU_DEP_1)
	v_dual_mov_b32 v29, 0 :: v_dual_add_nc_u32 v28, s53, v28
	s_mov_b32 s9, exec_lo
	v_cmpx_gt_u32_e64 s36, v28
	s_cbranch_execz .LBB11_61
; %bb.63:                               ;   in Loop: Header=BB11_62 Depth=2
	v_ashrrev_i32_e32 v29, 31, v27
	v_add_co_u32 v31, vcc_lo, s44, v27
	s_wait_alu 0xfffd
	s_delay_alu instid0(VALU_DEP_2)
	v_add_co_ci_u32_e64 v32, null, s45, v29, vcc_lo
	global_load_u8 v29, v[31:32], off
	s_branch .LBB11_61
.LBB11_64:                              ;   in Loop: Header=BB11_16 Depth=1
	s_or_b32 exec_lo, exec_lo, s14
.LBB11_65:                              ;   in Loop: Header=BB11_16 Depth=1
	s_wait_alu 0xfffe
	s_or_b32 exec_lo, exec_lo, s13
	s_branch .LBB11_45
.LBB11_66:                              ;   in Loop: Header=BB11_16 Depth=1
	s_mul_u64 s[10:11], s[42:43], s[46:47]
	v_dual_mov_b32 v1, 0 :: v_dual_mov_b32 v2, 0
	s_wait_alu 0xfffe
	s_mul_i32 s9, s11, s55
	v_dual_mov_b32 v3, 0 :: v_dual_mov_b32 v4, 0
	s_wait_alu 0xfffe
	s_sub_co_i32 s9, s42, s9
	s_mov_b32 s75, exec_lo
	s_wait_alu 0xfffe
	s_sub_co_i32 s10, s9, s55
	s_cmp_ge_u32 s9, s55
	s_wait_alu 0xfffe
	s_cselect_b32 s9, s10, s9
	s_wait_alu 0xfffe
	s_sub_co_i32 s10, s9, s55
	s_cmp_ge_u32 s9, s55
	s_wait_alu 0xfffe
	s_cselect_b32 s9, s10, s9
	s_wait_alu 0xfffe
	s_sub_co_i32 s74, s42, s9
	s_wait_alu 0xfffe
	v_cmpx_gt_u32_e64 s74, v13
	s_cbranch_execz .LBB11_70
; %bb.67:                               ;   in Loop: Header=BB11_16 Depth=1
	v_mov_b32_e32 v27, v13
	s_mov_b32 s76, 0
	s_mov_b32 s77, 0
	s_mov_b32 s78, 0
	s_mov_b32 s79, 0
	s_mov_b32 s80, 0
.LBB11_68:                              ;   Parent Loop BB11_16 Depth=1
                                        ; =>  This Inner Loop Header: Depth=2
	ds_load_b32 v1, v27
	s_wait_dscnt 0x0
	v_bfe_i32 v2, v1, 0, 8
	v_bfe_i32 v3, v1, 8, 8
	;; [unrolled: 1-line block ×3, first 2 shown]
	v_ashrrev_i32_e32 v1, 24, v1
	s_delay_alu instid0(VALU_DEP_4) | instskip(NEXT) | instid1(VALU_DEP_4)
	v_add_nc_u32_e32 v2, 0x80, v2
	v_add_nc_u32_e32 v3, 0x80, v3
	s_delay_alu instid0(VALU_DEP_4) | instskip(NEXT) | instid1(VALU_DEP_4)
	v_add_nc_u32_e32 v4, 0x80, v4
	v_add_nc_u32_e32 v1, 0x80, v1
	s_delay_alu instid0(VALU_DEP_4)
	v_and_b32_e32 v28, v2, v24
	v_bfe_u32 v2, v2, s73, 2
	v_and_b32_e32 v29, v3, v24
	v_bfe_u32 v3, v3, s73, 2
	s_wait_loadcnt 0x0
	v_and_b32_e32 v30, v4, v24
	v_bfe_u32 v4, v4, s73, 2
	v_cmp_eq_u32_e64 s9, v28, v10
	v_cmp_eq_u32_e64 s13, 0, v2
	v_and_b32_e32 v31, v1, v24
	v_bfe_u32 v1, v1, s73, 2
	v_cmp_eq_u32_e64 s10, v29, v10
	v_cmp_eq_u32_e64 s14, 0, v3
	;; [unrolled: 1-line block ×4, first 2 shown]
	s_and_b32 s13, s9, s13
	v_cmp_eq_u32_e64 s12, v31, v10
	v_cmp_eq_u32_e64 s16, 0, v1
	;; [unrolled: 1-line block ×5, first 2 shown]
	s_wait_alu 0xfffe
	v_cndmask_b32_e64 v1, 0, 1, s13
	s_and_b32 s13, s10, s14
	v_cmp_eq_u32_e64 s17, 1, v2
	v_cmp_eq_u32_e64 s21, 2, v2
	v_cmp_eq_u32_e64 s25, 3, v2
	s_wait_alu 0xfffe
	v_cndmask_b32_e64 v2, 0, 1, s13
	s_and_b32 s13, s11, s15
	v_cmp_eq_u32_e64 s18, 1, v3
	v_cmp_eq_u32_e64 s22, 2, v3
	v_cmp_eq_u32_e64 s26, 3, v3
	;; [unrolled: 6-line block ×3, first 2 shown]
	s_wait_alu 0xfffe
	v_cndmask_b32_e64 v4, 0, 1, s13
	s_and_b32 s13, s9, s17
	s_wait_alu 0xfffe
	v_cndmask_b32_e64 v28, 0, 1, s13
	s_and_b32 s13, s10, s18
	;; [unrolled: 3-line block ×4, first 2 shown]
	v_cmp_ne_u32_e64 s14, 0, v29
	s_wait_alu 0xfffe
	v_cndmask_b32_e64 v31, 0, 1, s13
	s_and_b32 s13, s9, s21
	s_and_b32 s9, s9, s25
	s_wait_alu 0xfffe
	v_cndmask_b32_e64 v32, 0, 1, s13
	s_and_b32 s13, s10, s22
	v_cndmask_b32_e64 v36, 0, 1, s9
	s_and_b32 s9, s10, s26
	s_wait_alu 0xfffe
	v_cndmask_b32_e64 v33, 0, 1, s13
	s_and_b32 s13, s11, s23
	v_cndmask_b32_e64 v37, 0, 1, s9
	;; [unrolled: 5-line block ×3, first 2 shown]
	s_and_b32 s9, s12, s28
	s_wait_alu 0xfffe
	v_cndmask_b32_e64 v35, 0, 1, s13
	v_cndmask_b32_e64 v39, 0, 1, s9
	v_cmp_ne_u32_e64 s9, 0, v1
	v_cmp_ne_u32_e64 s13, 0, v28
	;; [unrolled: 1-line block ×6, first 2 shown]
	s_bcnt1_i32_b32 s9, s9
	s_bcnt1_i32_b32 s13, s13
	v_cmp_ne_u32_e64 s16, 0, v31
	v_cmp_ne_u32_e64 s18, 0, v33
	;; [unrolled: 1-line block ×3, first 2 shown]
	s_bcnt1_i32_b32 s10, s10
	s_bcnt1_i32_b32 s14, s14
	s_wait_alu 0xfffe
	s_add_co_i32 s9, s9, s80
	s_add_co_i32 s13, s13, s79
	v_cmp_ne_u32_e64 s11, 0, v3
	v_cmp_ne_u32_e64 s19, 0, v34
	;; [unrolled: 1-line block ×3, first 2 shown]
	s_bcnt1_i32_b32 s15, s15
	s_wait_alu 0xfffe
	s_add_co_i32 s9, s9, s10
	s_add_co_i32 s10, s13, s14
	s_bcnt1_i32_b32 s17, s17
	s_bcnt1_i32_b32 s21, s21
	v_cmp_ne_u32_e64 s12, 0, v4
	v_cmp_ne_u32_e64 s20, 0, v35
	;; [unrolled: 1-line block ×3, first 2 shown]
	s_bcnt1_i32_b32 s16, s16
	s_wait_alu 0xfffe
	s_add_co_i32 s10, s10, s15
	s_bcnt1_i32_b32 s18, s18
	s_bcnt1_i32_b32 s22, s22
	s_add_co_i32 s17, s17, s78
	s_add_co_i32 s21, s21, s77
	s_wait_alu 0xfffe
	s_add_co_i32 s79, s10, s16
	s_wait_alu 0xfffe
	v_dual_mov_b32 v2, s79 :: v_dual_add_nc_u32 v27, s55, v27
	s_bcnt1_i32_b32 s11, s11
	s_bcnt1_i32_b32 s19, s19
	;; [unrolled: 1-line block ×3, first 2 shown]
	s_add_co_i32 s13, s17, s18
	s_add_co_i32 s14, s21, s22
	s_bcnt1_i32_b32 s12, s12
	s_bcnt1_i32_b32 s20, s20
	;; [unrolled: 1-line block ×3, first 2 shown]
	s_wait_alu 0xfffe
	s_add_co_i32 s9, s9, s11
	s_add_co_i32 s11, s13, s19
	;; [unrolled: 1-line block ×3, first 2 shown]
	v_cmp_le_i32_e32 vcc_lo, s74, v27
	s_wait_alu 0xfffe
	s_add_co_i32 s80, s9, s12
	s_add_co_i32 s78, s11, s20
	;; [unrolled: 1-line block ×3, first 2 shown]
	s_wait_alu 0xfffe
	v_mov_b32_e32 v1, s80
	v_dual_mov_b32 v3, s78 :: v_dual_mov_b32 v4, s77
	s_or_b32 s76, vcc_lo, s76
	s_wait_alu 0xfffe
	s_and_not1_b32 exec_lo, exec_lo, s76
	s_cbranch_execnz .LBB11_68
; %bb.69:                               ;   in Loop: Header=BB11_16 Depth=1
	s_or_b32 exec_lo, exec_lo, s76
.LBB11_70:                              ;   in Loop: Header=BB11_16 Depth=1
	s_delay_alu instid0(SALU_CYCLE_1) | instskip(SKIP_2) | instid1(VALU_DEP_1)
	s_or_b32 exec_lo, exec_lo, s75
	v_add_nc_u32_e32 v27, s74, v0
	s_mov_b32 s14, exec_lo
	v_cmpx_gt_i32_e64 s42, v27
	s_cbranch_execz .LBB11_74
; %bb.71:                               ;   in Loop: Header=BB11_16 Depth=1
	s_mov_b32 s15, 0
.LBB11_72:                              ;   Parent Loop BB11_16 Depth=1
                                        ; =>  This Inner Loop Header: Depth=2
	ds_load_i8 v28, v27
	v_add_nc_u32_e32 v27, s53, v27
	s_delay_alu instid0(VALU_DEP_1) | instskip(SKIP_2) | instid1(VALU_DEP_1)
	v_cmp_le_i32_e32 vcc_lo, s42, v27
	s_wait_dscnt 0x0
	v_add_nc_u32_e32 v28, 0x80, v28
	v_and_b32_e32 v29, v28, v24
	v_bfe_u32 v28, v28, s73, 2
	s_delay_alu instid0(VALU_DEP_2) | instskip(NEXT) | instid1(VALU_DEP_2)
	v_cmp_eq_u32_e64 s9, v29, v10
	v_cmp_eq_u32_e64 s10, 0, v28
	;; [unrolled: 1-line block ×5, first 2 shown]
	s_and_b32 s10, s9, s10
	s_wait_alu 0xfffe
	v_cndmask_b32_e64 v28, 0, 1, s10
	s_and_b32 s10, s9, s11
	s_wait_alu 0xfffe
	v_cndmask_b32_e64 v29, 0, 1, s10
	s_and_b32 s10, s9, s12
	s_and_b32 s9, s9, s13
	s_wait_loadcnt 0x0
	s_wait_alu 0xfffe
	v_cndmask_b32_e64 v30, 0, 1, s10
	v_cndmask_b32_e64 v31, 0, 1, s9
	v_cmp_ne_u32_e64 s9, 0, v28
	v_cmp_ne_u32_e64 s10, 0, v29
	s_delay_alu instid0(VALU_DEP_4) | instskip(NEXT) | instid1(VALU_DEP_4)
	v_cmp_ne_u32_e64 s11, 0, v30
	v_cmp_ne_u32_e64 s12, 0, v31
	s_bcnt1_i32_b32 s9, s9
	s_bcnt1_i32_b32 s10, s10
	s_wait_alu 0xfffe
	v_add_nc_u32_e32 v1, s9, v1
	s_bcnt1_i32_b32 s11, s11
	s_bcnt1_i32_b32 s12, s12
	v_add_nc_u32_e32 v2, s10, v2
	s_wait_alu 0xfffe
	v_add_nc_u32_e32 v3, s11, v3
	v_add_nc_u32_e32 v4, s12, v4
	s_or_b32 s15, vcc_lo, s15
	s_wait_alu 0xfffe
	s_and_not1_b32 exec_lo, exec_lo, s15
	s_cbranch_execnz .LBB11_72
; %bb.73:                               ;   in Loop: Header=BB11_16 Depth=1
	s_or_b32 exec_lo, exec_lo, s15
.LBB11_74:                              ;   in Loop: Header=BB11_16 Depth=1
	s_wait_alu 0xfffe
	s_or_b32 exec_lo, exec_lo, s14
	v_lshlrev_b32_e32 v27, 7, v23
	s_and_saveexec_b32 s9, s4
	s_cbranch_execnz .LBB11_46
	s_branch .LBB11_47
.LBB11_75:                              ;   in Loop: Header=BB11_16 Depth=1
	s_or_b32 exec_lo, exec_lo, s12
	s_wait_dscnt 0x0
	s_barrier_signal -1
	s_barrier_wait -1
	global_inv scope:SCOPE_SE
	s_and_saveexec_b32 s9, s2
	s_cbranch_execz .LBB11_77
; %bb.76:                               ;   in Loop: Header=BB11_16 Depth=1
	ds_load_b32 v1, v14 offset:4104
	s_wait_dscnt 0x0
	ds_store_b32 v14, v1 offset:4096
.LBB11_77:                              ;   in Loop: Header=BB11_16 Depth=1
	s_wait_alu 0xfffe
	s_or_b32 exec_lo, exec_lo, s9
	s_wait_loadcnt_dscnt 0x0
	s_barrier_signal -1
	s_mov_b32 s9, -1
	s_barrier_wait -1
	s_and_b32 vcc_lo, exec_lo, s10
	s_wait_alu 0xfffe
	s_cbranch_vccnz .LBB11_31
	s_branch .LBB11_41
.LBB11_78:                              ;   in Loop: Header=BB11_16 Depth=1
	v_mov_b32_e32 v1, 0
	s_mov_b32 s10, 0
	s_and_not1_b32 vcc_lo, exec_lo, s63
	s_wait_alu 0xfffe
	s_cbranch_vccnz .LBB11_81
.LBB11_79:                              ;   in Loop: Header=BB11_16 Depth=1
	v_lshlrev_b32_e32 v2, 9, v23
	s_lshl_b32 s10, s10, 4
	s_wait_alu 0xfffe
	s_delay_alu instid0(VALU_DEP_1)
	v_add3_u32 v2, v2, s10, v22
	s_mov_b32 s10, s60
.LBB11_80:                              ;   Parent Loop BB11_16 Depth=1
                                        ; =>  This Inner Loop Header: Depth=2
	ds_load_b32 v3, v2
	v_add_nc_u32_e32 v2, 16, v2
	s_wait_alu 0xfffe
	s_add_co_i32 s10, s10, -1
	s_wait_alu 0xfffe
	s_cmp_lg_u32 s10, 0
	s_wait_dscnt 0x0
	v_add_nc_u32_e32 v1, v3, v1
	s_cbranch_scc1 .LBB11_80
.LBB11_81:                              ;   in Loop: Header=BB11_16 Depth=1
	v_add_lshl_u32 v2, v27, v12, 2
	ds_store_b32 v2, v1 offset:3072
.LBB11_82:                              ;   in Loop: Header=BB11_16 Depth=1
	s_wait_alu 0xfffe
	s_or_b32 exec_lo, exec_lo, s9
	v_lshlrev_b32_e32 v1, 2, v27
	s_wait_loadcnt_dscnt 0x0
	s_barrier_signal -1
	s_barrier_wait -1
	global_inv scope:SCOPE_SE
	ds_load_b128 v[1:4], v1 offset:3072
	s_lshl_b32 s10, 3, s73
	v_cmp_eq_u32_e32 vcc_lo, 1, v26
	s_wait_alu 0xfffe
	s_not_b32 s17, s10
	s_mov_b32 s13, -1
	s_mov_b32 s15, -1
                                        ; implicit-def: $sgpr20
                                        ; implicit-def: $sgpr18
	s_wait_dscnt 0x0
	v_readfirstlane_b32 s12, v1
	v_readfirstlane_b32 s19, v2
	;; [unrolled: 1-line block ×4, first 2 shown]
	s_cmp_eq_u32 s12, 1
	s_cselect_b32 s11, -1, 0
	s_wait_alu 0xfffe
	s_and_b32 s14, s11, vcc_lo
	s_wait_alu 0xfffe
	s_and_saveexec_b32 s11, s14
	s_cbranch_execz .LBB11_108
; %bb.83:                               ;   in Loop: Header=BB11_16 Depth=1
	ds_load_b32 v1, v14 offset:4096
	s_wait_loadcnt_dscnt 0x0
	s_barrier_signal -1
	s_barrier_wait -1
	global_inv scope:SCOPE_SE
	v_readfirstlane_b32 s15, v1
	s_and_saveexec_b32 s18, s0
; %bb.84:                               ;   in Loop: Header=BB11_16 Depth=1
	ds_store_b8 v0, v14 offset:3072
; %bb.85:                               ;   in Loop: Header=BB11_16 Depth=1
	s_wait_alu 0xfffe
	s_or_b32 exec_lo, exec_lo, s18
	v_and_b32_e32 v10, s17, v10
	v_or_b32_e32 v24, s10, v24
	s_mov_b32 s18, -1
	s_mov_b32 s20, 0
	s_cmp_lt_i32 s15, 1
	s_mov_b32 s21, 0
	s_mov_b32 s22, -1
	s_wait_loadcnt_dscnt 0x0
	s_barrier_signal -1
	s_barrier_wait -1
	global_inv scope:SCOPE_SE
                                        ; implicit-def: $vgpr25
	s_cbranch_scc0 .LBB11_96
; %bb.86:                               ;   in Loop: Header=BB11_16 Depth=1
	s_mov_b32 s22, 0
                                        ; implicit-def: $vgpr25
	s_and_saveexec_b32 s23, s8
	s_cbranch_execz .LBB11_95
; %bb.87:                               ;   in Loop: Header=BB11_16 Depth=1
	v_dual_mov_b32 v1, v11 :: v_dual_mov_b32 v2, v0
                                        ; implicit-def: $sgpr24
	s_branch .LBB11_90
.LBB11_88:                              ;   in Loop: Header=BB11_90 Depth=2
	s_wait_alu 0xfffe
	s_or_b32 exec_lo, exec_lo, s25
	s_wait_loadcnt_dscnt 0x0
	s_barrier_signal -1
	s_barrier_wait -1
	global_inv scope:SCOPE_SE
	ds_load_u16 v3, v14 offset:3072
	s_mov_b32 s25, -1
	s_mov_b32 s26, -1
	s_wait_loadcnt_dscnt 0x0
	s_barrier_signal -1
	s_barrier_wait -1
	global_inv scope:SCOPE_SE
	v_and_b32_e32 v4, 0xff, v3
	s_delay_alu instid0(VALU_DEP_1)
	v_cmp_ne_u32_e32 vcc_lo, 0, v4
	s_cbranch_vccz .LBB11_93
.LBB11_89:                              ;   in Loop: Header=BB11_90 Depth=2
	s_wait_alu 0xfffe
	s_and_b32 s25, exec_lo, s25
	s_wait_alu 0xfffe
	s_or_b32 s21, s25, s21
	s_and_not1_b32 s24, s24, exec_lo
	s_and_b32 s25, s26, exec_lo
	s_wait_alu 0xfffe
	s_or_b32 s24, s24, s25
	s_and_not1_b32 exec_lo, exec_lo, s21
	s_cbranch_execz .LBB11_94
.LBB11_90:                              ;   Parent Loop BB11_16 Depth=1
                                        ; =>  This Inner Loop Header: Depth=2
	s_mov_b32 s25, exec_lo
	s_delay_alu instid0(VALU_DEP_1)
	v_cmpx_gt_i32_e64 s36, v2
	s_cbranch_execz .LBB11_88
; %bb.91:                               ;   in Loop: Header=BB11_90 Depth=2
	v_ashrrev_i32_e32 v4, 31, v1
	v_add_co_u32 v3, vcc_lo, s44, v1
	s_wait_alu 0xfffd
	s_delay_alu instid0(VALU_DEP_2) | instskip(SKIP_3) | instid1(VALU_DEP_1)
	v_add_co_ci_u32_e64 v4, null, s45, v4, vcc_lo
	global_load_u8 v3, v[3:4], off
	s_wait_loadcnt 0x0
	v_bfe_i32 v4, v3, 0, 8
	v_add_nc_u32_e32 v4, 0x80, v4
	s_delay_alu instid0(VALU_DEP_1) | instskip(NEXT) | instid1(VALU_DEP_1)
	v_and_b32_e32 v4, v4, v24
	v_cmp_eq_u32_e32 vcc_lo, v4, v10
	s_and_b32 exec_lo, exec_lo, vcc_lo
	s_cbranch_execz .LBB11_88
; %bb.92:                               ;   in Loop: Header=BB11_90 Depth=2
	v_lshlrev_b16 v3, 8, v3
	s_delay_alu instid0(VALU_DEP_1)
	v_or_b32_e32 v3, 1, v3
	ds_store_b16 v14, v3 offset:3072
	s_branch .LBB11_88
.LBB11_93:                              ;   in Loop: Header=BB11_90 Depth=2
	v_add_nc_u32_e32 v2, s53, v2
	v_add_nc_u32_e32 v1, s57, v1
	s_mov_b32 s26, 0
	s_delay_alu instid0(VALU_DEP_2)
	v_cmp_le_i32_e32 vcc_lo, s65, v2
	s_or_not1_b32 s25, vcc_lo, exec_lo
	s_branch .LBB11_89
.LBB11_94:                              ;   in Loop: Header=BB11_16 Depth=1
	s_or_b32 exec_lo, exec_lo, s21
	v_and_b32_e32 v1, 0xffff, v3
	s_wait_alu 0xfffe
	s_and_b32 s21, s24, exec_lo
	s_delay_alu instid0(VALU_DEP_1)
	v_lshrrev_b32_e32 v25, 8, v1
.LBB11_95:                              ;   in Loop: Header=BB11_16 Depth=1
	s_wait_alu 0xfffe
	s_or_b32 exec_lo, exec_lo, s23
.LBB11_96:                              ;   in Loop: Header=BB11_16 Depth=1
	s_wait_alu 0xfffe
	s_and_b32 vcc_lo, exec_lo, s22
	s_wait_alu 0xfffe
	s_cbranch_vccz .LBB11_107
; %bb.97:                               ;   in Loop: Header=BB11_16 Depth=1
	s_add_co_i32 s20, s15, s56
                                        ; implicit-def: $vgpr25
	s_wait_alu 0xfffe
	s_abs_i32 s42, s20
	s_wait_alu 0xfffe
	s_mul_u64 s[22:23], s[42:43], s[48:49]
	s_ashr_i32 s22, s20, 31
	s_wait_alu 0xfffe
	s_mul_i32 s18, s23, s53
	s_wait_alu 0xfffe
	s_sub_co_i32 s18, s42, s18
	s_wait_alu 0xfffe
	s_sub_co_i32 s23, s18, s53
	s_cmp_ge_u32 s18, s53
	s_wait_alu 0xfffe
	s_cselect_b32 s18, s23, s18
	s_wait_alu 0xfffe
	s_sub_co_i32 s23, s18, s53
	s_cmp_ge_u32 s18, s53
	s_wait_alu 0xfffe
	s_cselect_b32 s18, s23, s18
	s_wait_alu 0xfffe
	s_xor_b32 s18, s18, s22
	s_wait_alu 0xfffe
	s_sub_co_i32 s18, s22, s18
	s_wait_alu 0xfffe
	s_add_co_i32 s20, s20, s18
	s_mov_b32 s18, exec_lo
	s_wait_alu 0xfffe
	v_cmpx_gt_i32_e64 s20, v0
	s_cbranch_execz .LBB11_106
; %bb.98:                               ;   in Loop: Header=BB11_16 Depth=1
	v_mov_b32_e32 v1, v0
	s_mov_b32 s23, 0
                                        ; implicit-def: $sgpr22
	s_branch .LBB11_101
.LBB11_99:                              ;   in Loop: Header=BB11_101 Depth=2
	s_wait_alu 0xfffe
	s_or_b32 exec_lo, exec_lo, s24
	s_wait_loadcnt_dscnt 0x0
	s_barrier_signal -1
	s_barrier_wait -1
	global_inv scope:SCOPE_SE
	ds_load_u16 v2, v14 offset:3072
	s_mov_b32 s25, -1
	s_mov_b32 s24, -1
	s_wait_loadcnt_dscnt 0x0
	s_barrier_signal -1
	s_barrier_wait -1
	global_inv scope:SCOPE_SE
	v_and_b32_e32 v3, 0xff, v2
	s_delay_alu instid0(VALU_DEP_1)
	v_cmp_ne_u32_e32 vcc_lo, 0, v3
	s_cbranch_vccz .LBB11_104
.LBB11_100:                             ;   in Loop: Header=BB11_101 Depth=2
	s_wait_alu 0xfffe
	s_and_b32 s25, exec_lo, s25
	s_wait_alu 0xfffe
	s_or_b32 s23, s25, s23
	s_and_not1_b32 s22, s22, exec_lo
	s_and_b32 s24, s24, exec_lo
	s_wait_alu 0xfffe
	s_or_b32 s22, s22, s24
	s_and_not1_b32 exec_lo, exec_lo, s23
	s_cbranch_execz .LBB11_105
.LBB11_101:                             ;   Parent Loop BB11_16 Depth=1
                                        ; =>  This Inner Loop Header: Depth=2
	s_mov_b32 s24, exec_lo
	s_delay_alu instid0(VALU_DEP_1)
	v_cmpx_gt_i32_e64 s15, v1
	s_cbranch_execz .LBB11_99
; %bb.102:                              ;   in Loop: Header=BB11_101 Depth=2
	ds_load_u8 v2, v1
	s_wait_dscnt 0x0
	v_bfe_i32 v3, v2, 0, 8
	s_delay_alu instid0(VALU_DEP_1) | instskip(NEXT) | instid1(VALU_DEP_1)
	v_add_nc_u32_e32 v3, 0x80, v3
	v_and_b32_e32 v3, v3, v24
	s_delay_alu instid0(VALU_DEP_1)
	v_cmp_eq_u32_e32 vcc_lo, v3, v10
	s_and_b32 exec_lo, exec_lo, vcc_lo
	s_cbranch_execz .LBB11_99
; %bb.103:                              ;   in Loop: Header=BB11_101 Depth=2
	v_lshlrev_b16 v2, 8, v2
	s_delay_alu instid0(VALU_DEP_1)
	v_or_b32_e32 v2, 1, v2
	ds_store_b16 v14, v2 offset:3072
	s_branch .LBB11_99
.LBB11_104:                             ;   in Loop: Header=BB11_101 Depth=2
	v_add_nc_u32_e32 v1, s53, v1
	s_mov_b32 s24, 0
	s_delay_alu instid0(VALU_DEP_1)
	v_cmp_le_i32_e32 vcc_lo, s20, v1
	s_or_not1_b32 s25, vcc_lo, exec_lo
	s_branch .LBB11_100
.LBB11_105:                             ;   in Loop: Header=BB11_16 Depth=1
	s_or_b32 exec_lo, exec_lo, s23
	v_and_b32_e32 v1, 0xffff, v2
	s_and_not1_b32 s15, s21, exec_lo
	s_wait_alu 0xfffe
	s_and_b32 s20, s22, exec_lo
	s_wait_alu 0xfffe
	s_or_b32 s21, s15, s20
	v_lshrrev_b32_e32 v25, 8, v1
.LBB11_106:                             ;   in Loop: Header=BB11_16 Depth=1
	s_or_b32 exec_lo, exec_lo, s18
	s_mov_b32 s18, 0
	s_mov_b32 s20, -1
.LBB11_107:                             ;   in Loop: Header=BB11_16 Depth=1
	s_wait_alu 0xfffe
	s_or_not1_b32 s15, s21, exec_lo
.LBB11_108:                             ;   in Loop: Header=BB11_16 Depth=1
	s_wait_alu 0xfffe
	s_or_b32 exec_lo, exec_lo, s11
	v_readfirstlane_b32 s21, v0
	s_and_not1_b32 s11, s71, exec_lo
	s_and_b32 s20, s20, exec_lo
	s_and_not1_b32 s22, s69, exec_lo
	s_and_b32 s18, s18, exec_lo
	s_and_not1_b32 s68, s68, exec_lo
	s_wait_alu 0xfffe
	s_or_b32 s71, s11, s20
	s_or_b32 s69, s22, s18
                                        ; implicit-def: $vgpr2
	s_and_saveexec_b32 s11, s15
	s_cbranch_execz .LBB11_15
; %bb.109:                              ;   in Loop: Header=BB11_16 Depth=1
	v_dual_mov_b32 v2, 1 :: v_dual_mov_b32 v1, 1
	s_xor_b32 s14, s14, -1
	s_mov_b32 s20, 0
	s_wait_alu 0xfffe
	s_and_saveexec_b32 s13, s14
	s_cbranch_execz .LBB11_118
; %bb.110:                              ;   in Loop: Header=BB11_16 Depth=1
	s_mov_b32 s14, exec_lo
	v_cmpx_ge_i32_e64 s12, v26
	s_wait_alu 0xfffe
	s_xor_b32 s14, exec_lo, s14
	s_cbranch_execz .LBB11_115
; %bb.111:                              ;   in Loop: Header=BB11_16 Depth=1
	ds_load_b32 v1, v14 offset:4096
	v_and_b32_e32 v10, s17, v10
	v_or_b32_e32 v24, s10, v24
	s_wait_dscnt 0x0
	v_cmp_ne_u32_e32 vcc_lo, 0, v1
	s_cbranch_vccnz .LBB11_115
; %bb.112:                              ;   in Loop: Header=BB11_16 Depth=1
	s_and_saveexec_b32 s15, s2
; %bb.113:                              ;   in Loop: Header=BB11_16 Depth=1
	v_mov_b32_e32 v1, s12
	ds_store_b32 v14, v1 offset:4100
; %bb.114:                              ;   in Loop: Header=BB11_16 Depth=1
	s_wait_alu 0xfffe
	s_or_b32 exec_lo, exec_lo, s15
	s_wait_loadcnt_dscnt 0x0
	s_barrier_signal -1
	s_barrier_wait -1
	global_inv scope:SCOPE_SE
.LBB11_115:                             ;   in Loop: Header=BB11_16 Depth=1
	s_wait_alu 0xfffe
	s_or_saveexec_b32 s14, s14
	v_mov_b32_e32 v1, 8
	s_mov_b32 s15, 0
	s_wait_alu 0xfffe
	s_xor_b32 exec_lo, exec_lo, s14
; %bb.116:                              ;   in Loop: Header=BB11_16 Depth=1
	v_subrev_nc_u32_e32 v26, s12, v26
	v_mov_b32_e32 v1, 0
	s_mov_b32 s15, exec_lo
; %bb.117:                              ;   in Loop: Header=BB11_16 Depth=1
	s_or_b32 exec_lo, exec_lo, s14
	s_delay_alu instid0(VALU_DEP_2)
	v_mov_b32_e32 v2, v26
	s_wait_alu 0xfffe
	s_and_b32 s20, s15, exec_lo
.LBB11_118:                             ;   in Loop: Header=BB11_16 Depth=1
	s_wait_alu 0xfffe
	s_or_b32 exec_lo, exec_lo, s13
	s_mov_b32 s12, -1
	s_mov_b32 s18, -1
                                        ; implicit-def: $sgpr14
                                        ; implicit-def: $sgpr15
	s_and_saveexec_b32 s13, s20
	s_wait_alu 0xfffe
	s_xor_b32 s13, exec_lo, s13
	s_cbranch_execz .LBB11_235
; %bb.119:                              ;   in Loop: Header=BB11_16 Depth=1
	v_cmp_eq_u32_e32 vcc_lo, 1, v2
	s_cmp_eq_u32 s19, 1
	s_mov_b32 s21, -1
	s_cselect_b32 s14, -1, 0
                                        ; implicit-def: $sgpr15
	s_wait_alu 0xfffe
	s_and_b32 s20, s14, vcc_lo
                                        ; implicit-def: $sgpr14
	s_wait_alu 0xfffe
	s_and_saveexec_b32 s18, s20
	s_cbranch_execz .LBB11_145
; %bb.120:                              ;   in Loop: Header=BB11_16 Depth=1
	ds_load_b32 v3, v14 offset:4096
	s_wait_loadcnt_dscnt 0x0
	s_barrier_signal -1
	s_barrier_wait -1
	global_inv scope:SCOPE_SE
	v_readfirstlane_b32 s21, v3
	s_and_saveexec_b32 s14, s0
; %bb.121:                              ;   in Loop: Header=BB11_16 Depth=1
	ds_store_b8 v0, v14 offset:3072
; %bb.122:                              ;   in Loop: Header=BB11_16 Depth=1
	s_wait_alu 0xfffe
	s_or_b32 exec_lo, exec_lo, s14
	s_lshl_b32 s14, 1, s73
	v_or_b32_e32 v24, s10, v24
	s_wait_alu 0xfffe
	v_and_or_b32 v10, v10, s17, s14
	s_mov_b32 s14, -1
	s_mov_b32 s15, 0
	s_cmp_gt_i32 s21, 0
	s_mov_b32 s22, 0
	s_mov_b32 s23, -1
	s_wait_loadcnt_dscnt 0x0
	s_barrier_signal -1
	s_barrier_wait -1
	global_inv scope:SCOPE_SE
                                        ; implicit-def: $vgpr25
	s_cbranch_scc1 .LBB11_133
; %bb.123:                              ;   in Loop: Header=BB11_16 Depth=1
	s_mov_b32 s23, 0
                                        ; implicit-def: $vgpr25
	s_and_saveexec_b32 s24, s8
	s_cbranch_execz .LBB11_132
; %bb.124:                              ;   in Loop: Header=BB11_16 Depth=1
	v_dual_mov_b32 v3, v11 :: v_dual_mov_b32 v4, v0
                                        ; implicit-def: $sgpr25
	s_branch .LBB11_127
.LBB11_125:                             ;   in Loop: Header=BB11_127 Depth=2
	s_wait_alu 0xfffe
	s_or_b32 exec_lo, exec_lo, s26
	s_wait_loadcnt_dscnt 0x0
	s_barrier_signal -1
	s_barrier_wait -1
	global_inv scope:SCOPE_SE
	ds_load_u16 v25, v14 offset:3072
	s_mov_b32 s26, -1
	s_mov_b32 s27, -1
	s_wait_loadcnt_dscnt 0x0
	s_barrier_signal -1
	s_barrier_wait -1
	global_inv scope:SCOPE_SE
	v_and_b32_e32 v26, 0xff, v25
	s_delay_alu instid0(VALU_DEP_1)
	v_cmp_ne_u32_e32 vcc_lo, 0, v26
	s_cbranch_vccz .LBB11_130
.LBB11_126:                             ;   in Loop: Header=BB11_127 Depth=2
	s_wait_alu 0xfffe
	s_and_b32 s26, exec_lo, s26
	s_wait_alu 0xfffe
	s_or_b32 s22, s26, s22
	s_and_not1_b32 s25, s25, exec_lo
	s_and_b32 s26, s27, exec_lo
	s_wait_alu 0xfffe
	s_or_b32 s25, s25, s26
	s_and_not1_b32 exec_lo, exec_lo, s22
	s_cbranch_execz .LBB11_131
.LBB11_127:                             ;   Parent Loop BB11_16 Depth=1
                                        ; =>  This Inner Loop Header: Depth=2
	s_mov_b32 s26, exec_lo
	s_delay_alu instid0(VALU_DEP_1)
	v_cmpx_gt_i32_e64 s36, v4
	s_cbranch_execz .LBB11_125
; %bb.128:                              ;   in Loop: Header=BB11_127 Depth=2
	v_ashrrev_i32_e32 v26, 31, v3
	v_add_co_u32 v25, vcc_lo, s44, v3
	s_wait_alu 0xfffd
	s_delay_alu instid0(VALU_DEP_2) | instskip(SKIP_3) | instid1(VALU_DEP_1)
	v_add_co_ci_u32_e64 v26, null, s45, v26, vcc_lo
	global_load_u8 v25, v[25:26], off
	s_wait_loadcnt 0x0
	v_bfe_i32 v26, v25, 0, 8
	v_add_nc_u32_e32 v26, 0x80, v26
	s_delay_alu instid0(VALU_DEP_1) | instskip(NEXT) | instid1(VALU_DEP_1)
	v_and_b32_e32 v26, v26, v24
	v_cmp_eq_u32_e32 vcc_lo, v26, v10
	s_and_b32 exec_lo, exec_lo, vcc_lo
	s_cbranch_execz .LBB11_125
; %bb.129:                              ;   in Loop: Header=BB11_127 Depth=2
	v_lshlrev_b16 v25, 8, v25
	s_delay_alu instid0(VALU_DEP_1)
	v_or_b32_e32 v25, 1, v25
	ds_store_b16 v14, v25 offset:3072
	s_branch .LBB11_125
.LBB11_130:                             ;   in Loop: Header=BB11_127 Depth=2
	v_add_nc_u32_e32 v4, s53, v4
	v_add_nc_u32_e32 v3, s57, v3
	s_mov_b32 s27, 0
	s_delay_alu instid0(VALU_DEP_2)
	v_cmp_le_i32_e32 vcc_lo, s65, v4
	s_or_not1_b32 s26, vcc_lo, exec_lo
	s_branch .LBB11_126
.LBB11_131:                             ;   in Loop: Header=BB11_16 Depth=1
	s_or_b32 exec_lo, exec_lo, s22
	v_and_b32_e32 v3, 0xffff, v25
	s_wait_alu 0xfffe
	s_and_b32 s22, s25, exec_lo
	s_delay_alu instid0(VALU_DEP_1)
	v_lshrrev_b32_e32 v25, 8, v3
.LBB11_132:                             ;   in Loop: Header=BB11_16 Depth=1
	s_wait_alu 0xfffe
	s_or_b32 exec_lo, exec_lo, s24
.LBB11_133:                             ;   in Loop: Header=BB11_16 Depth=1
	s_wait_alu 0xfffe
	s_and_b32 vcc_lo, exec_lo, s23
	s_wait_alu 0xfffe
	s_cbranch_vccz .LBB11_144
; %bb.134:                              ;   in Loop: Header=BB11_16 Depth=1
	s_add_co_i32 s23, s21, s56
                                        ; implicit-def: $vgpr25
	s_wait_alu 0xfffe
	s_abs_i32 s42, s23
	s_wait_alu 0xfffe
	s_mul_u64 s[14:15], s[42:43], s[48:49]
	s_wait_alu 0xfffe
	s_mul_i32 s14, s15, s53
	s_ashr_i32 s15, s23, 31
	s_wait_alu 0xfffe
	s_sub_co_i32 s14, s42, s14
	s_wait_alu 0xfffe
	s_sub_co_i32 s24, s14, s53
	s_cmp_ge_u32 s14, s53
	s_wait_alu 0xfffe
	s_cselect_b32 s14, s24, s14
	s_wait_alu 0xfffe
	s_sub_co_i32 s24, s14, s53
	s_cmp_ge_u32 s14, s53
	s_wait_alu 0xfffe
	s_cselect_b32 s14, s24, s14
	s_wait_alu 0xfffe
	s_xor_b32 s14, s14, s15
	s_wait_alu 0xfffe
	s_sub_co_i32 s14, s15, s14
	s_wait_alu 0xfffe
	s_add_co_i32 s15, s23, s14
	s_mov_b32 s14, exec_lo
	s_wait_alu 0xfffe
	v_cmpx_gt_i32_e64 s15, v0
	s_cbranch_execz .LBB11_143
; %bb.135:                              ;   in Loop: Header=BB11_16 Depth=1
	v_mov_b32_e32 v3, v0
	s_mov_b32 s23, 0
                                        ; implicit-def: $sgpr24
	s_branch .LBB11_138
.LBB11_136:                             ;   in Loop: Header=BB11_138 Depth=2
	s_wait_alu 0xfffe
	s_or_b32 exec_lo, exec_lo, s25
	s_wait_loadcnt_dscnt 0x0
	s_barrier_signal -1
	s_barrier_wait -1
	global_inv scope:SCOPE_SE
	ds_load_u16 v4, v14 offset:3072
	s_mov_b32 s26, -1
	s_mov_b32 s25, -1
	s_wait_loadcnt_dscnt 0x0
	s_barrier_signal -1
	s_barrier_wait -1
	global_inv scope:SCOPE_SE
	v_and_b32_e32 v25, 0xff, v4
	s_delay_alu instid0(VALU_DEP_1)
	v_cmp_eq_u32_e32 vcc_lo, 0, v25
	s_cbranch_vccnz .LBB11_141
.LBB11_137:                             ;   in Loop: Header=BB11_138 Depth=2
	s_wait_alu 0xfffe
	s_and_b32 s26, exec_lo, s26
	s_wait_alu 0xfffe
	s_or_b32 s23, s26, s23
	s_and_not1_b32 s24, s24, exec_lo
	s_and_b32 s25, s25, exec_lo
	s_wait_alu 0xfffe
	s_or_b32 s24, s24, s25
	s_and_not1_b32 exec_lo, exec_lo, s23
	s_cbranch_execz .LBB11_142
.LBB11_138:                             ;   Parent Loop BB11_16 Depth=1
                                        ; =>  This Inner Loop Header: Depth=2
	s_mov_b32 s25, exec_lo
	s_delay_alu instid0(VALU_DEP_1)
	v_cmpx_gt_i32_e64 s21, v3
	s_cbranch_execz .LBB11_136
; %bb.139:                              ;   in Loop: Header=BB11_138 Depth=2
	ds_load_u8 v4, v3
	s_wait_dscnt 0x0
	v_bfe_i32 v25, v4, 0, 8
	s_delay_alu instid0(VALU_DEP_1) | instskip(NEXT) | instid1(VALU_DEP_1)
	v_add_nc_u32_e32 v25, 0x80, v25
	v_and_b32_e32 v25, v25, v24
	s_delay_alu instid0(VALU_DEP_1)
	v_cmp_eq_u32_e32 vcc_lo, v25, v10
	s_and_b32 exec_lo, exec_lo, vcc_lo
	s_cbranch_execz .LBB11_136
; %bb.140:                              ;   in Loop: Header=BB11_138 Depth=2
	v_lshlrev_b16 v4, 8, v4
	s_delay_alu instid0(VALU_DEP_1)
	v_or_b32_e32 v4, 1, v4
	ds_store_b16 v14, v4 offset:3072
	s_branch .LBB11_136
.LBB11_141:                             ;   in Loop: Header=BB11_138 Depth=2
	v_add_nc_u32_e32 v3, s53, v3
	s_mov_b32 s25, 0
	s_delay_alu instid0(VALU_DEP_1)
	v_cmp_le_i32_e32 vcc_lo, s15, v3
	s_or_not1_b32 s26, vcc_lo, exec_lo
	s_branch .LBB11_137
.LBB11_142:                             ;   in Loop: Header=BB11_16 Depth=1
	s_or_b32 exec_lo, exec_lo, s23
	v_and_b32_e32 v3, 0xffff, v4
	s_and_not1_b32 s15, s22, exec_lo
	s_wait_alu 0xfffe
	s_and_b32 s21, s24, exec_lo
	s_wait_alu 0xfffe
	s_or_b32 s22, s15, s21
	v_lshrrev_b32_e32 v25, 8, v3
.LBB11_143:                             ;   in Loop: Header=BB11_16 Depth=1
	s_or_b32 exec_lo, exec_lo, s14
	s_mov_b32 s14, 0
	s_mov_b32 s15, -1
.LBB11_144:                             ;   in Loop: Header=BB11_16 Depth=1
	s_wait_alu 0xfffe
	s_or_not1_b32 s21, s22, exec_lo
.LBB11_145:                             ;   in Loop: Header=BB11_16 Depth=1
	s_wait_alu 0xfffe
	s_or_b32 exec_lo, exec_lo, s18
	s_mov_b32 s22, 0
	s_and_saveexec_b32 s18, s21
	s_cbranch_execz .LBB11_234
; %bb.146:                              ;   in Loop: Header=BB11_16 Depth=1
	v_mov_b32_e32 v3, 1
	v_mov_b32_e32 v1, 1
	s_xor_b32 s21, s20, -1
	s_mov_b32 s23, 0
	s_wait_alu 0xfffe
	s_and_saveexec_b32 s20, s21
	s_cbranch_execz .LBB11_155
; %bb.147:                              ;   in Loop: Header=BB11_16 Depth=1
	s_mov_b32 s21, exec_lo
	v_cmpx_ge_i32_e64 s19, v2
	s_wait_alu 0xfffe
	s_xor_b32 s21, exec_lo, s21
	s_cbranch_execz .LBB11_152
; %bb.148:                              ;   in Loop: Header=BB11_16 Depth=1
	ds_load_b32 v1, v14 offset:4096
	s_lshl_b32 s22, 1, s73
	v_or_b32_e32 v24, s10, v24
	s_wait_alu 0xfffe
	v_and_or_b32 v10, v10, s17, s22
	s_wait_dscnt 0x0
	v_cmp_ne_u32_e32 vcc_lo, 0, v1
	s_cbranch_vccnz .LBB11_152
; %bb.149:                              ;   in Loop: Header=BB11_16 Depth=1
	s_and_saveexec_b32 s22, s2
; %bb.150:                              ;   in Loop: Header=BB11_16 Depth=1
	v_mov_b32_e32 v1, s19
	ds_store_b32 v14, v1 offset:4100
; %bb.151:                              ;   in Loop: Header=BB11_16 Depth=1
	s_wait_alu 0xfffe
	s_or_b32 exec_lo, exec_lo, s22
	s_wait_loadcnt_dscnt 0x0
	s_barrier_signal -1
	s_barrier_wait -1
	global_inv scope:SCOPE_SE
.LBB11_152:                             ;   in Loop: Header=BB11_16 Depth=1
	s_wait_alu 0xfffe
	s_or_saveexec_b32 s21, s21
	v_mov_b32_e32 v1, 8
	s_mov_b32 s22, 0
	s_wait_alu 0xfffe
	s_xor_b32 exec_lo, exec_lo, s21
; %bb.153:                              ;   in Loop: Header=BB11_16 Depth=1
	v_subrev_nc_u32_e32 v2, s19, v2
	v_mov_b32_e32 v1, 0
	s_mov_b32 s22, exec_lo
; %bb.154:                              ;   in Loop: Header=BB11_16 Depth=1
	s_or_b32 exec_lo, exec_lo, s21
	s_delay_alu instid0(VALU_DEP_2)
	v_mov_b32_e32 v3, v2
	s_wait_alu 0xfffe
	s_and_b32 s23, s22, exec_lo
.LBB11_155:                             ;   in Loop: Header=BB11_16 Depth=1
	s_wait_alu 0xfffe
	s_or_b32 exec_lo, exec_lo, s20
	s_mov_b32 s22, -1
                                        ; implicit-def: $sgpr20
                                        ; implicit-def: $sgpr21
	s_and_saveexec_b32 s19, s23
	s_cbranch_execz .LBB11_233
; %bb.156:                              ;   in Loop: Header=BB11_16 Depth=1
	v_cmp_eq_u32_e32 vcc_lo, 1, v3
	s_cmp_eq_u32 s16, 1
	s_mov_b32 s24, -1
	s_cselect_b32 s20, -1, 0
                                        ; implicit-def: $sgpr21
	s_wait_alu 0xfffe
	s_and_b32 s23, s20, vcc_lo
                                        ; implicit-def: $sgpr20
	s_wait_alu 0xfffe
	s_and_saveexec_b32 s22, s23
	s_cbranch_execz .LBB11_182
; %bb.157:                              ;   in Loop: Header=BB11_16 Depth=1
	ds_load_b32 v2, v14 offset:4096
	s_wait_loadcnt_dscnt 0x0
	s_barrier_signal -1
	s_barrier_wait -1
	global_inv scope:SCOPE_SE
	v_readfirstlane_b32 s24, v2
	s_and_saveexec_b32 s20, s0
; %bb.158:                              ;   in Loop: Header=BB11_16 Depth=1
	ds_store_b8 v0, v14 offset:3072
; %bb.159:                              ;   in Loop: Header=BB11_16 Depth=1
	s_wait_alu 0xfffe
	s_or_b32 exec_lo, exec_lo, s20
	s_lshl_b32 s20, 2, s73
	v_or_b32_e32 v24, s10, v24
	s_wait_alu 0xfffe
	v_and_or_b32 v10, v10, s17, s20
	s_mov_b32 s20, -1
	s_mov_b32 s21, 0
	s_cmp_gt_i32 s24, 0
	s_mov_b32 s25, 0
	s_mov_b32 s26, -1
	s_wait_loadcnt_dscnt 0x0
	s_barrier_signal -1
	s_barrier_wait -1
	global_inv scope:SCOPE_SE
                                        ; implicit-def: $vgpr25
	s_cbranch_scc1 .LBB11_170
; %bb.160:                              ;   in Loop: Header=BB11_16 Depth=1
	s_mov_b32 s26, 0
                                        ; implicit-def: $vgpr25
	s_and_saveexec_b32 s27, s8
	s_cbranch_execz .LBB11_169
; %bb.161:                              ;   in Loop: Header=BB11_16 Depth=1
	v_mov_b32_e32 v2, v11
	v_mov_b32_e32 v4, v0
                                        ; implicit-def: $sgpr28
	s_branch .LBB11_164
.LBB11_162:                             ;   in Loop: Header=BB11_164 Depth=2
	s_wait_alu 0xfffe
	s_or_b32 exec_lo, exec_lo, s42
	s_wait_loadcnt_dscnt 0x0
	s_barrier_signal -1
	s_barrier_wait -1
	global_inv scope:SCOPE_SE
	ds_load_u16 v25, v14 offset:3072
	s_mov_b32 s42, -1
	s_mov_b32 s74, -1
	s_wait_loadcnt_dscnt 0x0
	s_barrier_signal -1
	s_barrier_wait -1
	global_inv scope:SCOPE_SE
	v_and_b32_e32 v26, 0xff, v25
	s_delay_alu instid0(VALU_DEP_1)
	v_cmp_ne_u32_e32 vcc_lo, 0, v26
	s_cbranch_vccz .LBB11_167
.LBB11_163:                             ;   in Loop: Header=BB11_164 Depth=2
	s_wait_alu 0xfffe
	s_and_b32 s42, exec_lo, s42
	s_wait_alu 0xfffe
	s_or_b32 s25, s42, s25
	s_and_not1_b32 s28, s28, exec_lo
	s_and_b32 s42, s74, exec_lo
	s_wait_alu 0xfffe
	s_or_b32 s28, s28, s42
	s_and_not1_b32 exec_lo, exec_lo, s25
	s_cbranch_execz .LBB11_168
.LBB11_164:                             ;   Parent Loop BB11_16 Depth=1
                                        ; =>  This Inner Loop Header: Depth=2
	s_mov_b32 s42, exec_lo
	s_delay_alu instid0(VALU_DEP_1)
	v_cmpx_gt_i32_e64 s36, v4
	s_cbranch_execz .LBB11_162
; %bb.165:                              ;   in Loop: Header=BB11_164 Depth=2
	v_ashrrev_i32_e32 v26, 31, v2
	v_add_co_u32 v25, vcc_lo, s44, v2
	s_wait_alu 0xfffd
	s_delay_alu instid0(VALU_DEP_2) | instskip(SKIP_3) | instid1(VALU_DEP_1)
	v_add_co_ci_u32_e64 v26, null, s45, v26, vcc_lo
	global_load_u8 v25, v[25:26], off
	s_wait_loadcnt 0x0
	v_bfe_i32 v26, v25, 0, 8
	v_add_nc_u32_e32 v26, 0x80, v26
	s_delay_alu instid0(VALU_DEP_1) | instskip(NEXT) | instid1(VALU_DEP_1)
	v_and_b32_e32 v26, v26, v24
	v_cmp_eq_u32_e32 vcc_lo, v26, v10
	s_and_b32 exec_lo, exec_lo, vcc_lo
	s_cbranch_execz .LBB11_162
; %bb.166:                              ;   in Loop: Header=BB11_164 Depth=2
	v_lshlrev_b16 v25, 8, v25
	s_delay_alu instid0(VALU_DEP_1)
	v_or_b32_e32 v25, 1, v25
	ds_store_b16 v14, v25 offset:3072
	s_branch .LBB11_162
.LBB11_167:                             ;   in Loop: Header=BB11_164 Depth=2
	v_add_nc_u32_e32 v4, s53, v4
	v_add_nc_u32_e32 v2, s57, v2
	s_mov_b32 s74, 0
	s_delay_alu instid0(VALU_DEP_2)
	v_cmp_le_i32_e32 vcc_lo, s65, v4
	s_or_not1_b32 s42, vcc_lo, exec_lo
	s_branch .LBB11_163
.LBB11_168:                             ;   in Loop: Header=BB11_16 Depth=1
	s_or_b32 exec_lo, exec_lo, s25
	v_and_b32_e32 v2, 0xffff, v25
	s_and_b32 s25, s28, exec_lo
	s_delay_alu instid0(VALU_DEP_1)
	v_lshrrev_b32_e32 v25, 8, v2
.LBB11_169:                             ;   in Loop: Header=BB11_16 Depth=1
	s_wait_alu 0xfffe
	s_or_b32 exec_lo, exec_lo, s27
.LBB11_170:                             ;   in Loop: Header=BB11_16 Depth=1
	s_wait_alu 0xfffe
	s_and_b32 vcc_lo, exec_lo, s26
	s_wait_alu 0xfffe
	s_cbranch_vccz .LBB11_181
; %bb.171:                              ;   in Loop: Header=BB11_16 Depth=1
	s_add_co_i32 s26, s24, s56
                                        ; implicit-def: $vgpr25
	s_wait_alu 0xfffe
	s_abs_i32 s42, s26
	s_wait_alu 0xfffe
	s_mul_u64 s[20:21], s[42:43], s[48:49]
	s_wait_alu 0xfffe
	s_mul_i32 s20, s21, s53
	s_ashr_i32 s21, s26, 31
	s_wait_alu 0xfffe
	s_sub_co_i32 s20, s42, s20
	s_wait_alu 0xfffe
	s_sub_co_i32 s27, s20, s53
	s_cmp_ge_u32 s20, s53
	s_wait_alu 0xfffe
	s_cselect_b32 s20, s27, s20
	s_wait_alu 0xfffe
	s_sub_co_i32 s27, s20, s53
	s_cmp_ge_u32 s20, s53
	s_wait_alu 0xfffe
	s_cselect_b32 s20, s27, s20
	s_wait_alu 0xfffe
	s_xor_b32 s20, s20, s21
	s_wait_alu 0xfffe
	s_sub_co_i32 s20, s21, s20
	s_wait_alu 0xfffe
	s_add_co_i32 s21, s26, s20
	s_mov_b32 s20, exec_lo
	s_wait_alu 0xfffe
	v_cmpx_gt_i32_e64 s21, v0
	s_cbranch_execz .LBB11_180
; %bb.172:                              ;   in Loop: Header=BB11_16 Depth=1
	v_mov_b32_e32 v2, v0
	s_mov_b32 s26, 0
                                        ; implicit-def: $sgpr27
	s_branch .LBB11_175
.LBB11_173:                             ;   in Loop: Header=BB11_175 Depth=2
	s_or_b32 exec_lo, exec_lo, s28
	s_wait_loadcnt_dscnt 0x0
	s_barrier_signal -1
	s_barrier_wait -1
	global_inv scope:SCOPE_SE
	ds_load_u16 v4, v14 offset:3072
	s_mov_b32 s42, -1
	s_mov_b32 s28, -1
	s_wait_loadcnt_dscnt 0x0
	s_barrier_signal -1
	s_barrier_wait -1
	global_inv scope:SCOPE_SE
	v_and_b32_e32 v25, 0xff, v4
	s_delay_alu instid0(VALU_DEP_1)
	v_cmp_eq_u32_e32 vcc_lo, 0, v25
	s_cbranch_vccnz .LBB11_178
.LBB11_174:                             ;   in Loop: Header=BB11_175 Depth=2
	s_wait_alu 0xfffe
	s_and_b32 s42, exec_lo, s42
	s_wait_alu 0xfffe
	s_or_b32 s26, s42, s26
	s_and_not1_b32 s27, s27, exec_lo
	s_and_b32 s28, s28, exec_lo
	s_wait_alu 0xfffe
	s_or_b32 s27, s27, s28
	s_and_not1_b32 exec_lo, exec_lo, s26
	s_cbranch_execz .LBB11_179
.LBB11_175:                             ;   Parent Loop BB11_16 Depth=1
                                        ; =>  This Inner Loop Header: Depth=2
	s_mov_b32 s28, exec_lo
	s_delay_alu instid0(VALU_DEP_1)
	v_cmpx_gt_i32_e64 s24, v2
	s_cbranch_execz .LBB11_173
; %bb.176:                              ;   in Loop: Header=BB11_175 Depth=2
	ds_load_u8 v4, v2
	s_wait_dscnt 0x0
	v_bfe_i32 v25, v4, 0, 8
	s_delay_alu instid0(VALU_DEP_1) | instskip(NEXT) | instid1(VALU_DEP_1)
	v_add_nc_u32_e32 v25, 0x80, v25
	v_and_b32_e32 v25, v25, v24
	s_delay_alu instid0(VALU_DEP_1)
	v_cmp_eq_u32_e32 vcc_lo, v25, v10
	s_and_b32 exec_lo, exec_lo, vcc_lo
	s_cbranch_execz .LBB11_173
; %bb.177:                              ;   in Loop: Header=BB11_175 Depth=2
	v_lshlrev_b16 v4, 8, v4
	s_delay_alu instid0(VALU_DEP_1)
	v_or_b32_e32 v4, 1, v4
	ds_store_b16 v14, v4 offset:3072
	s_branch .LBB11_173
.LBB11_178:                             ;   in Loop: Header=BB11_175 Depth=2
	v_add_nc_u32_e32 v2, s53, v2
	s_mov_b32 s28, 0
	s_delay_alu instid0(VALU_DEP_1)
	v_cmp_le_i32_e32 vcc_lo, s21, v2
	s_or_not1_b32 s42, vcc_lo, exec_lo
	s_branch .LBB11_174
.LBB11_179:                             ;   in Loop: Header=BB11_16 Depth=1
	s_or_b32 exec_lo, exec_lo, s26
	v_and_b32_e32 v2, 0xffff, v4
	s_and_not1_b32 s21, s25, exec_lo
	s_wait_alu 0xfffe
	s_and_b32 s24, s27, exec_lo
	s_wait_alu 0xfffe
	s_or_b32 s25, s21, s24
	v_lshrrev_b32_e32 v25, 8, v2
.LBB11_180:                             ;   in Loop: Header=BB11_16 Depth=1
	s_or_b32 exec_lo, exec_lo, s20
	s_mov_b32 s20, 0
	s_mov_b32 s21, -1
.LBB11_181:                             ;   in Loop: Header=BB11_16 Depth=1
	s_wait_alu 0xfffe
	s_or_not1_b32 s24, s25, exec_lo
.LBB11_182:                             ;   in Loop: Header=BB11_16 Depth=1
	s_wait_alu 0xfffe
	s_or_b32 exec_lo, exec_lo, s22
	s_mov_b32 s25, 0
	s_and_saveexec_b32 s22, s24
	s_cbranch_execz .LBB11_232
; %bb.183:                              ;   in Loop: Header=BB11_16 Depth=1
	v_dual_mov_b32 v2, 1 :: v_dual_mov_b32 v1, 1
	s_xor_b32 s24, s23, -1
	s_wait_alu 0xfffe
	s_and_saveexec_b32 s23, s24
	s_cbranch_execz .LBB11_192
; %bb.184:                              ;   in Loop: Header=BB11_16 Depth=1
	s_mov_b32 s24, exec_lo
	v_cmpx_ge_i32_e64 s16, v3
	s_wait_alu 0xfffe
	s_xor_b32 s24, exec_lo, s24
	s_cbranch_execz .LBB11_189
; %bb.185:                              ;   in Loop: Header=BB11_16 Depth=1
	ds_load_b32 v1, v14 offset:4096
	s_lshl_b32 s25, 2, s73
	v_or_b32_e32 v24, s10, v24
	s_wait_alu 0xfffe
	v_and_or_b32 v10, v10, s17, s25
	s_wait_dscnt 0x0
	v_cmp_ne_u32_e32 vcc_lo, 0, v1
	s_cbranch_vccnz .LBB11_189
; %bb.186:                              ;   in Loop: Header=BB11_16 Depth=1
	s_and_saveexec_b32 s17, s2
; %bb.187:                              ;   in Loop: Header=BB11_16 Depth=1
	v_mov_b32_e32 v1, s16
	ds_store_b32 v14, v1 offset:4100
; %bb.188:                              ;   in Loop: Header=BB11_16 Depth=1
	s_wait_alu 0xfffe
	s_or_b32 exec_lo, exec_lo, s17
	s_wait_loadcnt_dscnt 0x0
	s_barrier_signal -1
	s_barrier_wait -1
	global_inv scope:SCOPE_SE
.LBB11_189:                             ;   in Loop: Header=BB11_16 Depth=1
	s_wait_alu 0xfffe
	s_or_saveexec_b32 s17, s24
	v_mov_b32_e32 v1, 8
	s_mov_b32 s24, 0
	s_wait_alu 0xfffe
	s_xor_b32 exec_lo, exec_lo, s17
; %bb.190:                              ;   in Loop: Header=BB11_16 Depth=1
	v_subrev_nc_u32_e32 v3, s16, v3
	v_mov_b32_e32 v1, 0
	s_mov_b32 s24, exec_lo
; %bb.191:                              ;   in Loop: Header=BB11_16 Depth=1
	s_or_b32 exec_lo, exec_lo, s17
	s_delay_alu instid0(VALU_DEP_2)
	v_mov_b32_e32 v2, v3
	s_wait_alu 0xfffe
	s_and_b32 s25, s24, exec_lo
.LBB11_192:                             ;   in Loop: Header=BB11_16 Depth=1
	s_wait_alu 0xfffe
	s_or_b32 exec_lo, exec_lo, s23
	s_mov_b32 s17, -1
                                        ; implicit-def: $sgpr24
                                        ; implicit-def: $sgpr23
	s_and_saveexec_b32 s16, s25
	s_cbranch_execz .LBB11_231
; %bb.193:                              ;   in Loop: Header=BB11_16 Depth=1
	v_cmp_eq_u32_e32 vcc_lo, 1, v2
	s_cmp_eq_u32 s9, 1
	s_mov_b32 s26, -1
	s_cselect_b32 s17, -1, 0
                                        ; implicit-def: $sgpr24
                                        ; implicit-def: $sgpr23
	s_wait_alu 0xfffe
	s_and_b32 s17, s17, vcc_lo
	s_wait_alu 0xfffe
	s_and_saveexec_b32 s25, s17
	s_cbranch_execz .LBB11_219
; %bb.194:                              ;   in Loop: Header=BB11_16 Depth=1
	ds_load_b32 v3, v14 offset:4096
	s_wait_loadcnt_dscnt 0x0
	s_barrier_signal -1
	s_barrier_wait -1
	global_inv scope:SCOPE_SE
	v_readfirstlane_b32 s26, v3
	s_and_saveexec_b32 s23, s0
; %bb.195:                              ;   in Loop: Header=BB11_16 Depth=1
	ds_store_b8 v0, v14 offset:3072
; %bb.196:                              ;   in Loop: Header=BB11_16 Depth=1
	s_wait_alu 0xfffe
	s_or_b32 exec_lo, exec_lo, s23
	v_or_b32_e32 v10, s10, v10
	v_or_b32_e32 v24, s10, v24
	s_mov_b32 s23, -1
	s_mov_b32 s24, 0
	s_cmp_gt_i32 s26, 0
	s_mov_b32 s27, 0
	s_mov_b32 s28, -1
	s_wait_loadcnt_dscnt 0x0
	s_barrier_signal -1
	s_barrier_wait -1
	global_inv scope:SCOPE_SE
                                        ; implicit-def: $vgpr25
	s_cbranch_scc1 .LBB11_207
; %bb.197:                              ;   in Loop: Header=BB11_16 Depth=1
	s_mov_b32 s28, 0
                                        ; implicit-def: $vgpr25
	s_and_saveexec_b32 s42, s8
	s_cbranch_execz .LBB11_206
; %bb.198:                              ;   in Loop: Header=BB11_16 Depth=1
	v_dual_mov_b32 v3, v11 :: v_dual_mov_b32 v4, v0
                                        ; implicit-def: $sgpr74
	s_branch .LBB11_201
.LBB11_199:                             ;   in Loop: Header=BB11_201 Depth=2
	s_wait_alu 0xfffe
	s_or_b32 exec_lo, exec_lo, s75
	s_wait_loadcnt_dscnt 0x0
	s_barrier_signal -1
	s_barrier_wait -1
	global_inv scope:SCOPE_SE
	ds_load_u16 v25, v14 offset:3072
	s_mov_b32 s75, -1
	s_mov_b32 s76, -1
	s_wait_loadcnt_dscnt 0x0
	s_barrier_signal -1
	s_barrier_wait -1
	global_inv scope:SCOPE_SE
	v_and_b32_e32 v26, 0xff, v25
	s_delay_alu instid0(VALU_DEP_1)
	v_cmp_ne_u32_e32 vcc_lo, 0, v26
	s_cbranch_vccz .LBB11_204
.LBB11_200:                             ;   in Loop: Header=BB11_201 Depth=2
	s_wait_alu 0xfffe
	s_and_b32 s75, exec_lo, s75
	s_wait_alu 0xfffe
	s_or_b32 s27, s75, s27
	s_and_not1_b32 s74, s74, exec_lo
	s_and_b32 s75, s76, exec_lo
	s_wait_alu 0xfffe
	s_or_b32 s74, s74, s75
	s_and_not1_b32 exec_lo, exec_lo, s27
	s_cbranch_execz .LBB11_205
.LBB11_201:                             ;   Parent Loop BB11_16 Depth=1
                                        ; =>  This Inner Loop Header: Depth=2
	s_mov_b32 s75, exec_lo
	s_delay_alu instid0(VALU_DEP_1)
	v_cmpx_gt_i32_e64 s36, v4
	s_cbranch_execz .LBB11_199
; %bb.202:                              ;   in Loop: Header=BB11_201 Depth=2
	v_ashrrev_i32_e32 v26, 31, v3
	v_add_co_u32 v25, vcc_lo, s44, v3
	s_wait_alu 0xfffd
	s_delay_alu instid0(VALU_DEP_2) | instskip(SKIP_3) | instid1(VALU_DEP_1)
	v_add_co_ci_u32_e64 v26, null, s45, v26, vcc_lo
	global_load_u8 v25, v[25:26], off
	s_wait_loadcnt 0x0
	v_bfe_i32 v26, v25, 0, 8
	v_add_nc_u32_e32 v26, 0x80, v26
	s_delay_alu instid0(VALU_DEP_1) | instskip(NEXT) | instid1(VALU_DEP_1)
	v_and_b32_e32 v26, v26, v24
	v_cmp_eq_u32_e32 vcc_lo, v26, v10
	s_and_b32 exec_lo, exec_lo, vcc_lo
	s_cbranch_execz .LBB11_199
; %bb.203:                              ;   in Loop: Header=BB11_201 Depth=2
	v_lshlrev_b16 v25, 8, v25
	s_delay_alu instid0(VALU_DEP_1)
	v_or_b32_e32 v25, 1, v25
	ds_store_b16 v14, v25 offset:3072
	s_branch .LBB11_199
.LBB11_204:                             ;   in Loop: Header=BB11_201 Depth=2
	v_add_nc_u32_e32 v4, s53, v4
	v_add_nc_u32_e32 v3, s57, v3
	s_mov_b32 s76, 0
	s_delay_alu instid0(VALU_DEP_2)
	v_cmp_le_i32_e32 vcc_lo, s65, v4
	s_or_not1_b32 s75, vcc_lo, exec_lo
	s_branch .LBB11_200
.LBB11_205:                             ;   in Loop: Header=BB11_16 Depth=1
	s_or_b32 exec_lo, exec_lo, s27
	v_and_b32_e32 v3, 0xffff, v25
	s_wait_alu 0xfffe
	s_and_b32 s27, s74, exec_lo
	s_delay_alu instid0(VALU_DEP_1)
	v_lshrrev_b32_e32 v25, 8, v3
.LBB11_206:                             ;   in Loop: Header=BB11_16 Depth=1
	s_wait_alu 0xfffe
	s_or_b32 exec_lo, exec_lo, s42
.LBB11_207:                             ;   in Loop: Header=BB11_16 Depth=1
	s_delay_alu instid0(SALU_CYCLE_1)
	s_and_b32 vcc_lo, exec_lo, s28
	s_wait_alu 0xfffe
	s_cbranch_vccz .LBB11_218
; %bb.208:                              ;   in Loop: Header=BB11_16 Depth=1
	s_add_co_i32 s24, s26, s56
                                        ; implicit-def: $vgpr25
	s_wait_alu 0xfffe
	s_abs_i32 s42, s24
	s_ashr_i32 s28, s24, 31
	s_wait_alu 0xfffe
	s_mul_u64 s[74:75], s[42:43], s[48:49]
	s_wait_alu 0xfffe
	s_mul_i32 s23, s75, s53
	s_wait_alu 0xfffe
	s_sub_co_i32 s23, s42, s23
	s_wait_alu 0xfffe
	s_sub_co_i32 s42, s23, s53
	s_cmp_ge_u32 s23, s53
	s_wait_alu 0xfffe
	s_cselect_b32 s23, s42, s23
	s_wait_alu 0xfffe
	s_sub_co_i32 s42, s23, s53
	s_cmp_ge_u32 s23, s53
	s_wait_alu 0xfffe
	s_cselect_b32 s23, s42, s23
	s_wait_alu 0xfffe
	s_xor_b32 s23, s23, s28
	s_wait_alu 0xfffe
	s_sub_co_i32 s23, s28, s23
	s_wait_alu 0xfffe
	s_add_co_i32 s24, s24, s23
	s_mov_b32 s23, exec_lo
	s_wait_alu 0xfffe
	v_cmpx_gt_i32_e64 s24, v0
	s_cbranch_execz .LBB11_217
; %bb.209:                              ;   in Loop: Header=BB11_16 Depth=1
	v_mov_b32_e32 v3, v0
	s_mov_b32 s28, 0
                                        ; implicit-def: $sgpr42
	s_branch .LBB11_212
.LBB11_210:                             ;   in Loop: Header=BB11_212 Depth=2
	s_wait_alu 0xfffe
	s_or_b32 exec_lo, exec_lo, s74
	s_wait_loadcnt_dscnt 0x0
	s_barrier_signal -1
	s_barrier_wait -1
	global_inv scope:SCOPE_SE
	ds_load_u16 v4, v14 offset:3072
	s_mov_b32 s75, -1
	s_mov_b32 s74, -1
	s_wait_loadcnt_dscnt 0x0
	s_barrier_signal -1
	s_barrier_wait -1
	global_inv scope:SCOPE_SE
	v_and_b32_e32 v25, 0xff, v4
	s_delay_alu instid0(VALU_DEP_1)
	v_cmp_eq_u32_e32 vcc_lo, 0, v25
	s_cbranch_vccnz .LBB11_215
.LBB11_211:                             ;   in Loop: Header=BB11_212 Depth=2
	s_wait_alu 0xfffe
	s_and_b32 s75, exec_lo, s75
	s_wait_alu 0xfffe
	s_or_b32 s28, s75, s28
	s_and_not1_b32 s42, s42, exec_lo
	s_and_b32 s74, s74, exec_lo
	s_wait_alu 0xfffe
	s_or_b32 s42, s42, s74
	s_and_not1_b32 exec_lo, exec_lo, s28
	s_cbranch_execz .LBB11_216
.LBB11_212:                             ;   Parent Loop BB11_16 Depth=1
                                        ; =>  This Inner Loop Header: Depth=2
	s_mov_b32 s74, exec_lo
	s_delay_alu instid0(VALU_DEP_1)
	v_cmpx_gt_i32_e64 s26, v3
	s_cbranch_execz .LBB11_210
; %bb.213:                              ;   in Loop: Header=BB11_212 Depth=2
	ds_load_u8 v4, v3
	s_wait_dscnt 0x0
	v_bfe_i32 v25, v4, 0, 8
	s_delay_alu instid0(VALU_DEP_1) | instskip(NEXT) | instid1(VALU_DEP_1)
	v_add_nc_u32_e32 v25, 0x80, v25
	v_and_b32_e32 v25, v25, v24
	s_delay_alu instid0(VALU_DEP_1)
	v_cmp_eq_u32_e32 vcc_lo, v25, v10
	s_and_b32 exec_lo, exec_lo, vcc_lo
	s_cbranch_execz .LBB11_210
; %bb.214:                              ;   in Loop: Header=BB11_212 Depth=2
	v_lshlrev_b16 v4, 8, v4
	s_delay_alu instid0(VALU_DEP_1)
	v_or_b32_e32 v4, 1, v4
	ds_store_b16 v14, v4 offset:3072
	s_branch .LBB11_210
.LBB11_215:                             ;   in Loop: Header=BB11_212 Depth=2
	v_add_nc_u32_e32 v3, s53, v3
	s_mov_b32 s74, 0
	s_delay_alu instid0(VALU_DEP_1)
	v_cmp_le_i32_e32 vcc_lo, s24, v3
	s_or_not1_b32 s75, vcc_lo, exec_lo
	s_branch .LBB11_211
.LBB11_216:                             ;   in Loop: Header=BB11_16 Depth=1
	s_or_b32 exec_lo, exec_lo, s28
	v_and_b32_e32 v3, 0xffff, v4
	s_and_not1_b32 s24, s27, exec_lo
	s_wait_alu 0xfffe
	s_and_b32 s26, s42, exec_lo
	s_wait_alu 0xfffe
	s_or_b32 s27, s24, s26
	v_lshrrev_b32_e32 v25, 8, v3
.LBB11_217:                             ;   in Loop: Header=BB11_16 Depth=1
	s_or_b32 exec_lo, exec_lo, s23
	s_mov_b32 s23, 0
	s_mov_b32 s24, -1
.LBB11_218:                             ;   in Loop: Header=BB11_16 Depth=1
	s_wait_alu 0xfffe
	s_or_not1_b32 s26, s27, exec_lo
.LBB11_219:                             ;   in Loop: Header=BB11_16 Depth=1
	s_wait_alu 0xfffe
	s_or_b32 exec_lo, exec_lo, s25
	s_mov_b32 s27, 0
	s_and_saveexec_b32 s25, s26
	s_cbranch_execz .LBB11_230
; %bb.220:                              ;   in Loop: Header=BB11_16 Depth=1
	v_mov_b32_e32 v1, 1
	v_mov_b32_e32 v3, 1
	s_xor_b32 s26, s17, -1
	s_wait_alu 0xfffe
	s_and_saveexec_b32 s17, s26
	s_cbranch_execz .LBB11_229
; %bb.221:                              ;   in Loop: Header=BB11_16 Depth=1
	s_mov_b32 s26, exec_lo
	v_cmpx_ge_i32_e64 s9, v2
	s_wait_alu 0xfffe
	s_xor_b32 s26, exec_lo, s26
	s_cbranch_execz .LBB11_226
; %bb.222:                              ;   in Loop: Header=BB11_16 Depth=1
	ds_load_b32 v1, v14 offset:4096
	v_or_b32_e32 v10, s10, v10
	v_or_b32_e32 v24, s10, v24
	s_wait_dscnt 0x0
	v_cmp_ne_u32_e32 vcc_lo, 0, v1
	s_cbranch_vccnz .LBB11_226
; %bb.223:                              ;   in Loop: Header=BB11_16 Depth=1
	s_and_saveexec_b32 s10, s2
; %bb.224:                              ;   in Loop: Header=BB11_16 Depth=1
	v_mov_b32_e32 v1, s9
	ds_store_b32 v14, v1 offset:4100
; %bb.225:                              ;   in Loop: Header=BB11_16 Depth=1
	s_wait_alu 0xfffe
	s_or_b32 exec_lo, exec_lo, s10
	s_wait_loadcnt_dscnt 0x0
	s_barrier_signal -1
	s_barrier_wait -1
	global_inv scope:SCOPE_SE
.LBB11_226:                             ;   in Loop: Header=BB11_16 Depth=1
	s_wait_alu 0xfffe
	s_and_not1_saveexec_b32 s10, s26
; %bb.227:                              ;   in Loop: Header=BB11_16 Depth=1
	v_subrev_nc_u32_e32 v2, s9, v2
; %bb.228:                              ;   in Loop: Header=BB11_16 Depth=1
	s_wait_alu 0xfffe
	s_or_b32 exec_lo, exec_lo, s10
	v_mov_b32_e32 v1, 8
	s_delay_alu instid0(VALU_DEP_2)
	v_mov_b32_e32 v3, v2
.LBB11_229:                             ;   in Loop: Header=BB11_16 Depth=1
	s_wait_alu 0xfffe
	s_or_b32 exec_lo, exec_lo, s17
	s_delay_alu instid0(VALU_DEP_1)
	v_mov_b32_e32 v2, v3
	s_mov_b32 s27, exec_lo
.LBB11_230:                             ;   in Loop: Header=BB11_16 Depth=1
	s_wait_alu 0xfffe
	s_or_b32 exec_lo, exec_lo, s25
	s_delay_alu instid0(SALU_CYCLE_1)
	s_or_not1_b32 s17, s27, exec_lo
.LBB11_231:                             ;   in Loop: Header=BB11_16 Depth=1
	s_wait_alu 0xfffe
	s_or_b32 exec_lo, exec_lo, s16
	v_mov_b32_e32 v3, v2
	s_and_not1_b32 s9, s21, exec_lo
	s_and_b32 s10, s24, exec_lo
	s_and_not1_b32 s16, s20, exec_lo
	s_and_b32 s20, s23, exec_lo
	s_wait_alu 0xfffe
	s_or_b32 s21, s9, s10
	s_or_b32 s20, s16, s20
	s_and_b32 s25, s17, exec_lo
.LBB11_232:                             ;   in Loop: Header=BB11_16 Depth=1
	s_wait_alu 0xfffe
	s_or_b32 exec_lo, exec_lo, s22
	s_delay_alu instid0(SALU_CYCLE_1)
	s_or_not1_b32 s22, s25, exec_lo
.LBB11_233:                             ;   in Loop: Header=BB11_16 Depth=1
	s_wait_alu 0xfffe
	s_or_b32 exec_lo, exec_lo, s19
	v_mov_b32_e32 v2, v3
	s_and_not1_b32 s9, s15, exec_lo
	s_and_b32 s10, s21, exec_lo
	s_and_not1_b32 s14, s14, exec_lo
	s_and_b32 s16, s20, exec_lo
	s_wait_alu 0xfffe
	s_or_b32 s15, s9, s10
	s_or_b32 s14, s14, s16
	s_and_b32 s22, s22, exec_lo
.LBB11_234:                             ;   in Loop: Header=BB11_16 Depth=1
	s_wait_alu 0xfffe
	s_or_b32 exec_lo, exec_lo, s18
	s_delay_alu instid0(SALU_CYCLE_1)
	s_or_not1_b32 s18, s22, exec_lo
.LBB11_235:                             ;   in Loop: Header=BB11_16 Depth=1
	s_wait_alu 0xfffe
	s_or_b32 exec_lo, exec_lo, s13
	s_mov_b32 s10, 0
                                        ; implicit-def: $sgpr21
	s_and_saveexec_b32 s9, s18
	s_wait_alu 0xfffe
	s_xor_b32 s9, exec_lo, s9
	s_cbranch_execz .LBB11_14
; %bb.236:                              ;   in Loop: Header=BB11_16 Depth=1
	v_and_b32_e32 v1, 7, v1
	s_mov_b32 s12, -1
	s_mov_b32 s10, -1
	s_mov_b32 s13, exec_lo
                                        ; implicit-def: $sgpr21
	s_delay_alu instid0(VALU_DEP_1)
	v_cmpx_eq_u32_e32 0, v1
	s_cbranch_execz .LBB11_13
; %bb.237:                              ;   in Loop: Header=BB11_16 Depth=1
	s_add_co_i32 s21, s73, -2
	s_cmp_eq_u32 s73, 0
	v_xor_b32_e32 v23, 1, v23
	s_cselect_b32 s12, -1, 0
	s_xor_b32 s10, exec_lo, -1
	s_wait_alu 0xfffe
	s_or_not1_b32 s12, s12, exec_lo
	s_branch .LBB11_13
.LBB11_238:
	s_or_b32 exec_lo, exec_lo, s66
	s_wait_alu 0xfffe
	s_xor_b32 s4, s72, -1
	s_xor_b32 s0, s70, -1
	;; [unrolled: 1-line block ×3, first 2 shown]
	s_mov_b32 s1, 0
	s_wait_alu 0xfffe
	s_and_saveexec_b32 s5, s0
	s_delay_alu instid0(SALU_CYCLE_1)
	s_xor_b32 s0, exec_lo, s5
	s_cbranch_execnz .LBB11_243
; %bb.239:
	s_wait_alu 0xfffe
	s_and_not1_saveexec_b32 s0, s0
	s_cbranch_execnz .LBB11_263
.LBB11_240:
	s_wait_alu 0xfffe
	s_or_b32 exec_lo, exec_lo, s0
	s_and_saveexec_b32 s0, s1
.LBB11_241:
	; divergent unreachable
.LBB11_242:
	s_endpgm
.LBB11_243:
	s_and_saveexec_b32 s1, s4
	s_wait_alu 0xfffe
	s_xor_b32 s1, exec_lo, s1
	s_cbranch_execz .LBB11_261
; %bb.244:
	s_and_saveexec_b32 s4, s3
	s_delay_alu instid0(SALU_CYCLE_1)
	s_xor_b32 s3, exec_lo, s4
; %bb.245:
	v_xor_b32_e32 v25, 0xffffff80, v10
; %bb.246:
	s_or_b32 exec_lo, exec_lo, s3
	s_and_saveexec_b32 s3, s2
; %bb.247:
	v_dual_mov_b32 v1, 0 :: v_dual_mov_b32 v2, s36
	ds_store_b32 v1, v2 offset:4108
; %bb.248:
	s_or_b32 exec_lo, exec_lo, s3
	v_mov_b32_e32 v1, 0
	s_wait_loadcnt_dscnt 0x0
	s_barrier_signal -1
	s_barrier_wait -1
	global_inv scope:SCOPE_SE
	ds_load_b32 v1, v1 offset:4108
	s_mov_b32 s3, exec_lo
	s_wait_dscnt 0x0
	v_min_i32_e32 v1, s36, v1
	s_delay_alu instid0(VALU_DEP_1)
	v_cmpx_lt_i32_e64 v0, v1
	s_cbranch_execz .LBB11_258
; %bb.249:
	v_and_b32_e32 v3, 0xff, v25
	s_mov_b32 s4, 0
                                        ; implicit-def: $sgpr5
                                        ; implicit-def: $sgpr7
                                        ; implicit-def: $sgpr6
	s_branch .LBB11_251
.LBB11_250:                             ;   in Loop: Header=BB11_251 Depth=1
	s_wait_alu 0xfffe
	s_or_b32 exec_lo, exec_lo, s8
	s_delay_alu instid0(SALU_CYCLE_1)
	s_and_b32 s8, exec_lo, s7
	s_wait_alu 0xfffe
	s_or_b32 s4, s8, s4
	s_and_not1_b32 s5, s5, exec_lo
	s_and_b32 s8, s6, exec_lo
	s_wait_alu 0xfffe
	s_or_b32 s5, s5, s8
	s_and_not1_b32 exec_lo, exec_lo, s4
	s_cbranch_execz .LBB11_253
.LBB11_251:                             ; =>This Inner Loop Header: Depth=1
	v_ashrrev_i32_e32 v2, 31, v11
	v_add_co_u32 v4, vcc_lo, s44, v11
	s_or_b32 s6, s6, exec_lo
	s_or_b32 s7, s7, exec_lo
	s_wait_alu 0xfffd
	v_add_co_ci_u32_e64 v5, null, s45, v2, vcc_lo
	v_mov_b32_e32 v2, v0
	s_mov_b32 s8, exec_lo
                                        ; implicit-def: $vgpr0
	global_load_u8 v4, v[4:5], off
	s_wait_loadcnt 0x0
	v_cmpx_ne_u16_e64 v4, v3
	s_cbranch_execz .LBB11_250
; %bb.252:                              ;   in Loop: Header=BB11_251 Depth=1
	v_add_nc_u32_e32 v0, s53, v2
	v_add_nc_u32_e32 v11, s57, v11
	s_wait_alu 0xfffe
	s_and_not1_b32 s7, s7, exec_lo
	s_and_not1_b32 s6, s6, exec_lo
	v_cmp_ge_i32_e32 vcc_lo, v0, v1
	s_and_b32 s9, vcc_lo, exec_lo
	s_wait_alu 0xfffe
	s_or_b32 s7, s7, s9
	s_branch .LBB11_250
.LBB11_253:
	s_or_b32 exec_lo, exec_lo, s4
	s_and_saveexec_b32 s4, s5
	s_delay_alu instid0(SALU_CYCLE_1)
	s_xor_b32 s4, exec_lo, s4
	s_cbranch_execz .LBB11_258
; %bb.254:
	s_mov_b32 s5, exec_lo
	s_brev_b32 s4, -2
.LBB11_255:                             ; =>This Inner Loop Header: Depth=1
	s_ctz_i32_b32 s6, s5
	s_wait_alu 0xfffe
	v_readlane_b32 s7, v2, s6
	s_lshl_b32 s6, 1, s6
	s_wait_alu 0xfffe
	s_and_not1_b32 s5, s5, s6
	s_min_i32 s4, s4, s7
	s_cmp_lg_u32 s5, 0
	s_cbranch_scc1 .LBB11_255
; %bb.256:
	v_mbcnt_lo_u32_b32 v0, exec_lo, 0
	s_mov_b32 s5, exec_lo
	s_delay_alu instid0(VALU_DEP_1)
	v_cmpx_eq_u32_e32 0, v0
	s_xor_b32 s5, exec_lo, s5
; %bb.257:
	v_dual_mov_b32 v0, 0 :: v_dual_mov_b32 v1, s4
	ds_min_i32 v0, v1 offset:4108
.LBB11_258:
	s_or_b32 exec_lo, exec_lo, s3
	s_wait_loadcnt_dscnt 0x0
	s_barrier_signal -1
	s_barrier_wait -1
	global_inv scope:SCOPE_SE
	s_and_saveexec_b32 s3, s2
	s_cbranch_execz .LBB11_260
; %bb.259:
	v_mov_b32_e32 v2, 0
	s_mul_i32 s2, s52, s33
	s_mul_i32 s5, s30, s38
	s_add_co_i32 s4, s2, s31
	s_wait_alu 0xfffe
	s_add_co_i32 s6, s5, s29
	ds_load_b32 v0, v2 offset:4108
	s_ashr_i32 s5, s4, 31
	s_wait_alu 0xfffe
	s_ashr_i32 s7, s6, 31
	s_lshl_b64 s[4:5], s[4:5], 3
	s_wait_alu 0xfffe
	s_add_nc_u64 s[6:7], s[34:35], s[6:7]
	s_add_nc_u64 s[4:5], s[40:41], s[4:5]
	s_wait_dscnt 0x0
	v_ashrrev_i32_e32 v1, 31, v0
	s_clause 0x1
	global_store_b64 v2, v[0:1], s[4:5]
	global_store_b8 v2, v25, s[6:7]
.LBB11_260:
	s_or_b32 exec_lo, exec_lo, s3
.LBB11_261:
	s_wait_alu 0xfffe
	s_or_saveexec_b32 s1, s1
	s_mov_b32 s2, 0
	s_wait_alu 0xfffe
	s_xor_b32 exec_lo, exec_lo, s1
	s_cbranch_execnz .LBB11_264
.LBB11_262:
	s_or_b32 exec_lo, exec_lo, s1
	s_delay_alu instid0(SALU_CYCLE_1)
	s_and_b32 s1, s2, exec_lo
	s_and_not1_saveexec_b32 s0, s0
	s_cbranch_execz .LBB11_240
.LBB11_263:
	s_wait_alu 0xfffe
	s_or_b32 s1, s1, exec_lo
	s_trap 2
	s_or_b32 exec_lo, exec_lo, s0
	s_wait_alu 0xfffe
	s_and_saveexec_b32 s0, s1
	s_cbranch_execnz .LBB11_241
	s_branch .LBB11_242
.LBB11_264:
	s_mov_b32 s2, exec_lo
	s_trap 2
	s_branch .LBB11_262
	.section	.rodata,"a",@progbits
	.p2align	6, 0x0
	.amdhsa_kernel _ZN2at6native12_GLOBAL__N_114gatherKthValueIaiLin1EEEvNS_4cuda6detail10TensorInfoIKT_T0_EES8_S8_S8_S8_NS5_IS6_S8_EENS5_IlS8_EE
		.amdhsa_group_segment_fixed_size 4112
		.amdhsa_private_segment_fixed_size 0
		.amdhsa_kernarg_size 920
		.amdhsa_user_sgpr_count 2
		.amdhsa_user_sgpr_dispatch_ptr 0
		.amdhsa_user_sgpr_queue_ptr 0
		.amdhsa_user_sgpr_kernarg_segment_ptr 1
		.amdhsa_user_sgpr_dispatch_id 0
		.amdhsa_user_sgpr_private_segment_size 0
		.amdhsa_wavefront_size32 1
		.amdhsa_uses_dynamic_stack 0
		.amdhsa_enable_private_segment 0
		.amdhsa_system_sgpr_workgroup_id_x 1
		.amdhsa_system_sgpr_workgroup_id_y 1
		.amdhsa_system_sgpr_workgroup_id_z 1
		.amdhsa_system_sgpr_workgroup_info 0
		.amdhsa_system_vgpr_workitem_id 0
		.amdhsa_next_free_vgpr 40
		.amdhsa_next_free_sgpr 81
		.amdhsa_reserve_vcc 1
		.amdhsa_float_round_mode_32 0
		.amdhsa_float_round_mode_16_64 0
		.amdhsa_float_denorm_mode_32 3
		.amdhsa_float_denorm_mode_16_64 3
		.amdhsa_fp16_overflow 0
		.amdhsa_workgroup_processor_mode 1
		.amdhsa_memory_ordered 1
		.amdhsa_forward_progress 1
		.amdhsa_inst_pref_size 92
		.amdhsa_round_robin_scheduling 0
		.amdhsa_exception_fp_ieee_invalid_op 0
		.amdhsa_exception_fp_denorm_src 0
		.amdhsa_exception_fp_ieee_div_zero 0
		.amdhsa_exception_fp_ieee_overflow 0
		.amdhsa_exception_fp_ieee_underflow 0
		.amdhsa_exception_fp_ieee_inexact 0
		.amdhsa_exception_int_div_zero 0
	.end_amdhsa_kernel
	.section	.text._ZN2at6native12_GLOBAL__N_114gatherKthValueIaiLin1EEEvNS_4cuda6detail10TensorInfoIKT_T0_EES8_S8_S8_S8_NS5_IS6_S8_EENS5_IlS8_EE,"axG",@progbits,_ZN2at6native12_GLOBAL__N_114gatherKthValueIaiLin1EEEvNS_4cuda6detail10TensorInfoIKT_T0_EES8_S8_S8_S8_NS5_IS6_S8_EENS5_IlS8_EE,comdat
.Lfunc_end11:
	.size	_ZN2at6native12_GLOBAL__N_114gatherKthValueIaiLin1EEEvNS_4cuda6detail10TensorInfoIKT_T0_EES8_S8_S8_S8_NS5_IS6_S8_EENS5_IlS8_EE, .Lfunc_end11-_ZN2at6native12_GLOBAL__N_114gatherKthValueIaiLin1EEEvNS_4cuda6detail10TensorInfoIKT_T0_EES8_S8_S8_S8_NS5_IS6_S8_EENS5_IlS8_EE
                                        ; -- End function
	.set _ZN2at6native12_GLOBAL__N_114gatherKthValueIaiLin1EEEvNS_4cuda6detail10TensorInfoIKT_T0_EES8_S8_S8_S8_NS5_IS6_S8_EENS5_IlS8_EE.num_vgpr, 40
	.set _ZN2at6native12_GLOBAL__N_114gatherKthValueIaiLin1EEEvNS_4cuda6detail10TensorInfoIKT_T0_EES8_S8_S8_S8_NS5_IS6_S8_EENS5_IlS8_EE.num_agpr, 0
	.set _ZN2at6native12_GLOBAL__N_114gatherKthValueIaiLin1EEEvNS_4cuda6detail10TensorInfoIKT_T0_EES8_S8_S8_S8_NS5_IS6_S8_EENS5_IlS8_EE.numbered_sgpr, 81
	.set _ZN2at6native12_GLOBAL__N_114gatherKthValueIaiLin1EEEvNS_4cuda6detail10TensorInfoIKT_T0_EES8_S8_S8_S8_NS5_IS6_S8_EENS5_IlS8_EE.num_named_barrier, 0
	.set _ZN2at6native12_GLOBAL__N_114gatherKthValueIaiLin1EEEvNS_4cuda6detail10TensorInfoIKT_T0_EES8_S8_S8_S8_NS5_IS6_S8_EENS5_IlS8_EE.private_seg_size, 0
	.set _ZN2at6native12_GLOBAL__N_114gatherKthValueIaiLin1EEEvNS_4cuda6detail10TensorInfoIKT_T0_EES8_S8_S8_S8_NS5_IS6_S8_EENS5_IlS8_EE.uses_vcc, 1
	.set _ZN2at6native12_GLOBAL__N_114gatherKthValueIaiLin1EEEvNS_4cuda6detail10TensorInfoIKT_T0_EES8_S8_S8_S8_NS5_IS6_S8_EENS5_IlS8_EE.uses_flat_scratch, 0
	.set _ZN2at6native12_GLOBAL__N_114gatherKthValueIaiLin1EEEvNS_4cuda6detail10TensorInfoIKT_T0_EES8_S8_S8_S8_NS5_IS6_S8_EENS5_IlS8_EE.has_dyn_sized_stack, 0
	.set _ZN2at6native12_GLOBAL__N_114gatherKthValueIaiLin1EEEvNS_4cuda6detail10TensorInfoIKT_T0_EES8_S8_S8_S8_NS5_IS6_S8_EENS5_IlS8_EE.has_recursion, 0
	.set _ZN2at6native12_GLOBAL__N_114gatherKthValueIaiLin1EEEvNS_4cuda6detail10TensorInfoIKT_T0_EES8_S8_S8_S8_NS5_IS6_S8_EENS5_IlS8_EE.has_indirect_call, 0
	.section	.AMDGPU.csdata,"",@progbits
; Kernel info:
; codeLenInByte = 11680
; TotalNumSgprs: 83
; NumVgprs: 40
; ScratchSize: 0
; MemoryBound: 0
; FloatMode: 240
; IeeeMode: 1
; LDSByteSize: 4112 bytes/workgroup (compile time only)
; SGPRBlocks: 0
; VGPRBlocks: 4
; NumSGPRsForWavesPerEU: 83
; NumVGPRsForWavesPerEU: 40
; Occupancy: 16
; WaveLimiterHint : 1
; COMPUTE_PGM_RSRC2:SCRATCH_EN: 0
; COMPUTE_PGM_RSRC2:USER_SGPR: 2
; COMPUTE_PGM_RSRC2:TRAP_HANDLER: 0
; COMPUTE_PGM_RSRC2:TGID_X_EN: 1
; COMPUTE_PGM_RSRC2:TGID_Y_EN: 1
; COMPUTE_PGM_RSRC2:TGID_Z_EN: 1
; COMPUTE_PGM_RSRC2:TIDIG_COMP_CNT: 0
	.section	.text._ZN2at6native12_GLOBAL__N_114gatherKthValueIalLi1EEEvNS_4cuda6detail10TensorInfoIKT_T0_EES8_S8_S8_S8_NS5_IS6_S8_EENS5_IlS8_EE,"axG",@progbits,_ZN2at6native12_GLOBAL__N_114gatherKthValueIalLi1EEEvNS_4cuda6detail10TensorInfoIKT_T0_EES8_S8_S8_S8_NS5_IS6_S8_EENS5_IlS8_EE,comdat
	.globl	_ZN2at6native12_GLOBAL__N_114gatherKthValueIalLi1EEEvNS_4cuda6detail10TensorInfoIKT_T0_EES8_S8_S8_S8_NS5_IS6_S8_EENS5_IlS8_EE ; -- Begin function _ZN2at6native12_GLOBAL__N_114gatherKthValueIalLi1EEEvNS_4cuda6detail10TensorInfoIKT_T0_EES8_S8_S8_S8_NS5_IS6_S8_EENS5_IlS8_EE
	.p2align	8
	.type	_ZN2at6native12_GLOBAL__N_114gatherKthValueIalLi1EEEvNS_4cuda6detail10TensorInfoIKT_T0_EES8_S8_S8_S8_NS5_IS6_S8_EENS5_IlS8_EE,@function
_ZN2at6native12_GLOBAL__N_114gatherKthValueIalLi1EEEvNS_4cuda6detail10TensorInfoIKT_T0_EES8_S8_S8_S8_NS5_IS6_S8_EENS5_IlS8_EE: ; @_ZN2at6native12_GLOBAL__N_114gatherKthValueIalLi1EEEvNS_4cuda6detail10TensorInfoIKT_T0_EES8_S8_S8_S8_NS5_IS6_S8_EENS5_IlS8_EE
; %bb.0:
	s_clause 0x1
	s_load_b64 s[4:5], s[0:1], 0x500
	s_load_b256 s[36:43], s[0:1], 0x1a0
	s_lshr_b32 s2, ttmp7, 16
	s_and_b32 s3, ttmp7, 0xffff
	s_mov_b32 s27, 0
	s_wait_kmcnt 0x0
	s_mul_i32 s2, s5, s2
	s_delay_alu instid0(SALU_CYCLE_1) | instskip(NEXT) | instid1(SALU_CYCLE_1)
	s_add_co_i32 s2, s2, s3
	s_mul_i32 s2, s2, s4
	s_delay_alu instid0(SALU_CYCLE_1) | instskip(NEXT) | instid1(SALU_CYCLE_1)
	s_add_co_i32 s26, s2, ttmp9
	v_cmp_le_i64_e64 s2, s[40:41], s[26:27]
	s_and_b32 vcc_lo, exec_lo, s2
	s_cbranch_vccnz .LBB12_273
; %bb.1:
	s_clause 0x1
	s_load_b64 s[10:11], s[0:1], 0xd0
	s_load_b64 s[8:9], s[0:1], 0x0
	v_cmp_eq_u32_e64 s2, 0, v0
	s_add_nc_u64 s[6:7], s[0:1], 0x500
	s_and_saveexec_b32 s3, s2
	s_cbranch_execz .LBB12_3
; %bb.2:
	v_dual_mov_b32 v1, 0 :: v_dual_mov_b32 v4, s37
	s_delay_alu instid0(VALU_DEP_1)
	v_dual_mov_b32 v3, s36 :: v_dual_mov_b32 v2, v1
	ds_store_b32 v1, v1 offset:5136
	ds_store_b128 v1, v[1:4] offset:5120
.LBB12_3:
	s_or_b32 exec_lo, exec_lo, s3
	v_mad_co_u64_u32 v[4:5], null, s42, v0, 0
	v_mbcnt_lo_u32_b32 v32, -1, 0
	s_clause 0x3
	s_load_b64 s[40:41], s[0:1], 0x430
	s_load_b64 s[28:29], s[0:1], 0x360
	;; [unrolled: 1-line block ×4, first 2 shown]
	v_cmp_gt_u32_e32 vcc_lo, 32, v0
	s_wait_kmcnt 0x0
	s_mul_u64 s[10:11], s[10:11], s[26:27]
	s_wait_dscnt 0x0
	v_cmp_gt_i32_e64 s0, 4, v32
	v_mov_b32_e32 v1, v5
	s_add_nc_u64 s[48:49], s[8:9], s[10:11]
	v_lshlrev_b64_e64 v[6:7], v32, -1
	s_barrier_signal -1
	s_and_b32 s33, vcc_lo, s0
	v_mad_co_u64_u32 v[2:3], null, s43, v0, v[1:2]
	v_dual_mov_b32 v3, 0 :: v_dual_lshlrev_b32 v14, 2, v0
	v_add_co_u32 v12, vcc_lo, s48, v4
	v_not_b32_e32 v33, v6
	v_not_b32_e32 v6, v0
	s_delay_alu instid0(VALU_DEP_4)
	v_or_b32_e32 v8, 3, v14
	v_add_co_ci_u32_e64 v13, null, s49, v2, vcc_lo
	s_barrier_wait -1
	global_inv scope:SCOPE_SE
	v_mad_co_u64_u32 v[19:20], null, s42, v8, 0
	v_dual_mov_b32 v5, v2 :: v_dual_add_nc_u32 v2, 2, v0
	s_load_b32 s5, s[6:7], 0xc
	v_or_b32_e32 v10, 2, v14
	v_mad_co_u64_u32 v[23:24], null, s42, v14, s[42:43]
	s_delay_alu instid0(VALU_DEP_3) | instskip(SKIP_1) | instid1(VALU_DEP_3)
	v_cmp_gt_i64_e32 vcc_lo, s[36:37], v[2:3]
	s_mov_b32 s51, 0
	v_mad_co_u64_u32 v[21:22], null, s42, v10, 0
	v_mov_b32_e32 v15, v3
	v_mul_lo_u32 v40, 0, s42
	s_wait_alu 0xfffd
	v_cndmask_b32_e64 v2, v2, s36, vcc_lo
	v_cndmask_b32_e64 v7, 0, s37, vcc_lo
	v_cmp_lt_i64_e64 s80, 0xc00, s[36:37]
	s_mov_b32 s45, s51
	v_cmp_eq_u32_e64 s1, 0, v32
	v_add_co_u32 v6, vcc_lo, v2, v6
	v_mov_b32_e32 v1, v3
	s_wait_alu 0xfffd
	v_add_co_ci_u32_e64 v7, null, -1, v7, vcc_lo
	s_delay_alu instid0(VALU_DEP_3)
	v_and_b32_e32 v16, -4, v6
	s_wait_kmcnt 0x0
	s_and_b32 s44, s5, 0xffff
	s_bfe_u32 s8, s5, 0xb0005
	s_cmp_gt_u32 s44, 31
	s_movk_i32 s5, 0x3e0
	v_add_co_u32 v18, vcc_lo, v16, v0
	s_wait_alu 0xfffd
	v_add_co_ci_u32_e64 v2, null, 0, v7, vcc_lo
	v_mov_b32_e32 v2, v20
	s_cselect_b32 s81, -1, 0
	v_and_or_b32 v34, v0, s5, 0xc00
	s_cmp_lt_u32 ttmp9, s4
	v_cmp_lt_u64_e64 s4, 3, v[6:7]
	v_mad_co_u64_u32 v[8:9], null, s43, v8, v[2:3]
	v_mov_b32_e32 v17, v7
	s_cselect_b32 s50, 12, 18
	s_add_co_i32 s9, s8, -1
	s_bfe_u32 s90, s44, 0x30005
	s_and_b32 s9, s9, 0xffff
	v_cmp_ne_u64_e64 s5, v[6:7], v[16:17]
	v_dual_mov_b32 v6, v22 :: v_dual_mov_b32 v7, v24
	s_cmp_gt_u32 s9, 6
	v_cmp_gt_i64_e64 s0, s[36:37], v[0:1]
	s_cselect_b32 s91, -1, 0
	s_and_b32 s92, s8, 0x7f8
	v_mad_co_u64_u32 v[9:10], null, s43, v10, v[6:7]
	v_mad_co_u64_u32 v[6:7], null, s43, v14, v[7:8]
	v_add_co_u32 v37, s8, s36, v0
	v_lshlrev_b64_e32 v[24:25], 2, v[4:5]
	s_delay_alu instid0(VALU_DEP_4)
	v_dual_mov_b32 v26, s38 :: v_dual_mov_b32 v35, v9
	v_cmp_gt_u32_e64 s3, 2, v0
	v_mov_b32_e32 v22, v8
	v_mov_b32_e32 v36, v6
	v_add_co_ci_u32_e64 v38, null, s37, 0, s8
	v_lshl_or_b32 v39, v32, 3, 0xc00
	v_dual_mov_b32 v27, s39 :: v_dual_mov_b32 v42, 0
	v_dual_mov_b32 v20, 0 :: v_dual_mov_b32 v41, 0
	s_add_nc_u64 s[52:53], s[44:45], -1
	s_cmp_lg_u32 s90, 0
	s_add_nc_u64 s[54:55], s[52:53], s[36:37]
	s_mov_b32 s82, s42
	s_mov_b32 s83, s43
	s_mov_b32 s84, s42
	s_mov_b32 s85, s43
	s_mov_b32 s86, s42
	s_mov_b32 s87, s43
	s_mov_b32 s88, s42
	s_mov_b32 s89, s43
	s_mov_b32 s94, 6
	s_cselect_b32 s93, -1, 0
	s_lshl_b64 s[56:57], s[42:43], 2
	s_mul_u64 s[46:47], s[42:43], s[44:45]
	s_add_nc_u64 s[38:39], s[6:7], s[50:51]
	s_mov_b32 s95, 0
	s_mov_b32 s96, 0
                                        ; implicit-def: $sgpr100
                                        ; implicit-def: $sgpr102
                                        ; implicit-def: $sgpr97
                                        ; implicit-def: $sgpr99
                                        ; implicit-def: $sgpr101
                                        ; implicit-def: $sgpr98
	s_branch .LBB12_7
.LBB12_4:                               ;   in Loop: Header=BB12_7 Depth=1
	s_wait_alu 0xfffe
	s_or_b32 exec_lo, exec_lo, s9
	s_delay_alu instid0(SALU_CYCLE_1)
	s_and_b32 s7, s7, exec_lo
	s_and_not1_b32 s22, s22, exec_lo
	s_and_not1_b32 s21, s21, exec_lo
	s_or_not1_b32 s18, s8, exec_lo
.LBB12_5:                               ;   in Loop: Header=BB12_7 Depth=1
	s_wait_alu 0xfffe
	s_or_b32 exec_lo, exec_lo, s6
	s_delay_alu instid0(SALU_CYCLE_1)
	s_and_not1_b32 s6, s98, exec_lo
	s_and_b32 s7, s7, exec_lo
	s_and_not1_b32 s8, s99, exec_lo
	s_wait_alu 0xfffe
	s_or_b32 s98, s6, s7
	s_and_not1_b32 s6, s101, exec_lo
	s_and_b32 s7, s22, exec_lo
	s_and_b32 s9, s21, exec_lo
	s_wait_alu 0xfffe
	s_or_b32 s101, s6, s7
	s_or_b32 s99, s8, s9
	s_or_not1_b32 s18, s18, exec_lo
.LBB12_6:                               ;   in Loop: Header=BB12_7 Depth=1
	s_wait_alu 0xfffe
	s_or_b32 exec_lo, exec_lo, s17
	s_delay_alu instid0(SALU_CYCLE_1)
	s_and_b32 s6, exec_lo, s18
	v_dual_mov_b32 v27, v9 :: v_dual_mov_b32 v26, v8
	s_wait_alu 0xfffe
	s_or_b32 s95, s6, s95
	s_and_not1_b32 s6, s97, exec_lo
	s_and_b32 s7, s98, exec_lo
	s_and_not1_b32 s8, s102, exec_lo
	s_wait_alu 0xfffe
	s_or_b32 s97, s6, s7
	s_and_b32 s6, s101, exec_lo
	s_and_not1_b32 s7, s100, exec_lo
	s_and_b32 s9, s99, exec_lo
	s_wait_alu 0xfffe
	s_or_b32 s102, s8, s6
	s_or_b32 s100, s7, s9
	s_and_not1_b32 exec_lo, exec_lo, s95
	s_cbranch_execz .LBB12_269
.LBB12_7:                               ; =>This Loop Header: Depth=1
                                        ;     Child Loop BB12_12 Depth 2
                                        ;     Child Loop BB12_26 Depth 2
                                        ;     Child Loop BB12_30 Depth 2
                                        ;     Child Loop BB12_65 Depth 2
                                        ;     Child Loop BB12_69 Depth 2
                                        ;     Child Loop BB12_54 Depth 2
                                        ;     Child Loop BB12_59 Depth 2
                                        ;     Child Loop BB12_47 Depth 2
                                        ;     Child Loop BB12_78 Depth 2
                                        ;     Child Loop BB12_91 Depth 2
                                        ;     Child Loop BB12_105 Depth 2
                                        ;     Child Loop BB12_134 Depth 2
                                        ;     Child Loop BB12_150 Depth 2
                                        ;     Child Loop BB12_180 Depth 2
                                        ;     Child Loop BB12_196 Depth 2
                                        ;     Child Loop BB12_225 Depth 2
                                        ;     Child Loop BB12_241 Depth 2
	ds_load_b128 v[4:7], v3 offset:5120
	s_wait_dscnt 0x0
	v_readfirstlane_b32 s59, v5
	v_readfirstlane_b32 s58, v4
	s_wait_alu 0xf1ff
	s_delay_alu instid0(VALU_DEP_1)
	v_cmp_gt_i64_e64 s6, s[58:59], 0
	s_and_b32 vcc_lo, exec_lo, s6
	s_wait_alu 0xfffe
	s_cbranch_vccnz .LBB12_39
; %bb.8:                                ;   in Loop: Header=BB12_7 Depth=1
	s_and_b32 vcc_lo, exec_lo, s80
	s_wait_alu 0xfffe
	s_cbranch_vccz .LBB12_20
; %bb.9:                                ;   in Loop: Header=BB12_7 Depth=1
	v_cmp_gt_i64_e32 vcc_lo, 0xc01, v[6:7]
	s_mov_b32 s8, 0
	s_mov_b32 s6, 0
	s_cbranch_vccz .LBB12_21
; %bb.10:                               ;   in Loop: Header=BB12_7 Depth=1
	global_load_u16 v2, v3, s[38:39]
	global_load_u8 v8, v[12:13], off
	s_mov_b32 s9, 0
	s_wait_loadcnt 0x1
	v_and_b32_e32 v2, 0xffff, v2
	s_delay_alu instid0(VALU_DEP_1) | instskip(SKIP_3) | instid1(VALU_DEP_3)
	v_add_co_u32 v4, s6, v0, v2
	s_wait_alu 0xf1fe
	v_add_co_ci_u32_e64 v5, null, 0, 0, s6
	v_mul_lo_u32 v6, v2, s43
	v_mul_lo_u32 v10, s43, v4
	v_mul_hi_u32 v11, v2, s42
	s_delay_alu instid0(VALU_DEP_4) | instskip(SKIP_2) | instid1(VALU_DEP_2)
	v_mul_lo_u32 v7, s42, v5
	v_mad_co_u64_u32 v[4:5], null, s42, v4, s[48:49]
	v_add_nc_u32_e32 v6, v6, v40
	v_add3_u32 v5, v10, v5, v7
	s_delay_alu instid0(VALU_DEP_2)
	v_dual_mov_b32 v7, v1 :: v_dual_add_nc_u32 v10, v6, v11
	v_mul_lo_u32 v9, v2, s42
	v_mov_b32_e32 v6, v0
	s_branch .LBB12_12
.LBB12_11:                              ;   in Loop: Header=BB12_12 Depth=2
	s_wait_alu 0xfffe
	s_or_b32 exec_lo, exec_lo, s7
	v_add_co_u32 v4, vcc_lo, v4, v9
	s_wait_alu 0xfffd
	v_add_co_ci_u32_e64 v5, null, v5, v10, vcc_lo
	v_mov_b32_e32 v8, v11
	s_and_not1_b32 exec_lo, exec_lo, s9
	s_cbranch_execz .LBB12_73
.LBB12_12:                              ;   Parent Loop BB12_7 Depth=1
                                        ; =>  This Inner Loop Header: Depth=2
	s_delay_alu instid0(VALU_DEP_1)
	v_add_co_u32 v6, vcc_lo, v6, v2
	s_wait_alu 0xfffd
	v_add_co_ci_u32_e64 v7, null, 0, v7, vcc_lo
	s_wait_dscnt 0x0
	v_dual_mov_b32 v28, 0 :: v_dual_mov_b32 v11, 0
	s_mov_b32 s7, exec_lo
	s_delay_alu instid0(VALU_DEP_2)
	v_cmp_le_i64_e32 vcc_lo, s[36:37], v[6:7]
	v_cmpx_gt_i64_e64 s[36:37], v[6:7]
	s_cbranch_execz .LBB12_14
; %bb.13:                               ;   in Loop: Header=BB12_12 Depth=2
	global_load_u8 v11, v[4:5], off
.LBB12_14:                              ;   in Loop: Header=BB12_12 Depth=2
	s_wait_alu 0xfffe
	s_or_b32 exec_lo, exec_lo, s7
	s_wait_loadcnt 0x0
	v_bfe_i32 v29, v8, 0, 8
	s_delay_alu instid0(VALU_DEP_1) | instskip(NEXT) | instid1(VALU_DEP_1)
	v_add_nc_u32_e32 v29, 0x80, v29
	v_and_b32_e32 v29, v29, v41
	s_delay_alu instid0(VALU_DEP_1)
	v_cmp_eq_u32_e64 s6, v29, v20
	s_cmp_lg_u32 s6, 0
	s_cselect_b32 s7, -1, 0
	s_wait_alu 0xfffe
	s_and_b32 s7, s1, s7
	s_wait_alu 0xfffe
	s_and_saveexec_b32 s10, s7
	s_cbranch_execz .LBB12_18
; %bb.15:                               ;   in Loop: Header=BB12_12 Depth=2
	s_mov_b32 s13, exec_lo
	s_bcnt1_i32_b32 s11, s6
	s_wait_alu 0xfffe
	v_mbcnt_lo_u32_b32 v28, s13, 0
	s_mov_b32 s12, exec_lo
                                        ; implicit-def: $vgpr29
	s_delay_alu instid0(VALU_DEP_1)
	v_cmpx_eq_u32_e32 0, v28
; %bb.16:                               ;   in Loop: Header=BB12_12 Depth=2
	s_bcnt1_i32_b32 s7, s13
	s_wait_alu 0xfffe
	s_mul_i32 s7, s11, s7
	s_wait_alu 0xfffe
	v_mov_b32_e32 v29, s7
	ds_add_rtn_u32 v29, v3, v29 offset:5136
; %bb.17:                               ;   in Loop: Header=BB12_12 Depth=2
	s_or_b32 exec_lo, exec_lo, s12
	s_wait_dscnt 0x0
	v_readfirstlane_b32 s7, v29
	s_wait_alu 0xf1ff
	s_delay_alu instid0(VALU_DEP_1)
	v_mad_u32_u24 v28, s11, v28, s7
.LBB12_18:                              ;   in Loop: Header=BB12_12 Depth=2
	s_wait_alu 0xfffe
	s_or_b32 exec_lo, exec_lo, s10
	ds_bpermute_b32 v28, v3, v28
	s_and_b32 s7, exec_lo, vcc_lo
	s_wait_alu 0xfffe
	s_or_b32 s9, s7, s9
	s_and_saveexec_b32 s7, s6
	s_cbranch_execz .LBB12_11
; %bb.19:                               ;   in Loop: Header=BB12_12 Depth=2
	v_and_b32_e32 v29, s6, v33
	s_wait_dscnt 0x0
	s_delay_alu instid0(VALU_DEP_1)
	v_bcnt_u32_b32 v28, v29, v28
	ds_store_b8 v28, v8
	s_branch .LBB12_11
.LBB12_20:                              ;   in Loop: Header=BB12_7 Depth=1
	s_mov_b32 s8, -1
	s_mov_b32 s6, 0
.LBB12_21:                              ;   in Loop: Header=BB12_7 Depth=1
	s_wait_alu 0xfffe
	s_and_b32 vcc_lo, exec_lo, s8
	s_wait_alu 0xfffe
	s_cbranch_vccz .LBB12_37
.LBB12_22:                              ;   in Loop: Header=BB12_7 Depth=1
	s_and_saveexec_b32 s12, s0
	s_cbranch_execz .LBB12_34
; %bb.23:                               ;   in Loop: Header=BB12_7 Depth=1
	global_load_u16 v4, v3, s[38:39]
	global_load_u8 v30, v[12:13], off
	v_mov_b32_e32 v8, v0
	s_mov_b32 s13, exec_lo
	s_wait_loadcnt 0x1
	v_and_b32_e32 v2, 0xffff, v4
	v_readfirstlane_b32 s6, v4
	s_delay_alu instid0(VALU_DEP_2) | instskip(NEXT) | instid1(VALU_DEP_1)
	v_add_nc_u32_e32 v2, v2, v0
	v_cmpx_gt_i64_e64 s[36:37], v[2:3]
	s_cbranch_execz .LBB12_33
; %bb.24:                               ;   in Loop: Header=BB12_7 Depth=1
	s_and_b32 s50, s6, 0xffff
	v_dual_mov_b32 v7, v1 :: v_dual_mov_b32 v6, v0
	s_wait_alu 0xfffe
	s_cmp_eq_u32 s50, 1
	v_dual_mov_b32 v5, v3 :: v_dual_mov_b32 v4, v2
	s_cselect_b32 s6, -1, 0
                                        ; implicit-def: $vgpr8_vgpr9
	s_wait_alu 0xfffe
	s_and_b32 s7, s4, s6
	s_mov_b32 s6, -1
	s_wait_alu 0xfffe
	s_and_saveexec_b32 s8, s7
	s_cbranch_execz .LBB12_28
; %bb.25:                               ;   in Loop: Header=BB12_7 Depth=1
	v_add_co_u32 v8, s6, v2, 3
	s_wait_alu 0xf1ff
	v_add_co_ci_u32_e64 v9, null, 0, 0, s6
	v_add_co_u32 v6, s6, v2, 2
	s_wait_alu 0xf1ff
	v_add_co_ci_u32_e64 v7, null, 0, 0, s6
	;; [unrolled: 3-line block ×3, first 2 shown]
	v_mov_b32_e32 v11, v9
	v_dual_mov_b32 v29, v17 :: v_dual_mov_b32 v10, v8
	s_wait_loadcnt 0x0
	v_dual_mov_b32 v28, v16 :: v_dual_lshlrev_b32 v43, 24, v30
	v_mov_b32_e32 v9, v7
	v_dual_mov_b32 v31, v0 :: v_dual_mov_b32 v8, v6
	v_mov_b32_e32 v7, v5
	v_mov_b32_e32 v6, v4
	;; [unrolled: 1-line block ×4, first 2 shown]
	s_mov_b32 s9, 0
.LBB12_26:                              ;   Parent Loop BB12_7 Depth=1
                                        ; =>  This Inner Loop Header: Depth=2
	v_mul_lo_u32 v53, v7, s84
	v_mul_lo_u32 v54, v6, s85
	v_mad_co_u64_u32 v[46:47], null, v6, s84, 0
	v_mul_lo_u32 v30, v9, s86
	v_mul_lo_u32 v52, v8, s87
	v_mad_co_u64_u32 v[44:45], null, v8, s86, 0
	;; [unrolled: 3-line block ×3, first 2 shown]
	v_mad_co_u64_u32 v[50:51], null, v10, s88, s[48:49]
	v_mul_lo_u32 v57, v10, s89
	v_mul_lo_u32 v58, v11, s88
	v_add3_u32 v53, v47, v54, v53
	v_add3_u32 v30, v45, v52, v30
	;; [unrolled: 1-line block ×3, first 2 shown]
	v_add_co_u32 v52, s7, s48, v46
	v_add_co_u32 v47, s6, s48, v44
	v_add3_u32 v51, v58, v51, v57
	v_add_co_u32 v45, vcc_lo, s48, v48
	s_wait_alu 0xf1ff
	v_add_co_ci_u32_e64 v53, null, s49, v53, s7
	v_add_co_ci_u32_e64 v48, null, s49, v30, s6
	s_wait_alu 0xfffd
	v_add_co_ci_u32_e64 v46, null, s49, v49, vcc_lo
	s_clause 0x3
	global_load_u8 v30, v[50:51], off
	global_load_u8 v44, v[52:53], off
	global_load_u8 v47, v[47:48], off
	global_load_u8 v45, v[45:46], off
	v_add_co_u32 v10, vcc_lo, v10, 4
	s_wait_alu 0xfffd
	v_add_co_ci_u32_e64 v11, null, 0, v11, vcc_lo
	v_add_co_u32 v8, vcc_lo, v8, 4
	s_wait_alu 0xfffd
	v_add_co_ci_u32_e64 v9, null, 0, v9, vcc_lo
	;; [unrolled: 3-line block ×3, first 2 shown]
	v_add_co_u32 v28, vcc_lo, v28, -4
	s_wait_alu 0xfffd
	v_add_co_ci_u32_e64 v29, null, -1, v29, vcc_lo
	v_add_co_u32 v4, vcc_lo, v4, 4
	s_wait_alu 0xfffd
	v_add_co_ci_u32_e64 v5, null, 0, v5, vcc_lo
	s_delay_alu instid0(VALU_DEP_3)
	v_cmp_eq_u64_e64 s6, 0, v[28:29]
	s_wait_alu 0xfffe
	s_or_b32 s9, s6, s9
	s_wait_loadcnt 0x0
	v_perm_b32 v46, v45, v44, 0xc0c0004
	v_perm_b32 v44, v44, v47, 0xc0c0004
	;; [unrolled: 1-line block ×4, first 2 shown]
	s_delay_alu instid0(VALU_DEP_2) | instskip(NEXT) | instid1(VALU_DEP_2)
	v_lshl_or_b32 v43, v44, 16, v43
	v_lshl_or_b32 v44, v45, 16, v46
	ds_store_b32 v31, v43
	v_add_nc_u32_e32 v31, 4, v31
	v_mov_b32_e32 v43, v44
	s_wait_alu 0xfffe
	s_and_not1_b32 exec_lo, exec_lo, s9
	s_cbranch_execnz .LBB12_26
; %bb.27:                               ;   in Loop: Header=BB12_7 Depth=1
	s_or_b32 exec_lo, exec_lo, s9
	v_add_co_u32 v4, vcc_lo, v2, v16
	s_wait_alu 0xfffd
	v_add_co_ci_u32_e64 v5, null, 0, v17, vcc_lo
	v_dual_mov_b32 v6, v18 :: v_dual_mov_b32 v7, v19
	s_delay_alu instid0(VALU_DEP_3)
	v_add_co_u32 v8, vcc_lo, v4, -1
	s_or_not1_b32 s6, s5, exec_lo
	s_wait_alu 0xfffd
	v_add_co_ci_u32_e64 v2, null, -1, v5, vcc_lo
.LBB12_28:                              ;   in Loop: Header=BB12_7 Depth=1
	s_wait_alu 0xfffe
	s_or_b32 exec_lo, exec_lo, s8
	s_and_saveexec_b32 s7, s6
	s_cbranch_execz .LBB12_32
; %bb.29:                               ;   in Loop: Header=BB12_7 Depth=1
	v_mad_co_u64_u32 v[9:10], null, s42, v4, s[48:49]
	v_mul_lo_u32 v2, s42, v5
	v_mul_lo_u32 v7, s43, v4
	s_sub_nc_u64 s[8:9], 0, s[50:51]
	s_mul_u64 s[10:11], s[42:43], s[50:51]
	s_mov_b32 s14, 0
	s_delay_alu instid0(VALU_DEP_1)
	v_add3_u32 v10, v7, v10, v2
.LBB12_30:                              ;   Parent Loop BB12_7 Depth=1
                                        ; =>  This Inner Loop Header: Depth=2
	global_load_u8 v2, v[9:10], off
	v_dual_mov_b32 v8, v5 :: v_dual_mov_b32 v7, v4
	s_wait_alu 0xfffe
	v_add_co_u32 v9, vcc_lo, v9, s10
	s_wait_alu 0xfffd
	v_add_co_ci_u32_e64 v10, null, s11, v10, vcc_lo
	v_add_co_u32 v4, s6, v7, s50
	s_wait_alu 0xf1ff
	v_add_co_ci_u32_e64 v5, null, 0, v8, s6
	s_wait_loadcnt 0x1
	ds_store_b8 v6, v30
	v_mov_b32_e32 v6, v7
	v_mov_b32_e32 v7, v8
	v_cmp_le_i64_e32 vcc_lo, s[36:37], v[4:5]
	v_add_co_u32 v8, s6, s8, v4
	s_wait_alu 0xf1ff
	v_add_co_ci_u32_e64 v7, null, s9, v5, s6
	s_or_b32 s14, vcc_lo, s14
	s_wait_loadcnt 0x0
	v_mov_b32_e32 v30, v2
	s_wait_alu 0xfffe
	s_and_not1_b32 exec_lo, exec_lo, s14
	s_cbranch_execnz .LBB12_30
; %bb.31:                               ;   in Loop: Header=BB12_7 Depth=1
	s_or_b32 exec_lo, exec_lo, s14
	v_mov_b32_e32 v30, v2
.LBB12_32:                              ;   in Loop: Header=BB12_7 Depth=1
	s_wait_alu 0xfffe
	s_or_b32 exec_lo, exec_lo, s7
.LBB12_33:                              ;   in Loop: Header=BB12_7 Depth=1
	s_wait_alu 0xfffe
	s_or_b32 exec_lo, exec_lo, s13
	s_wait_loadcnt 0x0
	ds_store_b8 v8, v30
.LBB12_34:                              ;   in Loop: Header=BB12_7 Depth=1
	s_wait_alu 0xfffe
	s_or_b32 exec_lo, exec_lo, s12
	s_wait_loadcnt_dscnt 0x0
	s_barrier_signal -1
	s_barrier_wait -1
	global_inv scope:SCOPE_SE
	s_and_saveexec_b32 s6, s2
; %bb.35:                               ;   in Loop: Header=BB12_7 Depth=1
	v_dual_mov_b32 v4, s36 :: v_dual_mov_b32 v5, s37
	ds_store_b64 v3, v[4:5] offset:5120
; %bb.36:                               ;   in Loop: Header=BB12_7 Depth=1
	s_wait_alu 0xfffe
	s_or_b32 exec_lo, exec_lo, s6
	s_mov_b32 s6, -1
	s_wait_loadcnt_dscnt 0x0
	s_barrier_signal -1
	s_barrier_wait -1
.LBB12_37:                              ;   in Loop: Header=BB12_7 Depth=1
	s_wait_alu 0xfffe
	s_and_b32 vcc_lo, exec_lo, s6
	s_wait_alu 0xfffe
	s_cbranch_vccz .LBB12_39
; %bb.38:                               ;   in Loop: Header=BB12_7 Depth=1
	s_wait_loadcnt 0x0
	global_inv scope:SCOPE_SE
	ds_load_b64 v[4:5], v3 offset:5120
	s_wait_dscnt 0x0
	v_readfirstlane_b32 s58, v4
.LBB12_39:                              ;   in Loop: Header=BB12_7 Depth=1
	s_delay_alu instid0(VALU_DEP_1)
	s_cmp_lt_i32 s58, 1
	s_mov_b32 s6, -1
                                        ; implicit-def: $vgpr10_vgpr11
                                        ; implicit-def: $vgpr6_vgpr7
	s_cbranch_scc1 .LBB12_49
; %bb.40:                               ;   in Loop: Header=BB12_7 Depth=1
	s_wait_alu 0xfffe
	s_and_b32 vcc_lo, exec_lo, s6
	s_wait_alu 0xfffe
	s_cbranch_vccnz .LBB12_63
.LBB12_41:                              ;   in Loop: Header=BB12_7 Depth=1
	s_lshl_b32 s6, s96, 7
	s_and_saveexec_b32 s7, s1
	s_cbranch_execz .LBB12_43
.LBB12_42:                              ;   in Loop: Header=BB12_7 Depth=1
	s_wait_alu 0xfffe
	v_lshl_add_u32 v2, s6, 3, v34
	ds_store_b128 v2, v[4:7]
	ds_store_b128 v2, v[8:11] offset:16
.LBB12_43:                              ;   in Loop: Header=BB12_7 Depth=1
	s_wait_alu 0xfffe
	s_or_b32 exec_lo, exec_lo, s7
	s_wait_loadcnt_dscnt 0x0
	s_barrier_signal -1
	s_barrier_wait -1
	global_inv scope:SCOPE_SE
	s_and_saveexec_b32 s7, s33
	s_cbranch_execz .LBB12_80
; %bb.44:                               ;   in Loop: Header=BB12_7 Depth=1
	v_mov_b32_e32 v4, 0
	v_mov_b32_e32 v5, 0
	s_and_not1_b32 vcc_lo, exec_lo, s81
	s_wait_alu 0xfffe
	s_cbranch_vccnz .LBB12_79
; %bb.45:                               ;   in Loop: Header=BB12_7 Depth=1
	v_mov_b32_e32 v4, 0
	v_mov_b32_e32 v5, 0
	s_and_not1_b32 vcc_lo, exec_lo, s91
	s_wait_alu 0xfffe
	s_cbranch_vccnz .LBB12_76
; %bb.46:                               ;   in Loop: Header=BB12_7 Depth=1
	v_lshl_add_u32 v2, s96, 10, v39
	s_mov_b32 s8, 0
.LBB12_47:                              ;   Parent Loop BB12_7 Depth=1
                                        ; =>  This Inner Loop Header: Depth=2
	ds_load_2addr_b64 v[6:9], v2 offset1:4
	ds_load_2addr_b64 v[28:31], v2 offset0:8 offset1:12
	ds_load_2addr_b64 v[43:46], v2 offset0:16 offset1:20
	s_wait_alu 0xfffe
	s_add_co_i32 s8, s8, 8
	s_wait_alu 0xfffe
	s_cmp_eq_u32 s92, s8
	s_wait_dscnt 0x2
	v_add_co_u32 v4, vcc_lo, v6, v4
	s_wait_alu 0xfffd
	v_add_co_ci_u32_e64 v5, null, v7, v5, vcc_lo
	s_delay_alu instid0(VALU_DEP_2) | instskip(SKIP_1) | instid1(VALU_DEP_2)
	v_add_co_u32 v8, vcc_lo, v8, v4
	s_wait_alu 0xfffd
	v_add_co_ci_u32_e64 v9, null, v9, v5, vcc_lo
	ds_load_2addr_b64 v[4:7], v2 offset0:24 offset1:28
	s_wait_dscnt 0x2
	v_add_co_u32 v8, vcc_lo, v28, v8
	s_wait_alu 0xfffd
	v_add_co_ci_u32_e64 v9, null, v29, v9, vcc_lo
	v_add_nc_u32_e32 v2, 0x100, v2
	s_delay_alu instid0(VALU_DEP_3) | instskip(SKIP_1) | instid1(VALU_DEP_3)
	v_add_co_u32 v8, vcc_lo, v30, v8
	s_wait_alu 0xfffd
	v_add_co_ci_u32_e64 v9, null, v31, v9, vcc_lo
	s_wait_dscnt 0x1
	s_delay_alu instid0(VALU_DEP_2) | instskip(SKIP_1) | instid1(VALU_DEP_2)
	v_add_co_u32 v8, vcc_lo, v43, v8
	s_wait_alu 0xfffd
	v_add_co_ci_u32_e64 v9, null, v44, v9, vcc_lo
	s_delay_alu instid0(VALU_DEP_2) | instskip(SKIP_1) | instid1(VALU_DEP_2)
	v_add_co_u32 v8, vcc_lo, v45, v8
	s_wait_alu 0xfffd
	v_add_co_ci_u32_e64 v9, null, v46, v9, vcc_lo
	s_wait_dscnt 0x0
	s_delay_alu instid0(VALU_DEP_2) | instskip(SKIP_1) | instid1(VALU_DEP_2)
	v_add_co_u32 v4, vcc_lo, v4, v8
	s_wait_alu 0xfffd
	v_add_co_ci_u32_e64 v5, null, v5, v9, vcc_lo
	s_delay_alu instid0(VALU_DEP_2) | instskip(SKIP_1) | instid1(VALU_DEP_2)
	v_add_co_u32 v4, vcc_lo, v6, v4
	s_wait_alu 0xfffd
	v_add_co_ci_u32_e64 v5, null, v7, v5, vcc_lo
	s_cbranch_scc0 .LBB12_47
; %bb.48:                               ;   in Loop: Header=BB12_7 Depth=1
	s_mov_b32 s8, s92
	s_and_not1_b32 vcc_lo, exec_lo, s93
	s_wait_alu 0xfffe
	s_cbranch_vccz .LBB12_77
	s_branch .LBB12_79
.LBB12_49:                              ;   in Loop: Header=BB12_7 Depth=1
	global_load_u16 v2, v3, s[38:39]
	s_mov_b32 s7, s37
	s_wait_loadcnt 0x0
	v_readfirstlane_b32 s6, v2
	s_wait_alu 0xfffe
	s_and_b32 s60, s6, 0xffff
	s_mov_b32 s6, s51
	s_wait_alu 0xfffe
	s_lshl_b32 s62, s60, 2
	s_cmp_lg_u64 s[6:7], 0
	s_cbranch_scc0 .LBB12_72
; %bb.50:                               ;   in Loop: Header=BB12_7 Depth=1
	s_mov_b32 s63, s51
	s_wait_alu 0xfffe
	s_add_nc_u64 s[6:7], s[62:63], 0
	s_wait_alu 0xfffe
	s_xor_b64 s[6:7], s[6:7], 0
	s_wait_alu 0xfffe
	s_cvt_f32_u32 s8, s6
	s_cvt_f32_u32 s9, s7
	s_sub_nc_u64 s[10:11], 0, s[6:7]
	s_wait_alu 0xfffe
	s_delay_alu instid0(SALU_CYCLE_1) | instskip(SKIP_1) | instid1(SALU_CYCLE_2)
	s_fmamk_f32 s8, s9, 0x4f800000, s8
	s_wait_alu 0xfffe
	v_s_rcp_f32 s8, s8
	s_delay_alu instid0(TRANS32_DEP_1) | instskip(SKIP_1) | instid1(SALU_CYCLE_2)
	s_mul_f32 s8, s8, 0x5f7ffffc
	s_wait_alu 0xfffe
	s_mul_f32 s9, s8, 0x2f800000
	s_wait_alu 0xfffe
	s_delay_alu instid0(SALU_CYCLE_2) | instskip(SKIP_1) | instid1(SALU_CYCLE_2)
	s_trunc_f32 s9, s9
	s_wait_alu 0xfffe
	s_fmamk_f32 s8, s9, 0xcf800000, s8
	s_cvt_u32_f32 s9, s9
	s_wait_alu 0xfffe
	s_delay_alu instid0(SALU_CYCLE_1) | instskip(SKIP_1) | instid1(SALU_CYCLE_2)
	s_cvt_u32_f32 s8, s8
	s_wait_alu 0xfffe
	s_mul_u64 s[12:13], s[10:11], s[8:9]
	s_wait_alu 0xfffe
	s_mul_hi_u32 s15, s8, s13
	s_mul_i32 s14, s8, s13
	s_mul_hi_u32 s50, s8, s12
	s_mul_i32 s17, s9, s12
	s_wait_alu 0xfffe
	s_add_nc_u64 s[14:15], s[50:51], s[14:15]
	s_mul_hi_u32 s16, s9, s12
	s_mul_hi_u32 s18, s9, s13
	s_mul_i32 s12, s9, s13
	s_wait_alu 0xfffe
	s_add_co_u32 s13, s14, s17
	s_add_co_ci_u32 s50, s15, s16
	s_add_co_ci_u32 s13, s18, 0
	s_wait_alu 0xfffe
	s_add_nc_u64 s[12:13], s[50:51], s[12:13]
	s_wait_alu 0xfffe
	s_add_co_u32 s8, s8, s12
	s_cselect_b32 s12, -1, 0
	s_wait_alu 0xfffe
	s_cmp_lg_u32 s12, 0
	s_add_co_ci_u32 s9, s9, s13
	s_wait_alu 0xfffe
	s_mul_u64 s[10:11], s[10:11], s[8:9]
	s_wait_alu 0xfffe
	s_mul_hi_u32 s13, s8, s11
	s_mul_i32 s12, s8, s11
	s_mul_hi_u32 s50, s8, s10
	s_mul_i32 s15, s9, s10
	s_wait_alu 0xfffe
	s_add_nc_u64 s[12:13], s[50:51], s[12:13]
	s_mul_hi_u32 s14, s9, s10
	s_mul_hi_u32 s16, s9, s11
	s_mul_i32 s10, s9, s11
	s_wait_alu 0xfffe
	s_add_co_u32 s11, s12, s15
	s_add_co_ci_u32 s50, s13, s14
	s_add_co_ci_u32 s11, s16, 0
	s_wait_alu 0xfffe
	s_add_nc_u64 s[10:11], s[50:51], s[10:11]
	s_wait_alu 0xfffe
	s_add_co_u32 s14, s8, s10
	s_cselect_b32 s8, -1, 0
	s_wait_alu 0xfffe
	s_cmp_lg_u32 s8, 0
	s_add_co_ci_u32 s15, s9, s11
	s_ashr_i32 s8, s37, 31
	s_wait_alu 0xfffe
	s_mov_b32 s9, s8
	s_wait_alu 0xfffe
	s_add_nc_u64 s[10:11], s[36:37], s[8:9]
	s_wait_alu 0xfffe
	s_xor_b64 s[10:11], s[10:11], s[8:9]
	s_wait_alu 0xfffe
	s_mul_hi_u32 s13, s10, s15
	s_mul_i32 s12, s10, s15
	s_mul_hi_u32 s50, s10, s14
	s_mul_i32 s18, s11, s14
	s_wait_alu 0xfffe
	s_add_nc_u64 s[12:13], s[50:51], s[12:13]
	s_mul_hi_u32 s17, s11, s14
	s_mul_hi_u32 s16, s11, s15
	s_wait_alu 0xfffe
	s_add_co_u32 s12, s12, s18
	s_add_co_ci_u32 s50, s13, s17
	s_mul_i32 s14, s11, s15
	s_add_co_ci_u32 s15, s16, 0
	s_wait_alu 0xfffe
	s_add_nc_u64 s[12:13], s[50:51], s[14:15]
	s_wait_alu 0xfffe
	s_mul_u64 s[12:13], s[6:7], s[12:13]
	s_wait_alu 0xfffe
	s_sub_co_u32 s10, s10, s12
	s_cselect_b32 s12, -1, 0
	s_sub_co_i32 s14, s11, s13
	s_wait_alu 0xfffe
	s_cmp_lg_u32 s12, 0
	s_sub_co_ci_u32 s14, s14, s7
	s_sub_co_u32 s15, s10, s6
	s_cselect_b32 s16, -1, 0
	s_wait_alu 0xfffe
	s_cmp_lg_u32 s16, 0
	s_sub_co_ci_u32 s17, s14, 0
	s_wait_alu 0xfffe
	s_cmp_ge_u32 s17, s7
	s_cselect_b32 s18, -1, 0
	s_cmp_ge_u32 s15, s6
	s_cselect_b32 s19, -1, 0
	s_cmp_eq_u32 s17, s7
	s_cselect_b32 s18, s19, s18
	s_cmp_lg_u32 s16, 0
	s_sub_co_ci_u32 s14, s14, s7
	s_sub_co_u32 s16, s15, s6
	s_cselect_b32 s19, -1, 0
	s_delay_alu instid0(SALU_CYCLE_1)
	s_cmp_lg_u32 s19, 0
	s_wait_alu 0xfffe
	s_sub_co_ci_u32 s14, s14, 0
	s_cmp_lg_u32 s18, 0
	s_cselect_b32 s15, s16, s15
	s_wait_alu 0xfffe
	s_cselect_b32 s14, s14, s17
	s_cmp_lg_u32 s12, 0
	s_sub_co_ci_u32 s11, s11, s13
	s_wait_alu 0xfffe
	s_cmp_ge_u32 s11, s7
	s_cselect_b32 s12, -1, 0
	s_cmp_ge_u32 s10, s6
	s_cselect_b32 s6, -1, 0
	s_cmp_eq_u32 s11, s7
	s_wait_alu 0xfffe
	s_cselect_b32 s6, s6, s12
	s_wait_alu 0xfffe
	s_cmp_lg_u32 s6, 0
	s_cselect_b32 s7, s14, s11
	s_cselect_b32 s6, s15, s10
	s_wait_alu 0xfffe
	s_xor_b64 s[6:7], s[6:7], s[8:9]
	s_wait_alu 0xfffe
	s_sub_nc_u64 s[64:65], s[6:7], s[8:9]
	s_cbranch_execnz .LBB12_52
.LBB12_51:                              ;   in Loop: Header=BB12_7 Depth=1
	s_wait_alu 0xfffe
	v_cvt_f32_u32_e32 v2, s62
	s_sub_co_i32 s7, 0, s62
	s_delay_alu instid0(VALU_DEP_1) | instskip(NEXT) | instid1(TRANS32_DEP_1)
	v_rcp_iflag_f32_e32 v2, v2
	v_mul_f32_e32 v2, 0x4f7ffffe, v2
	s_delay_alu instid0(VALU_DEP_1) | instskip(NEXT) | instid1(VALU_DEP_1)
	v_cvt_u32_f32_e32 v2, v2
	v_readfirstlane_b32 s6, v2
	s_wait_alu 0xfffe
	s_mul_i32 s7, s7, s6
	s_wait_alu 0xfffe
	s_mul_hi_u32 s7, s6, s7
	s_wait_alu 0xfffe
	s_add_co_i32 s6, s6, s7
	s_wait_alu 0xfffe
	s_mul_hi_u32 s6, s36, s6
	s_wait_alu 0xfffe
	s_mul_i32 s6, s6, s62
	s_wait_alu 0xfffe
	s_sub_co_i32 s6, s36, s6
	s_wait_alu 0xfffe
	s_sub_co_i32 s7, s6, s62
	s_cmp_ge_u32 s6, s62
	s_wait_alu 0xfffe
	s_cselect_b32 s6, s7, s6
	s_wait_alu 0xfffe
	s_sub_co_i32 s7, s6, s62
	s_cmp_ge_u32 s6, s62
	s_wait_alu 0xfffe
	s_cselect_b32 s50, s7, s6
	s_wait_alu 0xfffe
	s_mov_b64 s[64:65], s[50:51]
.LBB12_52:                              ;   in Loop: Header=BB12_7 Depth=1
	v_mov_b32_e32 v4, 0
	v_dual_mov_b32 v8, 0 :: v_dual_mov_b32 v5, 0
	v_dual_mov_b32 v6, 0 :: v_dual_mov_b32 v9, 0
	;; [unrolled: 1-line block ×3, first 2 shown]
	v_mov_b32_e32 v11, 0
	s_wait_alu 0xfffe
	s_sub_nc_u64 s[66:67], s[36:37], s[64:65]
	s_mov_b32 s61, s51
	s_mov_b32 s59, exec_lo
	s_wait_alu 0xfffe
	v_cmpx_gt_i64_e64 s[66:67], v[14:15]
	s_cbranch_execz .LBB12_56
; %bb.53:                               ;   in Loop: Header=BB12_7 Depth=1
	v_dual_mov_b32 v29, v15 :: v_dual_mov_b32 v28, v14
	s_mul_u64 s[68:69], s[56:57], s[60:61]
	s_mov_b64 s[70:71], 0
	s_mov_b32 s63, 0
	s_mov_b64 s[72:73], s[48:49]
	s_mov_b64 s[74:75], 0
	;; [unrolled: 1-line block ×4, first 2 shown]
.LBB12_54:                              ;   Parent Loop BB12_7 Depth=1
                                        ; =>  This Inner Loop Header: Depth=2
	s_wait_alu 0xfffe
	v_add_co_u32 v4, vcc_lo, s72, v24
	s_wait_alu 0xfffd
	v_add_co_ci_u32_e64 v5, null, s73, v25, vcc_lo
	v_add_co_u32 v6, vcc_lo, s72, v23
	s_wait_alu 0xfffd
	v_add_co_ci_u32_e64 v7, null, s73, v36, vcc_lo
	;; [unrolled: 3-line block ×4, first 2 shown]
	s_clause 0x3
	global_load_i8 v2, v[4:5], off
	global_load_i8 v4, v[6:7], off
	;; [unrolled: 1-line block ×4, first 2 shown]
	v_add_co_u32 v28, vcc_lo, v28, s62
	s_wait_alu 0xfffd
	v_add_co_ci_u32_e64 v29, null, 0, v29, vcc_lo
	s_add_nc_u64 s[72:73], s[72:73], s[68:69]
	v_cmp_le_i64_e32 vcc_lo, s[66:67], v[28:29]
	s_wait_loadcnt 0x3
	v_add_nc_u32_e32 v2, 0x80, v2
	s_wait_loadcnt 0x2
	v_add_nc_u32_e32 v4, 0x80, v4
	;; [unrolled: 2-line block ×4, first 2 shown]
	v_and_b32_e32 v7, v2, v41
	v_bfe_u32 v2, v2, s94, 2
	v_and_b32_e32 v8, v4, v41
	v_bfe_u32 v4, v4, s94, 2
	;; [unrolled: 2-line block ×3, first 2 shown]
	v_cmp_eq_u32_e64 s6, v7, v20
	v_cmp_eq_u32_e64 s10, 0, v2
	v_and_b32_e32 v10, v6, v41
	v_bfe_u32 v6, v6, s94, 2
	v_cmp_eq_u32_e64 s7, v8, v20
	v_cmp_eq_u32_e64 s11, 0, v4
	v_cmp_eq_u32_e64 s8, v9, v20
	v_cmp_eq_u32_e64 s12, 0, v5
	s_and_b32 s10, s6, s10
	v_cmp_eq_u32_e64 s9, v10, v20
	v_cmp_eq_u32_e64 s13, 0, v6
	;; [unrolled: 1-line block ×5, first 2 shown]
	s_wait_alu 0xfffe
	v_cndmask_b32_e64 v2, 0, 1, s10
	s_and_b32 s10, s7, s11
	v_cmp_eq_u32_e64 s15, 1, v4
	v_cmp_eq_u32_e64 s19, 2, v4
	v_cmp_eq_u32_e64 s23, 3, v4
	s_wait_alu 0xfffe
	v_cndmask_b32_e64 v4, 0, 1, s10
	s_and_b32 s10, s8, s12
	v_cmp_eq_u32_e64 s16, 1, v5
	v_cmp_eq_u32_e64 s20, 2, v5
	v_cmp_eq_u32_e64 s24, 3, v5
	;; [unrolled: 6-line block ×3, first 2 shown]
	s_wait_alu 0xfffe
	v_cndmask_b32_e64 v6, 0, 1, s10
	s_and_b32 s10, s6, s14
	s_wait_alu 0xfffe
	v_cndmask_b32_e64 v7, 0, 1, s10
	s_and_b32 s10, s7, s15
	;; [unrolled: 3-line block ×4, first 2 shown]
	v_cmp_ne_u32_e64 s11, 0, v8
	s_wait_alu 0xfffe
	v_cndmask_b32_e64 v10, 0, 1, s10
	s_and_b32 s10, s6, s18
	s_and_b32 s6, s6, s22
	s_wait_alu 0xfffe
	v_cndmask_b32_e64 v11, 0, 1, s10
	v_cndmask_b32_e64 v44, 0, 1, s6
	s_and_b32 s6, s7, s23
	s_and_b32 s10, s7, s19
	s_wait_alu 0xfffe
	v_cndmask_b32_e64 v45, 0, 1, s6
	s_and_b32 s6, s8, s24
	v_cndmask_b32_e64 v30, 0, 1, s10
	s_and_b32 s10, s8, s20
	s_wait_alu 0xfffe
	v_cndmask_b32_e64 v46, 0, 1, s6
	s_and_b32 s6, s9, s25
	v_cndmask_b32_e64 v31, 0, 1, s10
	s_and_b32 s10, s9, s21
	s_wait_alu 0xfffe
	v_cndmask_b32_e64 v47, 0, 1, s6
	v_cmp_ne_u32_e64 s6, 0, v2
	v_cmp_ne_u32_e64 s7, 0, v4
	v_cndmask_b32_e64 v43, 0, 1, s10
	v_cmp_ne_u32_e64 s8, 0, v5
	v_cmp_ne_u32_e64 s10, 0, v7
	;; [unrolled: 1-line block ×6, first 2 shown]
	s_bcnt1_i32_b32 s6, s6
	s_bcnt1_i32_b32 s7, s7
	v_cmp_ne_u32_e64 s13, 0, v10
	v_cmp_ne_u32_e64 s16, 0, v31
	;; [unrolled: 1-line block ×4, first 2 shown]
	s_bcnt1_i32_b32 s8, s8
	s_bcnt1_i32_b32 s10, s10
	;; [unrolled: 1-line block ×3, first 2 shown]
	s_wait_alu 0xfffe
	s_add_co_i32 s6, s7, s6
	v_cmp_ne_u32_e64 s17, 0, v43
	v_cmp_ne_u32_e64 s20, 0, v46
	s_bcnt1_i32_b32 s9, s9
	s_bcnt1_i32_b32 s12, s12
	;; [unrolled: 1-line block ×4, first 2 shown]
	s_add_co_i32 s7, s11, s10
	s_wait_alu 0xfffe
	s_add_co_i32 s6, s6, s8
	v_cmp_ne_u32_e64 s21, 0, v47
	s_bcnt1_i32_b32 s13, s13
	s_bcnt1_i32_b32 s16, s16
	;; [unrolled: 1-line block ×4, first 2 shown]
	s_add_co_i32 s10, s15, s14
	s_add_co_i32 s7, s7, s12
	s_wait_alu 0xfffe
	s_add_co_i32 s50, s6, s9
	s_bcnt1_i32_b32 s17, s17
	s_bcnt1_i32_b32 s20, s20
	s_add_co_i32 s11, s19, s18
	s_add_co_i32 s8, s10, s16
	s_wait_alu 0xfffe
	s_add_nc_u64 s[78:79], s[78:79], s[50:51]
	s_add_co_i32 s50, s7, s13
	s_bcnt1_i32_b32 s21, s21
	s_add_co_i32 s10, s11, s20
	s_wait_alu 0xfffe
	s_add_nc_u64 s[76:77], s[76:77], s[50:51]
	s_add_co_i32 s50, s8, s17
	v_mov_b32_e32 v4, s78
	s_wait_alu 0xfffe
	s_add_nc_u64 s[74:75], s[74:75], s[50:51]
	s_add_co_i32 s50, s10, s21
	v_mov_b32_e32 v6, s76
	s_wait_alu 0xfffe
	s_add_nc_u64 s[70:71], s[70:71], s[50:51]
	v_mov_b32_e32 v8, s74
	s_wait_alu 0xfffe
	v_dual_mov_b32 v10, s70 :: v_dual_mov_b32 v5, s79
	v_mov_b32_e32 v7, s77
	v_mov_b32_e32 v9, s75
	;; [unrolled: 1-line block ×3, first 2 shown]
	s_or_b32 s63, vcc_lo, s63
	s_wait_alu 0xfffe
	s_and_not1_b32 exec_lo, exec_lo, s63
	s_cbranch_execnz .LBB12_54
; %bb.55:                               ;   in Loop: Header=BB12_7 Depth=1
	s_or_b32 exec_lo, exec_lo, s63
.LBB12_56:                              ;   in Loop: Header=BB12_7 Depth=1
	s_wait_alu 0xfffe
	s_or_b32 exec_lo, exec_lo, s59
	v_add_co_u32 v28, s6, s66, v0
	s_wait_alu 0xf1ff
	v_add_co_ci_u32_e64 v29, null, s67, 0, s6
	s_mov_b32 s12, exec_lo
	v_cmpx_gt_i64_e64 s[36:37], v[28:29]
	s_cbranch_execz .LBB12_62
; %bb.57:                               ;   in Loop: Header=BB12_7 Depth=1
	v_mad_co_u64_u32 v[30:31], null, v28, s42, s[48:49]
	v_mul_lo_u32 v2, v28, s43
	v_mul_lo_u32 v43, v29, s42
	s_mul_u64 s[10:11], s[42:43], s[60:61]
	s_mov_b32 s13, 0
	s_delay_alu instid0(VALU_DEP_1)
	v_add3_u32 v31, v43, v31, v2
	v_add_co_u32 v2, vcc_lo, v37, s60
	global_load_u8 v43, v[30:31], off
	s_wait_alu 0xfffd
	v_add_co_ci_u32_e64 v30, null, 0, v38, vcc_lo
	v_sub_co_u32 v2, vcc_lo, v2, s64
	s_wait_alu 0xfffd
	s_delay_alu instid0(VALU_DEP_2) | instskip(NEXT) | instid1(VALU_DEP_2)
	v_subrev_co_ci_u32_e64 v30, null, s65, v30, vcc_lo
	v_mul_lo_u32 v45, s43, v2
	s_delay_alu instid0(VALU_DEP_2) | instskip(SKIP_1) | instid1(VALU_DEP_1)
	v_mul_lo_u32 v44, s42, v30
	v_mad_co_u64_u32 v[30:31], null, s42, v2, s[48:49]
	v_add3_u32 v31, v45, v31, v44
	s_branch .LBB12_59
.LBB12_58:                              ;   in Loop: Header=BB12_59 Depth=2
	s_wait_alu 0xfffe
	s_or_b32 exec_lo, exec_lo, s7
	s_wait_loadcnt 0x0
	v_bfe_i32 v43, v43, 0, 8
	s_and_b32 s8, exec_lo, vcc_lo
	s_wait_alu 0xfffe
	s_or_b32 s13, s8, s13
	s_delay_alu instid0(VALU_DEP_1) | instskip(NEXT) | instid1(VALU_DEP_1)
	v_add_nc_u32_e32 v43, 0x80, v43
	v_and_b32_e32 v44, v43, v41
	v_bfe_u32 v43, v43, s94, 2
	s_delay_alu instid0(VALU_DEP_2) | instskip(NEXT) | instid1(VALU_DEP_2)
	v_cmp_eq_u32_e64 s6, v44, v20
	v_cmp_eq_u32_e64 s7, 0, v43
	v_cmp_eq_u32_e32 vcc_lo, 1, v43
	v_cmp_eq_u32_e64 s8, 2, v43
	s_and_b32 s7, s6, s7
	s_wait_alu 0xfffe
	v_cndmask_b32_e64 v44, 0, 1, s7
	s_and_b32 s7, s6, vcc_lo
	v_cmp_eq_u32_e32 vcc_lo, 3, v43
	s_wait_alu 0xfffe
	v_cndmask_b32_e64 v45, 0, 1, s7
	s_and_b32 s7, s6, s8
	s_wait_alu 0xfffe
	v_cndmask_b32_e64 v46, 0, 1, s7
	v_cmp_ne_u32_e64 s7, 0, v44
	v_cmp_ne_u32_e64 s8, 0, v45
	s_and_b32 s6, s6, vcc_lo
	s_wait_alu 0xfffe
	v_cndmask_b32_e64 v43, 0, 1, s6
	s_bcnt1_i32_b32 s6, s7
	v_cmp_ne_u32_e64 s9, 0, v46
	s_bcnt1_i32_b32 s7, s8
	s_wait_alu 0xfffe
	v_add_co_u32 v4, vcc_lo, v4, s6
	s_wait_alu 0xfffd
	v_add_co_ci_u32_e64 v5, null, 0, v5, vcc_lo
	v_add_co_u32 v6, vcc_lo, v6, s7
	s_wait_alu 0xfffd
	v_add_co_ci_u32_e64 v7, null, 0, v7, vcc_lo
	v_cmp_ne_u32_e32 vcc_lo, 0, v43
	s_bcnt1_i32_b32 s8, s9
	v_mov_b32_e32 v43, v2
	s_wait_alu 0xfffe
	v_add_co_u32 v8, s6, v8, s8
	s_wait_alu 0xf1ff
	v_add_co_ci_u32_e64 v9, null, 0, v9, s6
	s_bcnt1_i32_b32 s6, vcc_lo
	s_wait_alu 0xfffe
	v_add_co_u32 v10, vcc_lo, v10, s6
	s_wait_alu 0xfffd
	v_add_co_ci_u32_e64 v11, null, 0, v11, vcc_lo
	v_add_co_u32 v30, vcc_lo, v30, s10
	s_wait_alu 0xfffd
	v_add_co_ci_u32_e64 v31, null, s11, v31, vcc_lo
	s_and_not1_b32 exec_lo, exec_lo, s13
	s_cbranch_execz .LBB12_61
.LBB12_59:                              ;   Parent Loop BB12_7 Depth=1
                                        ; =>  This Inner Loop Header: Depth=2
	v_add_co_u32 v28, vcc_lo, v28, s60
	s_wait_alu 0xfffd
	v_add_co_ci_u32_e64 v29, null, 0, v29, vcc_lo
	v_mov_b32_e32 v2, 0
	s_mov_b32 s7, exec_lo
	s_delay_alu instid0(VALU_DEP_2)
	v_cmp_le_i64_e32 vcc_lo, s[36:37], v[28:29]
	v_cmpx_gt_i64_e64 s[36:37], v[28:29]
	s_cbranch_execz .LBB12_58
; %bb.60:                               ;   in Loop: Header=BB12_59 Depth=2
	global_load_u8 v2, v[30:31], off
	s_branch .LBB12_58
.LBB12_61:                              ;   in Loop: Header=BB12_7 Depth=1
	s_or_b32 exec_lo, exec_lo, s13
.LBB12_62:                              ;   in Loop: Header=BB12_7 Depth=1
	s_wait_alu 0xfffe
	s_or_b32 exec_lo, exec_lo, s12
	s_branch .LBB12_41
.LBB12_63:                              ;   in Loop: Header=BB12_7 Depth=1
	global_load_u16 v2, v3, s[38:39]
	v_mov_b32_e32 v6, 0
	v_mov_b32_e32 v8, 0
	v_dual_mov_b32 v10, 0 :: v_dual_mov_b32 v9, 0
	v_mov_b32_e32 v11, 0
	s_mov_b32 s70, exec_lo
	v_mov_b32_e32 v7, 0
	s_wait_loadcnt 0x0
	v_readfirstlane_b32 s6, v2
	v_and_b32_e32 v2, 0xffff, v2
	s_and_b32 s59, 0xffff, s6
	s_wait_alu 0xfffe
	s_lshl_b32 s69, s59, 2
	s_wait_alu 0xfffe
	s_cvt_f32_u32 s6, s69
	s_sub_co_i32 s7, 0, s69
	s_wait_alu 0xfffe
	s_delay_alu instid0(SALU_CYCLE_1) | instskip(NEXT) | instid1(TRANS32_DEP_1)
	v_rcp_iflag_f32_e32 v4, s6
	v_readfirstlane_b32 s6, v4
	s_mul_f32 s6, s6, 0x4f7ffffe
	s_wait_alu 0xfffe
	s_delay_alu instid0(SALU_CYCLE_2) | instskip(SKIP_1) | instid1(SALU_CYCLE_2)
	s_cvt_u32_f32 s6, s6
	s_wait_alu 0xfffe
	s_mul_i32 s7, s7, s6
	s_wait_alu 0xfffe
	s_mul_hi_u32 s7, s6, s7
	s_wait_alu 0xfffe
	s_add_co_i32 s6, s6, s7
	s_wait_alu 0xfffe
	s_mul_hi_u32 s6, s58, s6
	s_wait_alu 0xfffe
	s_mul_i32 s7, s6, s69
	s_add_co_i32 s8, s6, 1
	s_wait_alu 0xfffe
	s_sub_co_i32 s7, s58, s7
	s_wait_alu 0xfffe
	s_sub_co_i32 s9, s7, s69
	s_cmp_ge_u32 s7, s69
	s_cselect_b32 s6, s8, s6
	s_wait_alu 0xfffe
	s_cselect_b32 s7, s9, s7
	s_add_co_i32 s8, s6, 1
	s_wait_alu 0xfffe
	s_cmp_ge_u32 s7, s69
	s_cselect_b32 s68, s8, s6
	s_wait_alu 0xfffe
	v_mul_hi_u32 v5, s68, v2
	v_mul_lo_u32 v4, s68, v2
	s_delay_alu instid0(VALU_DEP_1) | instskip(SKIP_2) | instid1(VALU_DEP_3)
	v_lshlrev_b64_e32 v[28:29], 2, v[4:5]
	v_mov_b32_e32 v4, 0
	v_mov_b32_e32 v5, 0
	v_cmpx_gt_u64_e64 v[28:29], v[14:15]
	s_cbranch_execz .LBB12_67
; %bb.64:                               ;   in Loop: Header=BB12_7 Depth=1
	v_mov_b32_e32 v31, v15
	v_dual_mov_b32 v43, v14 :: v_dual_mov_b32 v30, v14
	s_mov_b64 s[60:61], 0
	s_mov_b32 s71, 0
	s_mov_b64 s[62:63], 0
	s_mov_b64 s[64:65], 0
	;; [unrolled: 1-line block ×3, first 2 shown]
.LBB12_65:                              ;   Parent Loop BB12_7 Depth=1
                                        ; =>  This Inner Loop Header: Depth=2
	ds_load_b32 v4, v43
	v_add_co_u32 v30, vcc_lo, v30, s69
	s_wait_alu 0xfffd
	v_add_co_ci_u32_e64 v31, null, 0, v31, vcc_lo
	s_delay_alu instid0(VALU_DEP_1)
	v_cmp_ge_u64_e32 vcc_lo, v[30:31], v[28:29]
	s_wait_dscnt 0x0
	v_bfe_i32 v5, v4, 0, 8
	v_bfe_i32 v6, v4, 8, 8
	;; [unrolled: 1-line block ×3, first 2 shown]
	v_ashrrev_i32_e32 v4, 24, v4
	s_delay_alu instid0(VALU_DEP_4) | instskip(NEXT) | instid1(VALU_DEP_4)
	v_add_nc_u32_e32 v5, 0x80, v5
	v_add_nc_u32_e32 v6, 0x80, v6
	s_delay_alu instid0(VALU_DEP_4) | instskip(NEXT) | instid1(VALU_DEP_4)
	v_add_nc_u32_e32 v7, 0x80, v7
	v_add_nc_u32_e32 v4, 0x80, v4
	s_delay_alu instid0(VALU_DEP_4)
	v_and_b32_e32 v8, v5, v41
	v_bfe_u32 v5, v5, s94, 2
	v_and_b32_e32 v9, v6, v41
	v_bfe_u32 v6, v6, s94, 2
	;; [unrolled: 2-line block ×3, first 2 shown]
	v_cmp_eq_u32_e64 s6, v8, v20
	v_cmp_eq_u32_e64 s10, 0, v5
	v_and_b32_e32 v11, v4, v41
	v_bfe_u32 v4, v4, s94, 2
	v_cmp_eq_u32_e64 s7, v9, v20
	v_cmp_eq_u32_e64 s11, 0, v6
	;; [unrolled: 1-line block ×4, first 2 shown]
	s_and_b32 s10, s6, s10
	v_cmp_eq_u32_e64 s9, v11, v20
	v_cmp_eq_u32_e64 s13, 0, v4
	;; [unrolled: 1-line block ×5, first 2 shown]
	s_wait_alu 0xfffe
	v_cndmask_b32_e64 v4, 0, 1, s10
	s_and_b32 s10, s7, s11
	v_cmp_eq_u32_e64 s14, 1, v5
	v_cmp_eq_u32_e64 s18, 2, v5
	v_cmp_eq_u32_e64 s22, 3, v5
	s_wait_alu 0xfffe
	v_cndmask_b32_e64 v5, 0, 1, s10
	s_and_b32 s10, s8, s12
	v_cmp_eq_u32_e64 s15, 1, v6
	v_cmp_eq_u32_e64 s19, 2, v6
	v_cmp_eq_u32_e64 s23, 3, v6
	;; [unrolled: 6-line block ×3, first 2 shown]
	s_wait_alu 0xfffe
	v_cndmask_b32_e64 v7, 0, 1, s10
	s_and_b32 s10, s6, s14
	s_wait_alu 0xfffe
	v_cndmask_b32_e64 v8, 0, 1, s10
	s_and_b32 s10, s7, s15
	;; [unrolled: 3-line block ×4, first 2 shown]
	v_cmp_ne_u32_e64 s11, 0, v9
	s_wait_alu 0xfffe
	v_cndmask_b32_e64 v11, 0, 1, s10
	s_and_b32 s10, s6, s18
	s_and_b32 s6, s6, s22
	s_wait_alu 0xfffe
	v_cndmask_b32_e64 v44, 0, 1, s10
	v_cndmask_b32_e64 v48, 0, 1, s6
	s_and_b32 s6, s7, s23
	s_and_b32 s10, s7, s19
	s_wait_alu 0xfffe
	v_cndmask_b32_e64 v49, 0, 1, s6
	s_and_b32 s6, s8, s24
	v_cndmask_b32_e64 v45, 0, 1, s10
	s_and_b32 s10, s8, s20
	s_wait_alu 0xfffe
	v_cndmask_b32_e64 v50, 0, 1, s6
	s_and_b32 s6, s9, s25
	v_cndmask_b32_e64 v46, 0, 1, s10
	s_and_b32 s10, s9, s21
	s_wait_alu 0xfffe
	v_cndmask_b32_e64 v51, 0, 1, s6
	v_cmp_ne_u32_e64 s6, 0, v4
	v_cmp_ne_u32_e64 s7, 0, v5
	v_cndmask_b32_e64 v47, 0, 1, s10
	v_cmp_ne_u32_e64 s8, 0, v6
	v_cmp_ne_u32_e64 s10, 0, v8
	;; [unrolled: 1-line block ×6, first 2 shown]
	s_bcnt1_i32_b32 s6, s6
	s_bcnt1_i32_b32 s7, s7
	v_cmp_ne_u32_e64 s13, 0, v11
	v_cmp_ne_u32_e64 s16, 0, v46
	;; [unrolled: 1-line block ×4, first 2 shown]
	s_bcnt1_i32_b32 s8, s8
	s_bcnt1_i32_b32 s10, s10
	;; [unrolled: 1-line block ×3, first 2 shown]
	s_wait_alu 0xfffe
	s_add_co_i32 s6, s7, s6
	v_cmp_ne_u32_e64 s17, 0, v47
	v_cmp_ne_u32_e64 s20, 0, v50
	s_bcnt1_i32_b32 s9, s9
	s_bcnt1_i32_b32 s12, s12
	;; [unrolled: 1-line block ×4, first 2 shown]
	s_add_co_i32 s7, s11, s10
	s_wait_alu 0xfffe
	s_add_co_i32 s6, s6, s8
	v_cmp_ne_u32_e64 s21, 0, v51
	s_bcnt1_i32_b32 s13, s13
	s_bcnt1_i32_b32 s16, s16
	;; [unrolled: 1-line block ×4, first 2 shown]
	s_add_co_i32 s10, s15, s14
	s_add_co_i32 s7, s7, s12
	s_wait_alu 0xfffe
	s_add_co_i32 s50, s6, s9
	s_bcnt1_i32_b32 s17, s17
	s_bcnt1_i32_b32 s20, s20
	s_add_co_i32 s11, s19, s18
	s_add_co_i32 s8, s10, s16
	s_wait_alu 0xfffe
	s_add_nc_u64 s[66:67], s[66:67], s[50:51]
	s_add_co_i32 s50, s7, s13
	s_bcnt1_i32_b32 s21, s21
	s_add_co_i32 s10, s11, s20
	s_wait_alu 0xfffe
	s_add_nc_u64 s[64:65], s[64:65], s[50:51]
	s_add_co_i32 s50, s8, s17
	v_dual_mov_b32 v4, s66 :: v_dual_add_nc_u32 v43, s69, v43
	s_wait_alu 0xfffe
	s_add_nc_u64 s[62:63], s[62:63], s[50:51]
	s_add_co_i32 s50, s10, s21
	v_mov_b32_e32 v6, s64
	s_wait_alu 0xfffe
	s_add_nc_u64 s[60:61], s[60:61], s[50:51]
	v_mov_b32_e32 v8, s62
	s_wait_alu 0xfffe
	v_dual_mov_b32 v10, s60 :: v_dual_mov_b32 v5, s67
	v_mov_b32_e32 v7, s65
	v_mov_b32_e32 v9, s63
	;; [unrolled: 1-line block ×3, first 2 shown]
	s_or_b32 s71, vcc_lo, s71
	s_wait_alu 0xfffe
	s_and_not1_b32 exec_lo, exec_lo, s71
	s_cbranch_execnz .LBB12_65
; %bb.66:                               ;   in Loop: Header=BB12_7 Depth=1
	s_or_b32 exec_lo, exec_lo, s71
.LBB12_67:                              ;   in Loop: Header=BB12_7 Depth=1
	s_delay_alu instid0(SALU_CYCLE_1)
	s_or_b32 exec_lo, exec_lo, s70
	v_add_co_u32 v28, vcc_lo, v28, v0
	s_wait_alu 0xfffd
	v_add_co_ci_u32_e64 v29, null, 0, v29, vcc_lo
	s_and_b32 s50, s58, 0x7fffffff
	s_mov_b32 s11, exec_lo
	s_wait_alu 0xfffe
	v_cmpx_gt_u64_e64 s[50:51], v[28:29]
	s_cbranch_execz .LBB12_71
; %bb.68:                               ;   in Loop: Header=BB12_7 Depth=1
	s_mul_i32 s68, s68, s59
	s_mov_b32 s12, 0
	s_wait_alu 0xfffe
	v_lshl_add_u32 v30, s68, 2, v0
.LBB12_69:                              ;   Parent Loop BB12_7 Depth=1
                                        ; =>  This Inner Loop Header: Depth=2
	ds_load_i8 v31, v30
	v_add_co_u32 v28, vcc_lo, v28, v2
	s_wait_alu 0xfffd
	v_add_co_ci_u32_e64 v29, null, 0, v29, vcc_lo
	v_add_nc_u32_e32 v30, s59, v30
	s_delay_alu instid0(VALU_DEP_2) | instskip(SKIP_2) | instid1(VALU_DEP_1)
	v_cmp_le_u64_e32 vcc_lo, s[50:51], v[28:29]
	s_wait_dscnt 0x0
	v_add_nc_u32_e32 v31, 0x80, v31
	v_and_b32_e32 v43, v31, v41
	v_bfe_u32 v31, v31, s94, 2
	s_delay_alu instid0(VALU_DEP_2) | instskip(NEXT) | instid1(VALU_DEP_2)
	v_cmp_eq_u32_e64 s6, v43, v20
	v_cmp_eq_u32_e64 s7, 0, v31
	;; [unrolled: 1-line block ×5, first 2 shown]
	s_and_b32 s7, s6, s7
	s_wait_alu 0xfffe
	v_cndmask_b32_e64 v31, 0, 1, s7
	s_and_b32 s7, s6, s8
	s_wait_alu 0xfffe
	v_cndmask_b32_e64 v43, 0, 1, s7
	s_and_b32 s7, s6, s9
	s_and_b32 s6, s6, s10
	s_wait_alu 0xfffe
	v_cndmask_b32_e64 v44, 0, 1, s7
	v_cndmask_b32_e64 v45, 0, 1, s6
	v_cmp_ne_u32_e64 s6, 0, v31
	v_cmp_ne_u32_e64 s7, 0, v43
	s_delay_alu instid0(VALU_DEP_4) | instskip(NEXT) | instid1(VALU_DEP_4)
	v_cmp_ne_u32_e64 s8, 0, v44
	v_cmp_ne_u32_e64 s9, 0, v45
	s_bcnt1_i32_b32 s6, s6
	s_bcnt1_i32_b32 s7, s7
	s_wait_alu 0xfffe
	v_add_co_u32 v4, s6, v4, s6
	s_bcnt1_i32_b32 s8, s8
	v_add_co_ci_u32_e64 v5, null, 0, v5, s6
	v_add_co_u32 v6, s6, v6, s7
	s_bcnt1_i32_b32 s9, s9
	v_add_co_ci_u32_e64 v7, null, 0, v7, s6
	s_wait_alu 0xfffe
	v_add_co_u32 v8, s6, v8, s8
	s_wait_alu 0xf1ff
	v_add_co_ci_u32_e64 v9, null, 0, v9, s6
	v_add_co_u32 v10, s6, v10, s9
	s_wait_alu 0xf1ff
	v_add_co_ci_u32_e64 v11, null, 0, v11, s6
	s_or_b32 s12, vcc_lo, s12
	s_wait_alu 0xfffe
	s_and_not1_b32 exec_lo, exec_lo, s12
	s_cbranch_execnz .LBB12_69
; %bb.70:                               ;   in Loop: Header=BB12_7 Depth=1
	s_or_b32 exec_lo, exec_lo, s12
.LBB12_71:                              ;   in Loop: Header=BB12_7 Depth=1
	s_delay_alu instid0(SALU_CYCLE_1)
	s_or_b32 exec_lo, exec_lo, s11
	s_lshl_b32 s6, s96, 7
	s_and_saveexec_b32 s7, s1
	s_cbranch_execnz .LBB12_42
	s_branch .LBB12_43
.LBB12_72:                              ;   in Loop: Header=BB12_7 Depth=1
                                        ; implicit-def: $sgpr64_sgpr65
	s_branch .LBB12_51
.LBB12_73:                              ;   in Loop: Header=BB12_7 Depth=1
	s_or_b32 exec_lo, exec_lo, s9
	s_wait_dscnt 0x0
	s_barrier_signal -1
	s_barrier_wait -1
	global_inv scope:SCOPE_SE
	s_and_saveexec_b32 s6, s2
	s_cbranch_execz .LBB12_75
; %bb.74:                               ;   in Loop: Header=BB12_7 Depth=1
	ds_load_b32 v4, v3 offset:5136
	s_wait_dscnt 0x0
	v_ashrrev_i32_e32 v5, 31, v4
	ds_store_b64 v3, v[4:5] offset:5120
.LBB12_75:                              ;   in Loop: Header=BB12_7 Depth=1
	s_wait_alu 0xfffe
	s_or_b32 exec_lo, exec_lo, s6
	s_wait_loadcnt_dscnt 0x0
	s_barrier_signal -1
	s_mov_b32 s6, -1
	s_barrier_wait -1
	s_and_b32 vcc_lo, exec_lo, s8
	s_wait_alu 0xfffe
	s_cbranch_vccnz .LBB12_22
	s_branch .LBB12_37
.LBB12_76:                              ;   in Loop: Header=BB12_7 Depth=1
	s_mov_b32 s8, 0
	s_and_not1_b32 vcc_lo, exec_lo, s93
	s_wait_alu 0xfffe
	s_cbranch_vccnz .LBB12_79
.LBB12_77:                              ;   in Loop: Header=BB12_7 Depth=1
	s_lshl_b32 s9, s96, 10
	s_lshl_b32 s8, s8, 5
	s_wait_alu 0xfffe
	v_add3_u32 v2, s9, s8, v39
	s_mov_b32 s8, s90
.LBB12_78:                              ;   Parent Loop BB12_7 Depth=1
                                        ; =>  This Inner Loop Header: Depth=2
	ds_load_b64 v[6:7], v2
	v_add_nc_u32_e32 v2, 32, v2
	s_wait_alu 0xfffe
	s_add_co_i32 s8, s8, -1
	s_wait_alu 0xfffe
	s_cmp_lg_u32 s8, 0
	s_wait_dscnt 0x0
	v_add_co_u32 v4, vcc_lo, v6, v4
	s_wait_alu 0xfffd
	v_add_co_ci_u32_e64 v5, null, v7, v5, vcc_lo
	s_cbranch_scc1 .LBB12_78
.LBB12_79:                              ;   in Loop: Header=BB12_7 Depth=1
	v_add_lshl_u32 v2, s6, v32, 3
	ds_store_b64 v2, v[4:5] offset:3072
.LBB12_80:                              ;   in Loop: Header=BB12_7 Depth=1
	s_wait_alu 0xfffe
	s_or_b32 exec_lo, exec_lo, s7
	s_lshl_b32 s6, s6, 3
	s_wait_loadcnt_dscnt 0x0
	s_wait_alu 0xfffe
	v_mov_b32_e32 v2, s6
	s_barrier_signal -1
	s_barrier_wait -1
	global_inv scope:SCOPE_SE
	v_cmp_eq_u64_e32 vcc_lo, 1, v[26:27]
	ds_load_b128 v[4:7], v2 offset:3072
	ds_load_b128 v[8:11], v2 offset:3088
	s_lshl_b32 s16, 3, s94
	s_mov_b32 s18, -1
	s_wait_alu 0xfffe
	s_not_b32 s20, s16
                                        ; implicit-def: $sgpr22
                                        ; implicit-def: $sgpr21
	s_wait_dscnt 0x1
	v_cmp_eq_u64_e64 s6, 1, v[4:5]
	s_wait_dscnt 0x0
	v_readfirstlane_b32 s10, v8
	v_readfirstlane_b32 s11, v9
	;; [unrolled: 1-line block ×4, first 2 shown]
	s_and_b32 s19, s6, vcc_lo
	s_mov_b32 s6, -1
	s_and_saveexec_b32 s17, s19
	s_cbranch_execz .LBB12_112
; %bb.81:                               ;   in Loop: Header=BB12_7 Depth=1
	ds_load_b64 v[8:9], v3 offset:5120
	s_wait_loadcnt_dscnt 0x0
	s_barrier_signal -1
	s_barrier_wait -1
	global_inv scope:SCOPE_SE
	v_readfirstlane_b32 s12, v8
	v_readfirstlane_b32 s13, v9
	s_and_saveexec_b32 s6, s3
; %bb.82:                               ;   in Loop: Header=BB12_7 Depth=1
	ds_store_b8 v0, v3 offset:3072
; %bb.83:                               ;   in Loop: Header=BB12_7 Depth=1
	s_wait_alu 0xfffe
	s_or_b32 exec_lo, exec_lo, s6
	v_cmp_lt_i64_e64 s6, s[12:13], 1
	v_and_b32_e32 v20, s20, v20
	v_or_b32_e32 v41, s16, v41
	s_mov_b32 s21, -1
	s_mov_b32 s22, 0
	s_mov_b32 s23, 0
	s_and_b32 vcc_lo, exec_lo, s6
	s_mov_b32 s7, -1
	s_wait_loadcnt_dscnt 0x0
	s_barrier_signal -1
	s_barrier_wait -1
	global_inv scope:SCOPE_SE
                                        ; implicit-def: $vgpr42
	s_wait_alu 0xfffe
	s_cbranch_vccz .LBB12_97
; %bb.84:                               ;   in Loop: Header=BB12_7 Depth=1
	s_mov_b32 s6, s51
	s_mov_b32 s7, s55
	s_wait_alu 0xfffe
	s_cmp_lg_u64 s[6:7], 0
	s_cbranch_scc0 .LBB12_138
; %bb.85:                               ;   in Loop: Header=BB12_7 Depth=1
	s_add_nc_u64 s[6:7], s[44:45], 0
	s_wait_alu 0xfffe
	s_xor_b64 s[6:7], s[6:7], 0
	s_wait_alu 0xfffe
	s_cvt_f32_u32 s14, s6
	s_cvt_f32_u32 s15, s7
	s_sub_nc_u64 s[24:25], 0, s[6:7]
	s_wait_alu 0xfffe
	s_delay_alu instid0(SALU_CYCLE_1) | instskip(SKIP_1) | instid1(SALU_CYCLE_2)
	s_fmamk_f32 s14, s15, 0x4f800000, s14
	s_wait_alu 0xfffe
	v_s_rcp_f32 s14, s14
	s_delay_alu instid0(TRANS32_DEP_1) | instskip(SKIP_1) | instid1(SALU_CYCLE_2)
	s_mul_f32 s14, s14, 0x5f7ffffc
	s_wait_alu 0xfffe
	s_mul_f32 s15, s14, 0x2f800000
	s_wait_alu 0xfffe
	s_delay_alu instid0(SALU_CYCLE_2) | instskip(SKIP_1) | instid1(SALU_CYCLE_2)
	s_trunc_f32 s15, s15
	s_wait_alu 0xfffe
	s_fmamk_f32 s14, s15, 0xcf800000, s14
	s_cvt_u32_f32 s15, s15
	s_wait_alu 0xfffe
	s_delay_alu instid0(SALU_CYCLE_1) | instskip(SKIP_1) | instid1(SALU_CYCLE_2)
	s_cvt_u32_f32 s14, s14
	s_wait_alu 0xfffe
	s_mul_u64 s[58:59], s[24:25], s[14:15]
	s_wait_alu 0xfffe
	s_mul_hi_u32 s61, s14, s59
	s_mul_i32 s60, s14, s59
	s_mul_hi_u32 s50, s14, s58
	s_mul_i32 s62, s15, s58
	s_wait_alu 0xfffe
	s_add_nc_u64 s[60:61], s[50:51], s[60:61]
	s_mul_hi_u32 s23, s15, s58
	s_mul_hi_u32 s63, s15, s59
	s_wait_alu 0xfffe
	s_add_co_u32 s50, s60, s62
	s_add_co_ci_u32 s50, s61, s23
	s_mul_i32 s58, s15, s59
	s_add_co_ci_u32 s59, s63, 0
	s_wait_alu 0xfffe
	s_add_nc_u64 s[58:59], s[50:51], s[58:59]
	s_wait_alu 0xfffe
	s_add_co_u32 s14, s14, s58
	s_cselect_b32 s23, -1, 0
	s_delay_alu instid0(SALU_CYCLE_1)
	s_cmp_lg_u32 s23, 0
	s_add_co_ci_u32 s15, s15, s59
	s_wait_alu 0xfffe
	s_mul_u64 s[24:25], s[24:25], s[14:15]
	s_wait_alu 0xfffe
	s_mul_hi_u32 s59, s14, s25
	s_mul_i32 s58, s14, s25
	s_mul_hi_u32 s50, s14, s24
	s_mul_i32 s60, s15, s24
	s_wait_alu 0xfffe
	s_add_nc_u64 s[58:59], s[50:51], s[58:59]
	s_mul_hi_u32 s23, s15, s24
	s_mul_hi_u32 s61, s15, s25
	s_mul_i32 s24, s15, s25
	s_wait_alu 0xfffe
	s_add_co_u32 s25, s58, s60
	s_add_co_ci_u32 s50, s59, s23
	s_add_co_ci_u32 s25, s61, 0
	s_wait_alu 0xfffe
	s_add_nc_u64 s[24:25], s[50:51], s[24:25]
	s_wait_alu 0xfffe
	s_add_co_u32 s23, s14, s24
	s_cselect_b32 s14, -1, 0
	s_wait_alu 0xfffe
	s_cmp_lg_u32 s14, 0
	s_add_co_ci_u32 s60, s15, s25
	s_ashr_i32 s14, s55, 31
	s_wait_alu 0xfffe
	s_mov_b32 s15, s14
	s_wait_alu 0xfffe
	s_add_nc_u64 s[24:25], s[54:55], s[14:15]
	s_wait_alu 0xfffe
	s_xor_b64 s[24:25], s[24:25], s[14:15]
	s_wait_alu 0xfffe
	s_mul_hi_u32 s59, s24, s60
	s_mul_i32 s58, s24, s60
	s_mul_hi_u32 s50, s24, s23
	s_mul_hi_u32 s62, s25, s23
	s_mul_i32 s23, s25, s23
	s_wait_alu 0xfffe
	s_add_nc_u64 s[58:59], s[50:51], s[58:59]
	s_mul_hi_u32 s61, s25, s60
	s_wait_alu 0xfffe
	s_add_co_u32 s23, s58, s23
	s_add_co_ci_u32 s50, s59, s62
	s_mul_i32 s60, s25, s60
	s_add_co_ci_u32 s61, s61, 0
	s_wait_alu 0xfffe
	s_add_nc_u64 s[58:59], s[50:51], s[60:61]
	s_wait_alu 0xfffe
	s_mul_u64 s[58:59], s[6:7], s[58:59]
	s_wait_alu 0xfffe
	s_sub_co_u32 s23, s24, s58
	s_cselect_b32 s24, -1, 0
	s_sub_co_i32 s50, s25, s59
	s_wait_alu 0xfffe
	s_cmp_lg_u32 s24, 0
	s_sub_co_ci_u32 s50, s50, s7
	s_sub_co_u32 s58, s23, s6
	s_cselect_b32 s60, -1, 0
	s_wait_alu 0xfffe
	s_cmp_lg_u32 s60, 0
	s_sub_co_ci_u32 s61, s50, 0
	s_wait_alu 0xfffe
	s_cmp_ge_u32 s61, s7
	s_cselect_b32 s62, -1, 0
	s_cmp_ge_u32 s58, s6
	s_cselect_b32 s63, -1, 0
	s_cmp_eq_u32 s61, s7
	s_wait_alu 0xfffe
	s_cselect_b32 s62, s63, s62
	s_cmp_lg_u32 s60, 0
	s_sub_co_ci_u32 s50, s50, s7
	s_sub_co_u32 s60, s58, s6
	s_cselect_b32 s63, -1, 0
	s_wait_alu 0xfffe
	s_cmp_lg_u32 s63, 0
	s_sub_co_ci_u32 s50, s50, 0
	s_cmp_lg_u32 s62, 0
	s_cselect_b32 s58, s60, s58
	s_wait_alu 0xfffe
	s_cselect_b32 s50, s50, s61
	s_cmp_lg_u32 s24, 0
	s_sub_co_ci_u32 s24, s25, s59
	s_wait_alu 0xfffe
	s_cmp_ge_u32 s24, s7
	s_cselect_b32 s25, -1, 0
	s_cmp_ge_u32 s23, s6
	s_cselect_b32 s6, -1, 0
	s_cmp_eq_u32 s24, s7
	s_wait_alu 0xfffe
	s_cselect_b32 s6, s6, s25
	s_wait_alu 0xfffe
	s_cmp_lg_u32 s6, 0
	s_cselect_b32 s7, s50, s24
	s_cselect_b32 s6, s58, s23
	s_wait_alu 0xfffe
	s_xor_b64 s[6:7], s[6:7], s[14:15]
	s_wait_alu 0xfffe
	s_sub_nc_u64 s[6:7], s[6:7], s[14:15]
	s_cbranch_execnz .LBB12_87
.LBB12_86:                              ;   in Loop: Header=BB12_7 Depth=1
	v_cvt_f32_u32_e32 v2, s44
	s_sub_co_i32 s7, 0, s44
	s_delay_alu instid0(VALU_DEP_1) | instskip(NEXT) | instid1(TRANS32_DEP_1)
	v_rcp_iflag_f32_e32 v2, v2
	v_mul_f32_e32 v2, 0x4f7ffffe, v2
	s_delay_alu instid0(VALU_DEP_1) | instskip(NEXT) | instid1(VALU_DEP_1)
	v_cvt_u32_f32_e32 v2, v2
	v_readfirstlane_b32 s6, v2
	s_wait_alu 0xfffe
	s_mul_i32 s7, s7, s6
	s_wait_alu 0xfffe
	s_mul_hi_u32 s7, s6, s7
	s_wait_alu 0xfffe
	s_add_co_i32 s6, s6, s7
	s_wait_alu 0xfffe
	s_mul_hi_u32 s6, s54, s6
	s_wait_alu 0xfffe
	s_mul_i32 s6, s6, s44
	s_wait_alu 0xfffe
	s_sub_co_i32 s6, s54, s6
	s_wait_alu 0xfffe
	s_sub_co_i32 s7, s6, s44
	s_cmp_ge_u32 s6, s44
	s_wait_alu 0xfffe
	s_cselect_b32 s6, s7, s6
	s_wait_alu 0xfffe
	s_sub_co_i32 s7, s6, s44
	s_cmp_ge_u32 s6, s44
	s_wait_alu 0xfffe
	s_cselect_b32 s50, s7, s6
	s_wait_alu 0xfffe
	s_mov_b64 s[6:7], s[50:51]
.LBB12_87:                              ;   in Loop: Header=BB12_7 Depth=1
	s_wait_alu 0xfffe
	s_sub_nc_u64 s[14:15], s[54:55], s[6:7]
	s_mov_b32 s7, 0
	s_mov_b32 s23, 0
	s_mov_b32 s24, exec_lo
                                        ; implicit-def: $vgpr42
	s_wait_alu 0xfffe
	v_cmpx_gt_i64_e64 s[14:15], v[0:1]
	s_cbranch_execz .LBB12_96
; %bb.88:                               ;   in Loop: Header=BB12_7 Depth=1
	v_dual_mov_b32 v8, v12 :: v_dual_mov_b32 v9, v13
	v_dual_mov_b32 v11, v1 :: v_dual_mov_b32 v10, v0
                                        ; implicit-def: $sgpr25
	s_branch .LBB12_91
.LBB12_89:                              ;   in Loop: Header=BB12_91 Depth=2
	s_wait_alu 0xfffe
	s_or_b32 exec_lo, exec_lo, s6
	s_wait_loadcnt_dscnt 0x0
	s_barrier_signal -1
	s_barrier_wait -1
	global_inv scope:SCOPE_SE
	ds_load_u16 v2, v3 offset:3072
	s_mov_b32 s6, -1
	s_mov_b32 s50, -1
	s_wait_loadcnt_dscnt 0x0
	s_barrier_signal -1
	s_barrier_wait -1
	global_inv scope:SCOPE_SE
	v_and_b32_e32 v28, 0xff, v2
	s_delay_alu instid0(VALU_DEP_1)
	v_cmp_ne_u32_e32 vcc_lo, 0, v28
	s_cbranch_vccz .LBB12_94
.LBB12_90:                              ;   in Loop: Header=BB12_91 Depth=2
	s_wait_alu 0xfffe
	s_and_b32 s6, exec_lo, s6
	s_wait_alu 0xfffe
	s_or_b32 s23, s6, s23
	s_and_not1_b32 s6, s25, exec_lo
	s_and_b32 s25, s50, exec_lo
	s_wait_alu 0xfffe
	s_or_b32 s25, s6, s25
	s_and_not1_b32 exec_lo, exec_lo, s23
	s_cbranch_execz .LBB12_95
.LBB12_91:                              ;   Parent Loop BB12_7 Depth=1
                                        ; =>  This Inner Loop Header: Depth=2
	s_mov_b32 s6, exec_lo
	s_delay_alu instid0(VALU_DEP_1)
	v_cmpx_gt_i64_e64 s[36:37], v[10:11]
	s_cbranch_execz .LBB12_89
; %bb.92:                               ;   in Loop: Header=BB12_91 Depth=2
	global_load_u8 v2, v[8:9], off
	s_wait_loadcnt 0x0
	v_bfe_i32 v28, v2, 0, 8
	s_delay_alu instid0(VALU_DEP_1) | instskip(NEXT) | instid1(VALU_DEP_1)
	v_add_nc_u32_e32 v28, 0x80, v28
	v_and_b32_e32 v28, v28, v41
	s_delay_alu instid0(VALU_DEP_1)
	v_cmp_eq_u32_e32 vcc_lo, v28, v20
	s_and_b32 exec_lo, exec_lo, vcc_lo
	s_cbranch_execz .LBB12_89
; %bb.93:                               ;   in Loop: Header=BB12_91 Depth=2
	v_lshlrev_b16 v2, 8, v2
	s_delay_alu instid0(VALU_DEP_1)
	v_or_b32_e32 v2, 1, v2
	ds_store_b16 v3, v2 offset:3072
	s_branch .LBB12_89
.LBB12_94:                              ;   in Loop: Header=BB12_91 Depth=2
	v_add_co_u32 v10, vcc_lo, v10, s44
	s_wait_alu 0xfffd
	v_add_co_ci_u32_e64 v11, null, 0, v11, vcc_lo
	v_add_co_u32 v8, s6, v8, s46
	s_wait_alu 0xf1fe
	v_add_co_ci_u32_e64 v9, null, s47, v9, s6
	s_delay_alu instid0(VALU_DEP_3)
	v_cmp_le_i64_e32 vcc_lo, s[14:15], v[10:11]
	s_mov_b32 s50, 0
	s_or_not1_b32 s6, vcc_lo, exec_lo
	s_branch .LBB12_90
.LBB12_95:                              ;   in Loop: Header=BB12_7 Depth=1
	s_or_b32 exec_lo, exec_lo, s23
	v_and_b32_e32 v2, 0xffff, v2
	s_wait_alu 0xfffe
	s_and_b32 s23, s25, exec_lo
	s_delay_alu instid0(VALU_DEP_1)
	v_lshrrev_b32_e32 v42, 8, v2
.LBB12_96:                              ;   in Loop: Header=BB12_7 Depth=1
	s_or_b32 exec_lo, exec_lo, s24
.LBB12_97:                              ;   in Loop: Header=BB12_7 Depth=1
	s_delay_alu instid0(SALU_CYCLE_1)
	s_and_b32 vcc_lo, exec_lo, s7
	s_wait_alu 0xfffe
	s_cbranch_vccz .LBB12_111
; %bb.98:                               ;   in Loop: Header=BB12_7 Depth=1
	s_add_nc_u64 s[6:7], s[12:13], s[52:53]
	s_mov_b32 s14, s51
	s_wait_alu 0xfffe
	s_mov_b32 s15, s7
	s_wait_alu 0xfffe
	s_cmp_lg_u64 s[14:15], 0
	s_cbranch_scc0 .LBB12_139
; %bb.99:                               ;   in Loop: Header=BB12_7 Depth=1
	s_add_nc_u64 s[14:15], s[44:45], 0
	s_wait_alu 0xfffe
	s_xor_b64 s[14:15], s[14:15], 0
	s_wait_alu 0xfffe
	s_cvt_f32_u32 s21, s14
	s_cvt_f32_u32 s22, s15
	s_sub_nc_u64 s[58:59], 0, s[14:15]
	s_wait_alu 0xfffe
	s_delay_alu instid0(SALU_CYCLE_1) | instskip(SKIP_1) | instid1(SALU_CYCLE_2)
	s_fmamk_f32 s21, s22, 0x4f800000, s21
	s_wait_alu 0xfffe
	v_s_rcp_f32 s21, s21
	s_delay_alu instid0(TRANS32_DEP_1) | instskip(SKIP_1) | instid1(SALU_CYCLE_2)
	s_mul_f32 s21, s21, 0x5f7ffffc
	s_wait_alu 0xfffe
	s_mul_f32 s22, s21, 0x2f800000
	s_delay_alu instid0(SALU_CYCLE_3) | instskip(NEXT) | instid1(SALU_CYCLE_3)
	s_trunc_f32 s22, s22
	s_fmamk_f32 s21, s22, 0xcf800000, s21
	s_cvt_u32_f32 s25, s22
	s_wait_alu 0xfffe
	s_delay_alu instid0(SALU_CYCLE_1) | instskip(SKIP_1) | instid1(SALU_CYCLE_2)
	s_cvt_u32_f32 s24, s21
	s_wait_alu 0xfffe
	s_mul_u64 s[60:61], s[58:59], s[24:25]
	s_wait_alu 0xfffe
	s_mul_hi_u32 s63, s24, s61
	s_mul_i32 s62, s24, s61
	s_mul_hi_u32 s50, s24, s60
	s_mul_i32 s22, s25, s60
	s_wait_alu 0xfffe
	s_add_nc_u64 s[62:63], s[50:51], s[62:63]
	s_mul_hi_u32 s21, s25, s60
	s_mul_hi_u32 s64, s25, s61
	s_wait_alu 0xfffe
	s_add_co_u32 s22, s62, s22
	s_add_co_ci_u32 s50, s63, s21
	s_mul_i32 s60, s25, s61
	s_add_co_ci_u32 s61, s64, 0
	s_wait_alu 0xfffe
	s_add_nc_u64 s[60:61], s[50:51], s[60:61]
	s_wait_alu 0xfffe
	s_add_co_u32 s24, s24, s60
	s_cselect_b32 s21, -1, 0
	s_wait_alu 0xfffe
	s_cmp_lg_u32 s21, 0
	s_add_co_ci_u32 s25, s25, s61
	s_wait_alu 0xfffe
	s_mul_u64 s[58:59], s[58:59], s[24:25]
	s_wait_alu 0xfffe
	s_mul_hi_u32 s61, s24, s59
	s_mul_i32 s60, s24, s59
	s_mul_hi_u32 s50, s24, s58
	s_mul_i32 s22, s25, s58
	s_wait_alu 0xfffe
	s_add_nc_u64 s[60:61], s[50:51], s[60:61]
	s_mul_hi_u32 s21, s25, s58
	s_mul_hi_u32 s62, s25, s59
	s_wait_alu 0xfffe
	s_add_co_u32 s22, s60, s22
	s_add_co_ci_u32 s50, s61, s21
	s_mul_i32 s58, s25, s59
	s_add_co_ci_u32 s59, s62, 0
	s_wait_alu 0xfffe
	s_add_nc_u64 s[58:59], s[50:51], s[58:59]
	s_wait_alu 0xfffe
	s_add_co_u32 s21, s24, s58
	s_cselect_b32 s22, -1, 0
	s_delay_alu instid0(SALU_CYCLE_1)
	s_cmp_lg_u32 s22, 0
	s_add_co_ci_u32 s22, s25, s59
	s_ashr_i32 s24, s7, 31
	s_wait_alu 0xfffe
	s_mov_b32 s25, s24
	s_wait_alu 0xfffe
	s_add_nc_u64 s[58:59], s[6:7], s[24:25]
	s_wait_alu 0xfffe
	s_xor_b64 s[58:59], s[58:59], s[24:25]
	s_wait_alu 0xfffe
	s_mul_hi_u32 s61, s58, s22
	s_mul_i32 s60, s58, s22
	s_mul_hi_u32 s50, s58, s21
	s_mul_hi_u32 s64, s59, s21
	s_mul_i32 s21, s59, s21
	s_wait_alu 0xfffe
	s_add_nc_u64 s[60:61], s[50:51], s[60:61]
	s_mul_hi_u32 s63, s59, s22
	s_wait_alu 0xfffe
	s_add_co_u32 s21, s60, s21
	s_add_co_ci_u32 s50, s61, s64
	s_mul_i32 s62, s59, s22
	s_add_co_ci_u32 s63, s63, 0
	s_wait_alu 0xfffe
	s_add_nc_u64 s[60:61], s[50:51], s[62:63]
	s_wait_alu 0xfffe
	s_mul_u64 s[60:61], s[14:15], s[60:61]
	s_wait_alu 0xfffe
	s_sub_co_u32 s21, s58, s60
	s_cselect_b32 s22, -1, 0
	s_sub_co_i32 s50, s59, s61
	s_cmp_lg_u32 s22, 0
	s_wait_alu 0xfffe
	s_sub_co_ci_u32 s50, s50, s15
	s_sub_co_u32 s58, s21, s14
	s_cselect_b32 s60, -1, 0
	s_wait_alu 0xfffe
	s_cmp_lg_u32 s60, 0
	s_sub_co_ci_u32 s62, s50, 0
	s_wait_alu 0xfffe
	s_cmp_ge_u32 s62, s15
	s_cselect_b32 s63, -1, 0
	s_cmp_ge_u32 s58, s14
	s_cselect_b32 s64, -1, 0
	s_cmp_eq_u32 s62, s15
	s_wait_alu 0xfffe
	s_cselect_b32 s63, s64, s63
	s_cmp_lg_u32 s60, 0
	s_sub_co_ci_u32 s50, s50, s15
	s_sub_co_u32 s60, s58, s14
	s_cselect_b32 s64, -1, 0
	s_wait_alu 0xfffe
	s_cmp_lg_u32 s64, 0
	s_sub_co_ci_u32 s50, s50, 0
	s_cmp_lg_u32 s63, 0
	s_cselect_b32 s58, s60, s58
	s_wait_alu 0xfffe
	s_cselect_b32 s50, s50, s62
	s_cmp_lg_u32 s22, 0
	s_sub_co_ci_u32 s22, s59, s61
	s_delay_alu instid0(SALU_CYCLE_1)
	s_cmp_ge_u32 s22, s15
	s_cselect_b32 s59, -1, 0
	s_cmp_ge_u32 s21, s14
	s_cselect_b32 s14, -1, 0
	s_cmp_eq_u32 s22, s15
	s_wait_alu 0xfffe
	s_cselect_b32 s14, s14, s59
	s_wait_alu 0xfffe
	s_cmp_lg_u32 s14, 0
	s_cselect_b32 s15, s50, s22
	s_cselect_b32 s14, s58, s21
	s_wait_alu 0xfffe
	s_xor_b64 s[14:15], s[14:15], s[24:25]
	s_wait_alu 0xfffe
	s_sub_nc_u64 s[14:15], s[14:15], s[24:25]
	s_cbranch_execnz .LBB12_101
.LBB12_100:                             ;   in Loop: Header=BB12_7 Depth=1
	v_cvt_f32_u32_e32 v2, s44
	s_sub_co_i32 s15, 0, s44
	s_delay_alu instid0(VALU_DEP_1) | instskip(NEXT) | instid1(TRANS32_DEP_1)
	v_rcp_iflag_f32_e32 v2, v2
	v_mul_f32_e32 v2, 0x4f7ffffe, v2
	s_delay_alu instid0(VALU_DEP_1) | instskip(NEXT) | instid1(VALU_DEP_1)
	v_cvt_u32_f32_e32 v2, v2
	v_readfirstlane_b32 s14, v2
	s_wait_alu 0xfffe
	s_mul_i32 s15, s15, s14
	s_wait_alu 0xfffe
	s_mul_hi_u32 s15, s14, s15
	s_wait_alu 0xfffe
	s_add_co_i32 s14, s14, s15
	s_wait_alu 0xfffe
	s_mul_hi_u32 s14, s6, s14
	s_wait_alu 0xfffe
	s_mul_i32 s14, s14, s44
	s_wait_alu 0xfffe
	s_sub_co_i32 s14, s6, s14
	s_wait_alu 0xfffe
	s_sub_co_i32 s15, s14, s44
	s_cmp_ge_u32 s14, s44
	s_wait_alu 0xfffe
	s_cselect_b32 s14, s15, s14
	s_wait_alu 0xfffe
	s_sub_co_i32 s15, s14, s44
	s_cmp_ge_u32 s14, s44
	s_wait_alu 0xfffe
	s_cselect_b32 s50, s15, s14
	s_wait_alu 0xfffe
	s_mov_b64 s[14:15], s[50:51]
.LBB12_101:                             ;   in Loop: Header=BB12_7 Depth=1
	s_wait_alu 0xfffe
	s_sub_nc_u64 s[6:7], s[6:7], s[14:15]
	s_mov_b32 s14, exec_lo
                                        ; implicit-def: $vgpr42
	s_wait_alu 0xfffe
	v_cmpx_gt_i64_e64 s[6:7], v[0:1]
	s_cbranch_execz .LBB12_110
; %bb.102:                              ;   in Loop: Header=BB12_7 Depth=1
	v_dual_mov_b32 v2, v0 :: v_dual_mov_b32 v9, v1
	v_mov_b32_e32 v8, v0
	s_mov_b32 s21, 0
                                        ; implicit-def: $sgpr15
	s_branch .LBB12_105
.LBB12_103:                             ;   in Loop: Header=BB12_105 Depth=2
	s_or_b32 exec_lo, exec_lo, s22
	s_wait_loadcnt_dscnt 0x0
	s_barrier_signal -1
	s_barrier_wait -1
	global_inv scope:SCOPE_SE
	ds_load_u16 v10, v3 offset:3072
	s_mov_b32 s22, -1
	s_mov_b32 s24, -1
	s_wait_loadcnt_dscnt 0x0
	s_barrier_signal -1
	s_barrier_wait -1
	global_inv scope:SCOPE_SE
	v_and_b32_e32 v11, 0xff, v10
	s_delay_alu instid0(VALU_DEP_1)
	v_cmp_ne_u32_e32 vcc_lo, 0, v11
	s_cbranch_vccz .LBB12_108
.LBB12_104:                             ;   in Loop: Header=BB12_105 Depth=2
	s_and_b32 s22, exec_lo, s22
	s_wait_alu 0xfffe
	s_or_b32 s21, s22, s21
	s_and_not1_b32 s15, s15, exec_lo
	s_and_b32 s22, s24, exec_lo
	s_wait_alu 0xfffe
	s_or_b32 s15, s15, s22
	s_and_not1_b32 exec_lo, exec_lo, s21
	s_cbranch_execz .LBB12_109
.LBB12_105:                             ;   Parent Loop BB12_7 Depth=1
                                        ; =>  This Inner Loop Header: Depth=2
	s_mov_b32 s22, exec_lo
	s_delay_alu instid0(VALU_DEP_1)
	v_cmpx_gt_u64_e64 s[12:13], v[8:9]
	s_cbranch_execz .LBB12_103
; %bb.106:                              ;   in Loop: Header=BB12_105 Depth=2
	ds_load_u8 v10, v2
	s_wait_dscnt 0x0
	v_bfe_i32 v11, v10, 0, 8
	s_delay_alu instid0(VALU_DEP_1) | instskip(NEXT) | instid1(VALU_DEP_1)
	v_add_nc_u32_e32 v11, 0x80, v11
	v_and_b32_e32 v11, v11, v41
	s_delay_alu instid0(VALU_DEP_1)
	v_cmp_eq_u32_e32 vcc_lo, v11, v20
	s_and_b32 exec_lo, exec_lo, vcc_lo
	s_cbranch_execz .LBB12_103
; %bb.107:                              ;   in Loop: Header=BB12_105 Depth=2
	v_lshlrev_b16 v10, 8, v10
	s_delay_alu instid0(VALU_DEP_1)
	v_or_b32_e32 v10, 1, v10
	ds_store_b16 v3, v10 offset:3072
	s_branch .LBB12_103
.LBB12_108:                             ;   in Loop: Header=BB12_105 Depth=2
	v_add_co_u32 v8, vcc_lo, v8, s44
	s_wait_alu 0xfffd
	v_add_co_ci_u32_e64 v9, null, 0, v9, vcc_lo
	v_add_nc_u32_e32 v2, s44, v2
	s_mov_b32 s24, 0
	s_delay_alu instid0(VALU_DEP_2)
	v_cmp_le_i64_e32 vcc_lo, s[6:7], v[8:9]
	s_or_not1_b32 s22, vcc_lo, exec_lo
	s_branch .LBB12_104
.LBB12_109:                             ;   in Loop: Header=BB12_7 Depth=1
	s_or_b32 exec_lo, exec_lo, s21
	v_and_b32_e32 v2, 0xffff, v10
	s_and_not1_b32 s6, s23, exec_lo
	s_wait_alu 0xfffe
	s_and_b32 s7, s15, exec_lo
	s_wait_alu 0xfffe
	s_or_b32 s23, s6, s7
	v_lshrrev_b32_e32 v42, 8, v2
.LBB12_110:                             ;   in Loop: Header=BB12_7 Depth=1
	s_or_b32 exec_lo, exec_lo, s14
	s_mov_b32 s21, 0
	s_mov_b32 s22, -1
.LBB12_111:                             ;   in Loop: Header=BB12_7 Depth=1
	s_or_not1_b32 s6, s23, exec_lo
.LBB12_112:                             ;   in Loop: Header=BB12_7 Depth=1
	s_wait_alu 0xfffe
	s_or_b32 exec_lo, exec_lo, s17
	s_delay_alu instid0(SALU_CYCLE_1)
	s_and_not1_b32 s7, s101, exec_lo
	s_and_b32 s12, s22, exec_lo
	s_and_not1_b32 s13, s99, exec_lo
	s_and_b32 s14, s21, exec_lo
	s_and_not1_b32 s98, s98, exec_lo
	s_wait_alu 0xfffe
	s_or_b32 s101, s7, s12
	s_or_b32 s99, s13, s14
                                        ; implicit-def: $vgpr8_vgpr9
	s_and_saveexec_b32 s17, s6
	s_cbranch_execz .LBB12_6
; %bb.113:                              ;   in Loop: Header=BB12_7 Depth=1
	v_mov_b32_e32 v8, 1
	v_dual_mov_b32 v9, 0 :: v_dual_mov_b32 v2, 1
	s_xor_b32 s12, s19, -1
	s_mov_b32 s7, 0
	s_wait_alu 0xfffe
	s_and_saveexec_b32 s6, s12
	s_cbranch_execz .LBB12_122
; %bb.114:                              ;   in Loop: Header=BB12_7 Depth=1
	s_mov_b32 s7, exec_lo
	v_cmpx_le_i64_e64 v[26:27], v[4:5]
	s_wait_alu 0xfffe
	s_xor_b32 s7, exec_lo, s7
	s_cbranch_execz .LBB12_119
; %bb.115:                              ;   in Loop: Header=BB12_7 Depth=1
	ds_load_b64 v[8:9], v3 offset:5120
	v_and_b32_e32 v20, s20, v20
	v_or_b32_e32 v41, s16, v41
	s_wait_dscnt 0x0
	v_cmp_ne_u64_e32 vcc_lo, 0, v[8:9]
	s_cbranch_vccnz .LBB12_119
; %bb.116:                              ;   in Loop: Header=BB12_7 Depth=1
	s_and_saveexec_b32 s12, s2
; %bb.117:                              ;   in Loop: Header=BB12_7 Depth=1
	ds_store_b64 v3, v[4:5] offset:5128
; %bb.118:                              ;   in Loop: Header=BB12_7 Depth=1
	s_wait_alu 0xfffe
	s_or_b32 exec_lo, exec_lo, s12
	s_wait_loadcnt_dscnt 0x0
	s_barrier_signal -1
	s_barrier_wait -1
	global_inv scope:SCOPE_SE
.LBB12_119:                             ;   in Loop: Header=BB12_7 Depth=1
	s_wait_alu 0xfffe
	s_or_saveexec_b32 s7, s7
	v_mov_b32_e32 v2, 8
	s_mov_b32 s12, 0
	s_wait_alu 0xfffe
	s_xor_b32 exec_lo, exec_lo, s7
; %bb.120:                              ;   in Loop: Header=BB12_7 Depth=1
	v_sub_co_u32 v26, vcc_lo, v26, v4
	s_wait_alu 0xfffd
	v_sub_co_ci_u32_e64 v27, null, v27, v5, vcc_lo
	v_mov_b32_e32 v2, 0
	s_mov_b32 s12, exec_lo
; %bb.121:                              ;   in Loop: Header=BB12_7 Depth=1
	s_or_b32 exec_lo, exec_lo, s7
	s_delay_alu instid0(VALU_DEP_2)
	v_dual_mov_b32 v8, v26 :: v_dual_mov_b32 v9, v27
	s_wait_alu 0xfffe
	s_and_b32 s7, s12, exec_lo
.LBB12_122:                             ;   in Loop: Header=BB12_7 Depth=1
	s_wait_alu 0xfffe
	s_or_b32 exec_lo, exec_lo, s6
	s_mov_b32 s18, -1
	s_mov_b32 s6, -1
                                        ; implicit-def: $sgpr21
                                        ; implicit-def: $sgpr22
	s_and_saveexec_b32 s12, s7
	s_wait_alu 0xfffe
	s_xor_b32 s19, exec_lo, s12
	s_cbranch_execz .LBB12_264
; %bb.123:                              ;   in Loop: Header=BB12_7 Depth=1
	v_cmp_eq_u64_e32 vcc_lo, 1, v[6:7]
	v_cmp_eq_u64_e64 s6, 1, v[8:9]
                                        ; implicit-def: $sgpr22
                                        ; implicit-def: $sgpr21
	s_and_b32 s24, vcc_lo, s6
	s_mov_b32 s6, -1
	s_wait_alu 0xfffe
	s_and_saveexec_b32 s23, s24
	s_cbranch_execz .LBB12_157
; %bb.124:                              ;   in Loop: Header=BB12_7 Depth=1
	ds_load_b64 v[4:5], v3 offset:5120
	s_wait_loadcnt_dscnt 0x0
	s_barrier_signal -1
	s_barrier_wait -1
	global_inv scope:SCOPE_SE
	v_readfirstlane_b32 s12, v4
	v_readfirstlane_b32 s13, v5
	s_and_saveexec_b32 s6, s3
; %bb.125:                              ;   in Loop: Header=BB12_7 Depth=1
	ds_store_b8 v0, v3 offset:3072
; %bb.126:                              ;   in Loop: Header=BB12_7 Depth=1
	s_wait_alu 0xfffe
	s_or_b32 exec_lo, exec_lo, s6
	s_lshl_b32 s6, 1, s94
	v_or_b32_e32 v41, s16, v41
	s_wait_alu 0xfffe
	v_and_or_b32 v20, v20, s20, s6
	v_cmp_gt_i64_e64 s6, s[12:13], 0
	s_mov_b32 s21, -1
	s_mov_b32 s22, 0
	s_mov_b32 s25, 0
	s_mov_b32 s7, -1
	s_wait_loadcnt_dscnt 0x0
	s_and_b32 vcc_lo, exec_lo, s6
	s_barrier_signal -1
	s_barrier_wait -1
	global_inv scope:SCOPE_SE
                                        ; implicit-def: $vgpr42
	s_wait_alu 0xfffe
	s_cbranch_vccnz .LBB12_142
; %bb.127:                              ;   in Loop: Header=BB12_7 Depth=1
	s_mov_b32 s6, s51
	s_mov_b32 s7, s55
	s_wait_alu 0xfffe
	s_cmp_lg_u64 s[6:7], 0
	s_cbranch_scc0 .LBB12_184
; %bb.128:                              ;   in Loop: Header=BB12_7 Depth=1
	s_add_nc_u64 s[6:7], s[44:45], 0
	s_wait_alu 0xfffe
	s_xor_b64 s[6:7], s[6:7], 0
	s_wait_alu 0xfffe
	s_cvt_f32_u32 s14, s6
	s_cvt_f32_u32 s15, s7
	s_sub_nc_u64 s[58:59], 0, s[6:7]
	s_wait_alu 0xfffe
	s_delay_alu instid0(SALU_CYCLE_1) | instskip(SKIP_1) | instid1(SALU_CYCLE_2)
	s_fmamk_f32 s14, s15, 0x4f800000, s14
	s_wait_alu 0xfffe
	v_s_rcp_f32 s14, s14
	s_delay_alu instid0(TRANS32_DEP_1) | instskip(SKIP_1) | instid1(SALU_CYCLE_2)
	s_mul_f32 s14, s14, 0x5f7ffffc
	s_wait_alu 0xfffe
	s_mul_f32 s15, s14, 0x2f800000
	s_wait_alu 0xfffe
	s_delay_alu instid0(SALU_CYCLE_2) | instskip(SKIP_1) | instid1(SALU_CYCLE_2)
	s_trunc_f32 s15, s15
	s_wait_alu 0xfffe
	s_fmamk_f32 s14, s15, 0xcf800000, s14
	s_cvt_u32_f32 s15, s15
	s_wait_alu 0xfffe
	s_delay_alu instid0(SALU_CYCLE_1) | instskip(SKIP_1) | instid1(SALU_CYCLE_2)
	s_cvt_u32_f32 s14, s14
	s_wait_alu 0xfffe
	s_mul_u64 s[60:61], s[58:59], s[14:15]
	s_wait_alu 0xfffe
	s_mul_hi_u32 s63, s14, s61
	s_mul_i32 s62, s14, s61
	s_mul_hi_u32 s50, s14, s60
	s_mul_i32 s64, s15, s60
	s_wait_alu 0xfffe
	s_add_nc_u64 s[62:63], s[50:51], s[62:63]
	s_mul_hi_u32 s25, s15, s60
	s_mul_hi_u32 s65, s15, s61
	s_wait_alu 0xfffe
	s_add_co_u32 s50, s62, s64
	s_add_co_ci_u32 s50, s63, s25
	s_mul_i32 s60, s15, s61
	s_add_co_ci_u32 s61, s65, 0
	s_wait_alu 0xfffe
	s_add_nc_u64 s[60:61], s[50:51], s[60:61]
	s_wait_alu 0xfffe
	s_add_co_u32 s14, s14, s60
	s_cselect_b32 s25, -1, 0
	s_wait_alu 0xfffe
	s_cmp_lg_u32 s25, 0
	s_add_co_ci_u32 s15, s15, s61
	s_wait_alu 0xfffe
	s_mul_u64 s[58:59], s[58:59], s[14:15]
	s_wait_alu 0xfffe
	s_mul_hi_u32 s61, s14, s59
	s_mul_i32 s60, s14, s59
	s_mul_hi_u32 s50, s14, s58
	s_mul_i32 s62, s15, s58
	s_wait_alu 0xfffe
	s_add_nc_u64 s[60:61], s[50:51], s[60:61]
	s_mul_hi_u32 s25, s15, s58
	s_mul_hi_u32 s63, s15, s59
	s_wait_alu 0xfffe
	s_add_co_u32 s50, s60, s62
	s_add_co_ci_u32 s50, s61, s25
	s_mul_i32 s58, s15, s59
	s_add_co_ci_u32 s59, s63, 0
	s_wait_alu 0xfffe
	s_add_nc_u64 s[58:59], s[50:51], s[58:59]
	s_wait_alu 0xfffe
	s_add_co_u32 s25, s14, s58
	s_cselect_b32 s14, -1, 0
	s_wait_alu 0xfffe
	s_cmp_lg_u32 s14, 0
	s_add_co_ci_u32 s62, s15, s59
	s_ashr_i32 s14, s55, 31
	s_wait_alu 0xfffe
	s_mov_b32 s15, s14
	s_wait_alu 0xfffe
	s_add_nc_u64 s[58:59], s[54:55], s[14:15]
	s_wait_alu 0xfffe
	s_xor_b64 s[58:59], s[58:59], s[14:15]
	s_wait_alu 0xfffe
	s_mul_hi_u32 s61, s58, s62
	s_mul_i32 s60, s58, s62
	s_mul_hi_u32 s50, s58, s25
	s_mul_hi_u32 s64, s59, s25
	s_mul_i32 s25, s59, s25
	s_wait_alu 0xfffe
	s_add_nc_u64 s[60:61], s[50:51], s[60:61]
	s_mul_hi_u32 s63, s59, s62
	s_wait_alu 0xfffe
	s_add_co_u32 s25, s60, s25
	s_add_co_ci_u32 s50, s61, s64
	s_mul_i32 s62, s59, s62
	s_add_co_ci_u32 s63, s63, 0
	s_wait_alu 0xfffe
	s_add_nc_u64 s[60:61], s[50:51], s[62:63]
	s_wait_alu 0xfffe
	s_mul_u64 s[60:61], s[6:7], s[60:61]
	s_wait_alu 0xfffe
	s_sub_co_u32 s25, s58, s60
	s_cselect_b32 s50, -1, 0
	s_sub_co_i32 s58, s59, s61
	s_wait_alu 0xfffe
	s_cmp_lg_u32 s50, 0
	s_sub_co_ci_u32 s58, s58, s7
	s_sub_co_u32 s60, s25, s6
	s_cselect_b32 s62, -1, 0
	s_wait_alu 0xfffe
	s_cmp_lg_u32 s62, 0
	s_sub_co_ci_u32 s63, s58, 0
	s_wait_alu 0xfffe
	s_cmp_ge_u32 s63, s7
	s_cselect_b32 s64, -1, 0
	s_cmp_ge_u32 s60, s6
	s_cselect_b32 s65, -1, 0
	s_cmp_eq_u32 s63, s7
	s_wait_alu 0xfffe
	s_cselect_b32 s64, s65, s64
	s_cmp_lg_u32 s62, 0
	s_sub_co_ci_u32 s58, s58, s7
	s_sub_co_u32 s62, s60, s6
	s_cselect_b32 s65, -1, 0
	s_wait_alu 0xfffe
	s_cmp_lg_u32 s65, 0
	s_sub_co_ci_u32 s58, s58, 0
	s_cmp_lg_u32 s64, 0
	s_cselect_b32 s60, s62, s60
	s_wait_alu 0xfffe
	s_cselect_b32 s58, s58, s63
	s_cmp_lg_u32 s50, 0
	s_sub_co_ci_u32 s50, s59, s61
	s_wait_alu 0xfffe
	s_cmp_ge_u32 s50, s7
	s_cselect_b32 s59, -1, 0
	s_cmp_ge_u32 s25, s6
	s_cselect_b32 s6, -1, 0
	s_cmp_eq_u32 s50, s7
	s_wait_alu 0xfffe
	s_cselect_b32 s6, s6, s59
	s_wait_alu 0xfffe
	s_cmp_lg_u32 s6, 0
	s_cselect_b32 s7, s58, s50
	s_cselect_b32 s6, s60, s25
	s_wait_alu 0xfffe
	s_xor_b64 s[6:7], s[6:7], s[14:15]
	s_wait_alu 0xfffe
	s_sub_nc_u64 s[6:7], s[6:7], s[14:15]
	s_cbranch_execnz .LBB12_130
.LBB12_129:                             ;   in Loop: Header=BB12_7 Depth=1
	v_cvt_f32_u32_e32 v4, s44
	s_sub_co_i32 s7, 0, s44
	s_delay_alu instid0(VALU_DEP_1) | instskip(NEXT) | instid1(TRANS32_DEP_1)
	v_rcp_iflag_f32_e32 v4, v4
	v_mul_f32_e32 v4, 0x4f7ffffe, v4
	s_delay_alu instid0(VALU_DEP_1) | instskip(NEXT) | instid1(VALU_DEP_1)
	v_cvt_u32_f32_e32 v4, v4
	v_readfirstlane_b32 s6, v4
	s_wait_alu 0xfffe
	s_mul_i32 s7, s7, s6
	s_wait_alu 0xfffe
	s_mul_hi_u32 s7, s6, s7
	s_wait_alu 0xfffe
	s_add_co_i32 s6, s6, s7
	s_wait_alu 0xfffe
	s_mul_hi_u32 s6, s54, s6
	s_wait_alu 0xfffe
	s_mul_i32 s6, s6, s44
	s_wait_alu 0xfffe
	s_sub_co_i32 s6, s54, s6
	s_wait_alu 0xfffe
	s_sub_co_i32 s7, s6, s44
	s_cmp_ge_u32 s6, s44
	s_wait_alu 0xfffe
	s_cselect_b32 s6, s7, s6
	s_wait_alu 0xfffe
	s_sub_co_i32 s7, s6, s44
	s_cmp_ge_u32 s6, s44
	s_wait_alu 0xfffe
	s_cselect_b32 s50, s7, s6
	s_wait_alu 0xfffe
	s_mov_b64 s[6:7], s[50:51]
.LBB12_130:                             ;   in Loop: Header=BB12_7 Depth=1
	s_wait_alu 0xfffe
	s_sub_nc_u64 s[14:15], s[54:55], s[6:7]
	s_mov_b32 s7, 0
	s_mov_b32 s25, 0
	s_mov_b32 s50, exec_lo
                                        ; implicit-def: $vgpr42
	s_wait_alu 0xfffe
	v_cmpx_gt_i64_e64 s[14:15], v[0:1]
	s_cbranch_execz .LBB12_141
; %bb.131:                              ;   in Loop: Header=BB12_7 Depth=1
	v_dual_mov_b32 v4, v12 :: v_dual_mov_b32 v5, v13
	v_dual_mov_b32 v11, v1 :: v_dual_mov_b32 v10, v0
                                        ; implicit-def: $sgpr58
	s_branch .LBB12_134
.LBB12_132:                             ;   in Loop: Header=BB12_134 Depth=2
	s_wait_alu 0xfffe
	s_or_b32 exec_lo, exec_lo, s6
	s_wait_loadcnt_dscnt 0x0
	s_barrier_signal -1
	s_barrier_wait -1
	global_inv scope:SCOPE_SE
	ds_load_u16 v26, v3 offset:3072
	s_mov_b32 s6, -1
	s_mov_b32 s59, -1
	s_wait_loadcnt_dscnt 0x0
	s_barrier_signal -1
	s_barrier_wait -1
	global_inv scope:SCOPE_SE
	v_and_b32_e32 v27, 0xff, v26
	s_delay_alu instid0(VALU_DEP_1)
	v_cmp_ne_u32_e32 vcc_lo, 0, v27
	s_cbranch_vccz .LBB12_137
.LBB12_133:                             ;   in Loop: Header=BB12_134 Depth=2
	s_wait_alu 0xfffe
	s_and_b32 s6, exec_lo, s6
	s_wait_alu 0xfffe
	s_or_b32 s25, s6, s25
	s_and_not1_b32 s6, s58, exec_lo
	s_and_b32 s58, s59, exec_lo
	s_wait_alu 0xfffe
	s_or_b32 s58, s6, s58
	s_and_not1_b32 exec_lo, exec_lo, s25
	s_cbranch_execz .LBB12_140
.LBB12_134:                             ;   Parent Loop BB12_7 Depth=1
                                        ; =>  This Inner Loop Header: Depth=2
	s_mov_b32 s6, exec_lo
	s_delay_alu instid0(VALU_DEP_1)
	v_cmpx_gt_i64_e64 s[36:37], v[10:11]
	s_cbranch_execz .LBB12_132
; %bb.135:                              ;   in Loop: Header=BB12_134 Depth=2
	global_load_u8 v26, v[4:5], off
	s_wait_loadcnt 0x0
	v_bfe_i32 v27, v26, 0, 8
	s_delay_alu instid0(VALU_DEP_1) | instskip(NEXT) | instid1(VALU_DEP_1)
	v_add_nc_u32_e32 v27, 0x80, v27
	v_and_b32_e32 v27, v27, v41
	s_delay_alu instid0(VALU_DEP_1)
	v_cmp_eq_u32_e32 vcc_lo, v27, v20
	s_and_b32 exec_lo, exec_lo, vcc_lo
	s_cbranch_execz .LBB12_132
; %bb.136:                              ;   in Loop: Header=BB12_134 Depth=2
	v_lshlrev_b16 v26, 8, v26
	s_delay_alu instid0(VALU_DEP_1)
	v_or_b32_e32 v26, 1, v26
	ds_store_b16 v3, v26 offset:3072
	s_branch .LBB12_132
.LBB12_137:                             ;   in Loop: Header=BB12_134 Depth=2
	v_add_co_u32 v10, vcc_lo, v10, s44
	s_wait_alu 0xfffd
	v_add_co_ci_u32_e64 v11, null, 0, v11, vcc_lo
	v_add_co_u32 v4, s6, v4, s46
	s_wait_alu 0xf1fe
	v_add_co_ci_u32_e64 v5, null, s47, v5, s6
	s_delay_alu instid0(VALU_DEP_3)
	v_cmp_le_i64_e32 vcc_lo, s[14:15], v[10:11]
	s_mov_b32 s59, 0
	s_or_not1_b32 s6, vcc_lo, exec_lo
	s_branch .LBB12_133
.LBB12_138:                             ;   in Loop: Header=BB12_7 Depth=1
                                        ; implicit-def: $sgpr6_sgpr7
	s_branch .LBB12_86
.LBB12_139:                             ;   in Loop: Header=BB12_7 Depth=1
                                        ; implicit-def: $sgpr14_sgpr15
	s_branch .LBB12_100
.LBB12_140:                             ;   in Loop: Header=BB12_7 Depth=1
	s_or_b32 exec_lo, exec_lo, s25
	v_and_b32_e32 v4, 0xffff, v26
	s_wait_alu 0xfffe
	s_and_b32 s25, s58, exec_lo
	s_delay_alu instid0(VALU_DEP_1)
	v_lshrrev_b32_e32 v42, 8, v4
.LBB12_141:                             ;   in Loop: Header=BB12_7 Depth=1
	s_or_b32 exec_lo, exec_lo, s50
.LBB12_142:                             ;   in Loop: Header=BB12_7 Depth=1
	s_delay_alu instid0(SALU_CYCLE_1)
	s_and_b32 vcc_lo, exec_lo, s7
	s_wait_alu 0xfffe
	s_cbranch_vccz .LBB12_156
; %bb.143:                              ;   in Loop: Header=BB12_7 Depth=1
	s_add_nc_u64 s[6:7], s[12:13], s[52:53]
	s_mov_b32 s14, s51
	s_wait_alu 0xfffe
	s_mov_b32 s15, s7
	s_wait_alu 0xfffe
	s_cmp_lg_u64 s[14:15], 0
	s_cbranch_scc0 .LBB12_185
; %bb.144:                              ;   in Loop: Header=BB12_7 Depth=1
	s_add_nc_u64 s[14:15], s[44:45], 0
	s_wait_alu 0xfffe
	s_xor_b64 s[14:15], s[14:15], 0
	s_wait_alu 0xfffe
	s_cvt_f32_u32 s21, s14
	s_cvt_f32_u32 s22, s15
	s_sub_nc_u64 s[60:61], 0, s[14:15]
	s_wait_alu 0xfffe
	s_delay_alu instid0(SALU_CYCLE_1) | instskip(SKIP_1) | instid1(SALU_CYCLE_2)
	s_fmamk_f32 s21, s22, 0x4f800000, s21
	s_wait_alu 0xfffe
	v_s_rcp_f32 s21, s21
	s_delay_alu instid0(TRANS32_DEP_1) | instskip(SKIP_1) | instid1(SALU_CYCLE_2)
	s_mul_f32 s21, s21, 0x5f7ffffc
	s_wait_alu 0xfffe
	s_mul_f32 s22, s21, 0x2f800000
	s_delay_alu instid0(SALU_CYCLE_3) | instskip(NEXT) | instid1(SALU_CYCLE_3)
	s_trunc_f32 s22, s22
	s_fmamk_f32 s21, s22, 0xcf800000, s21
	s_cvt_u32_f32 s59, s22
	s_wait_alu 0xfffe
	s_delay_alu instid0(SALU_CYCLE_1) | instskip(SKIP_1) | instid1(SALU_CYCLE_2)
	s_cvt_u32_f32 s58, s21
	s_wait_alu 0xfffe
	s_mul_u64 s[62:63], s[60:61], s[58:59]
	s_wait_alu 0xfffe
	s_mul_hi_u32 s65, s58, s63
	s_mul_i32 s64, s58, s63
	s_mul_hi_u32 s50, s58, s62
	s_mul_i32 s22, s59, s62
	s_wait_alu 0xfffe
	s_add_nc_u64 s[64:65], s[50:51], s[64:65]
	s_mul_hi_u32 s21, s59, s62
	s_mul_hi_u32 s66, s59, s63
	s_wait_alu 0xfffe
	s_add_co_u32 s22, s64, s22
	s_add_co_ci_u32 s50, s65, s21
	s_mul_i32 s62, s59, s63
	s_add_co_ci_u32 s63, s66, 0
	s_wait_alu 0xfffe
	s_add_nc_u64 s[62:63], s[50:51], s[62:63]
	s_wait_alu 0xfffe
	s_add_co_u32 s58, s58, s62
	s_cselect_b32 s21, -1, 0
	s_wait_alu 0xfffe
	s_cmp_lg_u32 s21, 0
	s_add_co_ci_u32 s59, s59, s63
	s_wait_alu 0xfffe
	s_mul_u64 s[60:61], s[60:61], s[58:59]
	s_wait_alu 0xfffe
	s_mul_hi_u32 s63, s58, s61
	s_mul_i32 s62, s58, s61
	s_mul_hi_u32 s50, s58, s60
	s_mul_i32 s22, s59, s60
	s_wait_alu 0xfffe
	s_add_nc_u64 s[62:63], s[50:51], s[62:63]
	s_mul_hi_u32 s21, s59, s60
	s_mul_hi_u32 s64, s59, s61
	s_wait_alu 0xfffe
	s_add_co_u32 s22, s62, s22
	s_add_co_ci_u32 s50, s63, s21
	s_mul_i32 s60, s59, s61
	s_add_co_ci_u32 s61, s64, 0
	s_wait_alu 0xfffe
	s_add_nc_u64 s[60:61], s[50:51], s[60:61]
	s_wait_alu 0xfffe
	s_add_co_u32 s21, s58, s60
	s_cselect_b32 s22, -1, 0
	s_delay_alu instid0(SALU_CYCLE_1)
	s_cmp_lg_u32 s22, 0
	s_add_co_ci_u32 s22, s59, s61
	s_ashr_i32 s58, s7, 31
	s_wait_alu 0xfffe
	s_mov_b32 s59, s58
	s_wait_alu 0xfffe
	s_add_nc_u64 s[60:61], s[6:7], s[58:59]
	s_wait_alu 0xfffe
	s_xor_b64 s[60:61], s[60:61], s[58:59]
	s_wait_alu 0xfffe
	s_mul_hi_u32 s63, s60, s22
	s_mul_i32 s62, s60, s22
	s_mul_hi_u32 s50, s60, s21
	s_mul_hi_u32 s66, s61, s21
	s_mul_i32 s21, s61, s21
	s_wait_alu 0xfffe
	s_add_nc_u64 s[62:63], s[50:51], s[62:63]
	s_mul_hi_u32 s65, s61, s22
	s_wait_alu 0xfffe
	s_add_co_u32 s21, s62, s21
	s_add_co_ci_u32 s50, s63, s66
	s_mul_i32 s64, s61, s22
	s_add_co_ci_u32 s65, s65, 0
	s_wait_alu 0xfffe
	s_add_nc_u64 s[62:63], s[50:51], s[64:65]
	s_wait_alu 0xfffe
	s_mul_u64 s[62:63], s[14:15], s[62:63]
	s_wait_alu 0xfffe
	s_sub_co_u32 s21, s60, s62
	s_cselect_b32 s22, -1, 0
	s_sub_co_i32 s50, s61, s63
	s_cmp_lg_u32 s22, 0
	s_wait_alu 0xfffe
	s_sub_co_ci_u32 s50, s50, s15
	s_sub_co_u32 s60, s21, s14
	s_cselect_b32 s62, -1, 0
	s_wait_alu 0xfffe
	s_cmp_lg_u32 s62, 0
	s_sub_co_ci_u32 s64, s50, 0
	s_wait_alu 0xfffe
	s_cmp_ge_u32 s64, s15
	s_cselect_b32 s65, -1, 0
	s_cmp_ge_u32 s60, s14
	s_cselect_b32 s66, -1, 0
	s_cmp_eq_u32 s64, s15
	s_wait_alu 0xfffe
	s_cselect_b32 s65, s66, s65
	s_cmp_lg_u32 s62, 0
	s_sub_co_ci_u32 s50, s50, s15
	s_sub_co_u32 s62, s60, s14
	s_cselect_b32 s66, -1, 0
	s_wait_alu 0xfffe
	s_cmp_lg_u32 s66, 0
	s_sub_co_ci_u32 s50, s50, 0
	s_cmp_lg_u32 s65, 0
	s_cselect_b32 s60, s62, s60
	s_wait_alu 0xfffe
	s_cselect_b32 s50, s50, s64
	s_cmp_lg_u32 s22, 0
	s_sub_co_ci_u32 s22, s61, s63
	s_delay_alu instid0(SALU_CYCLE_1)
	s_cmp_ge_u32 s22, s15
	s_cselect_b32 s61, -1, 0
	s_cmp_ge_u32 s21, s14
	s_cselect_b32 s14, -1, 0
	s_cmp_eq_u32 s22, s15
	s_wait_alu 0xfffe
	s_cselect_b32 s14, s14, s61
	s_wait_alu 0xfffe
	s_cmp_lg_u32 s14, 0
	s_cselect_b32 s15, s50, s22
	s_cselect_b32 s14, s60, s21
	s_wait_alu 0xfffe
	s_xor_b64 s[14:15], s[14:15], s[58:59]
	s_wait_alu 0xfffe
	s_sub_nc_u64 s[14:15], s[14:15], s[58:59]
	s_cbranch_execnz .LBB12_146
.LBB12_145:                             ;   in Loop: Header=BB12_7 Depth=1
	v_cvt_f32_u32_e32 v4, s44
	s_sub_co_i32 s15, 0, s44
	s_delay_alu instid0(VALU_DEP_1) | instskip(NEXT) | instid1(TRANS32_DEP_1)
	v_rcp_iflag_f32_e32 v4, v4
	v_mul_f32_e32 v4, 0x4f7ffffe, v4
	s_delay_alu instid0(VALU_DEP_1) | instskip(NEXT) | instid1(VALU_DEP_1)
	v_cvt_u32_f32_e32 v4, v4
	v_readfirstlane_b32 s14, v4
	s_wait_alu 0xfffe
	s_mul_i32 s15, s15, s14
	s_wait_alu 0xfffe
	s_mul_hi_u32 s15, s14, s15
	s_wait_alu 0xfffe
	s_add_co_i32 s14, s14, s15
	s_wait_alu 0xfffe
	s_mul_hi_u32 s14, s6, s14
	s_wait_alu 0xfffe
	s_mul_i32 s14, s14, s44
	s_wait_alu 0xfffe
	s_sub_co_i32 s14, s6, s14
	s_wait_alu 0xfffe
	s_sub_co_i32 s15, s14, s44
	s_cmp_ge_u32 s14, s44
	s_wait_alu 0xfffe
	s_cselect_b32 s14, s15, s14
	s_wait_alu 0xfffe
	s_sub_co_i32 s15, s14, s44
	s_cmp_ge_u32 s14, s44
	s_wait_alu 0xfffe
	s_cselect_b32 s50, s15, s14
	s_wait_alu 0xfffe
	s_mov_b64 s[14:15], s[50:51]
.LBB12_146:                             ;   in Loop: Header=BB12_7 Depth=1
	s_wait_alu 0xfffe
	s_sub_nc_u64 s[6:7], s[6:7], s[14:15]
	s_mov_b32 s14, exec_lo
                                        ; implicit-def: $vgpr42
	s_wait_alu 0xfffe
	v_cmpx_gt_i64_e64 s[6:7], v[0:1]
	s_cbranch_execz .LBB12_155
; %bb.147:                              ;   in Loop: Header=BB12_7 Depth=1
	v_dual_mov_b32 v10, v0 :: v_dual_mov_b32 v5, v1
	v_mov_b32_e32 v4, v0
	s_mov_b32 s15, 0
                                        ; implicit-def: $sgpr21
	s_branch .LBB12_150
.LBB12_148:                             ;   in Loop: Header=BB12_150 Depth=2
	s_or_b32 exec_lo, exec_lo, s22
	s_wait_loadcnt_dscnt 0x0
	s_barrier_signal -1
	s_barrier_wait -1
	global_inv scope:SCOPE_SE
	ds_load_u16 v11, v3 offset:3072
	s_mov_b32 s22, -1
	s_mov_b32 s50, -1
	s_wait_loadcnt_dscnt 0x0
	s_barrier_signal -1
	s_barrier_wait -1
	global_inv scope:SCOPE_SE
	v_and_b32_e32 v26, 0xff, v11
	s_delay_alu instid0(VALU_DEP_1)
	v_cmp_eq_u32_e32 vcc_lo, 0, v26
	s_cbranch_vccnz .LBB12_153
.LBB12_149:                             ;   in Loop: Header=BB12_150 Depth=2
	s_and_b32 s22, exec_lo, s22
	s_wait_alu 0xfffe
	s_or_b32 s15, s22, s15
	s_and_not1_b32 s21, s21, exec_lo
	s_and_b32 s22, s50, exec_lo
	s_wait_alu 0xfffe
	s_or_b32 s21, s21, s22
	s_and_not1_b32 exec_lo, exec_lo, s15
	s_cbranch_execz .LBB12_154
.LBB12_150:                             ;   Parent Loop BB12_7 Depth=1
                                        ; =>  This Inner Loop Header: Depth=2
	s_mov_b32 s22, exec_lo
	s_delay_alu instid0(VALU_DEP_1)
	v_cmpx_gt_u64_e64 s[12:13], v[4:5]
	s_cbranch_execz .LBB12_148
; %bb.151:                              ;   in Loop: Header=BB12_150 Depth=2
	ds_load_u8 v11, v10
	s_wait_dscnt 0x0
	v_bfe_i32 v26, v11, 0, 8
	s_delay_alu instid0(VALU_DEP_1) | instskip(NEXT) | instid1(VALU_DEP_1)
	v_add_nc_u32_e32 v26, 0x80, v26
	v_and_b32_e32 v26, v26, v41
	s_delay_alu instid0(VALU_DEP_1)
	v_cmp_eq_u32_e32 vcc_lo, v26, v20
	s_and_b32 exec_lo, exec_lo, vcc_lo
	s_cbranch_execz .LBB12_148
; %bb.152:                              ;   in Loop: Header=BB12_150 Depth=2
	v_lshlrev_b16 v11, 8, v11
	s_delay_alu instid0(VALU_DEP_1)
	v_or_b32_e32 v11, 1, v11
	ds_store_b16 v3, v11 offset:3072
	s_branch .LBB12_148
.LBB12_153:                             ;   in Loop: Header=BB12_150 Depth=2
	v_add_co_u32 v4, vcc_lo, v4, s44
	s_wait_alu 0xfffd
	v_add_co_ci_u32_e64 v5, null, 0, v5, vcc_lo
	v_add_nc_u32_e32 v10, s44, v10
	s_mov_b32 s50, 0
	s_delay_alu instid0(VALU_DEP_2)
	v_cmp_le_i64_e32 vcc_lo, s[6:7], v[4:5]
	s_or_not1_b32 s22, vcc_lo, exec_lo
	s_branch .LBB12_149
.LBB12_154:                             ;   in Loop: Header=BB12_7 Depth=1
	s_or_b32 exec_lo, exec_lo, s15
	v_and_b32_e32 v4, 0xffff, v11
	s_and_not1_b32 s6, s25, exec_lo
	s_wait_alu 0xfffe
	s_and_b32 s7, s21, exec_lo
	s_wait_alu 0xfffe
	s_or_b32 s25, s6, s7
	v_lshrrev_b32_e32 v42, 8, v4
.LBB12_155:                             ;   in Loop: Header=BB12_7 Depth=1
	s_or_b32 exec_lo, exec_lo, s14
	s_mov_b32 s21, 0
	s_mov_b32 s22, -1
.LBB12_156:                             ;   in Loop: Header=BB12_7 Depth=1
	s_wait_alu 0xfffe
	s_or_not1_b32 s6, s25, exec_lo
.LBB12_157:                             ;   in Loop: Header=BB12_7 Depth=1
	s_or_b32 exec_lo, exec_lo, s23
	s_mov_b32 s7, 0
	s_wait_alu 0xfffe
	s_and_saveexec_b32 s23, s6
	s_cbranch_execz .LBB12_263
; %bb.158:                              ;   in Loop: Header=BB12_7 Depth=1
	v_mov_b32_e32 v4, 1
	v_dual_mov_b32 v5, 0 :: v_dual_mov_b32 v2, 1
	s_xor_b32 s12, s24, -1
	s_wait_alu 0xfffe
	s_and_saveexec_b32 s6, s12
	s_cbranch_execz .LBB12_168
; %bb.159:                              ;   in Loop: Header=BB12_7 Depth=1
	s_mov_b32 s7, exec_lo
	v_cmpx_le_i64_e64 v[8:9], v[6:7]
	s_wait_alu 0xfffe
	s_xor_b32 s7, exec_lo, s7
	s_cbranch_execz .LBB12_165
; %bb.160:                              ;   in Loop: Header=BB12_7 Depth=1
	ds_load_b64 v[4:5], v3 offset:5120
	s_lshl_b32 s12, 1, s94
	v_or_b32_e32 v41, s16, v41
	s_wait_alu 0xfffe
	v_and_or_b32 v20, v20, s20, s12
	s_wait_dscnt 0x0
	v_cmp_ne_u64_e32 vcc_lo, 0, v[4:5]
	s_cbranch_vccnz .LBB12_164
; %bb.161:                              ;   in Loop: Header=BB12_7 Depth=1
	s_and_saveexec_b32 s12, s2
; %bb.162:                              ;   in Loop: Header=BB12_7 Depth=1
	ds_store_b64 v3, v[6:7] offset:5128
; %bb.163:                              ;   in Loop: Header=BB12_7 Depth=1
	s_wait_alu 0xfffe
	s_or_b32 exec_lo, exec_lo, s12
	s_wait_loadcnt_dscnt 0x0
	s_barrier_signal -1
	s_barrier_wait -1
	global_inv scope:SCOPE_SE
.LBB12_164:                             ;   in Loop: Header=BB12_7 Depth=1
                                        ; implicit-def: $vgpr4_vgpr5_vgpr6_vgpr7
.LBB12_165:                             ;   in Loop: Header=BB12_7 Depth=1
	s_wait_alu 0xfffe
	s_or_saveexec_b32 s7, s7
	v_mov_b32_e32 v2, 8
	s_mov_b32 s12, 0
	s_wait_alu 0xfffe
	s_xor_b32 exec_lo, exec_lo, s7
; %bb.166:                              ;   in Loop: Header=BB12_7 Depth=1
	v_sub_co_u32 v8, vcc_lo, v8, v6
	s_wait_alu 0xfffd
	v_sub_co_ci_u32_e64 v9, null, v9, v7, vcc_lo
	v_mov_b32_e32 v2, 0
	s_mov_b32 s12, exec_lo
; %bb.167:                              ;   in Loop: Header=BB12_7 Depth=1
	s_or_b32 exec_lo, exec_lo, s7
	s_delay_alu instid0(VALU_DEP_2)
	v_dual_mov_b32 v4, v8 :: v_dual_mov_b32 v5, v9
	s_wait_alu 0xfffe
	s_and_b32 s7, s12, exec_lo
.LBB12_168:                             ;   in Loop: Header=BB12_7 Depth=1
	s_wait_alu 0xfffe
	s_or_b32 exec_lo, exec_lo, s6
	s_mov_b32 s6, -1
                                        ; implicit-def: $sgpr25
                                        ; implicit-def: $sgpr58
	s_and_saveexec_b32 s24, s7
	s_cbranch_execz .LBB12_262
; %bb.169:                              ;   in Loop: Header=BB12_7 Depth=1
	v_cmp_eq_u64_e32 vcc_lo, 1, v[4:5]
	s_cmp_eq_u64 s[10:11], 1
                                        ; implicit-def: $sgpr58
                                        ; implicit-def: $sgpr25
	s_cselect_b32 s6, -1, 0
	s_wait_alu 0xfffe
	s_and_b32 s59, s6, vcc_lo
	s_mov_b32 s6, -1
	s_wait_alu 0xfffe
	s_and_saveexec_b32 s60, s59
	s_cbranch_execz .LBB12_203
; %bb.170:                              ;   in Loop: Header=BB12_7 Depth=1
	ds_load_b64 v[6:7], v3 offset:5120
	s_wait_loadcnt_dscnt 0x0
	s_barrier_signal -1
	s_barrier_wait -1
	global_inv scope:SCOPE_SE
	v_readfirstlane_b32 s12, v6
	v_readfirstlane_b32 s13, v7
	s_and_saveexec_b32 s6, s3
; %bb.171:                              ;   in Loop: Header=BB12_7 Depth=1
	ds_store_b8 v0, v3 offset:3072
; %bb.172:                              ;   in Loop: Header=BB12_7 Depth=1
	s_wait_alu 0xfffe
	s_or_b32 exec_lo, exec_lo, s6
	s_lshl_b32 s6, 2, s94
	v_or_b32_e32 v41, s16, v41
	s_wait_alu 0xfffe
	v_and_or_b32 v20, v20, s20, s6
	v_cmp_gt_i64_e64 s6, s[12:13], 0
	s_mov_b32 s25, -1
	s_mov_b32 s58, 0
	s_mov_b32 s61, 0
	s_mov_b32 s7, -1
	s_wait_loadcnt_dscnt 0x0
	s_and_b32 vcc_lo, exec_lo, s6
	s_barrier_signal -1
	s_barrier_wait -1
	global_inv scope:SCOPE_SE
                                        ; implicit-def: $vgpr42
	s_wait_alu 0xfffe
	s_cbranch_vccnz .LBB12_188
; %bb.173:                              ;   in Loop: Header=BB12_7 Depth=1
	s_mov_b32 s6, s51
	s_mov_b32 s7, s55
	s_wait_alu 0xfffe
	s_cmp_lg_u64 s[6:7], 0
	s_cbranch_scc0 .LBB12_229
; %bb.174:                              ;   in Loop: Header=BB12_7 Depth=1
	s_add_nc_u64 s[6:7], s[44:45], 0
	s_wait_alu 0xfffe
	s_xor_b64 s[6:7], s[6:7], 0
	s_wait_alu 0xfffe
	s_cvt_f32_u32 s14, s6
	s_cvt_f32_u32 s15, s7
	s_sub_nc_u64 s[62:63], 0, s[6:7]
	s_wait_alu 0xfffe
	s_delay_alu instid0(SALU_CYCLE_1) | instskip(SKIP_1) | instid1(SALU_CYCLE_2)
	s_fmamk_f32 s14, s15, 0x4f800000, s14
	s_wait_alu 0xfffe
	v_s_rcp_f32 s14, s14
	s_delay_alu instid0(TRANS32_DEP_1) | instskip(SKIP_1) | instid1(SALU_CYCLE_2)
	s_mul_f32 s14, s14, 0x5f7ffffc
	s_wait_alu 0xfffe
	s_mul_f32 s15, s14, 0x2f800000
	s_wait_alu 0xfffe
	s_delay_alu instid0(SALU_CYCLE_2) | instskip(SKIP_1) | instid1(SALU_CYCLE_2)
	s_trunc_f32 s15, s15
	s_wait_alu 0xfffe
	s_fmamk_f32 s14, s15, 0xcf800000, s14
	s_cvt_u32_f32 s15, s15
	s_wait_alu 0xfffe
	s_delay_alu instid0(SALU_CYCLE_1) | instskip(SKIP_1) | instid1(SALU_CYCLE_2)
	s_cvt_u32_f32 s14, s14
	s_wait_alu 0xfffe
	s_mul_u64 s[64:65], s[62:63], s[14:15]
	s_wait_alu 0xfffe
	s_mul_hi_u32 s67, s14, s65
	s_mul_i32 s66, s14, s65
	s_mul_hi_u32 s50, s14, s64
	s_mul_i32 s68, s15, s64
	s_wait_alu 0xfffe
	s_add_nc_u64 s[66:67], s[50:51], s[66:67]
	s_mul_hi_u32 s61, s15, s64
	s_mul_hi_u32 s69, s15, s65
	s_wait_alu 0xfffe
	s_add_co_u32 s50, s66, s68
	s_add_co_ci_u32 s50, s67, s61
	s_mul_i32 s64, s15, s65
	s_add_co_ci_u32 s65, s69, 0
	s_wait_alu 0xfffe
	s_add_nc_u64 s[64:65], s[50:51], s[64:65]
	s_wait_alu 0xfffe
	s_add_co_u32 s14, s14, s64
	s_cselect_b32 s50, -1, 0
	s_wait_alu 0xfffe
	s_cmp_lg_u32 s50, 0
	s_add_co_ci_u32 s15, s15, s65
	s_wait_alu 0xfffe
	s_mul_u64 s[62:63], s[62:63], s[14:15]
	s_wait_alu 0xfffe
	s_mul_hi_u32 s65, s14, s63
	s_mul_i32 s64, s14, s63
	s_mul_hi_u32 s50, s14, s62
	s_mul_i32 s66, s15, s62
	s_wait_alu 0xfffe
	s_add_nc_u64 s[64:65], s[50:51], s[64:65]
	s_mul_hi_u32 s61, s15, s62
	s_mul_hi_u32 s67, s15, s63
	s_wait_alu 0xfffe
	s_add_co_u32 s50, s64, s66
	s_add_co_ci_u32 s50, s65, s61
	s_mul_i32 s62, s15, s63
	s_add_co_ci_u32 s63, s67, 0
	s_wait_alu 0xfffe
	s_add_nc_u64 s[62:63], s[50:51], s[62:63]
	s_wait_alu 0xfffe
	s_add_co_u32 s61, s14, s62
	s_cselect_b32 s14, -1, 0
	s_wait_alu 0xfffe
	s_cmp_lg_u32 s14, 0
	s_add_co_ci_u32 s66, s15, s63
	s_ashr_i32 s14, s55, 31
	s_wait_alu 0xfffe
	s_mov_b32 s15, s14
	s_wait_alu 0xfffe
	s_add_nc_u64 s[62:63], s[54:55], s[14:15]
	s_wait_alu 0xfffe
	s_xor_b64 s[62:63], s[62:63], s[14:15]
	s_wait_alu 0xfffe
	s_mul_hi_u32 s65, s62, s66
	s_mul_i32 s64, s62, s66
	s_mul_hi_u32 s50, s62, s61
	s_mul_hi_u32 s68, s63, s61
	s_mul_i32 s61, s63, s61
	s_wait_alu 0xfffe
	s_add_nc_u64 s[64:65], s[50:51], s[64:65]
	s_mul_hi_u32 s67, s63, s66
	s_wait_alu 0xfffe
	s_add_co_u32 s50, s64, s61
	s_add_co_ci_u32 s50, s65, s68
	s_mul_i32 s66, s63, s66
	s_add_co_ci_u32 s67, s67, 0
	s_wait_alu 0xfffe
	s_add_nc_u64 s[64:65], s[50:51], s[66:67]
	s_wait_alu 0xfffe
	s_mul_u64 s[64:65], s[6:7], s[64:65]
	s_wait_alu 0xfffe
	s_sub_co_u32 s50, s62, s64
	s_cselect_b32 s61, -1, 0
	s_sub_co_i32 s62, s63, s65
	s_wait_alu 0xfffe
	s_cmp_lg_u32 s61, 0
	s_sub_co_ci_u32 s62, s62, s7
	s_sub_co_u32 s64, s50, s6
	s_cselect_b32 s66, -1, 0
	s_wait_alu 0xfffe
	s_cmp_lg_u32 s66, 0
	s_sub_co_ci_u32 s67, s62, 0
	s_wait_alu 0xfffe
	s_cmp_ge_u32 s67, s7
	s_cselect_b32 s68, -1, 0
	s_cmp_ge_u32 s64, s6
	s_cselect_b32 s69, -1, 0
	s_cmp_eq_u32 s67, s7
	s_wait_alu 0xfffe
	s_cselect_b32 s68, s69, s68
	s_cmp_lg_u32 s66, 0
	s_sub_co_ci_u32 s62, s62, s7
	s_sub_co_u32 s66, s64, s6
	s_cselect_b32 s69, -1, 0
	s_wait_alu 0xfffe
	s_cmp_lg_u32 s69, 0
	s_sub_co_ci_u32 s62, s62, 0
	s_cmp_lg_u32 s68, 0
	s_cselect_b32 s64, s66, s64
	s_wait_alu 0xfffe
	s_cselect_b32 s62, s62, s67
	s_cmp_lg_u32 s61, 0
	s_sub_co_ci_u32 s61, s63, s65
	s_wait_alu 0xfffe
	s_cmp_ge_u32 s61, s7
	s_cselect_b32 s63, -1, 0
	s_cmp_ge_u32 s50, s6
	s_cselect_b32 s6, -1, 0
	s_cmp_eq_u32 s61, s7
	s_wait_alu 0xfffe
	s_cselect_b32 s6, s6, s63
	s_wait_alu 0xfffe
	s_cmp_lg_u32 s6, 0
	s_cselect_b32 s7, s62, s61
	s_cselect_b32 s6, s64, s50
	s_wait_alu 0xfffe
	s_xor_b64 s[6:7], s[6:7], s[14:15]
	s_wait_alu 0xfffe
	s_sub_nc_u64 s[6:7], s[6:7], s[14:15]
	s_cbranch_execnz .LBB12_176
.LBB12_175:                             ;   in Loop: Header=BB12_7 Depth=1
	v_cvt_f32_u32_e32 v6, s44
	s_sub_co_i32 s7, 0, s44
	s_delay_alu instid0(VALU_DEP_1) | instskip(NEXT) | instid1(TRANS32_DEP_1)
	v_rcp_iflag_f32_e32 v6, v6
	v_mul_f32_e32 v6, 0x4f7ffffe, v6
	s_delay_alu instid0(VALU_DEP_1) | instskip(NEXT) | instid1(VALU_DEP_1)
	v_cvt_u32_f32_e32 v6, v6
	v_readfirstlane_b32 s6, v6
	s_wait_alu 0xfffe
	s_mul_i32 s7, s7, s6
	s_wait_alu 0xfffe
	s_mul_hi_u32 s7, s6, s7
	s_wait_alu 0xfffe
	s_add_co_i32 s6, s6, s7
	s_wait_alu 0xfffe
	s_mul_hi_u32 s6, s54, s6
	s_wait_alu 0xfffe
	s_mul_i32 s6, s6, s44
	s_wait_alu 0xfffe
	s_sub_co_i32 s6, s54, s6
	s_wait_alu 0xfffe
	s_sub_co_i32 s7, s6, s44
	s_cmp_ge_u32 s6, s44
	s_wait_alu 0xfffe
	s_cselect_b32 s6, s7, s6
	s_wait_alu 0xfffe
	s_sub_co_i32 s7, s6, s44
	s_cmp_ge_u32 s6, s44
	s_wait_alu 0xfffe
	s_cselect_b32 s50, s7, s6
	s_wait_alu 0xfffe
	s_mov_b64 s[6:7], s[50:51]
.LBB12_176:                             ;   in Loop: Header=BB12_7 Depth=1
	s_wait_alu 0xfffe
	s_sub_nc_u64 s[14:15], s[54:55], s[6:7]
	s_mov_b32 s7, 0
	s_mov_b32 s61, 0
	s_mov_b32 s50, exec_lo
                                        ; implicit-def: $vgpr42
	s_wait_alu 0xfffe
	v_cmpx_gt_i64_e64 s[14:15], v[0:1]
	s_cbranch_execz .LBB12_187
; %bb.177:                              ;   in Loop: Header=BB12_7 Depth=1
	v_dual_mov_b32 v6, v12 :: v_dual_mov_b32 v7, v13
	v_dual_mov_b32 v9, v1 :: v_dual_mov_b32 v8, v0
                                        ; implicit-def: $sgpr62
	s_branch .LBB12_180
.LBB12_178:                             ;   in Loop: Header=BB12_180 Depth=2
	s_wait_alu 0xfffe
	s_or_b32 exec_lo, exec_lo, s6
	s_wait_loadcnt_dscnt 0x0
	s_barrier_signal -1
	s_barrier_wait -1
	global_inv scope:SCOPE_SE
	ds_load_u16 v10, v3 offset:3072
	s_mov_b32 s6, -1
	s_mov_b32 s63, -1
	s_wait_loadcnt_dscnt 0x0
	s_barrier_signal -1
	s_barrier_wait -1
	global_inv scope:SCOPE_SE
	v_and_b32_e32 v11, 0xff, v10
	s_delay_alu instid0(VALU_DEP_1)
	v_cmp_ne_u32_e32 vcc_lo, 0, v11
	s_cbranch_vccz .LBB12_183
.LBB12_179:                             ;   in Loop: Header=BB12_180 Depth=2
	s_wait_alu 0xfffe
	s_and_b32 s6, exec_lo, s6
	s_wait_alu 0xfffe
	s_or_b32 s61, s6, s61
	s_and_not1_b32 s6, s62, exec_lo
	s_and_b32 s62, s63, exec_lo
	s_wait_alu 0xfffe
	s_or_b32 s62, s6, s62
	s_and_not1_b32 exec_lo, exec_lo, s61
	s_cbranch_execz .LBB12_186
.LBB12_180:                             ;   Parent Loop BB12_7 Depth=1
                                        ; =>  This Inner Loop Header: Depth=2
	s_mov_b32 s6, exec_lo
	s_delay_alu instid0(VALU_DEP_1)
	v_cmpx_gt_i64_e64 s[36:37], v[8:9]
	s_cbranch_execz .LBB12_178
; %bb.181:                              ;   in Loop: Header=BB12_180 Depth=2
	global_load_u8 v10, v[6:7], off
	s_wait_loadcnt 0x0
	v_bfe_i32 v11, v10, 0, 8
	s_delay_alu instid0(VALU_DEP_1) | instskip(NEXT) | instid1(VALU_DEP_1)
	v_add_nc_u32_e32 v11, 0x80, v11
	v_and_b32_e32 v11, v11, v41
	s_delay_alu instid0(VALU_DEP_1)
	v_cmp_eq_u32_e32 vcc_lo, v11, v20
	s_and_b32 exec_lo, exec_lo, vcc_lo
	s_cbranch_execz .LBB12_178
; %bb.182:                              ;   in Loop: Header=BB12_180 Depth=2
	v_lshlrev_b16 v10, 8, v10
	s_delay_alu instid0(VALU_DEP_1)
	v_or_b32_e32 v10, 1, v10
	ds_store_b16 v3, v10 offset:3072
	s_branch .LBB12_178
.LBB12_183:                             ;   in Loop: Header=BB12_180 Depth=2
	v_add_co_u32 v8, vcc_lo, v8, s44
	s_wait_alu 0xfffd
	v_add_co_ci_u32_e64 v9, null, 0, v9, vcc_lo
	v_add_co_u32 v6, s6, v6, s46
	s_wait_alu 0xf1fe
	v_add_co_ci_u32_e64 v7, null, s47, v7, s6
	s_delay_alu instid0(VALU_DEP_3)
	v_cmp_le_i64_e32 vcc_lo, s[14:15], v[8:9]
	s_mov_b32 s63, 0
	s_or_not1_b32 s6, vcc_lo, exec_lo
	s_branch .LBB12_179
.LBB12_184:                             ;   in Loop: Header=BB12_7 Depth=1
                                        ; implicit-def: $sgpr6_sgpr7
	s_branch .LBB12_129
.LBB12_185:                             ;   in Loop: Header=BB12_7 Depth=1
                                        ; implicit-def: $sgpr14_sgpr15
	s_branch .LBB12_145
.LBB12_186:                             ;   in Loop: Header=BB12_7 Depth=1
	s_or_b32 exec_lo, exec_lo, s61
	v_and_b32_e32 v6, 0xffff, v10
	s_wait_alu 0xfffe
	s_and_b32 s61, s62, exec_lo
	s_delay_alu instid0(VALU_DEP_1)
	v_lshrrev_b32_e32 v42, 8, v6
.LBB12_187:                             ;   in Loop: Header=BB12_7 Depth=1
	s_or_b32 exec_lo, exec_lo, s50
.LBB12_188:                             ;   in Loop: Header=BB12_7 Depth=1
	s_delay_alu instid0(SALU_CYCLE_1)
	s_and_b32 vcc_lo, exec_lo, s7
	s_wait_alu 0xfffe
	s_cbranch_vccz .LBB12_202
; %bb.189:                              ;   in Loop: Header=BB12_7 Depth=1
	s_add_nc_u64 s[6:7], s[12:13], s[52:53]
	s_mov_b32 s14, s51
	s_wait_alu 0xfffe
	s_mov_b32 s15, s7
	s_wait_alu 0xfffe
	s_cmp_lg_u64 s[14:15], 0
	s_cbranch_scc0 .LBB12_230
; %bb.190:                              ;   in Loop: Header=BB12_7 Depth=1
	s_add_nc_u64 s[14:15], s[44:45], 0
	s_wait_alu 0xfffe
	s_xor_b64 s[14:15], s[14:15], 0
	s_wait_alu 0xfffe
	s_cvt_f32_u32 s25, s14
	s_cvt_f32_u32 s50, s15
	s_sub_nc_u64 s[64:65], 0, s[14:15]
	s_wait_alu 0xfffe
	s_delay_alu instid0(SALU_CYCLE_1) | instskip(SKIP_1) | instid1(SALU_CYCLE_2)
	s_fmamk_f32 s25, s50, 0x4f800000, s25
	s_wait_alu 0xfffe
	v_s_rcp_f32 s25, s25
	s_delay_alu instid0(TRANS32_DEP_1) | instskip(SKIP_1) | instid1(SALU_CYCLE_2)
	s_mul_f32 s25, s25, 0x5f7ffffc
	s_wait_alu 0xfffe
	s_mul_f32 s50, s25, 0x2f800000
	s_wait_alu 0xfffe
	s_delay_alu instid0(SALU_CYCLE_2) | instskip(SKIP_1) | instid1(SALU_CYCLE_2)
	s_trunc_f32 s50, s50
	s_wait_alu 0xfffe
	s_fmamk_f32 s25, s50, 0xcf800000, s25
	s_cvt_u32_f32 s63, s50
	s_wait_alu 0xfffe
	s_delay_alu instid0(SALU_CYCLE_1) | instskip(SKIP_1) | instid1(SALU_CYCLE_2)
	s_cvt_u32_f32 s62, s25
	s_wait_alu 0xfffe
	s_mul_u64 s[66:67], s[64:65], s[62:63]
	s_wait_alu 0xfffe
	s_mul_hi_u32 s69, s62, s67
	s_mul_i32 s68, s62, s67
	s_mul_hi_u32 s50, s62, s66
	s_mul_i32 s58, s63, s66
	s_wait_alu 0xfffe
	s_add_nc_u64 s[68:69], s[50:51], s[68:69]
	s_mul_hi_u32 s25, s63, s66
	s_mul_hi_u32 s70, s63, s67
	s_wait_alu 0xfffe
	s_add_co_u32 s50, s68, s58
	s_add_co_ci_u32 s50, s69, s25
	s_mul_i32 s66, s63, s67
	s_add_co_ci_u32 s67, s70, 0
	s_wait_alu 0xfffe
	s_add_nc_u64 s[66:67], s[50:51], s[66:67]
	s_wait_alu 0xfffe
	s_add_co_u32 s62, s62, s66
	s_cselect_b32 s25, -1, 0
	s_wait_alu 0xfffe
	s_cmp_lg_u32 s25, 0
	s_add_co_ci_u32 s63, s63, s67
	s_wait_alu 0xfffe
	s_mul_u64 s[64:65], s[64:65], s[62:63]
	s_wait_alu 0xfffe
	s_mul_hi_u32 s67, s62, s65
	s_mul_i32 s66, s62, s65
	s_mul_hi_u32 s50, s62, s64
	s_mul_i32 s58, s63, s64
	s_wait_alu 0xfffe
	s_add_nc_u64 s[66:67], s[50:51], s[66:67]
	s_mul_hi_u32 s25, s63, s64
	s_mul_hi_u32 s68, s63, s65
	s_wait_alu 0xfffe
	s_add_co_u32 s50, s66, s58
	s_add_co_ci_u32 s50, s67, s25
	s_mul_i32 s64, s63, s65
	s_add_co_ci_u32 s65, s68, 0
	s_wait_alu 0xfffe
	s_add_nc_u64 s[64:65], s[50:51], s[64:65]
	s_wait_alu 0xfffe
	s_add_co_u32 s25, s62, s64
	s_cselect_b32 s50, -1, 0
	s_wait_alu 0xfffe
	s_cmp_lg_u32 s50, 0
	s_add_co_ci_u32 s58, s63, s65
	s_ashr_i32 s62, s7, 31
	s_wait_alu 0xfffe
	s_mov_b32 s63, s62
	s_wait_alu 0xfffe
	s_add_nc_u64 s[64:65], s[6:7], s[62:63]
	s_wait_alu 0xfffe
	s_xor_b64 s[64:65], s[64:65], s[62:63]
	s_wait_alu 0xfffe
	s_mul_hi_u32 s67, s64, s58
	s_mul_i32 s66, s64, s58
	s_mul_hi_u32 s50, s64, s25
	s_mul_hi_u32 s70, s65, s25
	s_mul_i32 s25, s65, s25
	s_wait_alu 0xfffe
	s_add_nc_u64 s[66:67], s[50:51], s[66:67]
	s_mul_hi_u32 s69, s65, s58
	s_wait_alu 0xfffe
	s_add_co_u32 s25, s66, s25
	s_add_co_ci_u32 s50, s67, s70
	s_mul_i32 s68, s65, s58
	s_add_co_ci_u32 s69, s69, 0
	s_wait_alu 0xfffe
	s_add_nc_u64 s[66:67], s[50:51], s[68:69]
	s_wait_alu 0xfffe
	s_mul_u64 s[66:67], s[14:15], s[66:67]
	s_wait_alu 0xfffe
	s_sub_co_u32 s25, s64, s66
	s_cselect_b32 s50, -1, 0
	s_sub_co_i32 s58, s65, s67
	s_wait_alu 0xfffe
	s_cmp_lg_u32 s50, 0
	s_sub_co_ci_u32 s58, s58, s15
	s_sub_co_u32 s64, s25, s14
	s_cselect_b32 s66, -1, 0
	s_wait_alu 0xfffe
	s_cmp_lg_u32 s66, 0
	s_sub_co_ci_u32 s68, s58, 0
	s_wait_alu 0xfffe
	s_cmp_ge_u32 s68, s15
	s_cselect_b32 s69, -1, 0
	s_cmp_ge_u32 s64, s14
	s_cselect_b32 s70, -1, 0
	s_cmp_eq_u32 s68, s15
	s_wait_alu 0xfffe
	s_cselect_b32 s69, s70, s69
	s_cmp_lg_u32 s66, 0
	s_sub_co_ci_u32 s58, s58, s15
	s_sub_co_u32 s66, s64, s14
	s_cselect_b32 s70, -1, 0
	s_wait_alu 0xfffe
	s_cmp_lg_u32 s70, 0
	s_sub_co_ci_u32 s58, s58, 0
	s_cmp_lg_u32 s69, 0
	s_cselect_b32 s64, s66, s64
	s_wait_alu 0xfffe
	s_cselect_b32 s58, s58, s68
	s_cmp_lg_u32 s50, 0
	s_sub_co_ci_u32 s50, s65, s67
	s_wait_alu 0xfffe
	s_cmp_ge_u32 s50, s15
	s_cselect_b32 s65, -1, 0
	s_cmp_ge_u32 s25, s14
	s_cselect_b32 s14, -1, 0
	s_cmp_eq_u32 s50, s15
	s_wait_alu 0xfffe
	s_cselect_b32 s14, s14, s65
	s_wait_alu 0xfffe
	s_cmp_lg_u32 s14, 0
	s_cselect_b32 s15, s58, s50
	s_cselect_b32 s14, s64, s25
	s_wait_alu 0xfffe
	s_xor_b64 s[14:15], s[14:15], s[62:63]
	s_wait_alu 0xfffe
	s_sub_nc_u64 s[14:15], s[14:15], s[62:63]
	s_cbranch_execnz .LBB12_192
.LBB12_191:                             ;   in Loop: Header=BB12_7 Depth=1
	v_cvt_f32_u32_e32 v6, s44
	s_sub_co_i32 s15, 0, s44
	s_delay_alu instid0(VALU_DEP_1) | instskip(NEXT) | instid1(TRANS32_DEP_1)
	v_rcp_iflag_f32_e32 v6, v6
	v_mul_f32_e32 v6, 0x4f7ffffe, v6
	s_delay_alu instid0(VALU_DEP_1) | instskip(NEXT) | instid1(VALU_DEP_1)
	v_cvt_u32_f32_e32 v6, v6
	v_readfirstlane_b32 s14, v6
	s_wait_alu 0xfffe
	s_mul_i32 s15, s15, s14
	s_wait_alu 0xfffe
	s_mul_hi_u32 s15, s14, s15
	s_wait_alu 0xfffe
	s_add_co_i32 s14, s14, s15
	s_wait_alu 0xfffe
	s_mul_hi_u32 s14, s6, s14
	s_wait_alu 0xfffe
	s_mul_i32 s14, s14, s44
	s_wait_alu 0xfffe
	s_sub_co_i32 s14, s6, s14
	s_wait_alu 0xfffe
	s_sub_co_i32 s15, s14, s44
	s_cmp_ge_u32 s14, s44
	s_wait_alu 0xfffe
	s_cselect_b32 s14, s15, s14
	s_wait_alu 0xfffe
	s_sub_co_i32 s15, s14, s44
	s_cmp_ge_u32 s14, s44
	s_wait_alu 0xfffe
	s_cselect_b32 s50, s15, s14
	s_wait_alu 0xfffe
	s_mov_b64 s[14:15], s[50:51]
.LBB12_192:                             ;   in Loop: Header=BB12_7 Depth=1
	s_wait_alu 0xfffe
	s_sub_nc_u64 s[6:7], s[6:7], s[14:15]
	s_mov_b32 s14, exec_lo
                                        ; implicit-def: $vgpr42
	s_wait_alu 0xfffe
	v_cmpx_gt_i64_e64 s[6:7], v[0:1]
	s_cbranch_execz .LBB12_201
; %bb.193:                              ;   in Loop: Header=BB12_7 Depth=1
	v_dual_mov_b32 v8, v0 :: v_dual_mov_b32 v7, v1
	v_mov_b32_e32 v6, v0
	s_mov_b32 s15, 0
                                        ; implicit-def: $sgpr25
	s_branch .LBB12_196
.LBB12_194:                             ;   in Loop: Header=BB12_196 Depth=2
	s_wait_alu 0xfffe
	s_or_b32 exec_lo, exec_lo, s50
	s_wait_loadcnt_dscnt 0x0
	s_barrier_signal -1
	s_barrier_wait -1
	global_inv scope:SCOPE_SE
	ds_load_u16 v9, v3 offset:3072
	s_mov_b32 s50, -1
	s_mov_b32 s58, -1
	s_wait_loadcnt_dscnt 0x0
	s_barrier_signal -1
	s_barrier_wait -1
	global_inv scope:SCOPE_SE
	v_and_b32_e32 v10, 0xff, v9
	s_delay_alu instid0(VALU_DEP_1)
	v_cmp_eq_u32_e32 vcc_lo, 0, v10
	s_cbranch_vccnz .LBB12_199
.LBB12_195:                             ;   in Loop: Header=BB12_196 Depth=2
	s_wait_alu 0xfffe
	s_and_b32 s50, exec_lo, s50
	s_wait_alu 0xfffe
	s_or_b32 s15, s50, s15
	s_and_not1_b32 s25, s25, exec_lo
	s_and_b32 s50, s58, exec_lo
	s_wait_alu 0xfffe
	s_or_b32 s25, s25, s50
	s_and_not1_b32 exec_lo, exec_lo, s15
	s_cbranch_execz .LBB12_200
.LBB12_196:                             ;   Parent Loop BB12_7 Depth=1
                                        ; =>  This Inner Loop Header: Depth=2
	s_mov_b32 s50, exec_lo
	s_delay_alu instid0(VALU_DEP_1)
	v_cmpx_gt_u64_e64 s[12:13], v[6:7]
	s_cbranch_execz .LBB12_194
; %bb.197:                              ;   in Loop: Header=BB12_196 Depth=2
	ds_load_u8 v9, v8
	s_wait_dscnt 0x0
	v_bfe_i32 v10, v9, 0, 8
	s_delay_alu instid0(VALU_DEP_1) | instskip(NEXT) | instid1(VALU_DEP_1)
	v_add_nc_u32_e32 v10, 0x80, v10
	v_and_b32_e32 v10, v10, v41
	s_delay_alu instid0(VALU_DEP_1)
	v_cmp_eq_u32_e32 vcc_lo, v10, v20
	s_and_b32 exec_lo, exec_lo, vcc_lo
	s_cbranch_execz .LBB12_194
; %bb.198:                              ;   in Loop: Header=BB12_196 Depth=2
	v_lshlrev_b16 v9, 8, v9
	s_delay_alu instid0(VALU_DEP_1)
	v_or_b32_e32 v9, 1, v9
	ds_store_b16 v3, v9 offset:3072
	s_branch .LBB12_194
.LBB12_199:                             ;   in Loop: Header=BB12_196 Depth=2
	v_add_co_u32 v6, vcc_lo, v6, s44
	s_wait_alu 0xfffd
	v_add_co_ci_u32_e64 v7, null, 0, v7, vcc_lo
	v_add_nc_u32_e32 v8, s44, v8
	s_mov_b32 s58, 0
	s_delay_alu instid0(VALU_DEP_2)
	v_cmp_le_i64_e32 vcc_lo, s[6:7], v[6:7]
	s_or_not1_b32 s50, vcc_lo, exec_lo
	s_branch .LBB12_195
.LBB12_200:                             ;   in Loop: Header=BB12_7 Depth=1
	s_or_b32 exec_lo, exec_lo, s15
	v_and_b32_e32 v6, 0xffff, v9
	s_and_not1_b32 s6, s61, exec_lo
	s_wait_alu 0xfffe
	s_and_b32 s7, s25, exec_lo
	s_wait_alu 0xfffe
	s_or_b32 s61, s6, s7
	v_lshrrev_b32_e32 v42, 8, v6
.LBB12_201:                             ;   in Loop: Header=BB12_7 Depth=1
	s_or_b32 exec_lo, exec_lo, s14
	s_mov_b32 s25, 0
	s_mov_b32 s58, -1
.LBB12_202:                             ;   in Loop: Header=BB12_7 Depth=1
	s_wait_alu 0xfffe
	s_or_not1_b32 s6, s61, exec_lo
.LBB12_203:                             ;   in Loop: Header=BB12_7 Depth=1
	s_wait_alu 0xfffe
	s_or_b32 exec_lo, exec_lo, s60
	s_mov_b32 s7, 0
	s_and_saveexec_b32 s14, s6
	s_cbranch_execz .LBB12_261
; %bb.204:                              ;   in Loop: Header=BB12_7 Depth=1
	v_mov_b32_e32 v6, 1
	v_dual_mov_b32 v7, 0 :: v_dual_mov_b32 v2, 1
	s_xor_b32 s12, s59, -1
	s_wait_alu 0xfffe
	s_and_saveexec_b32 s6, s12
	s_cbranch_execz .LBB12_213
; %bb.205:                              ;   in Loop: Header=BB12_7 Depth=1
	s_mov_b32 s7, exec_lo
	v_cmpx_ge_i64_e64 s[10:11], v[4:5]
	s_wait_alu 0xfffe
	s_xor_b32 s7, exec_lo, s7
	s_cbranch_execz .LBB12_210
; %bb.206:                              ;   in Loop: Header=BB12_7 Depth=1
	ds_load_b64 v[6:7], v3 offset:5120
	s_lshl_b32 s12, 2, s94
	v_or_b32_e32 v41, s16, v41
	s_wait_alu 0xfffe
	v_and_or_b32 v20, v20, s20, s12
	s_wait_dscnt 0x0
	v_cmp_ne_u64_e32 vcc_lo, 0, v[6:7]
	s_cbranch_vccnz .LBB12_210
; %bb.207:                              ;   in Loop: Header=BB12_7 Depth=1
	s_and_saveexec_b32 s12, s2
; %bb.208:                              ;   in Loop: Header=BB12_7 Depth=1
	v_dual_mov_b32 v6, s10 :: v_dual_mov_b32 v7, s11
	ds_store_b64 v3, v[6:7] offset:5128
; %bb.209:                              ;   in Loop: Header=BB12_7 Depth=1
	s_wait_alu 0xfffe
	s_or_b32 exec_lo, exec_lo, s12
	s_wait_loadcnt_dscnt 0x0
	s_barrier_signal -1
	s_barrier_wait -1
	global_inv scope:SCOPE_SE
.LBB12_210:                             ;   in Loop: Header=BB12_7 Depth=1
	s_wait_alu 0xfffe
	s_or_saveexec_b32 s7, s7
	v_mov_b32_e32 v2, 8
	s_mov_b32 s12, 0
	s_wait_alu 0xfffe
	s_xor_b32 exec_lo, exec_lo, s7
; %bb.211:                              ;   in Loop: Header=BB12_7 Depth=1
	v_sub_co_u32 v4, vcc_lo, v4, s10
	s_wait_alu 0xfffd
	v_subrev_co_ci_u32_e64 v5, null, s11, v5, vcc_lo
	v_mov_b32_e32 v2, 0
	s_mov_b32 s12, exec_lo
; %bb.212:                              ;   in Loop: Header=BB12_7 Depth=1
	s_or_b32 exec_lo, exec_lo, s7
	s_delay_alu instid0(VALU_DEP_2)
	v_dual_mov_b32 v7, v5 :: v_dual_mov_b32 v6, v4
	s_wait_alu 0xfffe
	s_and_b32 s7, s12, exec_lo
.LBB12_213:                             ;   in Loop: Header=BB12_7 Depth=1
	s_wait_alu 0xfffe
	s_or_b32 exec_lo, exec_lo, s6
	s_mov_b32 s6, -1
                                        ; implicit-def: $sgpr61
                                        ; implicit-def: $sgpr60
	s_and_saveexec_b32 s15, s7
	s_cbranch_execz .LBB12_260
; %bb.214:                              ;   in Loop: Header=BB12_7 Depth=1
	v_cmp_eq_u64_e32 vcc_lo, 1, v[6:7]
	s_cmp_eq_u64 s[8:9], 1
	s_mov_b32 s7, -1
	s_cselect_b32 s6, -1, 0
                                        ; implicit-def: $sgpr61
                                        ; implicit-def: $sgpr60
	s_wait_alu 0xfffe
	s_and_b32 s20, s6, vcc_lo
	s_wait_alu 0xfffe
	s_and_saveexec_b32 s59, s20
	s_cbranch_execz .LBB12_248
; %bb.215:                              ;   in Loop: Header=BB12_7 Depth=1
	ds_load_b64 v[4:5], v3 offset:5120
	s_wait_loadcnt_dscnt 0x0
	s_barrier_signal -1
	s_barrier_wait -1
	global_inv scope:SCOPE_SE
	v_readfirstlane_b32 s10, v4
	v_readfirstlane_b32 s11, v5
	s_and_saveexec_b32 s6, s3
; %bb.216:                              ;   in Loop: Header=BB12_7 Depth=1
	ds_store_b8 v0, v3 offset:3072
; %bb.217:                              ;   in Loop: Header=BB12_7 Depth=1
	s_wait_alu 0xfffe
	s_or_b32 exec_lo, exec_lo, s6
	v_cmp_gt_i64_e64 s6, s[10:11], 0
	v_or_b32_e32 v20, s16, v20
	v_or_b32_e32 v41, s16, v41
	s_mov_b32 s60, -1
	s_mov_b32 s61, 0
	s_mov_b32 s62, 0
	s_and_b32 vcc_lo, exec_lo, s6
	s_wait_loadcnt_dscnt 0x0
	s_barrier_signal -1
	s_barrier_wait -1
	global_inv scope:SCOPE_SE
                                        ; implicit-def: $vgpr42
	s_wait_alu 0xfffe
	s_cbranch_vccnz .LBB12_233
; %bb.218:                              ;   in Loop: Header=BB12_7 Depth=1
	s_mov_b32 s6, s51
	s_mov_b32 s7, s55
	s_wait_alu 0xfffe
	s_cmp_lg_u64 s[6:7], 0
	s_cbranch_scc0 .LBB12_267
; %bb.219:                              ;   in Loop: Header=BB12_7 Depth=1
	s_add_nc_u64 s[6:7], s[44:45], 0
	s_wait_alu 0xfffe
	s_xor_b64 s[6:7], s[6:7], 0
	s_wait_alu 0xfffe
	s_cvt_f32_u32 s12, s6
	s_cvt_f32_u32 s13, s7
	s_sub_nc_u64 s[62:63], 0, s[6:7]
	s_wait_alu 0xfffe
	s_delay_alu instid0(SALU_CYCLE_1) | instskip(SKIP_1) | instid1(SALU_CYCLE_2)
	s_fmamk_f32 s12, s13, 0x4f800000, s12
	s_wait_alu 0xfffe
	v_s_rcp_f32 s12, s12
	s_delay_alu instid0(TRANS32_DEP_1) | instskip(SKIP_1) | instid1(SALU_CYCLE_2)
	s_mul_f32 s12, s12, 0x5f7ffffc
	s_wait_alu 0xfffe
	s_mul_f32 s13, s12, 0x2f800000
	s_wait_alu 0xfffe
	s_delay_alu instid0(SALU_CYCLE_2) | instskip(SKIP_1) | instid1(SALU_CYCLE_2)
	s_trunc_f32 s13, s13
	s_wait_alu 0xfffe
	s_fmamk_f32 s12, s13, 0xcf800000, s12
	s_cvt_u32_f32 s13, s13
	s_wait_alu 0xfffe
	s_delay_alu instid0(SALU_CYCLE_1) | instskip(SKIP_1) | instid1(SALU_CYCLE_2)
	s_cvt_u32_f32 s12, s12
	s_wait_alu 0xfffe
	s_mul_u64 s[64:65], s[62:63], s[12:13]
	s_wait_alu 0xfffe
	s_mul_hi_u32 s67, s12, s65
	s_mul_i32 s66, s12, s65
	s_mul_hi_u32 s50, s12, s64
	s_mul_i32 s69, s13, s64
	s_wait_alu 0xfffe
	s_add_nc_u64 s[66:67], s[50:51], s[66:67]
	s_mul_hi_u32 s68, s13, s64
	s_mul_hi_u32 s70, s13, s65
	s_wait_alu 0xfffe
	s_add_co_u32 s50, s66, s69
	s_add_co_ci_u32 s50, s67, s68
	s_mul_i32 s64, s13, s65
	s_add_co_ci_u32 s65, s70, 0
	s_wait_alu 0xfffe
	s_add_nc_u64 s[64:65], s[50:51], s[64:65]
	s_wait_alu 0xfffe
	s_add_co_u32 s12, s12, s64
	s_cselect_b32 s50, -1, 0
	s_wait_alu 0xfffe
	s_cmp_lg_u32 s50, 0
	s_add_co_ci_u32 s13, s13, s65
	s_wait_alu 0xfffe
	s_mul_u64 s[62:63], s[62:63], s[12:13]
	s_wait_alu 0xfffe
	s_mul_hi_u32 s65, s12, s63
	s_mul_i32 s64, s12, s63
	s_mul_hi_u32 s50, s12, s62
	s_mul_i32 s67, s13, s62
	s_wait_alu 0xfffe
	s_add_nc_u64 s[64:65], s[50:51], s[64:65]
	s_mul_hi_u32 s66, s13, s62
	s_mul_hi_u32 s68, s13, s63
	s_wait_alu 0xfffe
	s_add_co_u32 s50, s64, s67
	s_add_co_ci_u32 s50, s65, s66
	s_mul_i32 s62, s13, s63
	s_add_co_ci_u32 s63, s68, 0
	s_wait_alu 0xfffe
	s_add_nc_u64 s[62:63], s[50:51], s[62:63]
	s_wait_alu 0xfffe
	s_add_co_u32 s66, s12, s62
	s_cselect_b32 s12, -1, 0
	s_wait_alu 0xfffe
	s_cmp_lg_u32 s12, 0
	s_add_co_ci_u32 s67, s13, s63
	s_ashr_i32 s12, s55, 31
	s_wait_alu 0xfffe
	s_mov_b32 s13, s12
	s_wait_alu 0xfffe
	s_add_nc_u64 s[62:63], s[54:55], s[12:13]
	s_wait_alu 0xfffe
	s_xor_b64 s[62:63], s[62:63], s[12:13]
	s_wait_alu 0xfffe
	s_mul_hi_u32 s65, s62, s67
	s_mul_i32 s64, s62, s67
	s_mul_hi_u32 s50, s62, s66
	s_mul_i32 s70, s63, s66
	s_wait_alu 0xfffe
	s_add_nc_u64 s[64:65], s[50:51], s[64:65]
	s_mul_hi_u32 s69, s63, s66
	s_mul_hi_u32 s68, s63, s67
	s_wait_alu 0xfffe
	s_add_co_u32 s50, s64, s70
	s_add_co_ci_u32 s50, s65, s69
	s_mul_i32 s66, s63, s67
	s_add_co_ci_u32 s67, s68, 0
	s_wait_alu 0xfffe
	s_add_nc_u64 s[64:65], s[50:51], s[66:67]
	s_wait_alu 0xfffe
	s_mul_u64 s[64:65], s[6:7], s[64:65]
	s_wait_alu 0xfffe
	s_sub_co_u32 s50, s62, s64
	s_cselect_b32 s62, -1, 0
	s_sub_co_i32 s64, s63, s65
	s_wait_alu 0xfffe
	s_cmp_lg_u32 s62, 0
	s_sub_co_ci_u32 s64, s64, s7
	s_sub_co_u32 s66, s50, s6
	s_cselect_b32 s67, -1, 0
	s_wait_alu 0xfffe
	s_cmp_lg_u32 s67, 0
	s_sub_co_ci_u32 s68, s64, 0
	s_wait_alu 0xfffe
	s_cmp_ge_u32 s68, s7
	s_cselect_b32 s69, -1, 0
	s_cmp_ge_u32 s66, s6
	s_cselect_b32 s70, -1, 0
	s_cmp_eq_u32 s68, s7
	s_wait_alu 0xfffe
	s_cselect_b32 s69, s70, s69
	s_cmp_lg_u32 s67, 0
	s_sub_co_ci_u32 s64, s64, s7
	s_sub_co_u32 s67, s66, s6
	s_cselect_b32 s70, -1, 0
	s_wait_alu 0xfffe
	s_cmp_lg_u32 s70, 0
	s_sub_co_ci_u32 s64, s64, 0
	s_cmp_lg_u32 s69, 0
	s_cselect_b32 s66, s67, s66
	s_wait_alu 0xfffe
	s_cselect_b32 s64, s64, s68
	s_cmp_lg_u32 s62, 0
	s_sub_co_ci_u32 s62, s63, s65
	s_wait_alu 0xfffe
	s_cmp_ge_u32 s62, s7
	s_cselect_b32 s63, -1, 0
	s_cmp_ge_u32 s50, s6
	s_cselect_b32 s6, -1, 0
	s_cmp_eq_u32 s62, s7
	s_wait_alu 0xfffe
	s_cselect_b32 s6, s6, s63
	s_wait_alu 0xfffe
	s_cmp_lg_u32 s6, 0
	s_cselect_b32 s7, s64, s62
	s_cselect_b32 s6, s66, s50
	s_wait_alu 0xfffe
	s_xor_b64 s[6:7], s[6:7], s[12:13]
	s_wait_alu 0xfffe
	s_sub_nc_u64 s[6:7], s[6:7], s[12:13]
	s_cbranch_execnz .LBB12_221
.LBB12_220:                             ;   in Loop: Header=BB12_7 Depth=1
	v_cvt_f32_u32_e32 v4, s44
	s_sub_co_i32 s7, 0, s44
	s_delay_alu instid0(VALU_DEP_1) | instskip(NEXT) | instid1(TRANS32_DEP_1)
	v_rcp_iflag_f32_e32 v4, v4
	v_mul_f32_e32 v4, 0x4f7ffffe, v4
	s_delay_alu instid0(VALU_DEP_1) | instskip(NEXT) | instid1(VALU_DEP_1)
	v_cvt_u32_f32_e32 v4, v4
	v_readfirstlane_b32 s6, v4
	s_wait_alu 0xfffe
	s_mul_i32 s7, s7, s6
	s_wait_alu 0xfffe
	s_mul_hi_u32 s7, s6, s7
	s_wait_alu 0xfffe
	s_add_co_i32 s6, s6, s7
	s_wait_alu 0xfffe
	s_mul_hi_u32 s6, s54, s6
	s_wait_alu 0xfffe
	s_mul_i32 s6, s6, s44
	s_wait_alu 0xfffe
	s_sub_co_i32 s6, s54, s6
	s_wait_alu 0xfffe
	s_sub_co_i32 s7, s6, s44
	s_cmp_ge_u32 s6, s44
	s_wait_alu 0xfffe
	s_cselect_b32 s6, s7, s6
	s_wait_alu 0xfffe
	s_sub_co_i32 s7, s6, s44
	s_cmp_ge_u32 s6, s44
	s_wait_alu 0xfffe
	s_cselect_b32 s50, s7, s6
	s_wait_alu 0xfffe
	s_mov_b64 s[6:7], s[50:51]
.LBB12_221:                             ;   in Loop: Header=BB12_7 Depth=1
	s_wait_alu 0xfffe
	s_sub_nc_u64 s[12:13], s[54:55], s[6:7]
	s_mov_b32 s7, 0
	s_mov_b32 s62, 0
	s_mov_b32 s50, exec_lo
                                        ; implicit-def: $vgpr42
	s_wait_alu 0xfffe
	v_cmpx_gt_i64_e64 s[12:13], v[0:1]
	s_cbranch_execz .LBB12_232
; %bb.222:                              ;   in Loop: Header=BB12_7 Depth=1
	v_dual_mov_b32 v4, v12 :: v_dual_mov_b32 v5, v13
	v_dual_mov_b32 v9, v1 :: v_dual_mov_b32 v8, v0
                                        ; implicit-def: $sgpr63
	s_branch .LBB12_225
.LBB12_223:                             ;   in Loop: Header=BB12_225 Depth=2
	s_wait_alu 0xfffe
	s_or_b32 exec_lo, exec_lo, s6
	s_wait_loadcnt_dscnt 0x0
	s_barrier_signal -1
	s_barrier_wait -1
	global_inv scope:SCOPE_SE
	ds_load_u16 v10, v3 offset:3072
	s_mov_b32 s6, -1
	s_mov_b32 s64, -1
	s_wait_loadcnt_dscnt 0x0
	s_barrier_signal -1
	s_barrier_wait -1
	global_inv scope:SCOPE_SE
	v_and_b32_e32 v11, 0xff, v10
	s_delay_alu instid0(VALU_DEP_1)
	v_cmp_ne_u32_e32 vcc_lo, 0, v11
	s_cbranch_vccz .LBB12_228
.LBB12_224:                             ;   in Loop: Header=BB12_225 Depth=2
	s_wait_alu 0xfffe
	s_and_b32 s6, exec_lo, s6
	s_wait_alu 0xfffe
	s_or_b32 s62, s6, s62
	s_and_not1_b32 s6, s63, exec_lo
	s_and_b32 s63, s64, exec_lo
	s_wait_alu 0xfffe
	s_or_b32 s63, s6, s63
	s_and_not1_b32 exec_lo, exec_lo, s62
	s_cbranch_execz .LBB12_231
.LBB12_225:                             ;   Parent Loop BB12_7 Depth=1
                                        ; =>  This Inner Loop Header: Depth=2
	s_mov_b32 s6, exec_lo
	s_delay_alu instid0(VALU_DEP_1)
	v_cmpx_gt_i64_e64 s[36:37], v[8:9]
	s_cbranch_execz .LBB12_223
; %bb.226:                              ;   in Loop: Header=BB12_225 Depth=2
	global_load_u8 v10, v[4:5], off
	s_wait_loadcnt 0x0
	v_bfe_i32 v11, v10, 0, 8
	s_delay_alu instid0(VALU_DEP_1) | instskip(NEXT) | instid1(VALU_DEP_1)
	v_add_nc_u32_e32 v11, 0x80, v11
	v_and_b32_e32 v11, v11, v41
	s_delay_alu instid0(VALU_DEP_1)
	v_cmp_eq_u32_e32 vcc_lo, v11, v20
	s_and_b32 exec_lo, exec_lo, vcc_lo
	s_cbranch_execz .LBB12_223
; %bb.227:                              ;   in Loop: Header=BB12_225 Depth=2
	v_lshlrev_b16 v10, 8, v10
	s_delay_alu instid0(VALU_DEP_1)
	v_or_b32_e32 v10, 1, v10
	ds_store_b16 v3, v10 offset:3072
	s_branch .LBB12_223
.LBB12_228:                             ;   in Loop: Header=BB12_225 Depth=2
	v_add_co_u32 v8, vcc_lo, v8, s44
	s_wait_alu 0xfffd
	v_add_co_ci_u32_e64 v9, null, 0, v9, vcc_lo
	v_add_co_u32 v4, s6, v4, s46
	s_wait_alu 0xf1fe
	v_add_co_ci_u32_e64 v5, null, s47, v5, s6
	s_delay_alu instid0(VALU_DEP_3)
	v_cmp_le_i64_e32 vcc_lo, s[12:13], v[8:9]
	s_mov_b32 s64, 0
	s_or_not1_b32 s6, vcc_lo, exec_lo
	s_branch .LBB12_224
.LBB12_229:                             ;   in Loop: Header=BB12_7 Depth=1
                                        ; implicit-def: $sgpr6_sgpr7
	s_branch .LBB12_175
.LBB12_230:                             ;   in Loop: Header=BB12_7 Depth=1
                                        ; implicit-def: $sgpr14_sgpr15
	s_branch .LBB12_191
.LBB12_231:                             ;   in Loop: Header=BB12_7 Depth=1
	s_or_b32 exec_lo, exec_lo, s62
	v_and_b32_e32 v4, 0xffff, v10
	s_wait_alu 0xfffe
	s_and_b32 s62, s63, exec_lo
	s_delay_alu instid0(VALU_DEP_1)
	v_lshrrev_b32_e32 v42, 8, v4
.LBB12_232:                             ;   in Loop: Header=BB12_7 Depth=1
	s_or_b32 exec_lo, exec_lo, s50
.LBB12_233:                             ;   in Loop: Header=BB12_7 Depth=1
	s_delay_alu instid0(SALU_CYCLE_1)
	s_and_b32 vcc_lo, exec_lo, s7
	s_wait_alu 0xfffe
	s_cbranch_vccz .LBB12_247
; %bb.234:                              ;   in Loop: Header=BB12_7 Depth=1
	s_add_nc_u64 s[6:7], s[10:11], s[52:53]
	s_mov_b32 s12, s51
	s_wait_alu 0xfffe
	s_mov_b32 s13, s7
	s_wait_alu 0xfffe
	s_cmp_lg_u64 s[12:13], 0
	s_cbranch_scc0 .LBB12_268
; %bb.235:                              ;   in Loop: Header=BB12_7 Depth=1
	s_add_nc_u64 s[12:13], s[44:45], 0
	s_wait_alu 0xfffe
	s_xor_b64 s[12:13], s[12:13], 0
	s_wait_alu 0xfffe
	s_cvt_f32_u32 s50, s12
	s_cvt_f32_u32 s60, s13
	s_sub_nc_u64 s[64:65], 0, s[12:13]
	s_wait_alu 0xfffe
	s_delay_alu instid0(SALU_CYCLE_1) | instskip(SKIP_1) | instid1(SALU_CYCLE_2)
	s_fmamk_f32 s50, s60, 0x4f800000, s50
	s_wait_alu 0xfffe
	v_s_rcp_f32 s50, s50
	s_delay_alu instid0(TRANS32_DEP_1) | instskip(SKIP_1) | instid1(SALU_CYCLE_2)
	s_mul_f32 s50, s50, 0x5f7ffffc
	s_wait_alu 0xfffe
	s_mul_f32 s60, s50, 0x2f800000
	s_wait_alu 0xfffe
	s_delay_alu instid0(SALU_CYCLE_2) | instskip(SKIP_1) | instid1(SALU_CYCLE_2)
	s_trunc_f32 s60, s60
	s_wait_alu 0xfffe
	s_fmamk_f32 s50, s60, 0xcf800000, s50
	s_cvt_u32_f32 s61, s60
	s_wait_alu 0xfffe
	s_delay_alu instid0(SALU_CYCLE_1) | instskip(SKIP_1) | instid1(SALU_CYCLE_2)
	s_cvt_u32_f32 s60, s50
	s_wait_alu 0xfffe
	s_mul_u64 s[66:67], s[64:65], s[60:61]
	s_wait_alu 0xfffe
	s_mul_hi_u32 s69, s60, s67
	s_mul_i32 s68, s60, s67
	s_mul_hi_u32 s50, s60, s66
	s_mul_i32 s70, s61, s66
	s_wait_alu 0xfffe
	s_add_nc_u64 s[68:69], s[50:51], s[68:69]
	s_mul_hi_u32 s63, s61, s66
	s_mul_hi_u32 s71, s61, s67
	s_wait_alu 0xfffe
	s_add_co_u32 s50, s68, s70
	s_add_co_ci_u32 s50, s69, s63
	s_mul_i32 s66, s61, s67
	s_add_co_ci_u32 s67, s71, 0
	s_wait_alu 0xfffe
	s_add_nc_u64 s[66:67], s[50:51], s[66:67]
	s_wait_alu 0xfffe
	s_add_co_u32 s60, s60, s66
	s_cselect_b32 s50, -1, 0
	s_wait_alu 0xfffe
	s_cmp_lg_u32 s50, 0
	s_add_co_ci_u32 s61, s61, s67
	s_wait_alu 0xfffe
	s_mul_u64 s[64:65], s[64:65], s[60:61]
	s_wait_alu 0xfffe
	s_mul_hi_u32 s67, s60, s65
	s_mul_i32 s66, s60, s65
	s_mul_hi_u32 s50, s60, s64
	s_mul_i32 s68, s61, s64
	s_wait_alu 0xfffe
	s_add_nc_u64 s[66:67], s[50:51], s[66:67]
	s_mul_hi_u32 s63, s61, s64
	s_mul_hi_u32 s69, s61, s65
	s_wait_alu 0xfffe
	s_add_co_u32 s50, s66, s68
	s_add_co_ci_u32 s50, s67, s63
	s_mul_i32 s64, s61, s65
	s_add_co_ci_u32 s65, s69, 0
	s_wait_alu 0xfffe
	s_add_nc_u64 s[64:65], s[50:51], s[64:65]
	s_wait_alu 0xfffe
	s_add_co_u32 s63, s60, s64
	s_cselect_b32 s50, -1, 0
	s_wait_alu 0xfffe
	s_cmp_lg_u32 s50, 0
	s_add_co_ci_u32 s68, s61, s65
	s_ashr_i32 s60, s7, 31
	s_wait_alu 0xfffe
	s_mov_b32 s61, s60
	s_wait_alu 0xfffe
	s_add_nc_u64 s[64:65], s[6:7], s[60:61]
	s_wait_alu 0xfffe
	s_xor_b64 s[64:65], s[64:65], s[60:61]
	s_wait_alu 0xfffe
	s_mul_hi_u32 s67, s64, s68
	s_mul_i32 s66, s64, s68
	s_mul_hi_u32 s50, s64, s63
	s_mul_hi_u32 s70, s65, s63
	s_mul_i32 s63, s65, s63
	s_wait_alu 0xfffe
	s_add_nc_u64 s[66:67], s[50:51], s[66:67]
	s_mul_hi_u32 s69, s65, s68
	s_wait_alu 0xfffe
	s_add_co_u32 s50, s66, s63
	s_add_co_ci_u32 s50, s67, s70
	s_mul_i32 s68, s65, s68
	s_add_co_ci_u32 s69, s69, 0
	s_wait_alu 0xfffe
	s_add_nc_u64 s[66:67], s[50:51], s[68:69]
	s_wait_alu 0xfffe
	s_mul_u64 s[66:67], s[12:13], s[66:67]
	s_wait_alu 0xfffe
	s_sub_co_u32 s50, s64, s66
	s_cselect_b32 s63, -1, 0
	s_sub_co_i32 s64, s65, s67
	s_wait_alu 0xfffe
	s_cmp_lg_u32 s63, 0
	s_sub_co_ci_u32 s64, s64, s13
	s_sub_co_u32 s66, s50, s12
	s_cselect_b32 s68, -1, 0
	s_wait_alu 0xfffe
	s_cmp_lg_u32 s68, 0
	s_sub_co_ci_u32 s69, s64, 0
	s_wait_alu 0xfffe
	s_cmp_ge_u32 s69, s13
	s_cselect_b32 s70, -1, 0
	s_cmp_ge_u32 s66, s12
	s_cselect_b32 s71, -1, 0
	s_cmp_eq_u32 s69, s13
	s_wait_alu 0xfffe
	s_cselect_b32 s70, s71, s70
	s_cmp_lg_u32 s68, 0
	s_sub_co_ci_u32 s64, s64, s13
	s_sub_co_u32 s68, s66, s12
	s_cselect_b32 s71, -1, 0
	s_wait_alu 0xfffe
	s_cmp_lg_u32 s71, 0
	s_sub_co_ci_u32 s64, s64, 0
	s_cmp_lg_u32 s70, 0
	s_cselect_b32 s66, s68, s66
	s_wait_alu 0xfffe
	s_cselect_b32 s64, s64, s69
	s_cmp_lg_u32 s63, 0
	s_sub_co_ci_u32 s63, s65, s67
	s_wait_alu 0xfffe
	s_cmp_ge_u32 s63, s13
	s_cselect_b32 s65, -1, 0
	s_cmp_ge_u32 s50, s12
	s_cselect_b32 s12, -1, 0
	s_cmp_eq_u32 s63, s13
	s_wait_alu 0xfffe
	s_cselect_b32 s12, s12, s65
	s_wait_alu 0xfffe
	s_cmp_lg_u32 s12, 0
	s_cselect_b32 s13, s64, s63
	s_cselect_b32 s12, s66, s50
	s_wait_alu 0xfffe
	s_xor_b64 s[12:13], s[12:13], s[60:61]
	s_wait_alu 0xfffe
	s_sub_nc_u64 s[12:13], s[12:13], s[60:61]
	s_cbranch_execnz .LBB12_237
.LBB12_236:                             ;   in Loop: Header=BB12_7 Depth=1
	v_cvt_f32_u32_e32 v4, s44
	s_sub_co_i32 s13, 0, s44
	s_delay_alu instid0(VALU_DEP_1) | instskip(NEXT) | instid1(TRANS32_DEP_1)
	v_rcp_iflag_f32_e32 v4, v4
	v_mul_f32_e32 v4, 0x4f7ffffe, v4
	s_delay_alu instid0(VALU_DEP_1) | instskip(NEXT) | instid1(VALU_DEP_1)
	v_cvt_u32_f32_e32 v4, v4
	v_readfirstlane_b32 s12, v4
	s_wait_alu 0xfffe
	s_mul_i32 s13, s13, s12
	s_wait_alu 0xfffe
	s_mul_hi_u32 s13, s12, s13
	s_wait_alu 0xfffe
	s_add_co_i32 s12, s12, s13
	s_wait_alu 0xfffe
	s_mul_hi_u32 s12, s6, s12
	s_wait_alu 0xfffe
	s_mul_i32 s12, s12, s44
	s_wait_alu 0xfffe
	s_sub_co_i32 s12, s6, s12
	s_wait_alu 0xfffe
	s_sub_co_i32 s13, s12, s44
	s_cmp_ge_u32 s12, s44
	s_wait_alu 0xfffe
	s_cselect_b32 s12, s13, s12
	s_wait_alu 0xfffe
	s_sub_co_i32 s13, s12, s44
	s_cmp_ge_u32 s12, s44
	s_wait_alu 0xfffe
	s_cselect_b32 s50, s13, s12
	s_wait_alu 0xfffe
	s_mov_b64 s[12:13], s[50:51]
.LBB12_237:                             ;   in Loop: Header=BB12_7 Depth=1
	s_wait_alu 0xfffe
	s_sub_nc_u64 s[6:7], s[6:7], s[12:13]
	s_mov_b32 s12, exec_lo
                                        ; implicit-def: $vgpr42
	s_wait_alu 0xfffe
	v_cmpx_gt_i64_e64 s[6:7], v[0:1]
	s_cbranch_execz .LBB12_246
; %bb.238:                              ;   in Loop: Header=BB12_7 Depth=1
	v_dual_mov_b32 v8, v0 :: v_dual_mov_b32 v5, v1
	v_mov_b32_e32 v4, v0
	s_mov_b32 s13, 0
                                        ; implicit-def: $sgpr50
	s_branch .LBB12_241
.LBB12_239:                             ;   in Loop: Header=BB12_241 Depth=2
	s_wait_alu 0xfffe
	s_or_b32 exec_lo, exec_lo, s60
	s_wait_loadcnt_dscnt 0x0
	s_barrier_signal -1
	s_barrier_wait -1
	global_inv scope:SCOPE_SE
	ds_load_u16 v9, v3 offset:3072
	s_mov_b32 s60, -1
	s_mov_b32 s61, -1
	s_wait_loadcnt_dscnt 0x0
	s_barrier_signal -1
	s_barrier_wait -1
	global_inv scope:SCOPE_SE
	v_and_b32_e32 v10, 0xff, v9
	s_delay_alu instid0(VALU_DEP_1)
	v_cmp_eq_u32_e32 vcc_lo, 0, v10
	s_cbranch_vccnz .LBB12_244
.LBB12_240:                             ;   in Loop: Header=BB12_241 Depth=2
	s_wait_alu 0xfffe
	s_and_b32 s60, exec_lo, s60
	s_wait_alu 0xfffe
	s_or_b32 s13, s60, s13
	s_and_not1_b32 s50, s50, exec_lo
	s_and_b32 s60, s61, exec_lo
	s_wait_alu 0xfffe
	s_or_b32 s50, s50, s60
	s_and_not1_b32 exec_lo, exec_lo, s13
	s_cbranch_execz .LBB12_245
.LBB12_241:                             ;   Parent Loop BB12_7 Depth=1
                                        ; =>  This Inner Loop Header: Depth=2
	s_mov_b32 s60, exec_lo
	s_delay_alu instid0(VALU_DEP_1)
	v_cmpx_gt_u64_e64 s[10:11], v[4:5]
	s_cbranch_execz .LBB12_239
; %bb.242:                              ;   in Loop: Header=BB12_241 Depth=2
	ds_load_u8 v9, v8
	s_wait_dscnt 0x0
	v_bfe_i32 v10, v9, 0, 8
	s_delay_alu instid0(VALU_DEP_1) | instskip(NEXT) | instid1(VALU_DEP_1)
	v_add_nc_u32_e32 v10, 0x80, v10
	v_and_b32_e32 v10, v10, v41
	s_delay_alu instid0(VALU_DEP_1)
	v_cmp_eq_u32_e32 vcc_lo, v10, v20
	s_and_b32 exec_lo, exec_lo, vcc_lo
	s_cbranch_execz .LBB12_239
; %bb.243:                              ;   in Loop: Header=BB12_241 Depth=2
	v_lshlrev_b16 v9, 8, v9
	s_delay_alu instid0(VALU_DEP_1)
	v_or_b32_e32 v9, 1, v9
	ds_store_b16 v3, v9 offset:3072
	s_branch .LBB12_239
.LBB12_244:                             ;   in Loop: Header=BB12_241 Depth=2
	v_add_co_u32 v4, vcc_lo, v4, s44
	s_wait_alu 0xfffd
	v_add_co_ci_u32_e64 v5, null, 0, v5, vcc_lo
	v_add_nc_u32_e32 v8, s44, v8
	s_mov_b32 s61, 0
	s_delay_alu instid0(VALU_DEP_2)
	v_cmp_le_i64_e32 vcc_lo, s[6:7], v[4:5]
	s_or_not1_b32 s60, vcc_lo, exec_lo
	s_branch .LBB12_240
.LBB12_245:                             ;   in Loop: Header=BB12_7 Depth=1
	s_or_b32 exec_lo, exec_lo, s13
	v_and_b32_e32 v4, 0xffff, v9
	s_and_not1_b32 s6, s62, exec_lo
	s_wait_alu 0xfffe
	s_and_b32 s7, s50, exec_lo
	s_wait_alu 0xfffe
	s_or_b32 s62, s6, s7
	v_lshrrev_b32_e32 v42, 8, v4
.LBB12_246:                             ;   in Loop: Header=BB12_7 Depth=1
	s_or_b32 exec_lo, exec_lo, s12
	s_mov_b32 s60, 0
	s_mov_b32 s61, -1
.LBB12_247:                             ;   in Loop: Header=BB12_7 Depth=1
	s_wait_alu 0xfffe
	s_or_not1_b32 s7, s62, exec_lo
.LBB12_248:                             ;   in Loop: Header=BB12_7 Depth=1
	s_wait_alu 0xfffe
	s_or_b32 exec_lo, exec_lo, s59
	s_mov_b32 s10, 0
	s_and_saveexec_b32 s6, s7
	s_cbranch_execz .LBB12_259
; %bb.249:                              ;   in Loop: Header=BB12_7 Depth=1
	v_mov_b32_e32 v4, 1
	v_dual_mov_b32 v5, 0 :: v_dual_mov_b32 v2, 1
	s_xor_b32 s10, s20, -1
	s_wait_alu 0xfffe
	s_and_saveexec_b32 s7, s10
	s_cbranch_execz .LBB12_258
; %bb.250:                              ;   in Loop: Header=BB12_7 Depth=1
	s_mov_b32 s10, exec_lo
	v_cmpx_ge_i64_e64 s[8:9], v[6:7]
	s_wait_alu 0xfffe
	s_xor_b32 s10, exec_lo, s10
	s_cbranch_execz .LBB12_255
; %bb.251:                              ;   in Loop: Header=BB12_7 Depth=1
	ds_load_b64 v[4:5], v3 offset:5120
	v_or_b32_e32 v20, s16, v20
	v_or_b32_e32 v41, s16, v41
	s_wait_dscnt 0x0
	v_cmp_ne_u64_e32 vcc_lo, 0, v[4:5]
	s_cbranch_vccnz .LBB12_255
; %bb.252:                              ;   in Loop: Header=BB12_7 Depth=1
	s_and_saveexec_b32 s11, s2
; %bb.253:                              ;   in Loop: Header=BB12_7 Depth=1
	v_dual_mov_b32 v4, s8 :: v_dual_mov_b32 v5, s9
	ds_store_b64 v3, v[4:5] offset:5128
; %bb.254:                              ;   in Loop: Header=BB12_7 Depth=1
	s_wait_alu 0xfffe
	s_or_b32 exec_lo, exec_lo, s11
	s_wait_loadcnt_dscnt 0x0
	s_barrier_signal -1
	s_barrier_wait -1
	global_inv scope:SCOPE_SE
.LBB12_255:                             ;   in Loop: Header=BB12_7 Depth=1
	s_wait_alu 0xfffe
	s_and_not1_saveexec_b32 s10, s10
; %bb.256:                              ;   in Loop: Header=BB12_7 Depth=1
	v_sub_co_u32 v6, vcc_lo, v6, s8
	s_wait_alu 0xfffd
	v_subrev_co_ci_u32_e64 v7, null, s9, v7, vcc_lo
; %bb.257:                              ;   in Loop: Header=BB12_7 Depth=1
	s_wait_alu 0xfffe
	s_or_b32 exec_lo, exec_lo, s10
	v_mov_b32_e32 v4, v6
	s_delay_alu instid0(VALU_DEP_2)
	v_dual_mov_b32 v2, 8 :: v_dual_mov_b32 v5, v7
.LBB12_258:                             ;   in Loop: Header=BB12_7 Depth=1
	s_wait_alu 0xfffe
	s_or_b32 exec_lo, exec_lo, s7
	s_delay_alu instid0(VALU_DEP_1)
	v_dual_mov_b32 v7, v5 :: v_dual_mov_b32 v6, v4
	s_mov_b32 s10, exec_lo
.LBB12_259:                             ;   in Loop: Header=BB12_7 Depth=1
	s_wait_alu 0xfffe
	s_or_b32 exec_lo, exec_lo, s6
	s_delay_alu instid0(SALU_CYCLE_1)
	s_or_not1_b32 s6, s10, exec_lo
.LBB12_260:                             ;   in Loop: Header=BB12_7 Depth=1
	s_wait_alu 0xfffe
	s_or_b32 exec_lo, exec_lo, s15
	v_dual_mov_b32 v4, v6 :: v_dual_mov_b32 v5, v7
	s_and_not1_b32 s7, s58, exec_lo
	s_and_b32 s8, s61, exec_lo
	s_and_not1_b32 s9, s25, exec_lo
	s_and_b32 s10, s60, exec_lo
	s_wait_alu 0xfffe
	s_or_b32 s58, s7, s8
	s_or_b32 s25, s9, s10
	s_and_b32 s7, s6, exec_lo
.LBB12_261:                             ;   in Loop: Header=BB12_7 Depth=1
	s_wait_alu 0xfffe
	s_or_b32 exec_lo, exec_lo, s14
	s_delay_alu instid0(SALU_CYCLE_1)
	s_or_not1_b32 s6, s7, exec_lo
.LBB12_262:                             ;   in Loop: Header=BB12_7 Depth=1
	s_wait_alu 0xfffe
	s_or_b32 exec_lo, exec_lo, s24
	v_dual_mov_b32 v9, v5 :: v_dual_mov_b32 v8, v4
	s_and_not1_b32 s7, s22, exec_lo
	s_and_b32 s8, s58, exec_lo
	s_and_not1_b32 s9, s21, exec_lo
	s_and_b32 s10, s25, exec_lo
	s_wait_alu 0xfffe
	s_or_b32 s22, s7, s8
	s_or_b32 s21, s9, s10
	s_and_b32 s7, s6, exec_lo
.LBB12_263:                             ;   in Loop: Header=BB12_7 Depth=1
	s_or_b32 exec_lo, exec_lo, s23
	s_wait_alu 0xfffe
	s_or_not1_b32 s6, s7, exec_lo
.LBB12_264:                             ;   in Loop: Header=BB12_7 Depth=1
	s_or_b32 exec_lo, exec_lo, s19
	s_mov_b32 s7, 0
	s_wait_alu 0xfffe
	s_and_saveexec_b32 s8, s6
	s_wait_alu 0xfffe
	s_xor_b32 s6, exec_lo, s8
	s_cbranch_execz .LBB12_5
; %bb.265:                              ;   in Loop: Header=BB12_7 Depth=1
	v_and_b32_e32 v2, 7, v2
	s_mov_b32 s8, -1
	s_mov_b32 s7, -1
	s_mov_b32 s9, exec_lo
	s_delay_alu instid0(VALU_DEP_1)
	v_cmpx_eq_u32_e32 0, v2
	s_cbranch_execz .LBB12_4
; %bb.266:                              ;   in Loop: Header=BB12_7 Depth=1
	s_xor_b32 s96, s96, 1
	s_add_co_i32 s10, s94, -2
	s_cmp_eq_u32 s94, 0
	s_wait_alu 0xfffe
	s_mov_b32 s94, s10
	s_cselect_b32 s8, -1, 0
	s_xor_b32 s7, exec_lo, -1
	s_wait_alu 0xfffe
	s_or_not1_b32 s8, s8, exec_lo
	s_branch .LBB12_4
.LBB12_267:                             ;   in Loop: Header=BB12_7 Depth=1
                                        ; implicit-def: $sgpr6_sgpr7
	s_branch .LBB12_220
.LBB12_268:                             ;   in Loop: Header=BB12_7 Depth=1
                                        ; implicit-def: $sgpr12_sgpr13
	s_branch .LBB12_236
.LBB12_269:
	s_or_b32 exec_lo, exec_lo, s95
	s_xor_b32 s5, s102, -1
	s_xor_b32 s1, s100, -1
	;; [unrolled: 1-line block ×3, first 2 shown]
	s_mov_b32 s3, 0
	s_and_saveexec_b32 s6, s1
	s_wait_alu 0xfffe
	s_xor_b32 s1, exec_lo, s6
	s_cbranch_execnz .LBB12_274
; %bb.270:
	s_and_not1_saveexec_b32 s0, s1
	s_cbranch_execnz .LBB12_296
.LBB12_271:
	s_wait_alu 0xfffe
	s_or_b32 exec_lo, exec_lo, s0
	s_and_saveexec_b32 s0, s3
.LBB12_272:
	; divergent unreachable
.LBB12_273:
	s_endpgm
.LBB12_274:
	s_and_saveexec_b32 s3, s5
	s_delay_alu instid0(SALU_CYCLE_1)
	s_xor_b32 s3, exec_lo, s3
	s_cbranch_execz .LBB12_294
; %bb.275:
	s_and_saveexec_b32 s5, s4
	s_wait_alu 0xfffe
	s_xor_b32 s4, exec_lo, s5
; %bb.276:
	v_xor_b32_e32 v42, 0xffffff80, v20
; %bb.277:
	s_wait_alu 0xfffe
	s_or_b32 exec_lo, exec_lo, s4
	s_and_saveexec_b32 s4, s2
; %bb.278:
	v_dual_mov_b32 v2, 0 :: v_dual_mov_b32 v3, s36
	ds_store_b32 v2, v3 offset:5140
; %bb.279:
	s_wait_alu 0xfffe
	s_or_b32 exec_lo, exec_lo, s4
	s_wait_loadcnt_dscnt 0x0
	s_barrier_signal -1
	s_barrier_wait -1
	global_inv scope:SCOPE_SE
	s_and_saveexec_b32 s4, s0
	s_cbranch_execz .LBB12_291
; %bb.280:
	v_mov_b32_e32 v2, 0
	v_and_b32_e32 v6, 0xff, v42
	s_mov_b32 s5, 0
                                        ; implicit-def: $sgpr6
                                        ; implicit-def: $sgpr7
                                        ; implicit-def: $sgpr8
	ds_load_b32 v4, v2 offset:5140
	s_wait_dscnt 0x0
	v_ashrrev_i32_e32 v5, 31, v4
	s_branch .LBB12_283
.LBB12_281:                             ;   in Loop: Header=BB12_283 Depth=1
	s_wait_alu 0xfffe
	s_or_b32 exec_lo, exec_lo, s11
	s_delay_alu instid0(SALU_CYCLE_1)
	s_and_not1_b32 s8, s8, exec_lo
	s_and_b32 s10, s10, exec_lo
	s_and_not1_b32 s7, s7, exec_lo
	s_and_b32 s0, s0, exec_lo
	s_wait_alu 0xfffe
	s_or_b32 s8, s8, s10
	s_or_b32 s7, s7, s0
.LBB12_282:                             ;   in Loop: Header=BB12_283 Depth=1
	s_wait_alu 0xfffe
	s_or_b32 exec_lo, exec_lo, s9
	s_delay_alu instid0(SALU_CYCLE_1)
	s_and_b32 s0, exec_lo, s7
	s_wait_alu 0xfffe
	s_or_b32 s5, s0, s5
	s_and_not1_b32 s0, s6, exec_lo
	s_and_b32 s6, s8, exec_lo
	s_wait_alu 0xfffe
	s_or_b32 s6, s0, s6
	s_and_not1_b32 exec_lo, exec_lo, s5
	s_cbranch_execz .LBB12_286
.LBB12_283:                             ; =>This Inner Loop Header: Depth=1
	v_dual_mov_b32 v3, v1 :: v_dual_mov_b32 v2, v0
	s_or_b32 s8, s8, exec_lo
	s_or_b32 s7, s7, exec_lo
	s_mov_b32 s9, exec_lo
                                        ; implicit-def: $vgpr0_vgpr1
	s_delay_alu instid0(VALU_DEP_1)
	v_cmpx_lt_i64_e64 v[2:3], v[4:5]
	s_cbranch_execz .LBB12_282
; %bb.284:                              ;   in Loop: Header=BB12_283 Depth=1
	global_load_u8 v0, v[12:13], off
	s_mov_b32 s0, -1
	s_mov_b32 s10, 0
	s_wait_loadcnt 0x0
	v_cmp_ne_u16_e32 vcc_lo, v0, v6
                                        ; implicit-def: $vgpr0_vgpr1
	s_and_saveexec_b32 s11, vcc_lo
	s_cbranch_execz .LBB12_281
; %bb.285:                              ;   in Loop: Header=BB12_283 Depth=1
	v_add_co_u32 v0, vcc_lo, v2, s44
	s_wait_alu 0xfffd
	v_add_co_ci_u32_e64 v1, null, 0, v3, vcc_lo
	v_add_co_u32 v12, s0, v12, s46
	s_wait_alu 0xf1fe
	v_add_co_ci_u32_e64 v13, null, s47, v13, s0
	s_delay_alu instid0(VALU_DEP_3)
	v_cmp_le_i64_e32 vcc_lo, s[36:37], v[0:1]
	s_mov_b32 s10, exec_lo
	s_or_not1_b32 s0, vcc_lo, exec_lo
	s_branch .LBB12_281
.LBB12_286:
	s_or_b32 exec_lo, exec_lo, s5
	s_wait_alu 0xfffe
	s_xor_b32 s0, s6, -1
	s_wait_alu 0xfffe
	s_and_saveexec_b32 s5, s0
	s_wait_alu 0xfffe
	s_xor_b32 s5, exec_lo, s5
	s_cbranch_execz .LBB12_291
; %bb.287:
	s_mov_b32 s5, exec_lo
	s_brev_b32 s0, -2
.LBB12_288:                             ; =>This Inner Loop Header: Depth=1
	s_wait_alu 0xfffe
	s_ctz_i32_b32 s6, s5
	s_wait_alu 0xfffe
	v_readlane_b32 s7, v2, s6
	s_lshl_b32 s6, 1, s6
	s_wait_alu 0xfffe
	s_and_not1_b32 s5, s5, s6
	s_min_i32 s0, s0, s7
	s_wait_alu 0xfffe
	s_cmp_lg_u32 s5, 0
	s_cbranch_scc1 .LBB12_288
; %bb.289:
	v_mbcnt_lo_u32_b32 v0, exec_lo, 0
	s_mov_b32 s5, exec_lo
	s_delay_alu instid0(VALU_DEP_1)
	v_cmpx_eq_u32_e32 0, v0
	s_wait_alu 0xfffe
	s_xor_b32 s5, exec_lo, s5
; %bb.290:
	v_dual_mov_b32 v0, 0 :: v_dual_mov_b32 v1, s0
	ds_min_i32 v0, v1 offset:5140
.LBB12_291:
	s_wait_alu 0xfffe
	s_or_b32 exec_lo, exec_lo, s4
	s_wait_loadcnt_dscnt 0x0
	s_barrier_signal -1
	s_barrier_wait -1
	global_inv scope:SCOPE_SE
	s_and_saveexec_b32 s0, s2
	s_cbranch_execz .LBB12_293
; %bb.292:
	v_mov_b32_e32 v2, 0
	s_mul_u64 s[4:5], s[40:41], s[26:27]
	s_mul_u64 s[6:7], s[34:35], s[26:27]
	s_wait_alu 0xfffe
	s_lshl_b64 s[4:5], s[4:5], 3
	s_add_nc_u64 s[6:7], s[30:31], s[6:7]
	ds_load_b32 v0, v2 offset:5140
	s_wait_alu 0xfffe
	s_add_nc_u64 s[4:5], s[28:29], s[4:5]
	s_wait_dscnt 0x0
	v_ashrrev_i32_e32 v1, 31, v0
	s_clause 0x1
	global_store_b64 v2, v[0:1], s[4:5]
	global_store_b8 v2, v42, s[6:7]
.LBB12_293:
	s_wait_alu 0xfffe
	s_or_b32 exec_lo, exec_lo, s0
.LBB12_294:
	s_or_saveexec_b32 s0, s3
	s_mov_b32 s2, 0
	s_wait_alu 0xfffe
	s_xor_b32 exec_lo, exec_lo, s0
	s_cbranch_execnz .LBB12_297
.LBB12_295:
	s_or_b32 exec_lo, exec_lo, s0
	s_delay_alu instid0(SALU_CYCLE_1)
	s_and_b32 s3, s2, exec_lo
	s_and_not1_saveexec_b32 s0, s1
	s_cbranch_execz .LBB12_271
.LBB12_296:
	s_or_b32 s3, s3, exec_lo
	s_trap 2
	s_wait_alu 0xfffe
	s_or_b32 exec_lo, exec_lo, s0
	s_and_saveexec_b32 s0, s3
	s_cbranch_execnz .LBB12_272
	s_branch .LBB12_273
.LBB12_297:
	s_mov_b32 s2, exec_lo
	s_trap 2
	s_branch .LBB12_295
	.section	.rodata,"a",@progbits
	.p2align	6, 0x0
	.amdhsa_kernel _ZN2at6native12_GLOBAL__N_114gatherKthValueIalLi1EEEvNS_4cuda6detail10TensorInfoIKT_T0_EES8_S8_S8_S8_NS5_IS6_S8_EENS5_IlS8_EE
		.amdhsa_group_segment_fixed_size 5144
		.amdhsa_private_segment_fixed_size 0
		.amdhsa_kernarg_size 1536
		.amdhsa_user_sgpr_count 2
		.amdhsa_user_sgpr_dispatch_ptr 0
		.amdhsa_user_sgpr_queue_ptr 0
		.amdhsa_user_sgpr_kernarg_segment_ptr 1
		.amdhsa_user_sgpr_dispatch_id 0
		.amdhsa_user_sgpr_private_segment_size 0
		.amdhsa_wavefront_size32 1
		.amdhsa_uses_dynamic_stack 0
		.amdhsa_enable_private_segment 0
		.amdhsa_system_sgpr_workgroup_id_x 1
		.amdhsa_system_sgpr_workgroup_id_y 1
		.amdhsa_system_sgpr_workgroup_id_z 1
		.amdhsa_system_sgpr_workgroup_info 0
		.amdhsa_system_vgpr_workitem_id 0
		.amdhsa_next_free_vgpr 59
		.amdhsa_next_free_sgpr 103
		.amdhsa_reserve_vcc 1
		.amdhsa_float_round_mode_32 0
		.amdhsa_float_round_mode_16_64 0
		.amdhsa_float_denorm_mode_32 3
		.amdhsa_float_denorm_mode_16_64 3
		.amdhsa_fp16_overflow 0
		.amdhsa_workgroup_processor_mode 1
		.amdhsa_memory_ordered 1
		.amdhsa_forward_progress 1
		.amdhsa_inst_pref_size 153
		.amdhsa_round_robin_scheduling 0
		.amdhsa_exception_fp_ieee_invalid_op 0
		.amdhsa_exception_fp_denorm_src 0
		.amdhsa_exception_fp_ieee_div_zero 0
		.amdhsa_exception_fp_ieee_overflow 0
		.amdhsa_exception_fp_ieee_underflow 0
		.amdhsa_exception_fp_ieee_inexact 0
		.amdhsa_exception_int_div_zero 0
	.end_amdhsa_kernel
	.section	.text._ZN2at6native12_GLOBAL__N_114gatherKthValueIalLi1EEEvNS_4cuda6detail10TensorInfoIKT_T0_EES8_S8_S8_S8_NS5_IS6_S8_EENS5_IlS8_EE,"axG",@progbits,_ZN2at6native12_GLOBAL__N_114gatherKthValueIalLi1EEEvNS_4cuda6detail10TensorInfoIKT_T0_EES8_S8_S8_S8_NS5_IS6_S8_EENS5_IlS8_EE,comdat
.Lfunc_end12:
	.size	_ZN2at6native12_GLOBAL__N_114gatherKthValueIalLi1EEEvNS_4cuda6detail10TensorInfoIKT_T0_EES8_S8_S8_S8_NS5_IS6_S8_EENS5_IlS8_EE, .Lfunc_end12-_ZN2at6native12_GLOBAL__N_114gatherKthValueIalLi1EEEvNS_4cuda6detail10TensorInfoIKT_T0_EES8_S8_S8_S8_NS5_IS6_S8_EENS5_IlS8_EE
                                        ; -- End function
	.set _ZN2at6native12_GLOBAL__N_114gatherKthValueIalLi1EEEvNS_4cuda6detail10TensorInfoIKT_T0_EES8_S8_S8_S8_NS5_IS6_S8_EENS5_IlS8_EE.num_vgpr, 59
	.set _ZN2at6native12_GLOBAL__N_114gatherKthValueIalLi1EEEvNS_4cuda6detail10TensorInfoIKT_T0_EES8_S8_S8_S8_NS5_IS6_S8_EENS5_IlS8_EE.num_agpr, 0
	.set _ZN2at6native12_GLOBAL__N_114gatherKthValueIalLi1EEEvNS_4cuda6detail10TensorInfoIKT_T0_EES8_S8_S8_S8_NS5_IS6_S8_EENS5_IlS8_EE.numbered_sgpr, 103
	.set _ZN2at6native12_GLOBAL__N_114gatherKthValueIalLi1EEEvNS_4cuda6detail10TensorInfoIKT_T0_EES8_S8_S8_S8_NS5_IS6_S8_EENS5_IlS8_EE.num_named_barrier, 0
	.set _ZN2at6native12_GLOBAL__N_114gatherKthValueIalLi1EEEvNS_4cuda6detail10TensorInfoIKT_T0_EES8_S8_S8_S8_NS5_IS6_S8_EENS5_IlS8_EE.private_seg_size, 0
	.set _ZN2at6native12_GLOBAL__N_114gatherKthValueIalLi1EEEvNS_4cuda6detail10TensorInfoIKT_T0_EES8_S8_S8_S8_NS5_IS6_S8_EENS5_IlS8_EE.uses_vcc, 1
	.set _ZN2at6native12_GLOBAL__N_114gatherKthValueIalLi1EEEvNS_4cuda6detail10TensorInfoIKT_T0_EES8_S8_S8_S8_NS5_IS6_S8_EENS5_IlS8_EE.uses_flat_scratch, 0
	.set _ZN2at6native12_GLOBAL__N_114gatherKthValueIalLi1EEEvNS_4cuda6detail10TensorInfoIKT_T0_EES8_S8_S8_S8_NS5_IS6_S8_EENS5_IlS8_EE.has_dyn_sized_stack, 0
	.set _ZN2at6native12_GLOBAL__N_114gatherKthValueIalLi1EEEvNS_4cuda6detail10TensorInfoIKT_T0_EES8_S8_S8_S8_NS5_IS6_S8_EENS5_IlS8_EE.has_recursion, 0
	.set _ZN2at6native12_GLOBAL__N_114gatherKthValueIalLi1EEEvNS_4cuda6detail10TensorInfoIKT_T0_EES8_S8_S8_S8_NS5_IS6_S8_EENS5_IlS8_EE.has_indirect_call, 0
	.section	.AMDGPU.csdata,"",@progbits
; Kernel info:
; codeLenInByte = 19508
; TotalNumSgprs: 105
; NumVgprs: 59
; ScratchSize: 0
; MemoryBound: 0
; FloatMode: 240
; IeeeMode: 1
; LDSByteSize: 5144 bytes/workgroup (compile time only)
; SGPRBlocks: 0
; VGPRBlocks: 7
; NumSGPRsForWavesPerEU: 105
; NumVGPRsForWavesPerEU: 59
; Occupancy: 16
; WaveLimiterHint : 1
; COMPUTE_PGM_RSRC2:SCRATCH_EN: 0
; COMPUTE_PGM_RSRC2:USER_SGPR: 2
; COMPUTE_PGM_RSRC2:TRAP_HANDLER: 0
; COMPUTE_PGM_RSRC2:TGID_X_EN: 1
; COMPUTE_PGM_RSRC2:TGID_Y_EN: 1
; COMPUTE_PGM_RSRC2:TGID_Z_EN: 1
; COMPUTE_PGM_RSRC2:TIDIG_COMP_CNT: 0
	.section	.text._ZN2at6native12_GLOBAL__N_114gatherKthValueIalLi2EEEvNS_4cuda6detail10TensorInfoIKT_T0_EES8_S8_S8_S8_NS5_IS6_S8_EENS5_IlS8_EE,"axG",@progbits,_ZN2at6native12_GLOBAL__N_114gatherKthValueIalLi2EEEvNS_4cuda6detail10TensorInfoIKT_T0_EES8_S8_S8_S8_NS5_IS6_S8_EENS5_IlS8_EE,comdat
	.globl	_ZN2at6native12_GLOBAL__N_114gatherKthValueIalLi2EEEvNS_4cuda6detail10TensorInfoIKT_T0_EES8_S8_S8_S8_NS5_IS6_S8_EENS5_IlS8_EE ; -- Begin function _ZN2at6native12_GLOBAL__N_114gatherKthValueIalLi2EEEvNS_4cuda6detail10TensorInfoIKT_T0_EES8_S8_S8_S8_NS5_IS6_S8_EENS5_IlS8_EE
	.p2align	8
	.type	_ZN2at6native12_GLOBAL__N_114gatherKthValueIalLi2EEEvNS_4cuda6detail10TensorInfoIKT_T0_EES8_S8_S8_S8_NS5_IS6_S8_EENS5_IlS8_EE,@function
_ZN2at6native12_GLOBAL__N_114gatherKthValueIalLi2EEEvNS_4cuda6detail10TensorInfoIKT_T0_EES8_S8_S8_S8_NS5_IS6_S8_EENS5_IlS8_EE: ; @_ZN2at6native12_GLOBAL__N_114gatherKthValueIalLi2EEEvNS_4cuda6detail10TensorInfoIKT_T0_EES8_S8_S8_S8_NS5_IS6_S8_EENS5_IlS8_EE
; %bb.0:
	s_clause 0x1
	s_load_b64 s[8:9], s[0:1], 0x500
	s_load_b256 s[36:43], s[0:1], 0x1a0
	s_lshr_b32 s2, ttmp7, 16
	s_and_b32 s3, ttmp7, 0xffff
	s_mov_b32 s27, 0
	s_wait_kmcnt 0x0
	s_mul_i32 s2, s9, s2
	s_delay_alu instid0(SALU_CYCLE_1) | instskip(NEXT) | instid1(SALU_CYCLE_1)
	s_add_co_i32 s2, s2, s3
	s_mul_i32 s2, s2, s8
	s_delay_alu instid0(SALU_CYCLE_1) | instskip(NEXT) | instid1(SALU_CYCLE_1)
	s_add_co_i32 s26, s2, ttmp9
	v_cmp_le_i64_e64 s2, s[40:41], s[26:27]
	s_and_b32 vcc_lo, exec_lo, s2
	s_cbranch_vccnz .LBB13_282
; %bb.1:
	s_clause 0x1
	s_load_b64 s[10:11], s[0:1], 0x10
	s_load_b64 s[34:35], s[0:1], 0x1d0
	s_mov_b32 s2, s27
	s_wait_kmcnt 0x0
	s_mov_b32 s3, s11
	s_delay_alu instid0(SALU_CYCLE_1)
	s_cmp_lg_u64 s[2:3], 0
	s_add_nc_u64 s[2:3], s[26:27], 0
	s_cbranch_scc0 .LBB13_295
; %bb.2:
	s_ashr_i32 s4, s11, 31
	s_mov_b32 s15, 0
	s_mov_b32 s5, s4
	s_delay_alu instid0(SALU_CYCLE_1) | instskip(NEXT) | instid1(SALU_CYCLE_1)
	s_add_nc_u64 s[6:7], s[10:11], s[4:5]
	s_xor_b64 s[6:7], s[6:7], s[4:5]
	s_delay_alu instid0(SALU_CYCLE_1) | instskip(SKIP_2) | instid1(SALU_CYCLE_2)
	s_cvt_f32_u32 s9, s6
	s_cvt_f32_u32 s12, s7
	s_sub_nc_u64 s[16:17], 0, s[6:7]
	s_fmamk_f32 s9, s12, 0x4f800000, s9
	s_delay_alu instid0(SALU_CYCLE_3) | instskip(NEXT) | instid1(TRANS32_DEP_1)
	v_s_rcp_f32 s9, s9
	s_mul_f32 s9, s9, 0x5f7ffffc
	s_wait_alu 0xfffe
	s_delay_alu instid0(SALU_CYCLE_2) | instskip(NEXT) | instid1(SALU_CYCLE_3)
	s_mul_f32 s12, s9, 0x2f800000
	s_trunc_f32 s12, s12
	s_delay_alu instid0(SALU_CYCLE_3) | instskip(SKIP_2) | instid1(SALU_CYCLE_1)
	s_fmamk_f32 s9, s12, 0xcf800000, s9
	s_cvt_u32_f32 s13, s12
	s_wait_alu 0xfffe
	s_cvt_u32_f32 s12, s9
	s_delay_alu instid0(SALU_CYCLE_3) | instskip(NEXT) | instid1(SALU_CYCLE_1)
	s_mul_u64 s[18:19], s[16:17], s[12:13]
	s_mul_hi_u32 s21, s12, s19
	s_mul_i32 s20, s12, s19
	s_mul_hi_u32 s14, s12, s18
	s_mul_i32 s22, s13, s18
	s_add_nc_u64 s[20:21], s[14:15], s[20:21]
	s_mul_hi_u32 s9, s13, s18
	s_mul_hi_u32 s23, s13, s19
	s_add_co_u32 s14, s20, s22
	s_wait_alu 0xfffe
	s_add_co_ci_u32 s14, s21, s9
	s_mul_i32 s18, s13, s19
	s_add_co_ci_u32 s19, s23, 0
	s_delay_alu instid0(SALU_CYCLE_1) | instskip(NEXT) | instid1(SALU_CYCLE_1)
	s_add_nc_u64 s[18:19], s[14:15], s[18:19]
	s_add_co_u32 s12, s12, s18
	s_cselect_b32 s9, -1, 0
	s_wait_alu 0xfffe
	s_cmp_lg_u32 s9, 0
	s_add_co_ci_u32 s13, s13, s19
	s_delay_alu instid0(SALU_CYCLE_1) | instskip(NEXT) | instid1(SALU_CYCLE_1)
	s_mul_u64 s[16:17], s[16:17], s[12:13]
	s_mul_hi_u32 s19, s12, s17
	s_mul_i32 s18, s12, s17
	s_mul_hi_u32 s14, s12, s16
	s_mul_i32 s20, s13, s16
	s_add_nc_u64 s[18:19], s[14:15], s[18:19]
	s_mul_hi_u32 s9, s13, s16
	s_mul_hi_u32 s21, s13, s17
	s_add_co_u32 s14, s18, s20
	s_wait_alu 0xfffe
	s_add_co_ci_u32 s14, s19, s9
	s_mul_i32 s16, s13, s17
	s_add_co_ci_u32 s17, s21, 0
	s_delay_alu instid0(SALU_CYCLE_1) | instskip(NEXT) | instid1(SALU_CYCLE_1)
	s_add_nc_u64 s[16:17], s[14:15], s[16:17]
	s_add_co_u32 s9, s12, s16
	s_cselect_b32 s12, -1, 0
	s_delay_alu instid0(SALU_CYCLE_1) | instskip(SKIP_2) | instid1(SALU_CYCLE_1)
	s_cmp_lg_u32 s12, 0
	s_add_co_ci_u32 s18, s13, s17
	s_xor_b64 s[12:13], s[2:3], 0
	s_mul_hi_u32 s17, s12, s18
	s_mul_i32 s16, s12, s18
	s_wait_alu 0xfffe
	s_mul_hi_u32 s14, s12, s9
	s_mul_hi_u32 s20, s13, s9
	s_mul_i32 s9, s13, s9
	s_add_nc_u64 s[16:17], s[14:15], s[16:17]
	s_mul_hi_u32 s19, s13, s18
	s_wait_alu 0xfffe
	s_add_co_u32 s9, s16, s9
	s_add_co_ci_u32 s14, s17, s20
	s_mul_i32 s18, s13, s18
	s_add_co_ci_u32 s19, s19, 0
	s_delay_alu instid0(SALU_CYCLE_1) | instskip(NEXT) | instid1(SALU_CYCLE_1)
	s_add_nc_u64 s[16:17], s[14:15], s[18:19]
	s_mul_u64 s[18:19], s[6:7], s[16:17]
	s_delay_alu instid0(SALU_CYCLE_1)
	s_sub_co_u32 s9, s12, s18
	s_cselect_b32 s12, -1, 0
	s_sub_co_i32 s14, s13, s19
	s_cmp_lg_u32 s12, 0
	s_sub_co_ci_u32 s14, s14, s7
	s_wait_alu 0xfffe
	s_sub_co_u32 s18, s9, s6
	s_cselect_b32 s20, -1, 0
	s_delay_alu instid0(SALU_CYCLE_1) | instskip(SKIP_2) | instid1(SALU_CYCLE_1)
	s_cmp_lg_u32 s20, 0
	s_add_nc_u64 s[20:21], s[16:17], 1
	s_sub_co_ci_u32 s14, s14, 0
	s_cmp_ge_u32 s14, s7
	s_cselect_b32 s22, -1, 0
	s_cmp_ge_u32 s18, s6
	s_cselect_b32 s18, -1, 0
	s_cmp_eq_u32 s14, s7
	s_cselect_b32 s14, s18, s22
	s_add_nc_u64 s[22:23], s[16:17], 2
	s_cmp_lg_u32 s14, 0
	s_cselect_b32 s14, s22, s20
	s_cselect_b32 s18, s23, s21
	s_cmp_lg_u32 s12, 0
	s_sub_co_ci_u32 s12, s13, s19
	s_delay_alu instid0(SALU_CYCLE_1)
	s_cmp_ge_u32 s12, s7
	s_cselect_b32 s13, -1, 0
	s_cmp_ge_u32 s9, s6
	s_cselect_b32 s6, -1, 0
	s_cmp_eq_u32 s12, s7
	s_cselect_b32 s6, s6, s13
	s_delay_alu instid0(SALU_CYCLE_1) | instskip(SKIP_3) | instid1(SALU_CYCLE_1)
	s_cmp_lg_u32 s6, 0
	s_cselect_b32 s7, s18, s17
	s_cselect_b32 s6, s14, s16
	s_xor_b64 s[4:5], 0, s[4:5]
	s_xor_b64 s[6:7], s[6:7], s[4:5]
	s_delay_alu instid0(SALU_CYCLE_1)
	s_sub_nc_u64 s[12:13], s[6:7], s[4:5]
	s_cbranch_execnz .LBB13_4
.LBB13_3:
	v_cvt_f32_u32_e32 v1, s10
	s_sub_co_i32 s5, 0, s10
	s_mov_b32 s13, 0
	s_delay_alu instid0(VALU_DEP_1) | instskip(NEXT) | instid1(TRANS32_DEP_1)
	v_rcp_iflag_f32_e32 v1, v1
	v_mul_f32_e32 v1, 0x4f7ffffe, v1
	s_delay_alu instid0(VALU_DEP_1) | instskip(NEXT) | instid1(VALU_DEP_1)
	v_cvt_u32_f32_e32 v1, v1
	v_readfirstlane_b32 s4, v1
	s_mul_i32 s5, s5, s4
	s_delay_alu instid0(SALU_CYCLE_1) | instskip(NEXT) | instid1(SALU_CYCLE_1)
	s_mul_hi_u32 s5, s4, s5
	s_add_co_i32 s4, s4, s5
	s_delay_alu instid0(SALU_CYCLE_1) | instskip(NEXT) | instid1(SALU_CYCLE_1)
	s_mul_hi_u32 s4, s26, s4
	s_mul_i32 s5, s4, s10
	s_add_co_i32 s6, s4, 1
	s_sub_co_i32 s5, s26, s5
	s_delay_alu instid0(SALU_CYCLE_1)
	s_sub_co_i32 s7, s5, s10
	s_cmp_ge_u32 s5, s10
	s_cselect_b32 s4, s6, s4
	s_cselect_b32 s5, s7, s5
	s_add_co_i32 s6, s4, 1
	s_cmp_ge_u32 s5, s10
	s_cselect_b32 s12, s6, s4
.LBB13_4:
	s_load_b64 s[40:41], s[0:1], 0x370
	s_mov_b32 s4, 0
	s_mov_b32 s5, s35
	s_delay_alu instid0(SALU_CYCLE_1)
	s_cmp_lg_u64 s[4:5], 0
	s_cbranch_scc0 .LBB13_296
; %bb.5:
	s_ashr_i32 s6, s35, 31
	s_mov_b32 s21, s4
	s_mov_b32 s7, s6
	;; [unrolled: 1-line block ×3, first 2 shown]
	s_add_nc_u64 s[14:15], s[34:35], s[6:7]
	s_delay_alu instid0(SALU_CYCLE_1) | instskip(NEXT) | instid1(SALU_CYCLE_1)
	s_xor_b64 s[14:15], s[14:15], s[6:7]
	s_cvt_f32_u32 s5, s14
	s_cvt_f32_u32 s9, s15
	s_sub_nc_u64 s[18:19], 0, s[14:15]
	s_wait_alu 0xfffe
	s_delay_alu instid0(SALU_CYCLE_1) | instskip(NEXT) | instid1(SALU_CYCLE_3)
	s_fmamk_f32 s5, s9, 0x4f800000, s5
	v_s_rcp_f32 s5, s5
	s_delay_alu instid0(TRANS32_DEP_1) | instskip(SKIP_1) | instid1(SALU_CYCLE_2)
	s_mul_f32 s5, s5, 0x5f7ffffc
	s_wait_alu 0xfffe
	s_mul_f32 s9, s5, 0x2f800000
	s_wait_alu 0xfffe
	s_delay_alu instid0(SALU_CYCLE_2) | instskip(SKIP_1) | instid1(SALU_CYCLE_2)
	s_trunc_f32 s9, s9
	s_wait_alu 0xfffe
	s_fmamk_f32 s5, s9, 0xcf800000, s5
	s_cvt_u32_f32 s17, s9
	s_wait_alu 0xfffe
	s_delay_alu instid0(SALU_CYCLE_1) | instskip(NEXT) | instid1(SALU_CYCLE_3)
	s_cvt_u32_f32 s16, s5
	s_mul_u64 s[22:23], s[18:19], s[16:17]
	s_delay_alu instid0(SALU_CYCLE_1)
	s_mul_hi_u32 s29, s16, s23
	s_mul_i32 s28, s16, s23
	s_mul_hi_u32 s20, s16, s22
	s_mul_i32 s9, s17, s22
	s_add_nc_u64 s[20:21], s[20:21], s[28:29]
	s_mul_hi_u32 s5, s17, s22
	s_mul_hi_u32 s30, s17, s23
	s_wait_alu 0xfffe
	s_add_co_u32 s9, s20, s9
	s_add_co_ci_u32 s24, s21, s5
	s_mul_i32 s22, s17, s23
	s_add_co_ci_u32 s23, s30, 0
	s_delay_alu instid0(SALU_CYCLE_1)
	s_add_nc_u64 s[20:21], s[24:25], s[22:23]
	s_mov_b32 s23, s4
	s_add_co_u32 s16, s16, s20
	s_cselect_b32 s5, -1, 0
	s_wait_alu 0xfffe
	s_cmp_lg_u32 s5, 0
	s_add_co_ci_u32 s17, s17, s21
	s_mov_b32 s21, s4
	s_mul_u64 s[18:19], s[18:19], s[16:17]
	s_delay_alu instid0(SALU_CYCLE_1)
	s_mul_hi_u32 s25, s16, s19
	s_mul_i32 s24, s16, s19
	s_mul_hi_u32 s20, s16, s18
	s_mul_i32 s9, s17, s18
	s_add_nc_u64 s[20:21], s[20:21], s[24:25]
	s_mul_hi_u32 s5, s17, s18
	s_mul_hi_u32 s28, s17, s19
	s_wait_alu 0xfffe
	s_add_co_u32 s9, s20, s9
	s_add_co_ci_u32 s22, s21, s5
	s_mul_i32 s18, s17, s19
	s_add_co_ci_u32 s19, s28, 0
	s_mov_b32 s21, s4
	s_add_nc_u64 s[18:19], s[22:23], s[18:19]
	s_delay_alu instid0(SALU_CYCLE_1)
	s_add_co_u32 s5, s16, s18
	s_cselect_b32 s9, -1, 0
	s_wait_alu 0xfffe
	s_cmp_lg_u32 s9, 0
	s_add_co_ci_u32 s9, s17, s19
	s_xor_b64 s[16:17], s[2:3], 0
	s_mov_b32 s19, s4
	s_wait_alu 0xfffe
	s_mul_hi_u32 s23, s16, s9
	s_mul_i32 s22, s16, s9
	s_mul_hi_u32 s20, s16, s5
	s_mul_hi_u32 s18, s17, s5
	s_mul_i32 s5, s17, s5
	s_add_nc_u64 s[20:21], s[20:21], s[22:23]
	s_mul_hi_u32 s24, s17, s9
	s_wait_alu 0xfffe
	s_add_co_u32 s5, s20, s5
	s_add_co_ci_u32 s18, s21, s18
	s_mul_i32 s22, s17, s9
	s_add_co_ci_u32 s23, s24, 0
	s_delay_alu instid0(SALU_CYCLE_1) | instskip(NEXT) | instid1(SALU_CYCLE_1)
	s_add_nc_u64 s[18:19], s[18:19], s[22:23]
	s_mul_u64 s[20:21], s[14:15], s[18:19]
	s_delay_alu instid0(SALU_CYCLE_1)
	s_sub_co_u32 s5, s16, s20
	s_cselect_b32 s9, -1, 0
	s_sub_co_i32 s16, s17, s21
	s_wait_alu 0xfffe
	s_cmp_lg_u32 s9, 0
	s_sub_co_ci_u32 s16, s16, s15
	s_sub_co_u32 s20, s5, s14
	s_cselect_b32 s22, -1, 0
	s_delay_alu instid0(SALU_CYCLE_1) | instskip(SKIP_2) | instid1(SALU_CYCLE_1)
	s_cmp_lg_u32 s22, 0
	s_add_nc_u64 s[22:23], s[18:19], 1
	s_sub_co_ci_u32 s16, s16, 0
	s_cmp_ge_u32 s16, s15
	s_cselect_b32 s24, -1, 0
	s_cmp_ge_u32 s20, s14
	s_cselect_b32 s20, -1, 0
	s_cmp_eq_u32 s16, s15
	s_cselect_b32 s16, s20, s24
	s_add_nc_u64 s[24:25], s[18:19], 2
	s_cmp_lg_u32 s16, 0
	s_cselect_b32 s16, s24, s22
	s_cselect_b32 s20, s25, s23
	s_cmp_lg_u32 s9, 0
	s_sub_co_ci_u32 s9, s17, s21
	s_wait_alu 0xfffe
	s_cmp_ge_u32 s9, s15
	s_cselect_b32 s17, -1, 0
	s_cmp_ge_u32 s5, s14
	s_cselect_b32 s5, -1, 0
	s_cmp_eq_u32 s9, s15
	s_wait_alu 0xfffe
	s_cselect_b32 s5, s5, s17
	s_wait_alu 0xfffe
	s_cmp_lg_u32 s5, 0
	s_cselect_b32 s15, s20, s19
	s_cselect_b32 s14, s16, s18
	s_xor_b64 s[6:7], 0, s[6:7]
	s_delay_alu instid0(SALU_CYCLE_1) | instskip(NEXT) | instid1(SALU_CYCLE_1)
	s_xor_b64 s[14:15], s[14:15], s[6:7]
	s_sub_nc_u64 s[48:49], s[14:15], s[6:7]
	s_and_not1_b32 vcc_lo, exec_lo, s4
	s_cbranch_vccnz .LBB13_7
.LBB13_6:
	v_cvt_f32_u32_e32 v1, s34
	s_sub_co_i32 s5, 0, s34
	s_mov_b32 s49, 0
	s_delay_alu instid0(VALU_DEP_1) | instskip(NEXT) | instid1(TRANS32_DEP_1)
	v_rcp_iflag_f32_e32 v1, v1
	v_mul_f32_e32 v1, 0x4f7ffffe, v1
	s_delay_alu instid0(VALU_DEP_1) | instskip(NEXT) | instid1(VALU_DEP_1)
	v_cvt_u32_f32_e32 v1, v1
	v_readfirstlane_b32 s4, v1
	s_wait_alu 0xfffe
	s_mul_i32 s5, s5, s4
	s_wait_alu 0xfffe
	s_mul_hi_u32 s5, s4, s5
	s_wait_alu 0xfffe
	s_add_co_i32 s4, s4, s5
	s_wait_alu 0xfffe
	s_mul_hi_u32 s4, s26, s4
	s_wait_alu 0xfffe
	s_mul_i32 s5, s4, s34
	s_add_co_i32 s6, s4, 1
	s_wait_alu 0xfffe
	s_sub_co_i32 s5, s26, s5
	s_wait_alu 0xfffe
	s_sub_co_i32 s7, s5, s34
	s_cmp_ge_u32 s5, s34
	s_cselect_b32 s4, s6, s4
	s_cselect_b32 s5, s7, s5
	s_wait_alu 0xfffe
	s_add_co_i32 s6, s4, 1
	s_cmp_ge_u32 s5, s34
	s_cselect_b32 s48, s6, s4
.LBB13_7:
	s_mov_b32 s4, 0
	s_wait_kmcnt 0x0
	s_mov_b32 s5, s41
	s_wait_alu 0xfffe
	s_cmp_lg_u64 s[4:5], 0
	s_cbranch_scc0 .LBB13_297
; %bb.8:
	s_ashr_i32 s6, s41, 31
	s_mov_b32 s21, s4
	s_mov_b32 s7, s6
	;; [unrolled: 1-line block ×3, first 2 shown]
	s_add_nc_u64 s[14:15], s[40:41], s[6:7]
	s_delay_alu instid0(SALU_CYCLE_1) | instskip(NEXT) | instid1(SALU_CYCLE_1)
	s_xor_b64 s[14:15], s[14:15], s[6:7]
	s_cvt_f32_u32 s5, s14
	s_cvt_f32_u32 s9, s15
	s_sub_nc_u64 s[18:19], 0, s[14:15]
	s_wait_alu 0xfffe
	s_delay_alu instid0(SALU_CYCLE_1) | instskip(SKIP_1) | instid1(SALU_CYCLE_2)
	s_fmamk_f32 s5, s9, 0x4f800000, s5
	s_wait_alu 0xfffe
	v_s_rcp_f32 s5, s5
	s_delay_alu instid0(TRANS32_DEP_1) | instskip(SKIP_1) | instid1(SALU_CYCLE_2)
	s_mul_f32 s5, s5, 0x5f7ffffc
	s_wait_alu 0xfffe
	s_mul_f32 s9, s5, 0x2f800000
	s_wait_alu 0xfffe
	s_delay_alu instid0(SALU_CYCLE_2) | instskip(SKIP_1) | instid1(SALU_CYCLE_2)
	s_trunc_f32 s9, s9
	s_wait_alu 0xfffe
	s_fmamk_f32 s5, s9, 0xcf800000, s5
	s_cvt_u32_f32 s17, s9
	s_wait_alu 0xfffe
	s_delay_alu instid0(SALU_CYCLE_1) | instskip(NEXT) | instid1(SALU_CYCLE_3)
	s_cvt_u32_f32 s16, s5
	s_mul_u64 s[22:23], s[18:19], s[16:17]
	s_delay_alu instid0(SALU_CYCLE_1)
	s_mul_hi_u32 s29, s16, s23
	s_mul_i32 s28, s16, s23
	s_mul_hi_u32 s20, s16, s22
	s_mul_i32 s9, s17, s22
	s_add_nc_u64 s[20:21], s[20:21], s[28:29]
	s_mul_hi_u32 s5, s17, s22
	s_mul_hi_u32 s30, s17, s23
	s_wait_alu 0xfffe
	s_add_co_u32 s9, s20, s9
	s_add_co_ci_u32 s24, s21, s5
	s_mul_i32 s22, s17, s23
	s_add_co_ci_u32 s23, s30, 0
	s_delay_alu instid0(SALU_CYCLE_1)
	s_add_nc_u64 s[20:21], s[24:25], s[22:23]
	s_mov_b32 s23, s4
	s_add_co_u32 s16, s16, s20
	s_cselect_b32 s5, -1, 0
	s_wait_alu 0xfffe
	s_cmp_lg_u32 s5, 0
	s_add_co_ci_u32 s17, s17, s21
	s_mov_b32 s21, s4
	s_mul_u64 s[18:19], s[18:19], s[16:17]
	s_delay_alu instid0(SALU_CYCLE_1)
	s_mul_hi_u32 s25, s16, s19
	s_mul_i32 s24, s16, s19
	s_mul_hi_u32 s20, s16, s18
	s_mul_i32 s9, s17, s18
	s_add_nc_u64 s[20:21], s[20:21], s[24:25]
	s_mul_hi_u32 s5, s17, s18
	s_mul_hi_u32 s28, s17, s19
	s_wait_alu 0xfffe
	s_add_co_u32 s9, s20, s9
	s_add_co_ci_u32 s22, s21, s5
	s_mul_i32 s18, s17, s19
	s_add_co_ci_u32 s19, s28, 0
	s_mov_b32 s21, s4
	s_add_nc_u64 s[18:19], s[22:23], s[18:19]
	s_delay_alu instid0(SALU_CYCLE_1)
	s_add_co_u32 s5, s16, s18
	s_cselect_b32 s9, -1, 0
	s_wait_alu 0xfffe
	s_cmp_lg_u32 s9, 0
	s_add_co_ci_u32 s9, s17, s19
	s_xor_b64 s[2:3], s[2:3], 0
	s_mov_b32 s17, s4
	s_wait_alu 0xfffe
	s_mul_hi_u32 s19, s2, s9
	s_mul_i32 s18, s2, s9
	s_mul_hi_u32 s20, s2, s5
	s_mul_hi_u32 s16, s3, s5
	s_mul_i32 s5, s3, s5
	s_add_nc_u64 s[18:19], s[20:21], s[18:19]
	s_mul_hi_u32 s22, s3, s9
	s_wait_alu 0xfffe
	s_add_co_u32 s5, s18, s5
	s_add_co_ci_u32 s16, s19, s16
	s_mul_i32 s20, s3, s9
	s_add_co_ci_u32 s21, s22, 0
	s_delay_alu instid0(SALU_CYCLE_1) | instskip(NEXT) | instid1(SALU_CYCLE_1)
	s_add_nc_u64 s[16:17], s[16:17], s[20:21]
	s_mul_u64 s[18:19], s[14:15], s[16:17]
	s_delay_alu instid0(SALU_CYCLE_1)
	s_sub_co_u32 s2, s2, s18
	s_cselect_b32 s5, -1, 0
	s_sub_co_i32 s9, s3, s19
	s_wait_alu 0xfffe
	s_cmp_lg_u32 s5, 0
	s_sub_co_ci_u32 s9, s9, s15
	s_sub_co_u32 s18, s2, s14
	s_cselect_b32 s20, -1, 0
	s_delay_alu instid0(SALU_CYCLE_1)
	s_cmp_lg_u32 s20, 0
	s_add_nc_u64 s[20:21], s[16:17], 1
	s_wait_alu 0xfffe
	s_sub_co_ci_u32 s9, s9, 0
	s_wait_alu 0xfffe
	s_cmp_ge_u32 s9, s15
	s_cselect_b32 s22, -1, 0
	s_cmp_ge_u32 s18, s14
	s_cselect_b32 s18, -1, 0
	s_cmp_eq_u32 s9, s15
	s_cselect_b32 s9, s18, s22
	s_add_nc_u64 s[22:23], s[16:17], 2
	s_wait_alu 0xfffe
	s_cmp_lg_u32 s9, 0
	s_cselect_b32 s9, s22, s20
	s_cselect_b32 s18, s23, s21
	s_cmp_lg_u32 s5, 0
	s_sub_co_ci_u32 s3, s3, s19
	s_delay_alu instid0(SALU_CYCLE_1)
	s_cmp_ge_u32 s3, s15
	s_cselect_b32 s5, -1, 0
	s_cmp_ge_u32 s2, s14
	s_cselect_b32 s2, -1, 0
	s_cmp_eq_u32 s3, s15
	s_wait_alu 0xfffe
	s_cselect_b32 s2, s2, s5
	s_delay_alu instid0(SALU_CYCLE_1) | instskip(SKIP_3) | instid1(SALU_CYCLE_1)
	s_cmp_lg_u32 s2, 0
	s_cselect_b32 s3, s18, s17
	s_cselect_b32 s2, s9, s16
	s_xor_b64 s[6:7], 0, s[6:7]
	s_xor_b64 s[2:3], s[2:3], s[6:7]
	s_delay_alu instid0(SALU_CYCLE_1)
	s_sub_nc_u64 s[50:51], s[2:3], s[6:7]
	s_and_not1_b32 vcc_lo, exec_lo, s4
	s_cbranch_vccnz .LBB13_10
.LBB13_9:
	v_cvt_f32_u32_e32 v1, s40
	s_sub_co_i32 s3, 0, s40
	s_mov_b32 s51, 0
	s_delay_alu instid0(VALU_DEP_1) | instskip(NEXT) | instid1(TRANS32_DEP_1)
	v_rcp_iflag_f32_e32 v1, v1
	v_mul_f32_e32 v1, 0x4f7ffffe, v1
	s_delay_alu instid0(VALU_DEP_1) | instskip(NEXT) | instid1(VALU_DEP_1)
	v_cvt_u32_f32_e32 v1, v1
	v_readfirstlane_b32 s2, v1
	s_mul_i32 s3, s3, s2
	s_delay_alu instid0(SALU_CYCLE_1) | instskip(NEXT) | instid1(SALU_CYCLE_1)
	s_mul_hi_u32 s3, s2, s3
	s_add_co_i32 s2, s2, s3
	s_delay_alu instid0(SALU_CYCLE_1) | instskip(NEXT) | instid1(SALU_CYCLE_1)
	s_mul_hi_u32 s2, s26, s2
	s_mul_i32 s3, s2, s40
	s_add_co_i32 s4, s2, 1
	s_sub_co_i32 s3, s26, s3
	s_delay_alu instid0(SALU_CYCLE_1)
	s_sub_co_i32 s5, s3, s40
	s_cmp_ge_u32 s3, s40
	s_wait_alu 0xfffe
	s_cselect_b32 s2, s4, s2
	s_cselect_b32 s3, s5, s3
	s_add_co_i32 s4, s2, 1
	s_cmp_ge_u32 s3, s40
	s_wait_alu 0xfffe
	s_cselect_b32 s50, s4, s2
.LBB13_10:
	s_clause 0x1
	s_load_b128 s[4:7], s[0:1], 0xd0
	s_load_b64 s[16:17], s[0:1], 0x0
	v_cmp_eq_u32_e64 s2, 0, v0
	s_add_nc_u64 s[14:15], s[0:1], 0x500
	s_mov_b32 s59, 0
	s_and_saveexec_b32 s3, s2
	s_cbranch_execz .LBB13_12
; %bb.11:
	v_dual_mov_b32 v1, 0 :: v_dual_mov_b32 v4, s37
	s_delay_alu instid0(VALU_DEP_1)
	v_dual_mov_b32 v3, s36 :: v_dual_mov_b32 v2, v1
	ds_store_b32 v1, v1 offset:5136
	ds_store_b128 v1, v[1:4] offset:5120
.LBB13_12:
	s_or_b32 exec_lo, exec_lo, s3
	s_clause 0x3
	s_load_b128 s[20:23], s[0:1], 0x430
	s_load_b64 s[18:19], s[0:1], 0x360
	; meta instruction
	s_load_b128 s[44:47], s[0:1], 0x290
	s_load_b64 s[0:1], s[0:1], 0x1c0
	v_mad_co_u64_u32 v[4:5], null, s42, v0, 0
	v_mbcnt_lo_u32_b32 v34, -1, 0
	s_mul_u64 s[10:11], s[12:13], s[10:11]
	v_cmp_gt_u32_e32 vcc_lo, 32, v0
	v_dual_mov_b32 v3, 0 :: v_dual_lshlrev_b32 v16, 2, v0
	s_wait_dscnt 0x0
	s_delay_alu instid0(VALU_DEP_4)
	v_mov_b32_e32 v1, v5
	s_barrier_signal -1
	s_barrier_wait -1
	v_or_b32_e32 v9, 3, v16
	global_inv scope:SCOPE_SE
	v_mad_co_u64_u32 v[6:7], null, s43, v0, v[1:2]
	v_add_nc_u32_e32 v2, 2, v0
	v_lshlrev_b64_e64 v[7:8], v34, -1
	s_wait_kmcnt 0x0
	v_writelane_b32 v61, s20, 0
	s_load_b32 s9, s[14:15], 0xc
	v_mad_co_u64_u32 v[21:22], null, s42, v9, 0
	v_or_b32_e32 v11, 2, v16
	v_writelane_b32 v61, s21, 1
	v_not_b32_e32 v35, v7
	v_not_b32_e32 v7, v0
	v_mov_b32_e32 v5, v6
	v_mad_co_u64_u32 v[23:24], null, s42, v11, 0
	v_writelane_b32 v61, s22, 2
	v_mad_co_u64_u32 v[25:26], null, s42, v16, s[42:43]
	v_mov_b32_e32 v17, v3
	v_mul_lo_u32 v42, 0, s42
	v_writelane_b32 v61, s23, 3
	v_cmp_lt_i64_e64 s88, 0xc00, s[36:37]
	s_mov_b32 s57, s59
	v_cmp_gt_u32_e64 s3, 2, v0
	v_lshl_or_b32 v41, v34, 3, 0xc00
	v_writelane_b32 v61, s18, 4
	s_wait_kmcnt 0x0
	s_and_b32 s56, s9, 0xffff
	s_bfe_u32 s9, s9, 0xb0005
	s_add_nc_u64 s[64:65], s[56:57], -1
	s_mov_b32 s90, s42
	v_writelane_b32 v61, s19, 5
	s_add_nc_u64 s[66:67], s[64:65], s[36:37]
	s_mov_b32 s91, s43
	s_mov_b32 s92, s42
	;; [unrolled: 1-line block ×3, first 2 shown]
	v_writelane_b32 v61, s0, 6
	s_mov_b32 s94, s42
	s_mov_b32 s95, s43
	;; [unrolled: 1-line block ×4, first 2 shown]
	v_writelane_b32 v61, s1, 7
	s_sub_nc_u64 s[0:1], s[26:27], s[10:11]
	s_mul_u64 s[10:11], s[12:13], s[4:5]
	s_wait_alu 0xfffe
	s_mul_u64 s[6:7], s[0:1], s[6:7]
	v_cmp_gt_i32_e64 s0, 4, v34
	s_add_nc_u64 s[4:5], s[16:17], s[10:11]
	v_cmp_eq_u32_e64 s1, 0, v34
	s_wait_alu 0xfffe
	s_add_nc_u64 s[62:63], s[4:5], s[6:7]
	s_movk_i32 s4, 0x3e0
	s_and_b32 s33, vcc_lo, s0
	v_add_co_u32 v14, vcc_lo, s62, v4
	s_delay_alu instid0(VALU_DEP_1)
	v_add_co_ci_u32_e64 v15, null, s63, v6, vcc_lo
	v_cmp_gt_i64_e32 vcc_lo, s[36:37], v[2:3]
	s_wait_alu 0xfffe
	v_and_or_b32 v36, v0, s4, 0xc00
	s_cmp_gt_u32 s56, 31
	s_add_nc_u64 s[6:7], s[10:11], s[6:7]
	s_cselect_b32 s89, -1, 0
	s_cmp_lt_u32 ttmp9, s8
	s_wait_alu 0xfffd
	v_cndmask_b32_e64 v2, v2, s36, vcc_lo
	v_cndmask_b32_e64 v8, 0, s37, vcc_lo
	s_cselect_b32 s58, 12, 18
	s_add_co_i32 s8, s9, -1
	s_add_nc_u64 s[68:69], s[16:17], s[6:7]
	v_add_co_u32 v7, vcc_lo, v2, v7
	v_mov_b32_e32 v1, v3
	s_wait_alu 0xfffd
	v_add_co_ci_u32_e64 v8, null, -1, v8, vcc_lo
	s_delay_alu instid0(VALU_DEP_3)
	v_and_b32_e32 v18, -4, v7
	s_wait_alu 0xfffe
	s_and_b32 s8, s8, 0xffff
	s_bfe_u32 s98, s56, 0x30005
	v_cmp_lt_u64_e64 s4, 3, v[7:8]
	s_wait_alu 0xfffe
	s_cmp_gt_u32 s8, 6
	v_add_co_u32 v20, vcc_lo, v18, v0
	s_wait_alu 0xfffd
	v_add_co_ci_u32_e64 v2, null, 0, v8, vcc_lo
	v_mov_b32_e32 v2, v22
	v_add_co_u32 v39, s6, s36, v0
	v_mov_b32_e32 v28, s38
	v_add_co_u32 v12, vcc_lo, s68, v4
	s_delay_alu instid0(VALU_DEP_4)
	v_mad_co_u64_u32 v[9:10], null, s43, v9, v[2:3]
	v_mov_b32_e32 v19, v8
	v_cmp_gt_i64_e64 s0, s[36:37], v[0:1]
	s_cselect_b32 s99, -1, 0
	s_and_b32 s100, s9, 0x7f8
	v_add_co_ci_u32_e64 v40, null, s37, 0, s6
	v_cmp_ne_u64_e64 s5, v[7:8], v[18:19]
	v_dual_mov_b32 v7, v24 :: v_dual_mov_b32 v8, v26
	v_lshlrev_b64_e32 v[26:27], 2, v[4:5]
	v_mov_b32_e32 v24, v9
	s_wait_alu 0xfffd
	v_add_co_ci_u32_e64 v13, null, s69, v6, vcc_lo
	v_mad_co_u64_u32 v[10:11], null, s43, v11, v[7:8]
	v_mad_co_u64_u32 v[7:8], null, s43, v16, v[8:9]
	v_dual_mov_b32 v29, s39 :: v_dual_mov_b32 v44, 0
	v_dual_mov_b32 v22, 0 :: v_dual_mov_b32 v43, 0
	s_delay_alu instid0(VALU_DEP_4) | instskip(SKIP_1) | instid1(VALU_DEP_4)
	v_mov_b32_e32 v37, v10
	s_cmp_lg_u32 s98, 0
	v_mov_b32_e32 v38, v7
	s_mov_b32 s101, 6
	s_cselect_b32 s102, -1, 0
	s_lshl_b64 s[70:71], s[42:43], 2
	s_mul_u64 s[60:61], s[42:43], s[56:57]
	s_add_nc_u64 s[38:39], s[14:15], s[58:59]
	s_mov_b32 s103, 0
	s_mov_b32 s104, 0
                                        ; implicit-def: $sgpr54
                                        ; implicit-def: $sgpr28
                                        ; implicit-def: $vcc_hi
                                        ; implicit-def: $sgpr53
                                        ; implicit-def: $sgpr55
                                        ; implicit-def: $sgpr52
	s_branch .LBB13_16
.LBB13_13:                              ;   in Loop: Header=BB13_16 Depth=1
	s_wait_alu 0xfffe
	s_or_b32 exec_lo, exec_lo, s9
	s_delay_alu instid0(SALU_CYCLE_1)
	s_and_b32 s7, s7, exec_lo
	s_and_not1_b32 s22, s22, exec_lo
	s_and_not1_b32 s21, s21, exec_lo
	s_or_not1_b32 s18, s8, exec_lo
.LBB13_14:                              ;   in Loop: Header=BB13_16 Depth=1
	s_wait_alu 0xfffe
	s_or_b32 exec_lo, exec_lo, s6
	s_delay_alu instid0(SALU_CYCLE_1)
	s_and_not1_b32 s6, s52, exec_lo
	s_and_b32 s7, s7, exec_lo
	s_and_not1_b32 s8, s53, exec_lo
	s_wait_alu 0xfffe
	s_or_b32 s52, s6, s7
	s_and_not1_b32 s6, s55, exec_lo
	s_and_b32 s7, s22, exec_lo
	s_and_b32 s9, s21, exec_lo
	s_wait_alu 0xfffe
	s_or_b32 s55, s6, s7
	s_or_b32 s53, s8, s9
	s_or_not1_b32 s18, s18, exec_lo
.LBB13_15:                              ;   in Loop: Header=BB13_16 Depth=1
	s_wait_alu 0xfffe
	s_or_b32 exec_lo, exec_lo, s17
	s_delay_alu instid0(SALU_CYCLE_1)
	s_and_b32 s6, exec_lo, s18
	v_dual_mov_b32 v29, v9 :: v_dual_mov_b32 v28, v8
	s_wait_alu 0xfffe
	s_or_b32 s103, s6, s103
	s_and_not1_b32 s6, vcc_hi, exec_lo
	s_and_b32 s7, s52, exec_lo
	s_and_not1_b32 s8, s28, exec_lo
	s_wait_alu 0xfffe
	s_or_b32 vcc_hi, s6, s7
	s_and_b32 s6, s55, exec_lo
	s_and_not1_b32 s7, s54, exec_lo
	s_and_b32 s9, s53, exec_lo
	s_wait_alu 0xfffe
	s_or_b32 s28, s8, s6
	s_or_b32 s54, s7, s9
	s_and_not1_b32 exec_lo, exec_lo, s103
	s_cbranch_execz .LBB13_278
.LBB13_16:                              ; =>This Loop Header: Depth=1
                                        ;     Child Loop BB13_21 Depth 2
                                        ;     Child Loop BB13_35 Depth 2
	;; [unrolled: 1-line block ×17, first 2 shown]
	ds_load_b128 v[4:7], v3 offset:5120
	s_wait_dscnt 0x0
	v_readfirstlane_b32 s73, v5
	v_readfirstlane_b32 s72, v4
	s_wait_alu 0xf1ff
	s_delay_alu instid0(VALU_DEP_1)
	v_cmp_gt_i64_e64 s6, s[72:73], 0
	s_and_b32 vcc_lo, exec_lo, s6
	s_wait_alu 0xfffe
	s_cbranch_vccnz .LBB13_48
; %bb.17:                               ;   in Loop: Header=BB13_16 Depth=1
	s_and_b32 vcc_lo, exec_lo, s88
	s_wait_alu 0xfffe
	s_cbranch_vccz .LBB13_29
; %bb.18:                               ;   in Loop: Header=BB13_16 Depth=1
	v_cmp_gt_i64_e32 vcc_lo, 0xc01, v[6:7]
	s_mov_b32 s8, 0
	s_mov_b32 s6, 0
	s_cbranch_vccz .LBB13_30
; %bb.19:                               ;   in Loop: Header=BB13_16 Depth=1
	global_load_u16 v2, v3, s[38:39]
	global_load_u8 v8, v[14:15], off
	s_mov_b32 s9, 0
	s_wait_loadcnt 0x1
	v_and_b32_e32 v2, 0xffff, v2
	s_delay_alu instid0(VALU_DEP_1) | instskip(SKIP_3) | instid1(VALU_DEP_3)
	v_add_co_u32 v4, s6, v0, v2
	s_wait_alu 0xf1fe
	v_add_co_ci_u32_e64 v5, null, 0, 0, s6
	v_mul_lo_u32 v6, v2, s43
	v_mul_lo_u32 v10, s43, v4
	v_mul_hi_u32 v11, v2, s42
	s_delay_alu instid0(VALU_DEP_4) | instskip(SKIP_2) | instid1(VALU_DEP_2)
	v_mul_lo_u32 v7, s42, v5
	v_mad_co_u64_u32 v[4:5], null, s42, v4, s[68:69]
	v_add_nc_u32_e32 v6, v6, v42
	v_add3_u32 v5, v10, v5, v7
	s_delay_alu instid0(VALU_DEP_2)
	v_dual_mov_b32 v7, v1 :: v_dual_add_nc_u32 v10, v6, v11
	v_mul_lo_u32 v9, v2, s42
	v_mov_b32_e32 v6, v0
	s_branch .LBB13_21
.LBB13_20:                              ;   in Loop: Header=BB13_21 Depth=2
	s_wait_alu 0xfffe
	s_or_b32 exec_lo, exec_lo, s7
	v_add_co_u32 v4, vcc_lo, v4, v9
	s_wait_alu 0xfffd
	v_add_co_ci_u32_e64 v5, null, v5, v10, vcc_lo
	v_mov_b32_e32 v8, v11
	s_and_not1_b32 exec_lo, exec_lo, s9
	s_cbranch_execz .LBB13_82
.LBB13_21:                              ;   Parent Loop BB13_16 Depth=1
                                        ; =>  This Inner Loop Header: Depth=2
	s_delay_alu instid0(VALU_DEP_1)
	v_add_co_u32 v6, vcc_lo, v6, v2
	s_wait_alu 0xfffd
	v_add_co_ci_u32_e64 v7, null, 0, v7, vcc_lo
	s_wait_dscnt 0x0
	v_dual_mov_b32 v30, 0 :: v_dual_mov_b32 v11, 0
	s_mov_b32 s7, exec_lo
	s_delay_alu instid0(VALU_DEP_2)
	v_cmp_le_i64_e32 vcc_lo, s[36:37], v[6:7]
	v_cmpx_gt_i64_e64 s[36:37], v[6:7]
	s_cbranch_execz .LBB13_23
; %bb.22:                               ;   in Loop: Header=BB13_21 Depth=2
	global_load_u8 v11, v[4:5], off
.LBB13_23:                              ;   in Loop: Header=BB13_21 Depth=2
	s_wait_alu 0xfffe
	s_or_b32 exec_lo, exec_lo, s7
	s_wait_loadcnt 0x0
	v_bfe_i32 v31, v8, 0, 8
	s_delay_alu instid0(VALU_DEP_1) | instskip(NEXT) | instid1(VALU_DEP_1)
	v_add_nc_u32_e32 v31, 0x80, v31
	v_and_b32_e32 v31, v31, v43
	s_delay_alu instid0(VALU_DEP_1)
	v_cmp_eq_u32_e64 s6, v31, v22
	s_cmp_lg_u32 s6, 0
	s_cselect_b32 s7, -1, 0
	s_wait_alu 0xfffe
	s_and_b32 s7, s1, s7
	s_wait_alu 0xfffe
	s_and_saveexec_b32 s10, s7
	s_cbranch_execz .LBB13_27
; %bb.24:                               ;   in Loop: Header=BB13_21 Depth=2
	s_mov_b32 s13, exec_lo
	s_bcnt1_i32_b32 s11, s6
	s_wait_alu 0xfffe
	v_mbcnt_lo_u32_b32 v30, s13, 0
	s_mov_b32 s12, exec_lo
                                        ; implicit-def: $vgpr31
	s_delay_alu instid0(VALU_DEP_1)
	v_cmpx_eq_u32_e32 0, v30
; %bb.25:                               ;   in Loop: Header=BB13_21 Depth=2
	s_bcnt1_i32_b32 s7, s13
	s_wait_alu 0xfffe
	s_mul_i32 s7, s11, s7
	s_wait_alu 0xfffe
	v_mov_b32_e32 v31, s7
	ds_add_rtn_u32 v31, v3, v31 offset:5136
; %bb.26:                               ;   in Loop: Header=BB13_21 Depth=2
	s_or_b32 exec_lo, exec_lo, s12
	s_wait_dscnt 0x0
	v_readfirstlane_b32 s7, v31
	s_wait_alu 0xf1ff
	s_delay_alu instid0(VALU_DEP_1)
	v_mad_u32_u24 v30, s11, v30, s7
.LBB13_27:                              ;   in Loop: Header=BB13_21 Depth=2
	s_wait_alu 0xfffe
	s_or_b32 exec_lo, exec_lo, s10
	ds_bpermute_b32 v30, v3, v30
	s_and_b32 s7, exec_lo, vcc_lo
	s_wait_alu 0xfffe
	s_or_b32 s9, s7, s9
	s_and_saveexec_b32 s7, s6
	s_cbranch_execz .LBB13_20
; %bb.28:                               ;   in Loop: Header=BB13_21 Depth=2
	v_and_b32_e32 v31, s6, v35
	s_wait_dscnt 0x0
	s_delay_alu instid0(VALU_DEP_1)
	v_bcnt_u32_b32 v30, v31, v30
	ds_store_b8 v30, v8
	s_branch .LBB13_20
.LBB13_29:                              ;   in Loop: Header=BB13_16 Depth=1
	s_mov_b32 s8, -1
	s_mov_b32 s6, 0
.LBB13_30:                              ;   in Loop: Header=BB13_16 Depth=1
	s_wait_alu 0xfffe
	s_and_b32 vcc_lo, exec_lo, s8
	s_wait_alu 0xfffe
	s_cbranch_vccz .LBB13_46
.LBB13_31:                              ;   in Loop: Header=BB13_16 Depth=1
	s_and_saveexec_b32 s12, s0
	s_cbranch_execz .LBB13_43
; %bb.32:                               ;   in Loop: Header=BB13_16 Depth=1
	global_load_u16 v4, v3, s[38:39]
	global_load_u8 v32, v[14:15], off
	v_mov_b32_e32 v8, v0
	s_mov_b32 s13, exec_lo
	s_wait_loadcnt 0x1
	v_and_b32_e32 v2, 0xffff, v4
	v_readfirstlane_b32 s6, v4
	s_delay_alu instid0(VALU_DEP_2) | instskip(NEXT) | instid1(VALU_DEP_1)
	v_add_nc_u32_e32 v2, v2, v0
	v_cmpx_gt_i64_e64 s[36:37], v[2:3]
	s_cbranch_execz .LBB13_42
; %bb.33:                               ;   in Loop: Header=BB13_16 Depth=1
	s_and_b32 s58, s6, 0xffff
	v_dual_mov_b32 v7, v1 :: v_dual_mov_b32 v6, v0
	s_wait_alu 0xfffe
	s_cmp_eq_u32 s58, 1
	v_dual_mov_b32 v5, v3 :: v_dual_mov_b32 v4, v2
	s_cselect_b32 s6, -1, 0
                                        ; implicit-def: $vgpr8_vgpr9
	s_wait_alu 0xfffe
	s_and_b32 s7, s4, s6
	s_mov_b32 s6, -1
	s_wait_alu 0xfffe
	s_and_saveexec_b32 s8, s7
	s_cbranch_execz .LBB13_37
; %bb.34:                               ;   in Loop: Header=BB13_16 Depth=1
	v_add_co_u32 v8, s6, v2, 3
	s_wait_alu 0xf1ff
	v_add_co_ci_u32_e64 v9, null, 0, 0, s6
	v_add_co_u32 v6, s6, v2, 2
	s_wait_alu 0xf1ff
	v_add_co_ci_u32_e64 v7, null, 0, 0, s6
	;; [unrolled: 3-line block ×3, first 2 shown]
	v_mov_b32_e32 v11, v9
	v_dual_mov_b32 v31, v19 :: v_dual_mov_b32 v10, v8
	s_wait_loadcnt 0x0
	v_dual_mov_b32 v30, v18 :: v_dual_lshlrev_b32 v45, 24, v32
	v_mov_b32_e32 v9, v7
	v_dual_mov_b32 v33, v0 :: v_dual_mov_b32 v8, v6
	v_mov_b32_e32 v7, v5
	v_mov_b32_e32 v6, v4
	;; [unrolled: 1-line block ×4, first 2 shown]
	s_mov_b32 s9, 0
.LBB13_35:                              ;   Parent Loop BB13_16 Depth=1
                                        ; =>  This Inner Loop Header: Depth=2
	v_mul_lo_u32 v55, v7, s92
	v_mul_lo_u32 v56, v6, s93
	v_mad_co_u64_u32 v[48:49], null, v6, s92, 0
	v_mul_lo_u32 v32, v9, s94
	v_mul_lo_u32 v54, v8, s95
	v_mad_co_u64_u32 v[46:47], null, v8, s94, 0
	;; [unrolled: 3-line block ×3, first 2 shown]
	v_mad_co_u64_u32 v[52:53], null, v10, s96, s[62:63]
	v_mul_lo_u32 v59, v10, s97
	v_mul_lo_u32 v60, v11, s96
	v_add3_u32 v55, v49, v56, v55
	v_add3_u32 v32, v47, v54, v32
	;; [unrolled: 1-line block ×3, first 2 shown]
	v_add_co_u32 v54, s7, s62, v48
	v_add_co_u32 v49, s6, s62, v46
	v_add3_u32 v53, v60, v53, v59
	v_add_co_u32 v47, vcc_lo, s62, v50
	s_wait_alu 0xf1ff
	v_add_co_ci_u32_e64 v55, null, s63, v55, s7
	v_add_co_ci_u32_e64 v50, null, s63, v32, s6
	s_wait_alu 0xfffd
	v_add_co_ci_u32_e64 v48, null, s63, v51, vcc_lo
	s_clause 0x3
	global_load_u8 v32, v[52:53], off
	global_load_u8 v46, v[54:55], off
	;; [unrolled: 1-line block ×4, first 2 shown]
	v_add_co_u32 v10, vcc_lo, v10, 4
	s_wait_alu 0xfffd
	v_add_co_ci_u32_e64 v11, null, 0, v11, vcc_lo
	v_add_co_u32 v8, vcc_lo, v8, 4
	s_wait_alu 0xfffd
	v_add_co_ci_u32_e64 v9, null, 0, v9, vcc_lo
	;; [unrolled: 3-line block ×3, first 2 shown]
	v_add_co_u32 v30, vcc_lo, v30, -4
	s_wait_alu 0xfffd
	v_add_co_ci_u32_e64 v31, null, -1, v31, vcc_lo
	v_add_co_u32 v4, vcc_lo, v4, 4
	s_wait_alu 0xfffd
	v_add_co_ci_u32_e64 v5, null, 0, v5, vcc_lo
	s_delay_alu instid0(VALU_DEP_3)
	v_cmp_eq_u64_e64 s6, 0, v[30:31]
	s_wait_alu 0xfffe
	s_or_b32 s9, s6, s9
	s_wait_loadcnt 0x0
	v_perm_b32 v48, v47, v46, 0xc0c0004
	v_perm_b32 v46, v46, v49, 0xc0c0004
	;; [unrolled: 1-line block ×4, first 2 shown]
	s_delay_alu instid0(VALU_DEP_2) | instskip(NEXT) | instid1(VALU_DEP_2)
	v_lshl_or_b32 v45, v46, 16, v45
	v_lshl_or_b32 v46, v47, 16, v48
	ds_store_b32 v33, v45
	v_add_nc_u32_e32 v33, 4, v33
	v_mov_b32_e32 v45, v46
	s_wait_alu 0xfffe
	s_and_not1_b32 exec_lo, exec_lo, s9
	s_cbranch_execnz .LBB13_35
; %bb.36:                               ;   in Loop: Header=BB13_16 Depth=1
	s_or_b32 exec_lo, exec_lo, s9
	v_add_co_u32 v4, vcc_lo, v2, v18
	s_wait_alu 0xfffd
	v_add_co_ci_u32_e64 v5, null, 0, v19, vcc_lo
	v_dual_mov_b32 v6, v20 :: v_dual_mov_b32 v7, v21
	s_delay_alu instid0(VALU_DEP_3)
	v_add_co_u32 v8, vcc_lo, v4, -1
	s_or_not1_b32 s6, s5, exec_lo
	s_wait_alu 0xfffd
	v_add_co_ci_u32_e64 v2, null, -1, v5, vcc_lo
.LBB13_37:                              ;   in Loop: Header=BB13_16 Depth=1
	s_wait_alu 0xfffe
	s_or_b32 exec_lo, exec_lo, s8
	s_and_saveexec_b32 s7, s6
	s_cbranch_execz .LBB13_41
; %bb.38:                               ;   in Loop: Header=BB13_16 Depth=1
	v_mad_co_u64_u32 v[9:10], null, s42, v4, s[68:69]
	v_mul_lo_u32 v2, s42, v5
	v_mul_lo_u32 v7, s43, v4
	s_sub_nc_u64 s[8:9], 0, s[58:59]
	s_mul_u64 s[10:11], s[42:43], s[58:59]
	s_mov_b32 s14, 0
	s_delay_alu instid0(VALU_DEP_1)
	v_add3_u32 v10, v7, v10, v2
.LBB13_39:                              ;   Parent Loop BB13_16 Depth=1
                                        ; =>  This Inner Loop Header: Depth=2
	global_load_u8 v2, v[9:10], off
	v_dual_mov_b32 v8, v5 :: v_dual_mov_b32 v7, v4
	s_wait_alu 0xfffe
	v_add_co_u32 v9, vcc_lo, v9, s10
	s_wait_alu 0xfffd
	v_add_co_ci_u32_e64 v10, null, s11, v10, vcc_lo
	v_add_co_u32 v4, s6, v7, s58
	s_wait_alu 0xf1ff
	v_add_co_ci_u32_e64 v5, null, 0, v8, s6
	s_wait_loadcnt 0x1
	ds_store_b8 v6, v32
	v_mov_b32_e32 v6, v7
	v_mov_b32_e32 v7, v8
	v_cmp_le_i64_e32 vcc_lo, s[36:37], v[4:5]
	v_add_co_u32 v8, s6, s8, v4
	s_wait_alu 0xf1ff
	v_add_co_ci_u32_e64 v7, null, s9, v5, s6
	s_or_b32 s14, vcc_lo, s14
	s_wait_loadcnt 0x0
	v_mov_b32_e32 v32, v2
	s_wait_alu 0xfffe
	s_and_not1_b32 exec_lo, exec_lo, s14
	s_cbranch_execnz .LBB13_39
; %bb.40:                               ;   in Loop: Header=BB13_16 Depth=1
	s_or_b32 exec_lo, exec_lo, s14
	v_mov_b32_e32 v32, v2
.LBB13_41:                              ;   in Loop: Header=BB13_16 Depth=1
	s_wait_alu 0xfffe
	s_or_b32 exec_lo, exec_lo, s7
.LBB13_42:                              ;   in Loop: Header=BB13_16 Depth=1
	s_wait_alu 0xfffe
	s_or_b32 exec_lo, exec_lo, s13
	s_wait_loadcnt 0x0
	ds_store_b8 v8, v32
.LBB13_43:                              ;   in Loop: Header=BB13_16 Depth=1
	s_wait_alu 0xfffe
	s_or_b32 exec_lo, exec_lo, s12
	s_wait_loadcnt_dscnt 0x0
	s_barrier_signal -1
	s_barrier_wait -1
	global_inv scope:SCOPE_SE
	s_and_saveexec_b32 s6, s2
; %bb.44:                               ;   in Loop: Header=BB13_16 Depth=1
	v_dual_mov_b32 v4, s36 :: v_dual_mov_b32 v5, s37
	ds_store_b64 v3, v[4:5] offset:5120
; %bb.45:                               ;   in Loop: Header=BB13_16 Depth=1
	s_wait_alu 0xfffe
	s_or_b32 exec_lo, exec_lo, s6
	s_mov_b32 s6, -1
	s_wait_loadcnt_dscnt 0x0
	s_barrier_signal -1
	s_barrier_wait -1
.LBB13_46:                              ;   in Loop: Header=BB13_16 Depth=1
	s_wait_alu 0xfffe
	s_and_b32 vcc_lo, exec_lo, s6
	s_wait_alu 0xfffe
	s_cbranch_vccz .LBB13_48
; %bb.47:                               ;   in Loop: Header=BB13_16 Depth=1
	s_wait_loadcnt 0x0
	global_inv scope:SCOPE_SE
	ds_load_b64 v[4:5], v3 offset:5120
	s_wait_dscnt 0x0
	v_readfirstlane_b32 s72, v4
.LBB13_48:                              ;   in Loop: Header=BB13_16 Depth=1
	s_delay_alu instid0(VALU_DEP_1)
	s_cmp_lt_i32 s72, 1
	s_mov_b32 s6, -1
                                        ; implicit-def: $vgpr10_vgpr11
                                        ; implicit-def: $vgpr6_vgpr7
	s_cbranch_scc1 .LBB13_58
; %bb.49:                               ;   in Loop: Header=BB13_16 Depth=1
	s_wait_alu 0xfffe
	s_and_b32 vcc_lo, exec_lo, s6
	s_wait_alu 0xfffe
	s_cbranch_vccnz .LBB13_72
.LBB13_50:                              ;   in Loop: Header=BB13_16 Depth=1
	s_lshl_b32 s6, s104, 7
	s_and_saveexec_b32 s7, s1
	s_cbranch_execz .LBB13_52
.LBB13_51:                              ;   in Loop: Header=BB13_16 Depth=1
	s_wait_alu 0xfffe
	v_lshl_add_u32 v2, s6, 3, v36
	ds_store_b128 v2, v[4:7]
	ds_store_b128 v2, v[8:11] offset:16
.LBB13_52:                              ;   in Loop: Header=BB13_16 Depth=1
	s_wait_alu 0xfffe
	s_or_b32 exec_lo, exec_lo, s7
	s_wait_loadcnt_dscnt 0x0
	s_barrier_signal -1
	s_barrier_wait -1
	global_inv scope:SCOPE_SE
	s_and_saveexec_b32 s7, s33
	s_cbranch_execz .LBB13_89
; %bb.53:                               ;   in Loop: Header=BB13_16 Depth=1
	v_mov_b32_e32 v4, 0
	v_mov_b32_e32 v5, 0
	s_and_not1_b32 vcc_lo, exec_lo, s89
	s_wait_alu 0xfffe
	s_cbranch_vccnz .LBB13_88
; %bb.54:                               ;   in Loop: Header=BB13_16 Depth=1
	v_mov_b32_e32 v4, 0
	v_mov_b32_e32 v5, 0
	s_and_not1_b32 vcc_lo, exec_lo, s99
	s_wait_alu 0xfffe
	s_cbranch_vccnz .LBB13_85
; %bb.55:                               ;   in Loop: Header=BB13_16 Depth=1
	v_lshl_add_u32 v2, s104, 10, v41
	s_mov_b32 s8, 0
.LBB13_56:                              ;   Parent Loop BB13_16 Depth=1
                                        ; =>  This Inner Loop Header: Depth=2
	ds_load_2addr_b64 v[6:9], v2 offset1:4
	ds_load_2addr_b64 v[30:33], v2 offset0:8 offset1:12
	ds_load_2addr_b64 v[45:48], v2 offset0:16 offset1:20
	s_wait_alu 0xfffe
	s_add_co_i32 s8, s8, 8
	s_wait_alu 0xfffe
	s_cmp_eq_u32 s100, s8
	s_wait_dscnt 0x2
	v_add_co_u32 v4, vcc_lo, v6, v4
	s_wait_alu 0xfffd
	v_add_co_ci_u32_e64 v5, null, v7, v5, vcc_lo
	s_delay_alu instid0(VALU_DEP_2) | instskip(SKIP_1) | instid1(VALU_DEP_2)
	v_add_co_u32 v8, vcc_lo, v8, v4
	s_wait_alu 0xfffd
	v_add_co_ci_u32_e64 v9, null, v9, v5, vcc_lo
	ds_load_2addr_b64 v[4:7], v2 offset0:24 offset1:28
	s_wait_dscnt 0x2
	v_add_co_u32 v8, vcc_lo, v30, v8
	s_wait_alu 0xfffd
	v_add_co_ci_u32_e64 v9, null, v31, v9, vcc_lo
	v_add_nc_u32_e32 v2, 0x100, v2
	s_delay_alu instid0(VALU_DEP_3) | instskip(SKIP_1) | instid1(VALU_DEP_3)
	v_add_co_u32 v8, vcc_lo, v32, v8
	s_wait_alu 0xfffd
	v_add_co_ci_u32_e64 v9, null, v33, v9, vcc_lo
	s_wait_dscnt 0x1
	s_delay_alu instid0(VALU_DEP_2) | instskip(SKIP_1) | instid1(VALU_DEP_2)
	v_add_co_u32 v8, vcc_lo, v45, v8
	s_wait_alu 0xfffd
	v_add_co_ci_u32_e64 v9, null, v46, v9, vcc_lo
	s_delay_alu instid0(VALU_DEP_2) | instskip(SKIP_1) | instid1(VALU_DEP_2)
	v_add_co_u32 v8, vcc_lo, v47, v8
	s_wait_alu 0xfffd
	v_add_co_ci_u32_e64 v9, null, v48, v9, vcc_lo
	s_wait_dscnt 0x0
	s_delay_alu instid0(VALU_DEP_2) | instskip(SKIP_1) | instid1(VALU_DEP_2)
	v_add_co_u32 v4, vcc_lo, v4, v8
	s_wait_alu 0xfffd
	v_add_co_ci_u32_e64 v5, null, v5, v9, vcc_lo
	s_delay_alu instid0(VALU_DEP_2) | instskip(SKIP_1) | instid1(VALU_DEP_2)
	v_add_co_u32 v4, vcc_lo, v6, v4
	s_wait_alu 0xfffd
	v_add_co_ci_u32_e64 v5, null, v7, v5, vcc_lo
	s_cbranch_scc0 .LBB13_56
; %bb.57:                               ;   in Loop: Header=BB13_16 Depth=1
	s_mov_b32 s8, s100
	s_and_not1_b32 vcc_lo, exec_lo, s102
	s_wait_alu 0xfffe
	s_cbranch_vccz .LBB13_86
	s_branch .LBB13_88
.LBB13_58:                              ;   in Loop: Header=BB13_16 Depth=1
	global_load_u16 v2, v3, s[38:39]
	s_mov_b32 s7, s37
	s_wait_loadcnt 0x0
	v_readfirstlane_b32 s6, v2
	s_wait_alu 0xfffe
	s_and_b32 s8, 0xffff, s6
	s_mov_b32 s6, s59
	s_wait_alu 0xfffe
	s_lshl_b32 s74, s8, 2
	s_cmp_lg_u64 s[6:7], 0
	s_cbranch_scc0 .LBB13_81
; %bb.59:                               ;   in Loop: Header=BB13_16 Depth=1
	s_mov_b32 s75, s59
	s_wait_alu 0xfffe
	s_add_nc_u64 s[6:7], s[74:75], 0
	s_wait_alu 0xfffe
	s_xor_b64 s[6:7], s[6:7], 0
	s_wait_alu 0xfffe
	s_cvt_f32_u32 s8, s6
	s_cvt_f32_u32 s9, s7
	s_sub_nc_u64 s[10:11], 0, s[6:7]
	s_wait_alu 0xfffe
	s_delay_alu instid0(SALU_CYCLE_1) | instskip(SKIP_1) | instid1(SALU_CYCLE_2)
	s_fmamk_f32 s8, s9, 0x4f800000, s8
	s_wait_alu 0xfffe
	v_s_rcp_f32 s8, s8
	s_delay_alu instid0(TRANS32_DEP_1) | instskip(SKIP_1) | instid1(SALU_CYCLE_2)
	s_mul_f32 s8, s8, 0x5f7ffffc
	s_wait_alu 0xfffe
	s_mul_f32 s9, s8, 0x2f800000
	s_wait_alu 0xfffe
	s_delay_alu instid0(SALU_CYCLE_2) | instskip(SKIP_1) | instid1(SALU_CYCLE_2)
	s_trunc_f32 s9, s9
	s_wait_alu 0xfffe
	s_fmamk_f32 s8, s9, 0xcf800000, s8
	s_cvt_u32_f32 s9, s9
	s_wait_alu 0xfffe
	s_delay_alu instid0(SALU_CYCLE_1) | instskip(SKIP_1) | instid1(SALU_CYCLE_2)
	s_cvt_u32_f32 s8, s8
	s_wait_alu 0xfffe
	s_mul_u64 s[12:13], s[10:11], s[8:9]
	s_wait_alu 0xfffe
	s_mul_hi_u32 s15, s8, s13
	s_mul_i32 s14, s8, s13
	s_mul_hi_u32 s58, s8, s12
	s_mul_i32 s17, s9, s12
	s_wait_alu 0xfffe
	s_add_nc_u64 s[14:15], s[58:59], s[14:15]
	s_mul_hi_u32 s16, s9, s12
	s_mul_hi_u32 s18, s9, s13
	s_mul_i32 s12, s9, s13
	s_wait_alu 0xfffe
	s_add_co_u32 s13, s14, s17
	s_add_co_ci_u32 s58, s15, s16
	s_add_co_ci_u32 s13, s18, 0
	s_wait_alu 0xfffe
	s_add_nc_u64 s[12:13], s[58:59], s[12:13]
	s_wait_alu 0xfffe
	s_add_co_u32 s8, s8, s12
	s_cselect_b32 s12, -1, 0
	s_wait_alu 0xfffe
	s_cmp_lg_u32 s12, 0
	s_add_co_ci_u32 s9, s9, s13
	s_wait_alu 0xfffe
	s_mul_u64 s[10:11], s[10:11], s[8:9]
	s_wait_alu 0xfffe
	s_mul_hi_u32 s13, s8, s11
	s_mul_i32 s12, s8, s11
	s_mul_hi_u32 s58, s8, s10
	s_mul_i32 s15, s9, s10
	s_wait_alu 0xfffe
	s_add_nc_u64 s[12:13], s[58:59], s[12:13]
	s_mul_hi_u32 s14, s9, s10
	s_mul_hi_u32 s16, s9, s11
	s_mul_i32 s10, s9, s11
	s_wait_alu 0xfffe
	s_add_co_u32 s11, s12, s15
	s_add_co_ci_u32 s58, s13, s14
	s_add_co_ci_u32 s11, s16, 0
	s_wait_alu 0xfffe
	s_add_nc_u64 s[10:11], s[58:59], s[10:11]
	s_wait_alu 0xfffe
	s_add_co_u32 s14, s8, s10
	s_cselect_b32 s8, -1, 0
	s_wait_alu 0xfffe
	s_cmp_lg_u32 s8, 0
	s_add_co_ci_u32 s15, s9, s11
	s_ashr_i32 s8, s37, 31
	s_wait_alu 0xfffe
	s_mov_b32 s9, s8
	s_wait_alu 0xfffe
	s_add_nc_u64 s[10:11], s[36:37], s[8:9]
	s_wait_alu 0xfffe
	s_xor_b64 s[10:11], s[10:11], s[8:9]
	s_wait_alu 0xfffe
	s_mul_hi_u32 s13, s10, s15
	s_mul_i32 s12, s10, s15
	s_mul_hi_u32 s58, s10, s14
	s_mul_i32 s18, s11, s14
	s_wait_alu 0xfffe
	s_add_nc_u64 s[12:13], s[58:59], s[12:13]
	s_mul_hi_u32 s17, s11, s14
	s_mul_hi_u32 s16, s11, s15
	s_wait_alu 0xfffe
	s_add_co_u32 s12, s12, s18
	s_add_co_ci_u32 s58, s13, s17
	s_mul_i32 s14, s11, s15
	s_add_co_ci_u32 s15, s16, 0
	s_wait_alu 0xfffe
	s_add_nc_u64 s[12:13], s[58:59], s[14:15]
	s_wait_alu 0xfffe
	s_mul_u64 s[12:13], s[6:7], s[12:13]
	s_wait_alu 0xfffe
	s_sub_co_u32 s10, s10, s12
	s_cselect_b32 s12, -1, 0
	s_sub_co_i32 s14, s11, s13
	s_wait_alu 0xfffe
	s_cmp_lg_u32 s12, 0
	s_sub_co_ci_u32 s14, s14, s7
	s_sub_co_u32 s15, s10, s6
	s_cselect_b32 s16, -1, 0
	s_wait_alu 0xfffe
	s_cmp_lg_u32 s16, 0
	s_sub_co_ci_u32 s17, s14, 0
	s_wait_alu 0xfffe
	s_cmp_ge_u32 s17, s7
	s_cselect_b32 s18, -1, 0
	s_cmp_ge_u32 s15, s6
	s_cselect_b32 s19, -1, 0
	s_cmp_eq_u32 s17, s7
	s_wait_alu 0xfffe
	s_cselect_b32 s18, s19, s18
	s_cmp_lg_u32 s16, 0
	s_sub_co_ci_u32 s14, s14, s7
	s_sub_co_u32 s16, s15, s6
	s_cselect_b32 s19, -1, 0
	s_wait_alu 0xfffe
	s_cmp_lg_u32 s19, 0
	s_sub_co_ci_u32 s14, s14, 0
	s_cmp_lg_u32 s18, 0
	s_cselect_b32 s15, s16, s15
	s_wait_alu 0xfffe
	s_cselect_b32 s14, s14, s17
	s_cmp_lg_u32 s12, 0
	s_sub_co_ci_u32 s11, s11, s13
	s_wait_alu 0xfffe
	s_cmp_ge_u32 s11, s7
	s_cselect_b32 s12, -1, 0
	s_cmp_ge_u32 s10, s6
	s_cselect_b32 s6, -1, 0
	s_cmp_eq_u32 s11, s7
	s_wait_alu 0xfffe
	s_cselect_b32 s6, s6, s12
	s_wait_alu 0xfffe
	s_cmp_lg_u32 s6, 0
	s_cselect_b32 s7, s14, s11
	s_cselect_b32 s6, s15, s10
	s_wait_alu 0xfffe
	s_xor_b64 s[6:7], s[6:7], s[8:9]
	s_wait_alu 0xfffe
	s_sub_nc_u64 s[76:77], s[6:7], s[8:9]
	s_cbranch_execnz .LBB13_61
.LBB13_60:                              ;   in Loop: Header=BB13_16 Depth=1
	s_wait_alu 0xfffe
	v_cvt_f32_u32_e32 v4, s74
	s_sub_co_i32 s7, 0, s74
	s_delay_alu instid0(VALU_DEP_1) | instskip(NEXT) | instid1(TRANS32_DEP_1)
	v_rcp_iflag_f32_e32 v4, v4
	v_mul_f32_e32 v4, 0x4f7ffffe, v4
	s_delay_alu instid0(VALU_DEP_1) | instskip(NEXT) | instid1(VALU_DEP_1)
	v_cvt_u32_f32_e32 v4, v4
	v_readfirstlane_b32 s6, v4
	s_wait_alu 0xfffe
	s_mul_i32 s7, s7, s6
	s_wait_alu 0xfffe
	s_mul_hi_u32 s7, s6, s7
	s_wait_alu 0xfffe
	s_add_co_i32 s6, s6, s7
	s_wait_alu 0xfffe
	s_mul_hi_u32 s6, s36, s6
	s_wait_alu 0xfffe
	s_mul_i32 s6, s6, s74
	s_wait_alu 0xfffe
	s_sub_co_i32 s6, s36, s6
	s_wait_alu 0xfffe
	s_sub_co_i32 s7, s6, s74
	s_cmp_ge_u32 s6, s74
	s_wait_alu 0xfffe
	s_cselect_b32 s6, s7, s6
	s_wait_alu 0xfffe
	s_sub_co_i32 s7, s6, s74
	s_cmp_ge_u32 s6, s74
	s_wait_alu 0xfffe
	s_cselect_b32 s58, s7, s6
	s_wait_alu 0xfffe
	s_mov_b64 s[76:77], s[58:59]
.LBB13_61:                              ;   in Loop: Header=BB13_16 Depth=1
	v_mov_b32_e32 v4, 0
	v_dual_mov_b32 v8, 0 :: v_dual_mov_b32 v5, 0
	v_dual_mov_b32 v6, 0 :: v_dual_mov_b32 v9, 0
	;; [unrolled: 1-line block ×3, first 2 shown]
	v_dual_mov_b32 v11, 0 :: v_dual_and_b32 v2, 0xffff, v2
	s_wait_alu 0xfffe
	s_sub_nc_u64 s[78:79], s[36:37], s[76:77]
	s_mov_b32 s25, exec_lo
	s_wait_alu 0xfffe
	v_cmpx_gt_i64_e64 s[78:79], v[16:17]
	s_cbranch_execz .LBB13_65
; %bb.62:                               ;   in Loop: Header=BB13_16 Depth=1
	v_mul_lo_u32 v4, v2, s71
	v_mul_lo_u32 v5, 0, s70
	v_mul_hi_u32 v6, v2, s70
	v_mul_lo_u32 v45, v2, s70
	v_dual_mov_b32 v30, s62 :: v_dual_mov_b32 v33, v17
	v_mov_b32_e32 v32, v16
	s_mov_b64 s[80:81], 0
	v_dual_mov_b32 v31, s63 :: v_dual_add_nc_u32 v4, v4, v5
	s_mov_b32 s29, 0
	s_mov_b64 s[82:83], 0
	s_mov_b64 s[84:85], 0
	;; [unrolled: 1-line block ×3, first 2 shown]
	v_add_nc_u32_e32 v46, v4, v6
.LBB13_63:                              ;   Parent Loop BB13_16 Depth=1
                                        ; =>  This Inner Loop Header: Depth=2
	v_add_co_u32 v4, vcc_lo, v30, v26
	s_wait_alu 0xfffd
	v_add_co_ci_u32_e64 v5, null, v31, v27, vcc_lo
	global_load_i8 v6, v[4:5], off
	v_add_co_u32 v4, vcc_lo, v30, v25
	s_wait_alu 0xfffd
	v_add_co_ci_u32_e64 v5, null, v31, v38, vcc_lo
	global_load_i8 v7, v[4:5], off
	;; [unrolled: 4-line block ×4, first 2 shown]
	s_wait_loadcnt 0x3
	v_add_nc_u32_e32 v5, 0x80, v6
	s_delay_alu instid0(VALU_DEP_1) | instskip(SKIP_1) | instid1(VALU_DEP_2)
	v_and_b32_e32 v6, v5, v43
	v_bfe_u32 v5, v5, s101, 2
	v_cmp_eq_u32_e32 vcc_lo, v6, v22
	s_wait_loadcnt 0x2
	v_add_nc_u32_e32 v6, 0x80, v7
	s_delay_alu instid0(VALU_DEP_3)
	v_cmp_eq_u32_e64 s9, 0, v5
	v_cmp_eq_u32_e64 s10, 1, v5
	;; [unrolled: 1-line block ×4, first 2 shown]
	v_and_b32_e32 v7, v6, v43
	v_bfe_u32 v5, v6, s101, 2
	s_and_b32 s9, vcc_lo, s9
	s_and_b32 s10, vcc_lo, s10
	;; [unrolled: 1-line block ×3, first 2 shown]
	v_cmp_eq_u32_e64 s6, v7, v22
	s_wait_loadcnt 0x1
	v_add_nc_u32_e32 v7, 0x80, v8
	v_cmp_eq_u32_e64 s13, 0, v5
	s_wait_loadcnt 0x0
	v_add_nc_u32_e32 v4, 0x80, v4
	v_cmp_eq_u32_e64 s14, 1, v5
	v_cmp_eq_u32_e64 s15, 2, v5
	v_and_b32_e32 v8, v7, v43
	v_cmp_eq_u32_e64 s16, 3, v5
	v_bfe_u32 v5, v7, s101, 2
	s_and_b32 s13, s6, s13
	s_and_b32 s14, s6, s14
	v_cmp_eq_u32_e64 s7, v8, v22
	v_and_b32_e32 v8, v4, v43
	v_bfe_u32 v4, v4, s101, 2
	v_cmp_eq_u32_e64 s17, 0, v5
	v_cmp_eq_u32_e64 s18, 1, v5
	;; [unrolled: 1-line block ×8, first 2 shown]
	s_wait_alu 0xfffe
	v_cndmask_b32_e64 v4, 0, 1, s9
	s_and_b32 s17, s7, s17
	s_and_b32 s21, s8, s21
	;; [unrolled: 1-line block ×4, first 2 shown]
	v_cmp_ne_u32_e64 s9, 0, v4
	v_cndmask_b32_e64 v4, 0, 1, s13
	s_and_b32 s15, s6, s15
	s_and_b32 s19, s7, s19
	;; [unrolled: 1-line block ×3, first 2 shown]
	s_and_b32 s12, vcc_lo, s12
	v_cmp_ne_u32_e64 s13, 0, v4
	s_wait_alu 0xfffe
	v_cndmask_b32_e64 v4, 0, 1, s17
	v_cmp_eq_u32_e64 s20, 3, v5
	s_and_b32 s6, s6, s16
	s_and_b32 s8, s8, s24
	v_add_co_u32 v30, s16, v30, v45
	v_cmp_ne_u32_e64 s17, 0, v4
	v_cndmask_b32_e64 v4, 0, 1, s21
	s_and_b32 s7, s7, s20
	s_bcnt1_i32_b32 s9, s9
	s_bcnt1_i32_b32 s13, s13
	v_add_co_ci_u32_e64 v31, null, v31, v46, s16
	v_cmp_ne_u32_e64 s21, 0, v4
	v_cndmask_b32_e64 v4, 0, 1, s10
	s_bcnt1_i32_b32 s16, s17
	s_wait_alu 0xfffe
	s_add_co_i32 s9, s13, s9
	s_bcnt1_i32_b32 s17, s21
	v_cmp_ne_u32_e64 s10, 0, v4
	v_cndmask_b32_e64 v4, 0, 1, s14
	s_wait_alu 0xfffe
	s_add_co_i32 s9, s9, s16
	s_wait_alu 0xfffe
	s_add_co_i32 s58, s9, s17
	s_bcnt1_i32_b32 s10, s10
	v_cmp_ne_u32_e64 s14, 0, v4
	v_cndmask_b32_e64 v4, 0, 1, s18
	s_wait_alu 0xfffe
	s_add_nc_u64 s[86:87], s[86:87], s[58:59]
	s_bcnt1_i32_b32 s14, s14
	s_delay_alu instid0(VALU_DEP_1) | instskip(SKIP_4) | instid1(VALU_DEP_1)
	v_cmp_ne_u32_e64 s18, 0, v4
	v_cndmask_b32_e64 v4, 0, 1, s22
	s_wait_alu 0xfffe
	s_add_co_i32 s10, s14, s10
	s_bcnt1_i32_b32 s18, s18
	v_cmp_ne_u32_e64 s22, 0, v4
	v_cndmask_b32_e64 v4, 0, 1, s11
	s_wait_alu 0xfffe
	s_add_co_i32 s10, s10, s18
	s_bcnt1_i32_b32 s20, s22
	s_delay_alu instid0(VALU_DEP_1)
	v_cmp_ne_u32_e64 s11, 0, v4
	v_cndmask_b32_e64 v4, 0, 1, s15
	s_wait_alu 0xfffe
	s_add_co_i32 s58, s10, s20
	s_wait_alu 0xfffe
	s_add_nc_u64 s[84:85], s[84:85], s[58:59]
	s_bcnt1_i32_b32 s11, s11
	v_cmp_ne_u32_e64 s15, 0, v4
	v_cndmask_b32_e64 v4, 0, 1, s19
	s_wait_alu 0xfffe
	v_dual_mov_b32 v6, s84 :: v_dual_mov_b32 v7, s85
	s_bcnt1_i32_b32 s15, s15
	s_delay_alu instid0(VALU_DEP_2) | instskip(SKIP_4) | instid1(VALU_DEP_1)
	v_cmp_ne_u32_e64 s19, 0, v4
	v_cndmask_b32_e64 v4, 0, 1, s23
	s_wait_alu 0xfffe
	s_add_co_i32 s11, s15, s11
	s_bcnt1_i32_b32 s19, s19
	v_cmp_ne_u32_e64 s23, 0, v4
	v_cndmask_b32_e64 v4, 0, 1, s12
	v_add_co_u32 v32, s12, v32, s74
	s_wait_alu 0xfffe
	s_add_co_i32 s11, s11, s19
	s_bcnt1_i32_b32 s21, s23
	v_cmp_ne_u32_e32 vcc_lo, 0, v4
	v_cndmask_b32_e64 v4, 0, 1, s6
	v_add_co_ci_u32_e64 v33, null, 0, v33, s12
	s_wait_alu 0xfffe
	s_add_co_i32 s58, s11, s21
	s_bcnt1_i32_b32 s22, vcc_lo
	v_cmp_ne_u32_e64 s6, 0, v4
	v_cndmask_b32_e64 v4, 0, 1, s7
	s_wait_alu 0xfffe
	s_add_nc_u64 s[82:83], s[82:83], s[58:59]
	v_cmp_le_i64_e64 s12, s[78:79], v[32:33]
	s_wait_alu 0xfffe
	v_mov_b32_e32 v8, s82
	s_bcnt1_i32_b32 s6, s6
	v_cmp_ne_u32_e64 s7, 0, v4
	v_cndmask_b32_e64 v4, 0, 1, s8
	s_wait_alu 0xfffe
	s_add_co_i32 s6, s6, s22
	v_mov_b32_e32 v9, s83
	s_bcnt1_i32_b32 s7, s7
	v_cmp_ne_u32_e64 s8, 0, v4
	s_wait_alu 0xfffe
	s_add_co_i32 s6, s6, s7
	v_dual_mov_b32 v4, s86 :: v_dual_mov_b32 v5, s87
	s_bcnt1_i32_b32 s8, s8
	s_wait_alu 0xfffe
	s_add_co_i32 s58, s6, s8
	s_or_b32 s29, s12, s29
	s_wait_alu 0xfffe
	s_add_nc_u64 s[80:81], s[80:81], s[58:59]
	s_wait_alu 0xfffe
	v_dual_mov_b32 v10, s80 :: v_dual_mov_b32 v11, s81
	s_and_not1_b32 exec_lo, exec_lo, s29
	s_cbranch_execnz .LBB13_63
; %bb.64:                               ;   in Loop: Header=BB13_16 Depth=1
	s_or_b32 exec_lo, exec_lo, s29
.LBB13_65:                              ;   in Loop: Header=BB13_16 Depth=1
	s_delay_alu instid0(SALU_CYCLE_1)
	s_or_b32 exec_lo, exec_lo, s25
	v_add_co_u32 v30, s6, s78, v0
	s_wait_alu 0xf1ff
	v_add_co_ci_u32_e64 v31, null, s79, 0, s6
	s_mov_b32 s10, exec_lo
	v_cmpx_gt_i64_e64 s[36:37], v[30:31]
	s_cbranch_execz .LBB13_71
; %bb.66:                               ;   in Loop: Header=BB13_16 Depth=1
	v_mad_co_u64_u32 v[32:33], null, v30, s42, s[62:63]
	v_mul_lo_u32 v45, v30, s43
	v_mul_lo_u32 v46, v31, s42
	v_mul_hi_u32 v49, v2, s42
	s_mov_b32 s11, 0
	s_delay_alu instid0(VALU_DEP_2)
	v_add3_u32 v33, v46, v33, v45
	v_mul_lo_u32 v45, v2, s43
	global_load_u8 v48, v[32:33], off
	v_add_co_u32 v32, vcc_lo, v39, v2
	s_wait_alu 0xfffd
	v_add_co_ci_u32_e64 v33, null, 0, v40, vcc_lo
	v_add_nc_u32_e32 v50, v45, v42
	s_delay_alu instid0(VALU_DEP_3) | instskip(SKIP_1) | instid1(VALU_DEP_3)
	v_sub_co_u32 v32, vcc_lo, v32, s76
	s_wait_alu 0xfffd
	v_subrev_co_ci_u32_e64 v33, null, s77, v33, vcc_lo
	v_mul_lo_u32 v45, v2, s42
	s_delay_alu instid0(VALU_DEP_3) | instskip(NEXT) | instid1(VALU_DEP_3)
	v_mul_lo_u32 v47, s43, v32
	v_mul_lo_u32 v46, s42, v33
	v_mad_co_u64_u32 v[32:33], null, s42, v32, s[68:69]
	s_delay_alu instid0(VALU_DEP_1)
	v_add3_u32 v33, v47, v33, v46
	v_add_nc_u32_e32 v46, v50, v49
	s_branch .LBB13_68
.LBB13_67:                              ;   in Loop: Header=BB13_68 Depth=2
	s_wait_alu 0xfffe
	s_or_b32 exec_lo, exec_lo, s7
	s_wait_loadcnt 0x0
	v_bfe_i32 v48, v48, 0, 8
	s_and_b32 s8, exec_lo, vcc_lo
	s_wait_alu 0xfffe
	s_or_b32 s11, s8, s11
	s_delay_alu instid0(VALU_DEP_1) | instskip(NEXT) | instid1(VALU_DEP_1)
	v_add_nc_u32_e32 v48, 0x80, v48
	v_and_b32_e32 v49, v48, v43
	v_bfe_u32 v48, v48, s101, 2
	s_delay_alu instid0(VALU_DEP_2) | instskip(NEXT) | instid1(VALU_DEP_2)
	v_cmp_eq_u32_e64 s6, v49, v22
	v_cmp_eq_u32_e64 s7, 0, v48
	v_cmp_eq_u32_e32 vcc_lo, 1, v48
	v_cmp_eq_u32_e64 s8, 2, v48
	s_and_b32 s7, s6, s7
	s_wait_alu 0xfffe
	v_cndmask_b32_e64 v49, 0, 1, s7
	s_and_b32 s7, s6, vcc_lo
	v_cmp_eq_u32_e32 vcc_lo, 3, v48
	s_wait_alu 0xfffe
	v_cndmask_b32_e64 v50, 0, 1, s7
	s_and_b32 s7, s6, s8
	s_wait_alu 0xfffe
	v_cndmask_b32_e64 v51, 0, 1, s7
	v_cmp_ne_u32_e64 s7, 0, v49
	v_cmp_ne_u32_e64 s8, 0, v50
	s_and_b32 s6, s6, vcc_lo
	s_wait_alu 0xfffe
	v_cndmask_b32_e64 v48, 0, 1, s6
	s_bcnt1_i32_b32 s6, s7
	v_cmp_ne_u32_e64 s9, 0, v51
	s_bcnt1_i32_b32 s7, s8
	s_wait_alu 0xfffe
	v_add_co_u32 v4, vcc_lo, v4, s6
	s_wait_alu 0xfffd
	v_add_co_ci_u32_e64 v5, null, 0, v5, vcc_lo
	v_add_co_u32 v6, vcc_lo, v6, s7
	s_wait_alu 0xfffd
	v_add_co_ci_u32_e64 v7, null, 0, v7, vcc_lo
	v_cmp_ne_u32_e32 vcc_lo, 0, v48
	s_bcnt1_i32_b32 s8, s9
	v_mov_b32_e32 v48, v47
	s_wait_alu 0xfffe
	v_add_co_u32 v8, s6, v8, s8
	s_wait_alu 0xf1ff
	v_add_co_ci_u32_e64 v9, null, 0, v9, s6
	s_bcnt1_i32_b32 s6, vcc_lo
	s_wait_alu 0xfffe
	v_add_co_u32 v10, vcc_lo, v10, s6
	s_wait_alu 0xfffd
	v_add_co_ci_u32_e64 v11, null, 0, v11, vcc_lo
	v_add_co_u32 v32, vcc_lo, v32, v45
	s_wait_alu 0xfffd
	v_add_co_ci_u32_e64 v33, null, v33, v46, vcc_lo
	s_and_not1_b32 exec_lo, exec_lo, s11
	s_cbranch_execz .LBB13_70
.LBB13_68:                              ;   Parent Loop BB13_16 Depth=1
                                        ; =>  This Inner Loop Header: Depth=2
	v_add_co_u32 v30, vcc_lo, v30, v2
	s_wait_alu 0xfffd
	v_add_co_ci_u32_e64 v31, null, 0, v31, vcc_lo
	v_mov_b32_e32 v47, 0
	s_mov_b32 s7, exec_lo
	s_delay_alu instid0(VALU_DEP_2)
	v_cmp_le_i64_e32 vcc_lo, s[36:37], v[30:31]
	v_cmpx_gt_i64_e64 s[36:37], v[30:31]
	s_cbranch_execz .LBB13_67
; %bb.69:                               ;   in Loop: Header=BB13_68 Depth=2
	global_load_u8 v47, v[32:33], off
	s_branch .LBB13_67
.LBB13_70:                              ;   in Loop: Header=BB13_16 Depth=1
	s_or_b32 exec_lo, exec_lo, s11
.LBB13_71:                              ;   in Loop: Header=BB13_16 Depth=1
	s_wait_alu 0xfffe
	s_or_b32 exec_lo, exec_lo, s10
	s_branch .LBB13_50
.LBB13_72:                              ;   in Loop: Header=BB13_16 Depth=1
	global_load_u16 v2, v3, s[38:39]
	v_mov_b32_e32 v6, 0
	v_mov_b32_e32 v8, 0
	v_dual_mov_b32 v10, 0 :: v_dual_mov_b32 v9, 0
	v_mov_b32_e32 v11, 0
	s_mov_b32 s73, exec_lo
	v_mov_b32_e32 v7, 0
	s_wait_loadcnt 0x0
	v_readfirstlane_b32 s6, v2
	v_and_b32_e32 v2, 0xffff, v2
	s_and_b32 s29, 0xffff, s6
	s_wait_alu 0xfffe
	s_lshl_b32 s31, s29, 2
	s_wait_alu 0xfffe
	s_cvt_f32_u32 s6, s31
	s_sub_co_i32 s7, 0, s31
	s_wait_alu 0xfffe
	s_delay_alu instid0(SALU_CYCLE_1) | instskip(NEXT) | instid1(TRANS32_DEP_1)
	v_rcp_iflag_f32_e32 v4, s6
	v_readfirstlane_b32 s6, v4
	s_mul_f32 s6, s6, 0x4f7ffffe
	s_wait_alu 0xfffe
	s_delay_alu instid0(SALU_CYCLE_2) | instskip(SKIP_1) | instid1(SALU_CYCLE_2)
	s_cvt_u32_f32 s6, s6
	s_wait_alu 0xfffe
	s_mul_i32 s7, s7, s6
	s_wait_alu 0xfffe
	s_mul_hi_u32 s7, s6, s7
	s_wait_alu 0xfffe
	s_add_co_i32 s6, s6, s7
	s_wait_alu 0xfffe
	s_mul_hi_u32 s6, s72, s6
	s_wait_alu 0xfffe
	s_mul_i32 s7, s6, s31
	s_add_co_i32 s8, s6, 1
	s_wait_alu 0xfffe
	s_sub_co_i32 s7, s72, s7
	s_wait_alu 0xfffe
	s_sub_co_i32 s9, s7, s31
	s_cmp_ge_u32 s7, s31
	s_cselect_b32 s6, s8, s6
	s_wait_alu 0xfffe
	s_cselect_b32 s7, s9, s7
	s_add_co_i32 s8, s6, 1
	s_wait_alu 0xfffe
	s_cmp_ge_u32 s7, s31
	s_cselect_b32 s30, s8, s6
	s_wait_alu 0xfffe
	v_mul_hi_u32 v5, s30, v2
	v_mul_lo_u32 v4, s30, v2
	s_delay_alu instid0(VALU_DEP_1) | instskip(SKIP_2) | instid1(VALU_DEP_3)
	v_lshlrev_b64_e32 v[30:31], 2, v[4:5]
	v_mov_b32_e32 v4, 0
	v_mov_b32_e32 v5, 0
	v_cmpx_gt_u64_e64 v[30:31], v[16:17]
	s_cbranch_execz .LBB13_76
; %bb.73:                               ;   in Loop: Header=BB13_16 Depth=1
	v_mov_b32_e32 v33, v17
	v_dual_mov_b32 v45, v16 :: v_dual_mov_b32 v32, v16
	s_mov_b64 s[74:75], 0
	s_mov_b32 s82, 0
	s_mov_b64 s[76:77], 0
	s_mov_b64 s[78:79], 0
	;; [unrolled: 1-line block ×3, first 2 shown]
.LBB13_74:                              ;   Parent Loop BB13_16 Depth=1
                                        ; =>  This Inner Loop Header: Depth=2
	ds_load_b32 v4, v45
	v_add_co_u32 v32, vcc_lo, v32, s31
	s_wait_alu 0xfffd
	v_add_co_ci_u32_e64 v33, null, 0, v33, vcc_lo
	s_delay_alu instid0(VALU_DEP_1)
	v_cmp_ge_u64_e32 vcc_lo, v[32:33], v[30:31]
	s_wait_dscnt 0x0
	v_bfe_i32 v5, v4, 0, 8
	v_bfe_i32 v6, v4, 8, 8
	;; [unrolled: 1-line block ×3, first 2 shown]
	v_ashrrev_i32_e32 v4, 24, v4
	s_delay_alu instid0(VALU_DEP_4) | instskip(NEXT) | instid1(VALU_DEP_4)
	v_add_nc_u32_e32 v5, 0x80, v5
	v_add_nc_u32_e32 v6, 0x80, v6
	s_delay_alu instid0(VALU_DEP_4) | instskip(NEXT) | instid1(VALU_DEP_4)
	v_add_nc_u32_e32 v7, 0x80, v7
	v_add_nc_u32_e32 v4, 0x80, v4
	s_delay_alu instid0(VALU_DEP_4) | instskip(NEXT) | instid1(VALU_DEP_4)
	v_and_b32_e32 v8, v5, v43
	v_and_b32_e32 v9, v6, v43
	v_bfe_u32 v5, v5, s101, 2
	v_bfe_u32 v6, v6, s101, 2
	s_delay_alu instid0(VALU_DEP_4)
	v_cmp_eq_u32_e64 s6, v8, v22
	v_and_b32_e32 v8, v7, v43
	v_bfe_u32 v7, v7, s101, 2
	v_cmp_eq_u32_e64 s7, v9, v22
	v_and_b32_e32 v9, v4, v43
	v_bfe_u32 v4, v4, s101, 2
	v_cmp_eq_u32_e64 s10, 0, v5
	v_cmp_eq_u32_e64 s11, 0, v6
	;; [unrolled: 1-line block ×9, first 2 shown]
	s_and_b32 s10, s6, s10
	s_and_b32 s11, s7, s11
	v_cmp_eq_u32_e64 s15, 1, v6
	v_cmp_eq_u32_e64 s18, 2, v5
	;; [unrolled: 1-line block ×7, first 2 shown]
	s_and_b32 s12, s8, s12
	s_wait_alu 0xfffe
	v_cndmask_b32_e64 v4, 0, 1, s10
	v_cndmask_b32_e64 v5, 0, 1, s11
	s_and_b32 s13, s9, s13
	v_cmp_eq_u32_e64 s20, 2, v7
	v_cmp_eq_u32_e64 s24, 3, v7
	v_cndmask_b32_e64 v6, 0, 1, s12
	s_and_b32 s14, s6, s14
	s_and_b32 s16, s8, s16
	;; [unrolled: 1-line block ×3, first 2 shown]
	s_wait_alu 0xfffe
	v_cndmask_b32_e64 v7, 0, 1, s13
	s_and_b32 s15, s7, s15
	s_and_b32 s18, s6, s18
	s_and_b32 s19, s7, s19
	s_and_b32 s22, s6, s22
	s_and_b32 s23, s7, s23
	v_cndmask_b32_e64 v8, 0, 1, s14
	v_cmp_ne_u32_e64 s6, 0, v4
	v_cndmask_b32_e64 v4, 0, 1, s16
	v_cmp_ne_u32_e64 s7, 0, v5
	v_cndmask_b32_e64 v5, 0, 1, s17
	s_wait_alu 0xfffe
	v_cndmask_b32_e64 v9, 0, 1, s15
	s_and_b32 s20, s8, s20
	s_and_b32 s24, s8, s24
	v_cmp_ne_u32_e64 s8, 0, v6
	v_cndmask_b32_e64 v6, 0, 1, s18
	s_and_b32 s21, s9, s21
	s_and_b32 s25, s9, s25
	v_cmp_ne_u32_e64 s9, 0, v7
	v_cndmask_b32_e64 v7, 0, 1, s19
	v_cmp_ne_u32_e64 s10, 0, v8
	s_wait_alu 0xfffe
	v_cndmask_b32_e64 v8, 0, 1, s20
	v_cmp_ne_u32_e64 s12, 0, v4
	v_cndmask_b32_e64 v4, 0, 1, s22
	v_cmp_ne_u32_e64 s13, 0, v5
	;; [unrolled: 2-line block ×5, first 2 shown]
	v_cndmask_b32_e64 v7, 0, 1, s25
	s_bcnt1_i32_b32 s6, s6
	s_bcnt1_i32_b32 s7, s7
	v_cmp_ne_u32_e64 s16, 0, v8
	v_cmp_ne_u32_e64 s18, 0, v4
	;; [unrolled: 1-line block ×3, first 2 shown]
	s_bcnt1_i32_b32 s8, s8
	s_bcnt1_i32_b32 s10, s10
	s_bcnt1_i32_b32 s11, s11
	s_wait_alu 0xfffe
	s_add_co_i32 s6, s7, s6
	v_cmp_ne_u32_e64 s17, 0, v9
	v_cmp_ne_u32_e64 s20, 0, v6
	s_bcnt1_i32_b32 s9, s9
	s_bcnt1_i32_b32 s12, s12
	;; [unrolled: 1-line block ×4, first 2 shown]
	s_add_co_i32 s7, s11, s10
	s_wait_alu 0xfffe
	s_add_co_i32 s6, s6, s8
	v_cmp_ne_u32_e64 s21, 0, v7
	s_bcnt1_i32_b32 s13, s13
	s_bcnt1_i32_b32 s16, s16
	;; [unrolled: 1-line block ×4, first 2 shown]
	s_add_co_i32 s10, s15, s14
	s_add_co_i32 s7, s7, s12
	s_wait_alu 0xfffe
	s_add_co_i32 s58, s6, s9
	s_bcnt1_i32_b32 s17, s17
	s_bcnt1_i32_b32 s20, s20
	s_add_co_i32 s11, s19, s18
	s_add_co_i32 s8, s10, s16
	s_wait_alu 0xfffe
	s_add_nc_u64 s[80:81], s[80:81], s[58:59]
	s_add_co_i32 s58, s7, s13
	s_bcnt1_i32_b32 s21, s21
	s_add_co_i32 s10, s11, s20
	s_wait_alu 0xfffe
	s_add_nc_u64 s[78:79], s[78:79], s[58:59]
	s_add_co_i32 s58, s8, s17
	v_dual_mov_b32 v4, s80 :: v_dual_add_nc_u32 v45, s31, v45
	s_wait_alu 0xfffe
	s_add_nc_u64 s[76:77], s[76:77], s[58:59]
	s_add_co_i32 s58, s10, s21
	v_mov_b32_e32 v6, s78
	s_wait_alu 0xfffe
	s_add_nc_u64 s[74:75], s[74:75], s[58:59]
	v_mov_b32_e32 v8, s76
	s_wait_alu 0xfffe
	v_dual_mov_b32 v10, s74 :: v_dual_mov_b32 v5, s81
	v_mov_b32_e32 v7, s79
	v_mov_b32_e32 v9, s77
	v_mov_b32_e32 v11, s75
	s_or_b32 s82, vcc_lo, s82
	s_wait_alu 0xfffe
	s_and_not1_b32 exec_lo, exec_lo, s82
	s_cbranch_execnz .LBB13_74
; %bb.75:                               ;   in Loop: Header=BB13_16 Depth=1
	s_or_b32 exec_lo, exec_lo, s82
.LBB13_76:                              ;   in Loop: Header=BB13_16 Depth=1
	s_delay_alu instid0(SALU_CYCLE_1)
	s_or_b32 exec_lo, exec_lo, s73
	v_add_co_u32 v30, vcc_lo, v30, v0
	s_wait_alu 0xfffd
	v_add_co_ci_u32_e64 v31, null, 0, v31, vcc_lo
	s_and_b32 s58, s72, 0x7fffffff
	s_mov_b32 s11, exec_lo
	s_wait_alu 0xfffe
	v_cmpx_gt_u64_e64 s[58:59], v[30:31]
	s_cbranch_execz .LBB13_80
; %bb.77:                               ;   in Loop: Header=BB13_16 Depth=1
	s_mul_i32 s30, s30, s29
	s_mov_b32 s12, 0
	s_wait_alu 0xfffe
	v_lshl_add_u32 v32, s30, 2, v0
.LBB13_78:                              ;   Parent Loop BB13_16 Depth=1
                                        ; =>  This Inner Loop Header: Depth=2
	ds_load_i8 v33, v32
	v_add_co_u32 v30, vcc_lo, v30, v2
	s_wait_alu 0xfffd
	v_add_co_ci_u32_e64 v31, null, 0, v31, vcc_lo
	v_add_nc_u32_e32 v32, s29, v32
	s_delay_alu instid0(VALU_DEP_2) | instskip(SKIP_2) | instid1(VALU_DEP_1)
	v_cmp_le_u64_e32 vcc_lo, s[58:59], v[30:31]
	s_wait_dscnt 0x0
	v_add_nc_u32_e32 v33, 0x80, v33
	v_and_b32_e32 v45, v33, v43
	v_bfe_u32 v33, v33, s101, 2
	s_delay_alu instid0(VALU_DEP_2) | instskip(NEXT) | instid1(VALU_DEP_2)
	v_cmp_eq_u32_e64 s6, v45, v22
	v_cmp_eq_u32_e64 s7, 0, v33
	;; [unrolled: 1-line block ×5, first 2 shown]
	s_and_b32 s7, s6, s7
	s_wait_alu 0xfffe
	v_cndmask_b32_e64 v33, 0, 1, s7
	s_and_b32 s7, s6, s8
	s_wait_alu 0xfffe
	v_cndmask_b32_e64 v45, 0, 1, s7
	s_and_b32 s7, s6, s9
	s_and_b32 s6, s6, s10
	s_wait_alu 0xfffe
	v_cndmask_b32_e64 v46, 0, 1, s7
	v_cndmask_b32_e64 v47, 0, 1, s6
	v_cmp_ne_u32_e64 s6, 0, v33
	v_cmp_ne_u32_e64 s7, 0, v45
	s_delay_alu instid0(VALU_DEP_4) | instskip(NEXT) | instid1(VALU_DEP_4)
	v_cmp_ne_u32_e64 s8, 0, v46
	v_cmp_ne_u32_e64 s9, 0, v47
	s_bcnt1_i32_b32 s6, s6
	s_bcnt1_i32_b32 s7, s7
	s_wait_alu 0xfffe
	v_add_co_u32 v4, s6, v4, s6
	s_bcnt1_i32_b32 s8, s8
	v_add_co_ci_u32_e64 v5, null, 0, v5, s6
	v_add_co_u32 v6, s6, v6, s7
	s_bcnt1_i32_b32 s9, s9
	v_add_co_ci_u32_e64 v7, null, 0, v7, s6
	s_wait_alu 0xfffe
	v_add_co_u32 v8, s6, v8, s8
	s_wait_alu 0xf1ff
	v_add_co_ci_u32_e64 v9, null, 0, v9, s6
	v_add_co_u32 v10, s6, v10, s9
	s_wait_alu 0xf1ff
	v_add_co_ci_u32_e64 v11, null, 0, v11, s6
	s_or_b32 s12, vcc_lo, s12
	s_wait_alu 0xfffe
	s_and_not1_b32 exec_lo, exec_lo, s12
	s_cbranch_execnz .LBB13_78
; %bb.79:                               ;   in Loop: Header=BB13_16 Depth=1
	s_or_b32 exec_lo, exec_lo, s12
.LBB13_80:                              ;   in Loop: Header=BB13_16 Depth=1
	s_delay_alu instid0(SALU_CYCLE_1)
	s_or_b32 exec_lo, exec_lo, s11
	s_lshl_b32 s6, s104, 7
	s_and_saveexec_b32 s7, s1
	s_cbranch_execnz .LBB13_51
	s_branch .LBB13_52
.LBB13_81:                              ;   in Loop: Header=BB13_16 Depth=1
                                        ; implicit-def: $sgpr76_sgpr77
	s_branch .LBB13_60
.LBB13_82:                              ;   in Loop: Header=BB13_16 Depth=1
	s_or_b32 exec_lo, exec_lo, s9
	s_wait_dscnt 0x0
	s_barrier_signal -1
	s_barrier_wait -1
	global_inv scope:SCOPE_SE
	s_and_saveexec_b32 s6, s2
	s_cbranch_execz .LBB13_84
; %bb.83:                               ;   in Loop: Header=BB13_16 Depth=1
	ds_load_b32 v4, v3 offset:5136
	s_wait_dscnt 0x0
	v_ashrrev_i32_e32 v5, 31, v4
	ds_store_b64 v3, v[4:5] offset:5120
.LBB13_84:                              ;   in Loop: Header=BB13_16 Depth=1
	s_wait_alu 0xfffe
	s_or_b32 exec_lo, exec_lo, s6
	s_wait_loadcnt_dscnt 0x0
	s_barrier_signal -1
	s_mov_b32 s6, -1
	s_barrier_wait -1
	s_and_b32 vcc_lo, exec_lo, s8
	s_wait_alu 0xfffe
	s_cbranch_vccnz .LBB13_31
	s_branch .LBB13_46
.LBB13_85:                              ;   in Loop: Header=BB13_16 Depth=1
	s_mov_b32 s8, 0
	s_and_not1_b32 vcc_lo, exec_lo, s102
	s_wait_alu 0xfffe
	s_cbranch_vccnz .LBB13_88
.LBB13_86:                              ;   in Loop: Header=BB13_16 Depth=1
	s_lshl_b32 s9, s104, 10
	s_lshl_b32 s8, s8, 5
	s_wait_alu 0xfffe
	v_add3_u32 v2, s9, s8, v41
	s_mov_b32 s8, s98
.LBB13_87:                              ;   Parent Loop BB13_16 Depth=1
                                        ; =>  This Inner Loop Header: Depth=2
	ds_load_b64 v[6:7], v2
	v_add_nc_u32_e32 v2, 32, v2
	s_wait_alu 0xfffe
	s_add_co_i32 s8, s8, -1
	s_wait_alu 0xfffe
	s_cmp_lg_u32 s8, 0
	s_wait_dscnt 0x0
	v_add_co_u32 v4, vcc_lo, v6, v4
	s_wait_alu 0xfffd
	v_add_co_ci_u32_e64 v5, null, v7, v5, vcc_lo
	s_cbranch_scc1 .LBB13_87
.LBB13_88:                              ;   in Loop: Header=BB13_16 Depth=1
	v_add_lshl_u32 v2, s6, v34, 3
	ds_store_b64 v2, v[4:5] offset:3072
.LBB13_89:                              ;   in Loop: Header=BB13_16 Depth=1
	s_wait_alu 0xfffe
	s_or_b32 exec_lo, exec_lo, s7
	s_lshl_b32 s6, s6, 3
	s_wait_loadcnt_dscnt 0x0
	s_wait_alu 0xfffe
	v_mov_b32_e32 v2, s6
	s_barrier_signal -1
	s_barrier_wait -1
	global_inv scope:SCOPE_SE
	v_cmp_eq_u64_e32 vcc_lo, 1, v[28:29]
	ds_load_b128 v[4:7], v2 offset:3072
	ds_load_b128 v[8:11], v2 offset:3088
	s_lshl_b32 s16, 3, s101
	s_mov_b32 s18, -1
	s_wait_alu 0xfffe
	s_not_b32 s20, s16
                                        ; implicit-def: $sgpr22
                                        ; implicit-def: $sgpr21
	s_wait_dscnt 0x1
	v_cmp_eq_u64_e64 s6, 1, v[4:5]
	s_wait_dscnt 0x0
	v_readfirstlane_b32 s10, v8
	v_readfirstlane_b32 s11, v9
	;; [unrolled: 1-line block ×4, first 2 shown]
	s_and_b32 s19, s6, vcc_lo
	s_mov_b32 s6, -1
	s_wait_alu 0xfffe
	s_and_saveexec_b32 s17, s19
	s_cbranch_execz .LBB13_121
; %bb.90:                               ;   in Loop: Header=BB13_16 Depth=1
	ds_load_b64 v[8:9], v3 offset:5120
	s_wait_loadcnt_dscnt 0x0
	s_barrier_signal -1
	s_barrier_wait -1
	global_inv scope:SCOPE_SE
	v_readfirstlane_b32 s12, v8
	v_readfirstlane_b32 s13, v9
	s_and_saveexec_b32 s6, s3
; %bb.91:                               ;   in Loop: Header=BB13_16 Depth=1
	ds_store_b8 v0, v3 offset:3072
; %bb.92:                               ;   in Loop: Header=BB13_16 Depth=1
	s_wait_alu 0xfffe
	s_or_b32 exec_lo, exec_lo, s6
	v_cmp_lt_i64_e64 s6, s[12:13], 1
	v_and_b32_e32 v22, s20, v22
	v_or_b32_e32 v43, s16, v43
	s_mov_b32 s21, -1
	s_mov_b32 s22, 0
	s_mov_b32 s23, 0
	s_and_b32 vcc_lo, exec_lo, s6
	s_mov_b32 s7, -1
	s_wait_loadcnt_dscnt 0x0
	s_barrier_signal -1
	s_barrier_wait -1
	global_inv scope:SCOPE_SE
                                        ; implicit-def: $vgpr44
	s_wait_alu 0xfffe
	s_cbranch_vccz .LBB13_106
; %bb.93:                               ;   in Loop: Header=BB13_16 Depth=1
	s_mov_b32 s6, s59
	s_mov_b32 s7, s67
	s_wait_alu 0xfffe
	s_cmp_lg_u64 s[6:7], 0
	s_cbranch_scc0 .LBB13_147
; %bb.94:                               ;   in Loop: Header=BB13_16 Depth=1
	s_add_nc_u64 s[6:7], s[56:57], 0
	s_wait_alu 0xfffe
	s_xor_b64 s[6:7], s[6:7], 0
	s_wait_alu 0xfffe
	s_cvt_f32_u32 s14, s6
	s_cvt_f32_u32 s15, s7
	s_sub_nc_u64 s[24:25], 0, s[6:7]
	s_wait_alu 0xfffe
	s_delay_alu instid0(SALU_CYCLE_1) | instskip(SKIP_1) | instid1(SALU_CYCLE_2)
	s_fmamk_f32 s14, s15, 0x4f800000, s14
	s_wait_alu 0xfffe
	v_s_rcp_f32 s14, s14
	s_delay_alu instid0(TRANS32_DEP_1) | instskip(SKIP_1) | instid1(SALU_CYCLE_2)
	s_mul_f32 s14, s14, 0x5f7ffffc
	s_wait_alu 0xfffe
	s_mul_f32 s15, s14, 0x2f800000
	s_wait_alu 0xfffe
	s_delay_alu instid0(SALU_CYCLE_2) | instskip(SKIP_1) | instid1(SALU_CYCLE_2)
	s_trunc_f32 s15, s15
	s_wait_alu 0xfffe
	s_fmamk_f32 s14, s15, 0xcf800000, s14
	s_cvt_u32_f32 s15, s15
	s_wait_alu 0xfffe
	s_delay_alu instid0(SALU_CYCLE_1) | instskip(SKIP_1) | instid1(SALU_CYCLE_2)
	s_cvt_u32_f32 s14, s14
	s_wait_alu 0xfffe
	s_mul_u64 s[30:31], s[24:25], s[14:15]
	s_wait_alu 0xfffe
	s_mul_hi_u32 s73, s14, s31
	s_mul_i32 s72, s14, s31
	s_mul_hi_u32 s58, s14, s30
	s_mul_i32 s29, s15, s30
	s_wait_alu 0xfffe
	s_add_nc_u64 s[72:73], s[58:59], s[72:73]
	s_mul_hi_u32 s23, s15, s30
	s_mul_hi_u32 s74, s15, s31
	s_wait_alu 0xfffe
	s_add_co_u32 s29, s72, s29
	s_add_co_ci_u32 s58, s73, s23
	s_mul_i32 s30, s15, s31
	s_add_co_ci_u32 s31, s74, 0
	s_wait_alu 0xfffe
	s_add_nc_u64 s[30:31], s[58:59], s[30:31]
	s_wait_alu 0xfffe
	s_add_co_u32 s14, s14, s30
	s_cselect_b32 s23, -1, 0
	s_wait_alu 0xfffe
	s_cmp_lg_u32 s23, 0
	s_add_co_ci_u32 s15, s15, s31
	s_wait_alu 0xfffe
	s_mul_u64 s[24:25], s[24:25], s[14:15]
	s_wait_alu 0xfffe
	s_mul_hi_u32 s31, s14, s25
	s_mul_i32 s30, s14, s25
	s_mul_hi_u32 s58, s14, s24
	s_mul_i32 s29, s15, s24
	s_wait_alu 0xfffe
	s_add_nc_u64 s[30:31], s[58:59], s[30:31]
	s_mul_hi_u32 s23, s15, s24
	s_mul_hi_u32 s72, s15, s25
	s_mul_i32 s24, s15, s25
	s_wait_alu 0xfffe
	s_add_co_u32 s25, s30, s29
	s_add_co_ci_u32 s58, s31, s23
	s_add_co_ci_u32 s25, s72, 0
	s_wait_alu 0xfffe
	s_add_nc_u64 s[24:25], s[58:59], s[24:25]
	s_wait_alu 0xfffe
	s_add_co_u32 s23, s14, s24
	s_cselect_b32 s14, -1, 0
	s_wait_alu 0xfffe
	s_cmp_lg_u32 s14, 0
	s_add_co_ci_u32 s29, s15, s25
	s_ashr_i32 s14, s67, 31
	s_wait_alu 0xfffe
	s_mov_b32 s15, s14
	s_wait_alu 0xfffe
	s_add_nc_u64 s[24:25], s[66:67], s[14:15]
	s_wait_alu 0xfffe
	s_xor_b64 s[24:25], s[24:25], s[14:15]
	s_wait_alu 0xfffe
	s_mul_hi_u32 s31, s24, s29
	s_mul_i32 s30, s24, s29
	s_mul_hi_u32 s58, s24, s23
	s_mul_hi_u32 s74, s25, s23
	s_mul_i32 s23, s25, s23
	s_wait_alu 0xfffe
	s_add_nc_u64 s[30:31], s[58:59], s[30:31]
	s_mul_hi_u32 s73, s25, s29
	s_wait_alu 0xfffe
	s_add_co_u32 s23, s30, s23
	s_add_co_ci_u32 s58, s31, s74
	s_mul_i32 s72, s25, s29
	s_add_co_ci_u32 s73, s73, 0
	s_wait_alu 0xfffe
	s_add_nc_u64 s[30:31], s[58:59], s[72:73]
	s_wait_alu 0xfffe
	s_mul_u64 s[30:31], s[6:7], s[30:31]
	s_wait_alu 0xfffe
	s_sub_co_u32 s23, s24, s30
	s_cselect_b32 s24, -1, 0
	s_sub_co_i32 s29, s25, s31
	s_wait_alu 0xfffe
	s_cmp_lg_u32 s24, 0
	s_sub_co_ci_u32 s29, s29, s7
	s_sub_co_u32 s30, s23, s6
	s_cselect_b32 s58, -1, 0
	s_wait_alu 0xfffe
	s_cmp_lg_u32 s58, 0
	s_sub_co_ci_u32 s72, s29, 0
	s_wait_alu 0xfffe
	s_cmp_ge_u32 s72, s7
	s_cselect_b32 s73, -1, 0
	s_cmp_ge_u32 s30, s6
	s_cselect_b32 s74, -1, 0
	s_cmp_eq_u32 s72, s7
	s_wait_alu 0xfffe
	s_cselect_b32 s73, s74, s73
	s_cmp_lg_u32 s58, 0
	s_sub_co_ci_u32 s29, s29, s7
	s_sub_co_u32 s58, s30, s6
	s_cselect_b32 s74, -1, 0
	s_wait_alu 0xfffe
	s_cmp_lg_u32 s74, 0
	s_sub_co_ci_u32 s29, s29, 0
	s_cmp_lg_u32 s73, 0
	s_cselect_b32 s30, s58, s30
	s_wait_alu 0xfffe
	s_cselect_b32 s29, s29, s72
	s_cmp_lg_u32 s24, 0
	s_sub_co_ci_u32 s24, s25, s31
	s_wait_alu 0xfffe
	s_cmp_ge_u32 s24, s7
	s_cselect_b32 s25, -1, 0
	s_cmp_ge_u32 s23, s6
	s_cselect_b32 s6, -1, 0
	s_cmp_eq_u32 s24, s7
	s_wait_alu 0xfffe
	s_cselect_b32 s6, s6, s25
	s_wait_alu 0xfffe
	s_cmp_lg_u32 s6, 0
	s_cselect_b32 s7, s29, s24
	s_cselect_b32 s6, s30, s23
	s_wait_alu 0xfffe
	s_xor_b64 s[6:7], s[6:7], s[14:15]
	s_wait_alu 0xfffe
	s_sub_nc_u64 s[6:7], s[6:7], s[14:15]
	s_cbranch_execnz .LBB13_96
.LBB13_95:                              ;   in Loop: Header=BB13_16 Depth=1
	v_cvt_f32_u32_e32 v2, s56
	s_sub_co_i32 s7, 0, s56
	s_delay_alu instid0(VALU_DEP_1) | instskip(NEXT) | instid1(TRANS32_DEP_1)
	v_rcp_iflag_f32_e32 v2, v2
	v_mul_f32_e32 v2, 0x4f7ffffe, v2
	s_delay_alu instid0(VALU_DEP_1) | instskip(NEXT) | instid1(VALU_DEP_1)
	v_cvt_u32_f32_e32 v2, v2
	v_readfirstlane_b32 s6, v2
	s_wait_alu 0xfffe
	s_mul_i32 s7, s7, s6
	s_wait_alu 0xfffe
	s_mul_hi_u32 s7, s6, s7
	s_wait_alu 0xfffe
	s_add_co_i32 s6, s6, s7
	s_wait_alu 0xfffe
	s_mul_hi_u32 s6, s66, s6
	s_wait_alu 0xfffe
	s_mul_i32 s6, s6, s56
	s_wait_alu 0xfffe
	s_sub_co_i32 s6, s66, s6
	s_wait_alu 0xfffe
	s_sub_co_i32 s7, s6, s56
	s_cmp_ge_u32 s6, s56
	s_wait_alu 0xfffe
	s_cselect_b32 s6, s7, s6
	s_wait_alu 0xfffe
	s_sub_co_i32 s7, s6, s56
	s_cmp_ge_u32 s6, s56
	s_wait_alu 0xfffe
	s_cselect_b32 s58, s7, s6
	s_wait_alu 0xfffe
	s_mov_b64 s[6:7], s[58:59]
.LBB13_96:                              ;   in Loop: Header=BB13_16 Depth=1
	s_wait_alu 0xfffe
	s_sub_nc_u64 s[14:15], s[66:67], s[6:7]
	s_mov_b32 s7, 0
	s_mov_b32 s23, 0
	s_mov_b32 s24, exec_lo
                                        ; implicit-def: $vgpr44
	s_wait_alu 0xfffe
	v_cmpx_gt_i64_e64 s[14:15], v[0:1]
	s_cbranch_execz .LBB13_105
; %bb.97:                               ;   in Loop: Header=BB13_16 Depth=1
	v_dual_mov_b32 v8, v12 :: v_dual_mov_b32 v9, v13
	v_dual_mov_b32 v11, v1 :: v_dual_mov_b32 v10, v0
                                        ; implicit-def: $sgpr25
	s_branch .LBB13_100
.LBB13_98:                              ;   in Loop: Header=BB13_100 Depth=2
	s_wait_alu 0xfffe
	s_or_b32 exec_lo, exec_lo, s6
	s_wait_loadcnt_dscnt 0x0
	s_barrier_signal -1
	s_barrier_wait -1
	global_inv scope:SCOPE_SE
	ds_load_u16 v2, v3 offset:3072
	s_mov_b32 s6, -1
	s_mov_b32 s29, -1
	s_wait_loadcnt_dscnt 0x0
	s_barrier_signal -1
	s_barrier_wait -1
	global_inv scope:SCOPE_SE
	v_and_b32_e32 v30, 0xff, v2
	s_delay_alu instid0(VALU_DEP_1)
	v_cmp_ne_u32_e32 vcc_lo, 0, v30
	s_cbranch_vccz .LBB13_103
.LBB13_99:                              ;   in Loop: Header=BB13_100 Depth=2
	s_wait_alu 0xfffe
	s_and_b32 s6, exec_lo, s6
	s_wait_alu 0xfffe
	s_or_b32 s23, s6, s23
	s_and_not1_b32 s6, s25, exec_lo
	s_and_b32 s25, s29, exec_lo
	s_wait_alu 0xfffe
	s_or_b32 s25, s6, s25
	s_and_not1_b32 exec_lo, exec_lo, s23
	s_cbranch_execz .LBB13_104
.LBB13_100:                             ;   Parent Loop BB13_16 Depth=1
                                        ; =>  This Inner Loop Header: Depth=2
	s_mov_b32 s6, exec_lo
	s_delay_alu instid0(VALU_DEP_1)
	v_cmpx_gt_i64_e64 s[36:37], v[10:11]
	s_cbranch_execz .LBB13_98
; %bb.101:                              ;   in Loop: Header=BB13_100 Depth=2
	global_load_u8 v2, v[8:9], off
	s_wait_loadcnt 0x0
	v_bfe_i32 v30, v2, 0, 8
	s_delay_alu instid0(VALU_DEP_1) | instskip(NEXT) | instid1(VALU_DEP_1)
	v_add_nc_u32_e32 v30, 0x80, v30
	v_and_b32_e32 v30, v30, v43
	s_delay_alu instid0(VALU_DEP_1)
	v_cmp_eq_u32_e32 vcc_lo, v30, v22
	s_and_b32 exec_lo, exec_lo, vcc_lo
	s_cbranch_execz .LBB13_98
; %bb.102:                              ;   in Loop: Header=BB13_100 Depth=2
	v_lshlrev_b16 v2, 8, v2
	s_delay_alu instid0(VALU_DEP_1)
	v_or_b32_e32 v2, 1, v2
	ds_store_b16 v3, v2 offset:3072
	s_branch .LBB13_98
.LBB13_103:                             ;   in Loop: Header=BB13_100 Depth=2
	v_add_co_u32 v10, vcc_lo, v10, s56
	s_wait_alu 0xfffd
	v_add_co_ci_u32_e64 v11, null, 0, v11, vcc_lo
	v_add_co_u32 v8, s6, v8, s60
	s_wait_alu 0xf1fe
	v_add_co_ci_u32_e64 v9, null, s61, v9, s6
	s_delay_alu instid0(VALU_DEP_3)
	v_cmp_le_i64_e32 vcc_lo, s[14:15], v[10:11]
	s_mov_b32 s29, 0
	s_or_not1_b32 s6, vcc_lo, exec_lo
	s_branch .LBB13_99
.LBB13_104:                             ;   in Loop: Header=BB13_16 Depth=1
	s_or_b32 exec_lo, exec_lo, s23
	v_and_b32_e32 v2, 0xffff, v2
	s_wait_alu 0xfffe
	s_and_b32 s23, s25, exec_lo
	s_delay_alu instid0(VALU_DEP_1)
	v_lshrrev_b32_e32 v44, 8, v2
.LBB13_105:                             ;   in Loop: Header=BB13_16 Depth=1
	s_or_b32 exec_lo, exec_lo, s24
.LBB13_106:                             ;   in Loop: Header=BB13_16 Depth=1
	s_delay_alu instid0(SALU_CYCLE_1)
	s_and_b32 vcc_lo, exec_lo, s7
	s_wait_alu 0xfffe
	s_cbranch_vccz .LBB13_120
; %bb.107:                              ;   in Loop: Header=BB13_16 Depth=1
	s_add_nc_u64 s[6:7], s[12:13], s[64:65]
	s_mov_b32 s14, s59
	s_wait_alu 0xfffe
	s_mov_b32 s15, s7
	s_wait_alu 0xfffe
	s_cmp_lg_u64 s[14:15], 0
	s_cbranch_scc0 .LBB13_148
; %bb.108:                              ;   in Loop: Header=BB13_16 Depth=1
	s_add_nc_u64 s[14:15], s[56:57], 0
	s_wait_alu 0xfffe
	s_xor_b64 s[14:15], s[14:15], 0
	s_wait_alu 0xfffe
	s_cvt_f32_u32 s21, s14
	s_cvt_f32_u32 s22, s15
	s_sub_nc_u64 s[30:31], 0, s[14:15]
	s_wait_alu 0xfffe
	s_delay_alu instid0(SALU_CYCLE_1) | instskip(SKIP_1) | instid1(SALU_CYCLE_2)
	s_fmamk_f32 s21, s22, 0x4f800000, s21
	s_wait_alu 0xfffe
	v_s_rcp_f32 s21, s21
	s_delay_alu instid0(TRANS32_DEP_1) | instskip(SKIP_1) | instid1(SALU_CYCLE_2)
	s_mul_f32 s21, s21, 0x5f7ffffc
	s_wait_alu 0xfffe
	s_mul_f32 s22, s21, 0x2f800000
	s_wait_alu 0xfffe
	s_delay_alu instid0(SALU_CYCLE_2) | instskip(SKIP_1) | instid1(SALU_CYCLE_2)
	s_trunc_f32 s22, s22
	s_wait_alu 0xfffe
	s_fmamk_f32 s21, s22, 0xcf800000, s21
	s_cvt_u32_f32 s25, s22
	s_wait_alu 0xfffe
	s_delay_alu instid0(SALU_CYCLE_1) | instskip(SKIP_1) | instid1(SALU_CYCLE_2)
	s_cvt_u32_f32 s24, s21
	s_wait_alu 0xfffe
	s_mul_u64 s[72:73], s[30:31], s[24:25]
	s_wait_alu 0xfffe
	s_mul_hi_u32 s75, s24, s73
	s_mul_i32 s74, s24, s73
	s_mul_hi_u32 s58, s24, s72
	s_mul_i32 s22, s25, s72
	s_wait_alu 0xfffe
	s_add_nc_u64 s[74:75], s[58:59], s[74:75]
	s_mul_hi_u32 s21, s25, s72
	s_mul_hi_u32 s29, s25, s73
	s_wait_alu 0xfffe
	s_add_co_u32 s22, s74, s22
	s_add_co_ci_u32 s58, s75, s21
	s_mul_i32 s72, s25, s73
	s_add_co_ci_u32 s73, s29, 0
	s_wait_alu 0xfffe
	s_add_nc_u64 s[72:73], s[58:59], s[72:73]
	s_wait_alu 0xfffe
	s_add_co_u32 s24, s24, s72
	s_cselect_b32 s21, -1, 0
	s_wait_alu 0xfffe
	s_cmp_lg_u32 s21, 0
	s_add_co_ci_u32 s25, s25, s73
	s_wait_alu 0xfffe
	s_mul_u64 s[30:31], s[30:31], s[24:25]
	s_wait_alu 0xfffe
	s_mul_hi_u32 s73, s24, s31
	s_mul_i32 s72, s24, s31
	s_mul_hi_u32 s58, s24, s30
	s_mul_i32 s22, s25, s30
	s_wait_alu 0xfffe
	s_add_nc_u64 s[72:73], s[58:59], s[72:73]
	s_mul_hi_u32 s21, s25, s30
	s_mul_hi_u32 s29, s25, s31
	s_wait_alu 0xfffe
	s_add_co_u32 s22, s72, s22
	s_add_co_ci_u32 s58, s73, s21
	s_mul_i32 s30, s25, s31
	s_add_co_ci_u32 s31, s29, 0
	s_wait_alu 0xfffe
	s_add_nc_u64 s[30:31], s[58:59], s[30:31]
	s_wait_alu 0xfffe
	s_add_co_u32 s21, s24, s30
	s_cselect_b32 s22, -1, 0
	s_wait_alu 0xfffe
	s_cmp_lg_u32 s22, 0
	s_add_co_ci_u32 s22, s25, s31
	s_ashr_i32 s24, s7, 31
	s_wait_alu 0xfffe
	s_mov_b32 s25, s24
	s_wait_alu 0xfffe
	s_add_nc_u64 s[30:31], s[6:7], s[24:25]
	s_wait_alu 0xfffe
	s_xor_b64 s[30:31], s[30:31], s[24:25]
	s_wait_alu 0xfffe
	s_mul_hi_u32 s73, s30, s22
	s_mul_i32 s72, s30, s22
	s_mul_hi_u32 s58, s30, s21
	s_mul_hi_u32 s75, s31, s21
	s_mul_i32 s21, s31, s21
	s_wait_alu 0xfffe
	s_add_nc_u64 s[72:73], s[58:59], s[72:73]
	s_mul_hi_u32 s29, s31, s22
	s_wait_alu 0xfffe
	s_add_co_u32 s21, s72, s21
	s_add_co_ci_u32 s58, s73, s75
	s_mul_i32 s74, s31, s22
	s_add_co_ci_u32 s75, s29, 0
	s_wait_alu 0xfffe
	s_add_nc_u64 s[72:73], s[58:59], s[74:75]
	s_wait_alu 0xfffe
	s_mul_u64 s[72:73], s[14:15], s[72:73]
	s_wait_alu 0xfffe
	s_sub_co_u32 s21, s30, s72
	s_cselect_b32 s22, -1, 0
	s_sub_co_i32 s29, s31, s73
	s_wait_alu 0xfffe
	s_cmp_lg_u32 s22, 0
	s_sub_co_ci_u32 s29, s29, s15
	s_sub_co_u32 s30, s21, s14
	s_cselect_b32 s58, -1, 0
	s_wait_alu 0xfffe
	s_cmp_lg_u32 s58, 0
	s_sub_co_ci_u32 s72, s29, 0
	s_wait_alu 0xfffe
	s_cmp_ge_u32 s72, s15
	s_cselect_b32 s74, -1, 0
	s_cmp_ge_u32 s30, s14
	s_cselect_b32 s75, -1, 0
	s_cmp_eq_u32 s72, s15
	s_wait_alu 0xfffe
	s_cselect_b32 s74, s75, s74
	s_cmp_lg_u32 s58, 0
	s_sub_co_ci_u32 s29, s29, s15
	s_sub_co_u32 s58, s30, s14
	s_cselect_b32 s75, -1, 0
	s_wait_alu 0xfffe
	s_cmp_lg_u32 s75, 0
	s_sub_co_ci_u32 s29, s29, 0
	s_cmp_lg_u32 s74, 0
	s_cselect_b32 s30, s58, s30
	s_wait_alu 0xfffe
	s_cselect_b32 s29, s29, s72
	s_cmp_lg_u32 s22, 0
	s_sub_co_ci_u32 s22, s31, s73
	s_wait_alu 0xfffe
	s_cmp_ge_u32 s22, s15
	s_cselect_b32 s31, -1, 0
	s_cmp_ge_u32 s21, s14
	s_cselect_b32 s14, -1, 0
	s_cmp_eq_u32 s22, s15
	s_wait_alu 0xfffe
	s_cselect_b32 s14, s14, s31
	s_wait_alu 0xfffe
	s_cmp_lg_u32 s14, 0
	s_cselect_b32 s15, s29, s22
	s_cselect_b32 s14, s30, s21
	s_wait_alu 0xfffe
	s_xor_b64 s[14:15], s[14:15], s[24:25]
	s_wait_alu 0xfffe
	s_sub_nc_u64 s[14:15], s[14:15], s[24:25]
	s_cbranch_execnz .LBB13_110
.LBB13_109:                             ;   in Loop: Header=BB13_16 Depth=1
	v_cvt_f32_u32_e32 v2, s56
	s_sub_co_i32 s15, 0, s56
	s_delay_alu instid0(VALU_DEP_1) | instskip(NEXT) | instid1(TRANS32_DEP_1)
	v_rcp_iflag_f32_e32 v2, v2
	v_mul_f32_e32 v2, 0x4f7ffffe, v2
	s_delay_alu instid0(VALU_DEP_1) | instskip(NEXT) | instid1(VALU_DEP_1)
	v_cvt_u32_f32_e32 v2, v2
	v_readfirstlane_b32 s14, v2
	s_wait_alu 0xfffe
	s_mul_i32 s15, s15, s14
	s_wait_alu 0xfffe
	s_mul_hi_u32 s15, s14, s15
	s_wait_alu 0xfffe
	s_add_co_i32 s14, s14, s15
	s_wait_alu 0xfffe
	s_mul_hi_u32 s14, s6, s14
	s_wait_alu 0xfffe
	s_mul_i32 s14, s14, s56
	s_wait_alu 0xfffe
	s_sub_co_i32 s14, s6, s14
	s_wait_alu 0xfffe
	s_sub_co_i32 s15, s14, s56
	s_cmp_ge_u32 s14, s56
	s_wait_alu 0xfffe
	s_cselect_b32 s14, s15, s14
	s_wait_alu 0xfffe
	s_sub_co_i32 s15, s14, s56
	s_cmp_ge_u32 s14, s56
	s_wait_alu 0xfffe
	s_cselect_b32 s58, s15, s14
	s_wait_alu 0xfffe
	s_mov_b64 s[14:15], s[58:59]
.LBB13_110:                             ;   in Loop: Header=BB13_16 Depth=1
	s_wait_alu 0xfffe
	s_sub_nc_u64 s[6:7], s[6:7], s[14:15]
	s_mov_b32 s14, exec_lo
                                        ; implicit-def: $vgpr44
	s_wait_alu 0xfffe
	v_cmpx_gt_i64_e64 s[6:7], v[0:1]
	s_cbranch_execz .LBB13_119
; %bb.111:                              ;   in Loop: Header=BB13_16 Depth=1
	v_dual_mov_b32 v2, v0 :: v_dual_mov_b32 v9, v1
	v_mov_b32_e32 v8, v0
	s_mov_b32 s21, 0
                                        ; implicit-def: $sgpr15
	s_branch .LBB13_114
.LBB13_112:                             ;   in Loop: Header=BB13_114 Depth=2
	s_wait_alu 0xfffe
	s_or_b32 exec_lo, exec_lo, s22
	s_wait_loadcnt_dscnt 0x0
	s_barrier_signal -1
	s_barrier_wait -1
	global_inv scope:SCOPE_SE
	ds_load_u16 v10, v3 offset:3072
	s_mov_b32 s22, -1
	s_mov_b32 s24, -1
	s_wait_loadcnt_dscnt 0x0
	s_barrier_signal -1
	s_barrier_wait -1
	global_inv scope:SCOPE_SE
	v_and_b32_e32 v11, 0xff, v10
	s_delay_alu instid0(VALU_DEP_1)
	v_cmp_ne_u32_e32 vcc_lo, 0, v11
	s_cbranch_vccz .LBB13_117
.LBB13_113:                             ;   in Loop: Header=BB13_114 Depth=2
	s_wait_alu 0xfffe
	s_and_b32 s22, exec_lo, s22
	s_wait_alu 0xfffe
	s_or_b32 s21, s22, s21
	s_and_not1_b32 s15, s15, exec_lo
	s_and_b32 s22, s24, exec_lo
	s_wait_alu 0xfffe
	s_or_b32 s15, s15, s22
	s_and_not1_b32 exec_lo, exec_lo, s21
	s_cbranch_execz .LBB13_118
.LBB13_114:                             ;   Parent Loop BB13_16 Depth=1
                                        ; =>  This Inner Loop Header: Depth=2
	s_mov_b32 s22, exec_lo
	s_delay_alu instid0(VALU_DEP_1)
	v_cmpx_gt_u64_e64 s[12:13], v[8:9]
	s_cbranch_execz .LBB13_112
; %bb.115:                              ;   in Loop: Header=BB13_114 Depth=2
	ds_load_u8 v10, v2
	s_wait_dscnt 0x0
	v_bfe_i32 v11, v10, 0, 8
	s_delay_alu instid0(VALU_DEP_1) | instskip(NEXT) | instid1(VALU_DEP_1)
	v_add_nc_u32_e32 v11, 0x80, v11
	v_and_b32_e32 v11, v11, v43
	s_delay_alu instid0(VALU_DEP_1)
	v_cmp_eq_u32_e32 vcc_lo, v11, v22
	s_and_b32 exec_lo, exec_lo, vcc_lo
	s_cbranch_execz .LBB13_112
; %bb.116:                              ;   in Loop: Header=BB13_114 Depth=2
	v_lshlrev_b16 v10, 8, v10
	s_delay_alu instid0(VALU_DEP_1)
	v_or_b32_e32 v10, 1, v10
	ds_store_b16 v3, v10 offset:3072
	s_branch .LBB13_112
.LBB13_117:                             ;   in Loop: Header=BB13_114 Depth=2
	v_add_co_u32 v8, vcc_lo, v8, s56
	s_wait_alu 0xfffd
	v_add_co_ci_u32_e64 v9, null, 0, v9, vcc_lo
	v_add_nc_u32_e32 v2, s56, v2
	s_mov_b32 s24, 0
	s_delay_alu instid0(VALU_DEP_2)
	v_cmp_le_i64_e32 vcc_lo, s[6:7], v[8:9]
	s_or_not1_b32 s22, vcc_lo, exec_lo
	s_branch .LBB13_113
.LBB13_118:                             ;   in Loop: Header=BB13_16 Depth=1
	s_or_b32 exec_lo, exec_lo, s21
	v_and_b32_e32 v2, 0xffff, v10
	s_and_not1_b32 s6, s23, exec_lo
	s_wait_alu 0xfffe
	s_and_b32 s7, s15, exec_lo
	s_wait_alu 0xfffe
	s_or_b32 s23, s6, s7
	v_lshrrev_b32_e32 v44, 8, v2
.LBB13_119:                             ;   in Loop: Header=BB13_16 Depth=1
	s_or_b32 exec_lo, exec_lo, s14
	s_mov_b32 s21, 0
	s_mov_b32 s22, -1
.LBB13_120:                             ;   in Loop: Header=BB13_16 Depth=1
	s_wait_alu 0xfffe
	s_or_not1_b32 s6, s23, exec_lo
.LBB13_121:                             ;   in Loop: Header=BB13_16 Depth=1
	s_wait_alu 0xfffe
	s_or_b32 exec_lo, exec_lo, s17
	s_delay_alu instid0(SALU_CYCLE_1)
	s_and_not1_b32 s7, s55, exec_lo
	s_and_b32 s12, s22, exec_lo
	s_and_not1_b32 s13, s53, exec_lo
	s_and_b32 s14, s21, exec_lo
	s_and_not1_b32 s52, s52, exec_lo
	s_wait_alu 0xfffe
	s_or_b32 s55, s7, s12
	s_or_b32 s53, s13, s14
                                        ; implicit-def: $vgpr8_vgpr9
	s_and_saveexec_b32 s17, s6
	s_cbranch_execz .LBB13_15
; %bb.122:                              ;   in Loop: Header=BB13_16 Depth=1
	v_mov_b32_e32 v8, 1
	v_dual_mov_b32 v9, 0 :: v_dual_mov_b32 v2, 1
	s_xor_b32 s12, s19, -1
	s_mov_b32 s7, 0
	s_wait_alu 0xfffe
	s_and_saveexec_b32 s6, s12
	s_cbranch_execz .LBB13_131
; %bb.123:                              ;   in Loop: Header=BB13_16 Depth=1
	s_mov_b32 s7, exec_lo
	v_cmpx_le_i64_e64 v[28:29], v[4:5]
	s_wait_alu 0xfffe
	s_xor_b32 s7, exec_lo, s7
	s_cbranch_execz .LBB13_128
; %bb.124:                              ;   in Loop: Header=BB13_16 Depth=1
	ds_load_b64 v[8:9], v3 offset:5120
	v_and_b32_e32 v22, s20, v22
	v_or_b32_e32 v43, s16, v43
	s_wait_dscnt 0x0
	v_cmp_ne_u64_e32 vcc_lo, 0, v[8:9]
	s_cbranch_vccnz .LBB13_128
; %bb.125:                              ;   in Loop: Header=BB13_16 Depth=1
	s_and_saveexec_b32 s12, s2
; %bb.126:                              ;   in Loop: Header=BB13_16 Depth=1
	ds_store_b64 v3, v[4:5] offset:5128
; %bb.127:                              ;   in Loop: Header=BB13_16 Depth=1
	s_wait_alu 0xfffe
	s_or_b32 exec_lo, exec_lo, s12
	s_wait_loadcnt_dscnt 0x0
	s_barrier_signal -1
	s_barrier_wait -1
	global_inv scope:SCOPE_SE
.LBB13_128:                             ;   in Loop: Header=BB13_16 Depth=1
	s_wait_alu 0xfffe
	s_or_saveexec_b32 s7, s7
	v_mov_b32_e32 v2, 8
	s_mov_b32 s12, 0
	s_wait_alu 0xfffe
	s_xor_b32 exec_lo, exec_lo, s7
; %bb.129:                              ;   in Loop: Header=BB13_16 Depth=1
	v_sub_co_u32 v28, vcc_lo, v28, v4
	s_wait_alu 0xfffd
	v_sub_co_ci_u32_e64 v29, null, v29, v5, vcc_lo
	v_mov_b32_e32 v2, 0
	s_mov_b32 s12, exec_lo
; %bb.130:                              ;   in Loop: Header=BB13_16 Depth=1
	s_or_b32 exec_lo, exec_lo, s7
	s_delay_alu instid0(VALU_DEP_2)
	v_dual_mov_b32 v8, v28 :: v_dual_mov_b32 v9, v29
	s_wait_alu 0xfffe
	s_and_b32 s7, s12, exec_lo
.LBB13_131:                             ;   in Loop: Header=BB13_16 Depth=1
	s_wait_alu 0xfffe
	s_or_b32 exec_lo, exec_lo, s6
	s_mov_b32 s18, -1
	s_mov_b32 s6, -1
                                        ; implicit-def: $sgpr21
                                        ; implicit-def: $sgpr22
	s_and_saveexec_b32 s12, s7
	s_wait_alu 0xfffe
	s_xor_b32 s19, exec_lo, s12
	s_cbranch_execz .LBB13_273
; %bb.132:                              ;   in Loop: Header=BB13_16 Depth=1
	v_cmp_eq_u64_e32 vcc_lo, 1, v[6:7]
	v_cmp_eq_u64_e64 s6, 1, v[8:9]
                                        ; implicit-def: $sgpr22
                                        ; implicit-def: $sgpr21
	s_and_b32 s24, vcc_lo, s6
	s_mov_b32 s6, -1
	s_wait_alu 0xfffe
	s_and_saveexec_b32 s23, s24
	s_cbranch_execz .LBB13_166
; %bb.133:                              ;   in Loop: Header=BB13_16 Depth=1
	ds_load_b64 v[4:5], v3 offset:5120
	s_wait_loadcnt_dscnt 0x0
	s_barrier_signal -1
	s_barrier_wait -1
	global_inv scope:SCOPE_SE
	v_readfirstlane_b32 s12, v4
	v_readfirstlane_b32 s13, v5
	s_and_saveexec_b32 s6, s3
; %bb.134:                              ;   in Loop: Header=BB13_16 Depth=1
	ds_store_b8 v0, v3 offset:3072
; %bb.135:                              ;   in Loop: Header=BB13_16 Depth=1
	s_wait_alu 0xfffe
	s_or_b32 exec_lo, exec_lo, s6
	s_lshl_b32 s6, 1, s101
	v_or_b32_e32 v43, s16, v43
	s_wait_alu 0xfffe
	v_and_or_b32 v22, v22, s20, s6
	v_cmp_gt_i64_e64 s6, s[12:13], 0
	s_mov_b32 s21, -1
	s_mov_b32 s22, 0
	s_mov_b32 s25, 0
	s_mov_b32 s7, -1
	s_wait_loadcnt_dscnt 0x0
	s_and_b32 vcc_lo, exec_lo, s6
	s_barrier_signal -1
	s_barrier_wait -1
	global_inv scope:SCOPE_SE
                                        ; implicit-def: $vgpr44
	s_wait_alu 0xfffe
	s_cbranch_vccnz .LBB13_151
; %bb.136:                              ;   in Loop: Header=BB13_16 Depth=1
	s_mov_b32 s6, s59
	s_mov_b32 s7, s67
	s_wait_alu 0xfffe
	s_cmp_lg_u64 s[6:7], 0
	s_cbranch_scc0 .LBB13_193
; %bb.137:                              ;   in Loop: Header=BB13_16 Depth=1
	s_add_nc_u64 s[6:7], s[56:57], 0
	s_wait_alu 0xfffe
	s_xor_b64 s[6:7], s[6:7], 0
	s_wait_alu 0xfffe
	s_cvt_f32_u32 s14, s6
	s_cvt_f32_u32 s15, s7
	s_sub_nc_u64 s[30:31], 0, s[6:7]
	s_wait_alu 0xfffe
	s_delay_alu instid0(SALU_CYCLE_1) | instskip(SKIP_1) | instid1(SALU_CYCLE_2)
	s_fmamk_f32 s14, s15, 0x4f800000, s14
	s_wait_alu 0xfffe
	v_s_rcp_f32 s14, s14
	s_delay_alu instid0(TRANS32_DEP_1) | instskip(SKIP_1) | instid1(SALU_CYCLE_2)
	s_mul_f32 s14, s14, 0x5f7ffffc
	s_wait_alu 0xfffe
	s_mul_f32 s15, s14, 0x2f800000
	s_wait_alu 0xfffe
	s_delay_alu instid0(SALU_CYCLE_2) | instskip(SKIP_1) | instid1(SALU_CYCLE_2)
	s_trunc_f32 s15, s15
	s_wait_alu 0xfffe
	s_fmamk_f32 s14, s15, 0xcf800000, s14
	s_cvt_u32_f32 s15, s15
	s_wait_alu 0xfffe
	s_delay_alu instid0(SALU_CYCLE_1) | instskip(SKIP_1) | instid1(SALU_CYCLE_2)
	s_cvt_u32_f32 s14, s14
	s_wait_alu 0xfffe
	s_mul_u64 s[72:73], s[30:31], s[14:15]
	s_wait_alu 0xfffe
	s_mul_hi_u32 s75, s14, s73
	s_mul_i32 s74, s14, s73
	s_mul_hi_u32 s58, s14, s72
	s_mul_i32 s29, s15, s72
	s_wait_alu 0xfffe
	s_add_nc_u64 s[74:75], s[58:59], s[74:75]
	s_mul_hi_u32 s25, s15, s72
	s_mul_hi_u32 s76, s15, s73
	s_wait_alu 0xfffe
	s_add_co_u32 s29, s74, s29
	s_add_co_ci_u32 s58, s75, s25
	s_mul_i32 s72, s15, s73
	s_add_co_ci_u32 s73, s76, 0
	s_wait_alu 0xfffe
	s_add_nc_u64 s[72:73], s[58:59], s[72:73]
	s_wait_alu 0xfffe
	s_add_co_u32 s14, s14, s72
	s_cselect_b32 s25, -1, 0
	s_wait_alu 0xfffe
	s_cmp_lg_u32 s25, 0
	s_add_co_ci_u32 s15, s15, s73
	s_wait_alu 0xfffe
	s_mul_u64 s[30:31], s[30:31], s[14:15]
	s_wait_alu 0xfffe
	s_mul_hi_u32 s73, s14, s31
	s_mul_i32 s72, s14, s31
	s_mul_hi_u32 s58, s14, s30
	s_mul_i32 s29, s15, s30
	s_wait_alu 0xfffe
	s_add_nc_u64 s[72:73], s[58:59], s[72:73]
	s_mul_hi_u32 s25, s15, s30
	s_mul_hi_u32 s74, s15, s31
	s_wait_alu 0xfffe
	s_add_co_u32 s29, s72, s29
	s_add_co_ci_u32 s58, s73, s25
	s_mul_i32 s30, s15, s31
	s_add_co_ci_u32 s31, s74, 0
	s_wait_alu 0xfffe
	s_add_nc_u64 s[30:31], s[58:59], s[30:31]
	s_wait_alu 0xfffe
	s_add_co_u32 s25, s14, s30
	s_cselect_b32 s14, -1, 0
	s_wait_alu 0xfffe
	s_cmp_lg_u32 s14, 0
	s_add_co_ci_u32 s29, s15, s31
	s_ashr_i32 s14, s67, 31
	s_wait_alu 0xfffe
	s_mov_b32 s15, s14
	s_wait_alu 0xfffe
	s_add_nc_u64 s[30:31], s[66:67], s[14:15]
	s_wait_alu 0xfffe
	s_xor_b64 s[30:31], s[30:31], s[14:15]
	s_wait_alu 0xfffe
	s_mul_hi_u32 s73, s30, s29
	s_mul_i32 s72, s30, s29
	s_mul_hi_u32 s58, s30, s25
	s_mul_hi_u32 s76, s31, s25
	s_mul_i32 s25, s31, s25
	s_wait_alu 0xfffe
	s_add_nc_u64 s[72:73], s[58:59], s[72:73]
	s_mul_hi_u32 s75, s31, s29
	s_wait_alu 0xfffe
	s_add_co_u32 s25, s72, s25
	s_add_co_ci_u32 s58, s73, s76
	s_mul_i32 s74, s31, s29
	s_add_co_ci_u32 s75, s75, 0
	s_wait_alu 0xfffe
	s_add_nc_u64 s[72:73], s[58:59], s[74:75]
	s_wait_alu 0xfffe
	s_mul_u64 s[72:73], s[6:7], s[72:73]
	s_wait_alu 0xfffe
	s_sub_co_u32 s25, s30, s72
	s_cselect_b32 s29, -1, 0
	s_sub_co_i32 s30, s31, s73
	s_wait_alu 0xfffe
	s_cmp_lg_u32 s29, 0
	s_sub_co_ci_u32 s30, s30, s7
	s_sub_co_u32 s58, s25, s6
	s_cselect_b32 s72, -1, 0
	s_wait_alu 0xfffe
	s_cmp_lg_u32 s72, 0
	s_sub_co_ci_u32 s74, s30, 0
	s_wait_alu 0xfffe
	s_cmp_ge_u32 s74, s7
	s_cselect_b32 s75, -1, 0
	s_cmp_ge_u32 s58, s6
	s_cselect_b32 s76, -1, 0
	s_cmp_eq_u32 s74, s7
	s_wait_alu 0xfffe
	s_cselect_b32 s75, s76, s75
	s_cmp_lg_u32 s72, 0
	s_sub_co_ci_u32 s30, s30, s7
	s_sub_co_u32 s72, s58, s6
	s_cselect_b32 s76, -1, 0
	s_wait_alu 0xfffe
	s_cmp_lg_u32 s76, 0
	s_sub_co_ci_u32 s30, s30, 0
	s_cmp_lg_u32 s75, 0
	s_cselect_b32 s58, s72, s58
	s_wait_alu 0xfffe
	s_cselect_b32 s30, s30, s74
	s_cmp_lg_u32 s29, 0
	s_sub_co_ci_u32 s29, s31, s73
	s_wait_alu 0xfffe
	s_cmp_ge_u32 s29, s7
	s_cselect_b32 s31, -1, 0
	s_cmp_ge_u32 s25, s6
	s_cselect_b32 s6, -1, 0
	s_cmp_eq_u32 s29, s7
	s_wait_alu 0xfffe
	s_cselect_b32 s6, s6, s31
	s_wait_alu 0xfffe
	s_cmp_lg_u32 s6, 0
	s_cselect_b32 s7, s30, s29
	s_cselect_b32 s6, s58, s25
	s_wait_alu 0xfffe
	s_xor_b64 s[6:7], s[6:7], s[14:15]
	s_wait_alu 0xfffe
	s_sub_nc_u64 s[6:7], s[6:7], s[14:15]
	s_cbranch_execnz .LBB13_139
.LBB13_138:                             ;   in Loop: Header=BB13_16 Depth=1
	v_cvt_f32_u32_e32 v4, s56
	s_sub_co_i32 s7, 0, s56
	s_delay_alu instid0(VALU_DEP_1) | instskip(NEXT) | instid1(TRANS32_DEP_1)
	v_rcp_iflag_f32_e32 v4, v4
	v_mul_f32_e32 v4, 0x4f7ffffe, v4
	s_delay_alu instid0(VALU_DEP_1) | instskip(NEXT) | instid1(VALU_DEP_1)
	v_cvt_u32_f32_e32 v4, v4
	v_readfirstlane_b32 s6, v4
	s_wait_alu 0xfffe
	s_mul_i32 s7, s7, s6
	s_wait_alu 0xfffe
	s_mul_hi_u32 s7, s6, s7
	s_wait_alu 0xfffe
	s_add_co_i32 s6, s6, s7
	s_wait_alu 0xfffe
	s_mul_hi_u32 s6, s66, s6
	s_wait_alu 0xfffe
	s_mul_i32 s6, s6, s56
	s_wait_alu 0xfffe
	s_sub_co_i32 s6, s66, s6
	s_wait_alu 0xfffe
	s_sub_co_i32 s7, s6, s56
	s_cmp_ge_u32 s6, s56
	s_wait_alu 0xfffe
	s_cselect_b32 s6, s7, s6
	s_wait_alu 0xfffe
	s_sub_co_i32 s7, s6, s56
	s_cmp_ge_u32 s6, s56
	s_wait_alu 0xfffe
	s_cselect_b32 s58, s7, s6
	s_wait_alu 0xfffe
	s_mov_b64 s[6:7], s[58:59]
.LBB13_139:                             ;   in Loop: Header=BB13_16 Depth=1
	s_wait_alu 0xfffe
	s_sub_nc_u64 s[14:15], s[66:67], s[6:7]
	s_mov_b32 s7, 0
	s_mov_b32 s25, 0
	s_mov_b32 s29, exec_lo
                                        ; implicit-def: $vgpr44
	s_wait_alu 0xfffe
	v_cmpx_gt_i64_e64 s[14:15], v[0:1]
	s_cbranch_execz .LBB13_150
; %bb.140:                              ;   in Loop: Header=BB13_16 Depth=1
	v_dual_mov_b32 v4, v12 :: v_dual_mov_b32 v5, v13
	v_dual_mov_b32 v11, v1 :: v_dual_mov_b32 v10, v0
                                        ; implicit-def: $sgpr30
	s_branch .LBB13_143
.LBB13_141:                             ;   in Loop: Header=BB13_143 Depth=2
	s_wait_alu 0xfffe
	s_or_b32 exec_lo, exec_lo, s6
	s_wait_loadcnt_dscnt 0x0
	s_barrier_signal -1
	s_barrier_wait -1
	global_inv scope:SCOPE_SE
	ds_load_u16 v28, v3 offset:3072
	s_mov_b32 s6, -1
	s_mov_b32 s31, -1
	s_wait_loadcnt_dscnt 0x0
	s_barrier_signal -1
	s_barrier_wait -1
	global_inv scope:SCOPE_SE
	v_and_b32_e32 v29, 0xff, v28
	s_delay_alu instid0(VALU_DEP_1)
	v_cmp_ne_u32_e32 vcc_lo, 0, v29
	s_cbranch_vccz .LBB13_146
.LBB13_142:                             ;   in Loop: Header=BB13_143 Depth=2
	s_wait_alu 0xfffe
	s_and_b32 s6, exec_lo, s6
	s_wait_alu 0xfffe
	s_or_b32 s25, s6, s25
	s_and_not1_b32 s6, s30, exec_lo
	s_and_b32 s30, s31, exec_lo
	s_wait_alu 0xfffe
	s_or_b32 s30, s6, s30
	s_and_not1_b32 exec_lo, exec_lo, s25
	s_cbranch_execz .LBB13_149
.LBB13_143:                             ;   Parent Loop BB13_16 Depth=1
                                        ; =>  This Inner Loop Header: Depth=2
	s_mov_b32 s6, exec_lo
	s_delay_alu instid0(VALU_DEP_1)
	v_cmpx_gt_i64_e64 s[36:37], v[10:11]
	s_cbranch_execz .LBB13_141
; %bb.144:                              ;   in Loop: Header=BB13_143 Depth=2
	global_load_u8 v28, v[4:5], off
	s_wait_loadcnt 0x0
	v_bfe_i32 v29, v28, 0, 8
	s_delay_alu instid0(VALU_DEP_1) | instskip(NEXT) | instid1(VALU_DEP_1)
	v_add_nc_u32_e32 v29, 0x80, v29
	v_and_b32_e32 v29, v29, v43
	s_delay_alu instid0(VALU_DEP_1)
	v_cmp_eq_u32_e32 vcc_lo, v29, v22
	s_and_b32 exec_lo, exec_lo, vcc_lo
	s_cbranch_execz .LBB13_141
; %bb.145:                              ;   in Loop: Header=BB13_143 Depth=2
	v_lshlrev_b16 v28, 8, v28
	s_delay_alu instid0(VALU_DEP_1)
	v_or_b32_e32 v28, 1, v28
	ds_store_b16 v3, v28 offset:3072
	s_branch .LBB13_141
.LBB13_146:                             ;   in Loop: Header=BB13_143 Depth=2
	v_add_co_u32 v10, vcc_lo, v10, s56
	s_wait_alu 0xfffd
	v_add_co_ci_u32_e64 v11, null, 0, v11, vcc_lo
	v_add_co_u32 v4, s6, v4, s60
	s_wait_alu 0xf1fe
	v_add_co_ci_u32_e64 v5, null, s61, v5, s6
	s_delay_alu instid0(VALU_DEP_3)
	v_cmp_le_i64_e32 vcc_lo, s[14:15], v[10:11]
	s_mov_b32 s31, 0
	s_or_not1_b32 s6, vcc_lo, exec_lo
	s_branch .LBB13_142
.LBB13_147:                             ;   in Loop: Header=BB13_16 Depth=1
                                        ; implicit-def: $sgpr6_sgpr7
	s_branch .LBB13_95
.LBB13_148:                             ;   in Loop: Header=BB13_16 Depth=1
                                        ; implicit-def: $sgpr14_sgpr15
	s_branch .LBB13_109
.LBB13_149:                             ;   in Loop: Header=BB13_16 Depth=1
	s_or_b32 exec_lo, exec_lo, s25
	v_and_b32_e32 v4, 0xffff, v28
	s_wait_alu 0xfffe
	s_and_b32 s25, s30, exec_lo
	s_delay_alu instid0(VALU_DEP_1)
	v_lshrrev_b32_e32 v44, 8, v4
.LBB13_150:                             ;   in Loop: Header=BB13_16 Depth=1
	s_or_b32 exec_lo, exec_lo, s29
.LBB13_151:                             ;   in Loop: Header=BB13_16 Depth=1
	s_delay_alu instid0(SALU_CYCLE_1)
	s_and_b32 vcc_lo, exec_lo, s7
	s_wait_alu 0xfffe
	s_cbranch_vccz .LBB13_165
; %bb.152:                              ;   in Loop: Header=BB13_16 Depth=1
	s_add_nc_u64 s[6:7], s[12:13], s[64:65]
	s_mov_b32 s14, s59
	s_wait_alu 0xfffe
	s_mov_b32 s15, s7
	s_wait_alu 0xfffe
	s_cmp_lg_u64 s[14:15], 0
	s_cbranch_scc0 .LBB13_194
; %bb.153:                              ;   in Loop: Header=BB13_16 Depth=1
	s_add_nc_u64 s[14:15], s[56:57], 0
	s_wait_alu 0xfffe
	s_xor_b64 s[14:15], s[14:15], 0
	s_wait_alu 0xfffe
	s_cvt_f32_u32 s21, s14
	s_cvt_f32_u32 s22, s15
	s_sub_nc_u64 s[72:73], 0, s[14:15]
	s_wait_alu 0xfffe
	s_delay_alu instid0(SALU_CYCLE_1) | instskip(SKIP_1) | instid1(SALU_CYCLE_2)
	s_fmamk_f32 s21, s22, 0x4f800000, s21
	s_wait_alu 0xfffe
	v_s_rcp_f32 s21, s21
	s_delay_alu instid0(TRANS32_DEP_1) | instskip(SKIP_1) | instid1(SALU_CYCLE_2)
	s_mul_f32 s21, s21, 0x5f7ffffc
	s_wait_alu 0xfffe
	s_mul_f32 s22, s21, 0x2f800000
	s_wait_alu 0xfffe
	s_delay_alu instid0(SALU_CYCLE_2) | instskip(SKIP_1) | instid1(SALU_CYCLE_2)
	s_trunc_f32 s22, s22
	s_wait_alu 0xfffe
	s_fmamk_f32 s21, s22, 0xcf800000, s21
	s_cvt_u32_f32 s31, s22
	s_wait_alu 0xfffe
	s_delay_alu instid0(SALU_CYCLE_1) | instskip(SKIP_1) | instid1(SALU_CYCLE_2)
	s_cvt_u32_f32 s30, s21
	s_wait_alu 0xfffe
	s_mul_u64 s[74:75], s[72:73], s[30:31]
	s_wait_alu 0xfffe
	s_mul_hi_u32 s77, s30, s75
	s_mul_i32 s76, s30, s75
	s_mul_hi_u32 s58, s30, s74
	s_mul_i32 s22, s31, s74
	s_wait_alu 0xfffe
	s_add_nc_u64 s[76:77], s[58:59], s[76:77]
	s_mul_hi_u32 s21, s31, s74
	s_mul_hi_u32 s29, s31, s75
	s_wait_alu 0xfffe
	s_add_co_u32 s22, s76, s22
	s_add_co_ci_u32 s58, s77, s21
	s_mul_i32 s74, s31, s75
	s_add_co_ci_u32 s75, s29, 0
	s_wait_alu 0xfffe
	s_add_nc_u64 s[74:75], s[58:59], s[74:75]
	s_wait_alu 0xfffe
	s_add_co_u32 s30, s30, s74
	s_cselect_b32 s21, -1, 0
	s_wait_alu 0xfffe
	s_cmp_lg_u32 s21, 0
	s_add_co_ci_u32 s31, s31, s75
	s_wait_alu 0xfffe
	s_mul_u64 s[72:73], s[72:73], s[30:31]
	s_wait_alu 0xfffe
	s_mul_hi_u32 s75, s30, s73
	s_mul_i32 s74, s30, s73
	s_mul_hi_u32 s58, s30, s72
	s_mul_i32 s22, s31, s72
	s_wait_alu 0xfffe
	s_add_nc_u64 s[74:75], s[58:59], s[74:75]
	s_mul_hi_u32 s21, s31, s72
	s_mul_hi_u32 s29, s31, s73
	s_wait_alu 0xfffe
	s_add_co_u32 s22, s74, s22
	s_add_co_ci_u32 s58, s75, s21
	s_mul_i32 s72, s31, s73
	s_add_co_ci_u32 s73, s29, 0
	s_wait_alu 0xfffe
	s_add_nc_u64 s[72:73], s[58:59], s[72:73]
	s_wait_alu 0xfffe
	s_add_co_u32 s21, s30, s72
	s_cselect_b32 s22, -1, 0
	s_wait_alu 0xfffe
	s_cmp_lg_u32 s22, 0
	s_add_co_ci_u32 s22, s31, s73
	s_ashr_i32 s30, s7, 31
	s_wait_alu 0xfffe
	s_mov_b32 s31, s30
	s_wait_alu 0xfffe
	s_add_nc_u64 s[72:73], s[6:7], s[30:31]
	s_wait_alu 0xfffe
	s_xor_b64 s[72:73], s[72:73], s[30:31]
	s_wait_alu 0xfffe
	s_mul_hi_u32 s75, s72, s22
	s_mul_i32 s74, s72, s22
	s_mul_hi_u32 s58, s72, s21
	s_mul_hi_u32 s77, s73, s21
	s_mul_i32 s21, s73, s21
	s_wait_alu 0xfffe
	s_add_nc_u64 s[74:75], s[58:59], s[74:75]
	s_mul_hi_u32 s29, s73, s22
	s_wait_alu 0xfffe
	s_add_co_u32 s21, s74, s21
	s_add_co_ci_u32 s58, s75, s77
	s_mul_i32 s76, s73, s22
	s_add_co_ci_u32 s77, s29, 0
	s_wait_alu 0xfffe
	s_add_nc_u64 s[74:75], s[58:59], s[76:77]
	s_wait_alu 0xfffe
	s_mul_u64 s[74:75], s[14:15], s[74:75]
	s_wait_alu 0xfffe
	s_sub_co_u32 s21, s72, s74
	s_cselect_b32 s22, -1, 0
	s_sub_co_i32 s29, s73, s75
	s_wait_alu 0xfffe
	s_cmp_lg_u32 s22, 0
	s_sub_co_ci_u32 s29, s29, s15
	s_sub_co_u32 s58, s21, s14
	s_cselect_b32 s72, -1, 0
	s_wait_alu 0xfffe
	s_cmp_lg_u32 s72, 0
	s_sub_co_ci_u32 s74, s29, 0
	s_wait_alu 0xfffe
	s_cmp_ge_u32 s74, s15
	s_cselect_b32 s76, -1, 0
	s_cmp_ge_u32 s58, s14
	s_cselect_b32 s77, -1, 0
	s_cmp_eq_u32 s74, s15
	s_wait_alu 0xfffe
	s_cselect_b32 s76, s77, s76
	s_cmp_lg_u32 s72, 0
	s_sub_co_ci_u32 s29, s29, s15
	s_sub_co_u32 s72, s58, s14
	s_cselect_b32 s77, -1, 0
	s_wait_alu 0xfffe
	s_cmp_lg_u32 s77, 0
	s_sub_co_ci_u32 s29, s29, 0
	s_cmp_lg_u32 s76, 0
	s_cselect_b32 s58, s72, s58
	s_wait_alu 0xfffe
	s_cselect_b32 s29, s29, s74
	s_cmp_lg_u32 s22, 0
	s_sub_co_ci_u32 s22, s73, s75
	s_wait_alu 0xfffe
	s_cmp_ge_u32 s22, s15
	s_cselect_b32 s72, -1, 0
	s_cmp_ge_u32 s21, s14
	s_cselect_b32 s14, -1, 0
	s_cmp_eq_u32 s22, s15
	s_wait_alu 0xfffe
	s_cselect_b32 s14, s14, s72
	s_wait_alu 0xfffe
	s_cmp_lg_u32 s14, 0
	s_cselect_b32 s15, s29, s22
	s_cselect_b32 s14, s58, s21
	s_wait_alu 0xfffe
	s_xor_b64 s[14:15], s[14:15], s[30:31]
	s_wait_alu 0xfffe
	s_sub_nc_u64 s[14:15], s[14:15], s[30:31]
	s_cbranch_execnz .LBB13_155
.LBB13_154:                             ;   in Loop: Header=BB13_16 Depth=1
	v_cvt_f32_u32_e32 v4, s56
	s_sub_co_i32 s15, 0, s56
	s_delay_alu instid0(VALU_DEP_1) | instskip(NEXT) | instid1(TRANS32_DEP_1)
	v_rcp_iflag_f32_e32 v4, v4
	v_mul_f32_e32 v4, 0x4f7ffffe, v4
	s_delay_alu instid0(VALU_DEP_1) | instskip(NEXT) | instid1(VALU_DEP_1)
	v_cvt_u32_f32_e32 v4, v4
	v_readfirstlane_b32 s14, v4
	s_wait_alu 0xfffe
	s_mul_i32 s15, s15, s14
	s_wait_alu 0xfffe
	s_mul_hi_u32 s15, s14, s15
	s_wait_alu 0xfffe
	s_add_co_i32 s14, s14, s15
	s_wait_alu 0xfffe
	s_mul_hi_u32 s14, s6, s14
	s_wait_alu 0xfffe
	s_mul_i32 s14, s14, s56
	s_wait_alu 0xfffe
	s_sub_co_i32 s14, s6, s14
	s_wait_alu 0xfffe
	s_sub_co_i32 s15, s14, s56
	s_cmp_ge_u32 s14, s56
	s_wait_alu 0xfffe
	s_cselect_b32 s14, s15, s14
	s_wait_alu 0xfffe
	s_sub_co_i32 s15, s14, s56
	s_cmp_ge_u32 s14, s56
	s_wait_alu 0xfffe
	s_cselect_b32 s58, s15, s14
	s_wait_alu 0xfffe
	s_mov_b64 s[14:15], s[58:59]
.LBB13_155:                             ;   in Loop: Header=BB13_16 Depth=1
	s_wait_alu 0xfffe
	s_sub_nc_u64 s[6:7], s[6:7], s[14:15]
	s_mov_b32 s14, exec_lo
                                        ; implicit-def: $vgpr44
	s_wait_alu 0xfffe
	v_cmpx_gt_i64_e64 s[6:7], v[0:1]
	s_cbranch_execz .LBB13_164
; %bb.156:                              ;   in Loop: Header=BB13_16 Depth=1
	v_dual_mov_b32 v10, v0 :: v_dual_mov_b32 v5, v1
	v_mov_b32_e32 v4, v0
	s_mov_b32 s15, 0
                                        ; implicit-def: $sgpr21
	s_branch .LBB13_159
.LBB13_157:                             ;   in Loop: Header=BB13_159 Depth=2
	s_wait_alu 0xfffe
	s_or_b32 exec_lo, exec_lo, s22
	s_wait_loadcnt_dscnt 0x0
	s_barrier_signal -1
	s_barrier_wait -1
	global_inv scope:SCOPE_SE
	ds_load_u16 v11, v3 offset:3072
	s_mov_b32 s22, -1
	s_mov_b32 s29, -1
	s_wait_loadcnt_dscnt 0x0
	s_barrier_signal -1
	s_barrier_wait -1
	global_inv scope:SCOPE_SE
	v_and_b32_e32 v28, 0xff, v11
	s_delay_alu instid0(VALU_DEP_1)
	v_cmp_eq_u32_e32 vcc_lo, 0, v28
	s_cbranch_vccnz .LBB13_162
.LBB13_158:                             ;   in Loop: Header=BB13_159 Depth=2
	s_wait_alu 0xfffe
	s_and_b32 s22, exec_lo, s22
	s_wait_alu 0xfffe
	s_or_b32 s15, s22, s15
	s_and_not1_b32 s21, s21, exec_lo
	s_and_b32 s22, s29, exec_lo
	s_wait_alu 0xfffe
	s_or_b32 s21, s21, s22
	s_and_not1_b32 exec_lo, exec_lo, s15
	s_cbranch_execz .LBB13_163
.LBB13_159:                             ;   Parent Loop BB13_16 Depth=1
                                        ; =>  This Inner Loop Header: Depth=2
	s_mov_b32 s22, exec_lo
	s_delay_alu instid0(VALU_DEP_1)
	v_cmpx_gt_u64_e64 s[12:13], v[4:5]
	s_cbranch_execz .LBB13_157
; %bb.160:                              ;   in Loop: Header=BB13_159 Depth=2
	ds_load_u8 v11, v10
	s_wait_dscnt 0x0
	v_bfe_i32 v28, v11, 0, 8
	s_delay_alu instid0(VALU_DEP_1) | instskip(NEXT) | instid1(VALU_DEP_1)
	v_add_nc_u32_e32 v28, 0x80, v28
	v_and_b32_e32 v28, v28, v43
	s_delay_alu instid0(VALU_DEP_1)
	v_cmp_eq_u32_e32 vcc_lo, v28, v22
	s_and_b32 exec_lo, exec_lo, vcc_lo
	s_cbranch_execz .LBB13_157
; %bb.161:                              ;   in Loop: Header=BB13_159 Depth=2
	v_lshlrev_b16 v11, 8, v11
	s_delay_alu instid0(VALU_DEP_1)
	v_or_b32_e32 v11, 1, v11
	ds_store_b16 v3, v11 offset:3072
	s_branch .LBB13_157
.LBB13_162:                             ;   in Loop: Header=BB13_159 Depth=2
	v_add_co_u32 v4, vcc_lo, v4, s56
	s_wait_alu 0xfffd
	v_add_co_ci_u32_e64 v5, null, 0, v5, vcc_lo
	v_add_nc_u32_e32 v10, s56, v10
	s_mov_b32 s29, 0
	s_delay_alu instid0(VALU_DEP_2)
	v_cmp_le_i64_e32 vcc_lo, s[6:7], v[4:5]
	s_or_not1_b32 s22, vcc_lo, exec_lo
	s_branch .LBB13_158
.LBB13_163:                             ;   in Loop: Header=BB13_16 Depth=1
	s_or_b32 exec_lo, exec_lo, s15
	v_and_b32_e32 v4, 0xffff, v11
	s_and_not1_b32 s6, s25, exec_lo
	s_wait_alu 0xfffe
	s_and_b32 s7, s21, exec_lo
	s_wait_alu 0xfffe
	s_or_b32 s25, s6, s7
	v_lshrrev_b32_e32 v44, 8, v4
.LBB13_164:                             ;   in Loop: Header=BB13_16 Depth=1
	s_or_b32 exec_lo, exec_lo, s14
	s_mov_b32 s21, 0
	s_mov_b32 s22, -1
.LBB13_165:                             ;   in Loop: Header=BB13_16 Depth=1
	s_wait_alu 0xfffe
	s_or_not1_b32 s6, s25, exec_lo
.LBB13_166:                             ;   in Loop: Header=BB13_16 Depth=1
	s_wait_alu 0xfffe
	s_or_b32 exec_lo, exec_lo, s23
	s_mov_b32 s7, 0
	s_and_saveexec_b32 s23, s6
	s_cbranch_execz .LBB13_272
; %bb.167:                              ;   in Loop: Header=BB13_16 Depth=1
	v_mov_b32_e32 v4, 1
	v_dual_mov_b32 v5, 0 :: v_dual_mov_b32 v2, 1
	s_xor_b32 s12, s24, -1
	s_wait_alu 0xfffe
	s_and_saveexec_b32 s6, s12
	s_cbranch_execz .LBB13_177
; %bb.168:                              ;   in Loop: Header=BB13_16 Depth=1
	s_mov_b32 s7, exec_lo
	v_cmpx_le_i64_e64 v[8:9], v[6:7]
	s_wait_alu 0xfffe
	s_xor_b32 s7, exec_lo, s7
	s_cbranch_execz .LBB13_174
; %bb.169:                              ;   in Loop: Header=BB13_16 Depth=1
	ds_load_b64 v[4:5], v3 offset:5120
	s_lshl_b32 s12, 1, s101
	v_or_b32_e32 v43, s16, v43
	s_wait_alu 0xfffe
	v_and_or_b32 v22, v22, s20, s12
	s_wait_dscnt 0x0
	v_cmp_ne_u64_e32 vcc_lo, 0, v[4:5]
	s_cbranch_vccnz .LBB13_173
; %bb.170:                              ;   in Loop: Header=BB13_16 Depth=1
	s_and_saveexec_b32 s12, s2
; %bb.171:                              ;   in Loop: Header=BB13_16 Depth=1
	ds_store_b64 v3, v[6:7] offset:5128
; %bb.172:                              ;   in Loop: Header=BB13_16 Depth=1
	s_wait_alu 0xfffe
	s_or_b32 exec_lo, exec_lo, s12
	s_wait_loadcnt_dscnt 0x0
	s_barrier_signal -1
	s_barrier_wait -1
	global_inv scope:SCOPE_SE
.LBB13_173:                             ;   in Loop: Header=BB13_16 Depth=1
                                        ; implicit-def: $vgpr4_vgpr5_vgpr6_vgpr7
.LBB13_174:                             ;   in Loop: Header=BB13_16 Depth=1
	s_wait_alu 0xfffe
	s_or_saveexec_b32 s7, s7
	v_mov_b32_e32 v2, 8
	s_mov_b32 s12, 0
	s_wait_alu 0xfffe
	s_xor_b32 exec_lo, exec_lo, s7
; %bb.175:                              ;   in Loop: Header=BB13_16 Depth=1
	v_sub_co_u32 v8, vcc_lo, v8, v6
	s_wait_alu 0xfffd
	v_sub_co_ci_u32_e64 v9, null, v9, v7, vcc_lo
	v_mov_b32_e32 v2, 0
	s_mov_b32 s12, exec_lo
; %bb.176:                              ;   in Loop: Header=BB13_16 Depth=1
	s_or_b32 exec_lo, exec_lo, s7
	s_delay_alu instid0(VALU_DEP_2)
	v_dual_mov_b32 v4, v8 :: v_dual_mov_b32 v5, v9
	s_wait_alu 0xfffe
	s_and_b32 s7, s12, exec_lo
.LBB13_177:                             ;   in Loop: Header=BB13_16 Depth=1
	s_wait_alu 0xfffe
	s_or_b32 exec_lo, exec_lo, s6
	s_mov_b32 s6, -1
                                        ; implicit-def: $sgpr25
                                        ; implicit-def: $sgpr29
	s_and_saveexec_b32 s24, s7
	s_cbranch_execz .LBB13_271
; %bb.178:                              ;   in Loop: Header=BB13_16 Depth=1
	v_cmp_eq_u64_e32 vcc_lo, 1, v[4:5]
	s_cmp_eq_u64 s[10:11], 1
                                        ; implicit-def: $sgpr29
                                        ; implicit-def: $sgpr25
	s_cselect_b32 s6, -1, 0
	s_wait_alu 0xfffe
	s_and_b32 s30, s6, vcc_lo
	s_mov_b32 s6, -1
	s_wait_alu 0xfffe
	s_and_saveexec_b32 s31, s30
	s_cbranch_execz .LBB13_212
; %bb.179:                              ;   in Loop: Header=BB13_16 Depth=1
	ds_load_b64 v[6:7], v3 offset:5120
	s_wait_loadcnt_dscnt 0x0
	s_barrier_signal -1
	s_barrier_wait -1
	global_inv scope:SCOPE_SE
	v_readfirstlane_b32 s12, v6
	v_readfirstlane_b32 s13, v7
	s_and_saveexec_b32 s6, s3
; %bb.180:                              ;   in Loop: Header=BB13_16 Depth=1
	ds_store_b8 v0, v3 offset:3072
; %bb.181:                              ;   in Loop: Header=BB13_16 Depth=1
	s_wait_alu 0xfffe
	s_or_b32 exec_lo, exec_lo, s6
	s_lshl_b32 s6, 2, s101
	v_or_b32_e32 v43, s16, v43
	s_wait_alu 0xfffe
	v_and_or_b32 v22, v22, s20, s6
	v_cmp_gt_i64_e64 s6, s[12:13], 0
	s_mov_b32 s25, -1
	s_mov_b32 s29, 0
	s_mov_b32 s72, 0
	s_mov_b32 s7, -1
	s_wait_loadcnt_dscnt 0x0
	s_and_b32 vcc_lo, exec_lo, s6
	s_barrier_signal -1
	s_barrier_wait -1
	global_inv scope:SCOPE_SE
                                        ; implicit-def: $vgpr44
	s_wait_alu 0xfffe
	s_cbranch_vccnz .LBB13_197
; %bb.182:                              ;   in Loop: Header=BB13_16 Depth=1
	s_mov_b32 s6, s59
	s_mov_b32 s7, s67
	s_wait_alu 0xfffe
	s_cmp_lg_u64 s[6:7], 0
	s_cbranch_scc0 .LBB13_238
; %bb.183:                              ;   in Loop: Header=BB13_16 Depth=1
	s_add_nc_u64 s[6:7], s[56:57], 0
	s_wait_alu 0xfffe
	s_xor_b64 s[6:7], s[6:7], 0
	s_wait_alu 0xfffe
	s_cvt_f32_u32 s14, s6
	s_cvt_f32_u32 s15, s7
	s_sub_nc_u64 s[72:73], 0, s[6:7]
	s_wait_alu 0xfffe
	s_delay_alu instid0(SALU_CYCLE_1) | instskip(SKIP_1) | instid1(SALU_CYCLE_2)
	s_fmamk_f32 s14, s15, 0x4f800000, s14
	s_wait_alu 0xfffe
	v_s_rcp_f32 s14, s14
	s_delay_alu instid0(TRANS32_DEP_1) | instskip(SKIP_1) | instid1(SALU_CYCLE_2)
	s_mul_f32 s14, s14, 0x5f7ffffc
	s_wait_alu 0xfffe
	s_mul_f32 s15, s14, 0x2f800000
	s_wait_alu 0xfffe
	s_delay_alu instid0(SALU_CYCLE_2) | instskip(SKIP_1) | instid1(SALU_CYCLE_2)
	s_trunc_f32 s15, s15
	s_wait_alu 0xfffe
	s_fmamk_f32 s14, s15, 0xcf800000, s14
	s_cvt_u32_f32 s15, s15
	s_wait_alu 0xfffe
	s_delay_alu instid0(SALU_CYCLE_1) | instskip(SKIP_1) | instid1(SALU_CYCLE_2)
	s_cvt_u32_f32 s14, s14
	s_wait_alu 0xfffe
	s_mul_u64 s[74:75], s[72:73], s[14:15]
	s_wait_alu 0xfffe
	s_mul_hi_u32 s77, s14, s75
	s_mul_i32 s76, s14, s75
	s_mul_hi_u32 s58, s14, s74
	s_mul_i32 s79, s15, s74
	s_wait_alu 0xfffe
	s_add_nc_u64 s[76:77], s[58:59], s[76:77]
	s_mul_hi_u32 s78, s15, s74
	s_mul_hi_u32 s80, s15, s75
	s_wait_alu 0xfffe
	s_add_co_u32 s58, s76, s79
	s_add_co_ci_u32 s58, s77, s78
	s_mul_i32 s74, s15, s75
	s_add_co_ci_u32 s75, s80, 0
	s_wait_alu 0xfffe
	s_add_nc_u64 s[74:75], s[58:59], s[74:75]
	s_wait_alu 0xfffe
	s_add_co_u32 s14, s14, s74
	s_cselect_b32 s58, -1, 0
	s_wait_alu 0xfffe
	s_cmp_lg_u32 s58, 0
	s_add_co_ci_u32 s15, s15, s75
	s_wait_alu 0xfffe
	s_mul_u64 s[72:73], s[72:73], s[14:15]
	s_wait_alu 0xfffe
	s_mul_hi_u32 s75, s14, s73
	s_mul_i32 s74, s14, s73
	s_mul_hi_u32 s58, s14, s72
	s_mul_i32 s77, s15, s72
	s_wait_alu 0xfffe
	s_add_nc_u64 s[74:75], s[58:59], s[74:75]
	s_mul_hi_u32 s76, s15, s72
	s_mul_hi_u32 s78, s15, s73
	s_wait_alu 0xfffe
	s_add_co_u32 s58, s74, s77
	s_add_co_ci_u32 s58, s75, s76
	s_mul_i32 s72, s15, s73
	s_add_co_ci_u32 s73, s78, 0
	s_wait_alu 0xfffe
	s_add_nc_u64 s[72:73], s[58:59], s[72:73]
	s_wait_alu 0xfffe
	s_add_co_u32 s76, s14, s72
	s_cselect_b32 s14, -1, 0
	s_wait_alu 0xfffe
	s_cmp_lg_u32 s14, 0
	s_add_co_ci_u32 s77, s15, s73
	s_ashr_i32 s14, s67, 31
	s_wait_alu 0xfffe
	s_mov_b32 s15, s14
	s_wait_alu 0xfffe
	s_add_nc_u64 s[72:73], s[66:67], s[14:15]
	s_wait_alu 0xfffe
	s_xor_b64 s[72:73], s[72:73], s[14:15]
	s_wait_alu 0xfffe
	s_mul_hi_u32 s75, s72, s77
	s_mul_i32 s74, s72, s77
	s_mul_hi_u32 s58, s72, s76
	s_mul_i32 s80, s73, s76
	s_wait_alu 0xfffe
	s_add_nc_u64 s[74:75], s[58:59], s[74:75]
	s_mul_hi_u32 s79, s73, s76
	s_mul_hi_u32 s78, s73, s77
	s_wait_alu 0xfffe
	s_add_co_u32 s58, s74, s80
	s_add_co_ci_u32 s58, s75, s79
	s_mul_i32 s76, s73, s77
	s_add_co_ci_u32 s77, s78, 0
	s_wait_alu 0xfffe
	s_add_nc_u64 s[74:75], s[58:59], s[76:77]
	s_wait_alu 0xfffe
	s_mul_u64 s[74:75], s[6:7], s[74:75]
	s_wait_alu 0xfffe
	s_sub_co_u32 s58, s72, s74
	s_cselect_b32 s72, -1, 0
	s_sub_co_i32 s74, s73, s75
	s_wait_alu 0xfffe
	s_cmp_lg_u32 s72, 0
	s_sub_co_ci_u32 s74, s74, s7
	s_sub_co_u32 s76, s58, s6
	s_cselect_b32 s77, -1, 0
	s_wait_alu 0xfffe
	s_cmp_lg_u32 s77, 0
	s_sub_co_ci_u32 s78, s74, 0
	s_wait_alu 0xfffe
	s_cmp_ge_u32 s78, s7
	s_cselect_b32 s79, -1, 0
	s_cmp_ge_u32 s76, s6
	s_cselect_b32 s80, -1, 0
	s_cmp_eq_u32 s78, s7
	s_wait_alu 0xfffe
	s_cselect_b32 s79, s80, s79
	s_cmp_lg_u32 s77, 0
	s_sub_co_ci_u32 s74, s74, s7
	s_sub_co_u32 s77, s76, s6
	s_cselect_b32 s80, -1, 0
	s_wait_alu 0xfffe
	s_cmp_lg_u32 s80, 0
	s_sub_co_ci_u32 s74, s74, 0
	s_cmp_lg_u32 s79, 0
	s_cselect_b32 s76, s77, s76
	s_wait_alu 0xfffe
	s_cselect_b32 s74, s74, s78
	s_cmp_lg_u32 s72, 0
	s_sub_co_ci_u32 s72, s73, s75
	s_wait_alu 0xfffe
	s_cmp_ge_u32 s72, s7
	s_cselect_b32 s73, -1, 0
	s_cmp_ge_u32 s58, s6
	s_cselect_b32 s6, -1, 0
	s_cmp_eq_u32 s72, s7
	s_wait_alu 0xfffe
	s_cselect_b32 s6, s6, s73
	s_wait_alu 0xfffe
	s_cmp_lg_u32 s6, 0
	s_cselect_b32 s7, s74, s72
	s_cselect_b32 s6, s76, s58
	s_wait_alu 0xfffe
	s_xor_b64 s[6:7], s[6:7], s[14:15]
	s_wait_alu 0xfffe
	s_sub_nc_u64 s[6:7], s[6:7], s[14:15]
	s_cbranch_execnz .LBB13_185
.LBB13_184:                             ;   in Loop: Header=BB13_16 Depth=1
	v_cvt_f32_u32_e32 v6, s56
	s_sub_co_i32 s7, 0, s56
	s_delay_alu instid0(VALU_DEP_1) | instskip(NEXT) | instid1(TRANS32_DEP_1)
	v_rcp_iflag_f32_e32 v6, v6
	v_mul_f32_e32 v6, 0x4f7ffffe, v6
	s_delay_alu instid0(VALU_DEP_1) | instskip(NEXT) | instid1(VALU_DEP_1)
	v_cvt_u32_f32_e32 v6, v6
	v_readfirstlane_b32 s6, v6
	s_wait_alu 0xfffe
	s_mul_i32 s7, s7, s6
	s_wait_alu 0xfffe
	s_mul_hi_u32 s7, s6, s7
	s_wait_alu 0xfffe
	s_add_co_i32 s6, s6, s7
	s_wait_alu 0xfffe
	s_mul_hi_u32 s6, s66, s6
	s_wait_alu 0xfffe
	s_mul_i32 s6, s6, s56
	s_wait_alu 0xfffe
	s_sub_co_i32 s6, s66, s6
	s_wait_alu 0xfffe
	s_sub_co_i32 s7, s6, s56
	s_cmp_ge_u32 s6, s56
	s_wait_alu 0xfffe
	s_cselect_b32 s6, s7, s6
	s_wait_alu 0xfffe
	s_sub_co_i32 s7, s6, s56
	s_cmp_ge_u32 s6, s56
	s_wait_alu 0xfffe
	s_cselect_b32 s58, s7, s6
	s_wait_alu 0xfffe
	s_mov_b64 s[6:7], s[58:59]
.LBB13_185:                             ;   in Loop: Header=BB13_16 Depth=1
	s_wait_alu 0xfffe
	s_sub_nc_u64 s[14:15], s[66:67], s[6:7]
	s_mov_b32 s7, 0
	s_mov_b32 s72, 0
	s_mov_b32 s58, exec_lo
                                        ; implicit-def: $vgpr44
	s_wait_alu 0xfffe
	v_cmpx_gt_i64_e64 s[14:15], v[0:1]
	s_cbranch_execz .LBB13_196
; %bb.186:                              ;   in Loop: Header=BB13_16 Depth=1
	v_dual_mov_b32 v6, v12 :: v_dual_mov_b32 v7, v13
	v_dual_mov_b32 v9, v1 :: v_dual_mov_b32 v8, v0
                                        ; implicit-def: $sgpr73
	s_branch .LBB13_189
.LBB13_187:                             ;   in Loop: Header=BB13_189 Depth=2
	s_wait_alu 0xfffe
	s_or_b32 exec_lo, exec_lo, s6
	s_wait_loadcnt_dscnt 0x0
	s_barrier_signal -1
	s_barrier_wait -1
	global_inv scope:SCOPE_SE
	ds_load_u16 v10, v3 offset:3072
	s_mov_b32 s6, -1
	s_mov_b32 s74, -1
	s_wait_loadcnt_dscnt 0x0
	s_barrier_signal -1
	s_barrier_wait -1
	global_inv scope:SCOPE_SE
	v_and_b32_e32 v11, 0xff, v10
	s_delay_alu instid0(VALU_DEP_1)
	v_cmp_ne_u32_e32 vcc_lo, 0, v11
	s_cbranch_vccz .LBB13_192
.LBB13_188:                             ;   in Loop: Header=BB13_189 Depth=2
	s_wait_alu 0xfffe
	s_and_b32 s6, exec_lo, s6
	s_wait_alu 0xfffe
	s_or_b32 s72, s6, s72
	s_and_not1_b32 s6, s73, exec_lo
	s_and_b32 s73, s74, exec_lo
	s_wait_alu 0xfffe
	s_or_b32 s73, s6, s73
	s_and_not1_b32 exec_lo, exec_lo, s72
	s_cbranch_execz .LBB13_195
.LBB13_189:                             ;   Parent Loop BB13_16 Depth=1
                                        ; =>  This Inner Loop Header: Depth=2
	s_mov_b32 s6, exec_lo
	s_delay_alu instid0(VALU_DEP_1)
	v_cmpx_gt_i64_e64 s[36:37], v[8:9]
	s_cbranch_execz .LBB13_187
; %bb.190:                              ;   in Loop: Header=BB13_189 Depth=2
	global_load_u8 v10, v[6:7], off
	s_wait_loadcnt 0x0
	v_bfe_i32 v11, v10, 0, 8
	s_delay_alu instid0(VALU_DEP_1) | instskip(NEXT) | instid1(VALU_DEP_1)
	v_add_nc_u32_e32 v11, 0x80, v11
	v_and_b32_e32 v11, v11, v43
	s_delay_alu instid0(VALU_DEP_1)
	v_cmp_eq_u32_e32 vcc_lo, v11, v22
	s_and_b32 exec_lo, exec_lo, vcc_lo
	s_cbranch_execz .LBB13_187
; %bb.191:                              ;   in Loop: Header=BB13_189 Depth=2
	v_lshlrev_b16 v10, 8, v10
	s_delay_alu instid0(VALU_DEP_1)
	v_or_b32_e32 v10, 1, v10
	ds_store_b16 v3, v10 offset:3072
	s_branch .LBB13_187
.LBB13_192:                             ;   in Loop: Header=BB13_189 Depth=2
	v_add_co_u32 v8, vcc_lo, v8, s56
	s_wait_alu 0xfffd
	v_add_co_ci_u32_e64 v9, null, 0, v9, vcc_lo
	v_add_co_u32 v6, s6, v6, s60
	s_wait_alu 0xf1fe
	v_add_co_ci_u32_e64 v7, null, s61, v7, s6
	s_delay_alu instid0(VALU_DEP_3)
	v_cmp_le_i64_e32 vcc_lo, s[14:15], v[8:9]
	s_mov_b32 s74, 0
	s_or_not1_b32 s6, vcc_lo, exec_lo
	s_branch .LBB13_188
.LBB13_193:                             ;   in Loop: Header=BB13_16 Depth=1
                                        ; implicit-def: $sgpr6_sgpr7
	s_branch .LBB13_138
.LBB13_194:                             ;   in Loop: Header=BB13_16 Depth=1
                                        ; implicit-def: $sgpr14_sgpr15
	s_branch .LBB13_154
.LBB13_195:                             ;   in Loop: Header=BB13_16 Depth=1
	s_or_b32 exec_lo, exec_lo, s72
	v_and_b32_e32 v6, 0xffff, v10
	s_wait_alu 0xfffe
	s_and_b32 s72, s73, exec_lo
	s_delay_alu instid0(VALU_DEP_1)
	v_lshrrev_b32_e32 v44, 8, v6
.LBB13_196:                             ;   in Loop: Header=BB13_16 Depth=1
	s_or_b32 exec_lo, exec_lo, s58
.LBB13_197:                             ;   in Loop: Header=BB13_16 Depth=1
	s_delay_alu instid0(SALU_CYCLE_1)
	s_and_b32 vcc_lo, exec_lo, s7
	s_wait_alu 0xfffe
	s_cbranch_vccz .LBB13_211
; %bb.198:                              ;   in Loop: Header=BB13_16 Depth=1
	s_add_nc_u64 s[6:7], s[12:13], s[64:65]
	s_mov_b32 s14, s59
	s_wait_alu 0xfffe
	s_mov_b32 s15, s7
	s_wait_alu 0xfffe
	s_cmp_lg_u64 s[14:15], 0
	s_cbranch_scc0 .LBB13_239
; %bb.199:                              ;   in Loop: Header=BB13_16 Depth=1
	s_add_nc_u64 s[14:15], s[56:57], 0
	s_wait_alu 0xfffe
	s_xor_b64 s[14:15], s[14:15], 0
	s_wait_alu 0xfffe
	s_cvt_f32_u32 s25, s14
	s_cvt_f32_u32 s29, s15
	s_sub_nc_u64 s[76:77], 0, s[14:15]
	s_wait_alu 0xfffe
	s_delay_alu instid0(SALU_CYCLE_1) | instskip(SKIP_1) | instid1(SALU_CYCLE_2)
	s_fmamk_f32 s25, s29, 0x4f800000, s25
	s_wait_alu 0xfffe
	v_s_rcp_f32 s25, s25
	s_delay_alu instid0(TRANS32_DEP_1) | instskip(SKIP_1) | instid1(SALU_CYCLE_2)
	s_mul_f32 s25, s25, 0x5f7ffffc
	s_wait_alu 0xfffe
	s_mul_f32 s29, s25, 0x2f800000
	s_wait_alu 0xfffe
	s_delay_alu instid0(SALU_CYCLE_2) | instskip(SKIP_1) | instid1(SALU_CYCLE_2)
	s_trunc_f32 s29, s29
	s_wait_alu 0xfffe
	s_fmamk_f32 s25, s29, 0xcf800000, s25
	s_cvt_u32_f32 s75, s29
	s_wait_alu 0xfffe
	s_delay_alu instid0(SALU_CYCLE_1) | instskip(SKIP_1) | instid1(SALU_CYCLE_2)
	s_cvt_u32_f32 s74, s25
	s_wait_alu 0xfffe
	s_mul_u64 s[78:79], s[76:77], s[74:75]
	s_wait_alu 0xfffe
	s_mul_hi_u32 s81, s74, s79
	s_mul_i32 s80, s74, s79
	s_mul_hi_u32 s58, s74, s78
	s_mul_i32 s29, s75, s78
	s_wait_alu 0xfffe
	s_add_nc_u64 s[80:81], s[58:59], s[80:81]
	s_mul_hi_u32 s25, s75, s78
	s_mul_hi_u32 s73, s75, s79
	s_wait_alu 0xfffe
	s_add_co_u32 s29, s80, s29
	s_add_co_ci_u32 s58, s81, s25
	s_mul_i32 s78, s75, s79
	s_add_co_ci_u32 s79, s73, 0
	s_wait_alu 0xfffe
	s_add_nc_u64 s[78:79], s[58:59], s[78:79]
	s_wait_alu 0xfffe
	s_add_co_u32 s74, s74, s78
	s_cselect_b32 s25, -1, 0
	s_wait_alu 0xfffe
	s_cmp_lg_u32 s25, 0
	s_add_co_ci_u32 s75, s75, s79
	s_wait_alu 0xfffe
	s_mul_u64 s[76:77], s[76:77], s[74:75]
	s_wait_alu 0xfffe
	s_mul_hi_u32 s79, s74, s77
	s_mul_i32 s78, s74, s77
	s_mul_hi_u32 s58, s74, s76
	s_mul_i32 s29, s75, s76
	s_wait_alu 0xfffe
	s_add_nc_u64 s[78:79], s[58:59], s[78:79]
	s_mul_hi_u32 s25, s75, s76
	s_mul_hi_u32 s73, s75, s77
	s_wait_alu 0xfffe
	s_add_co_u32 s29, s78, s29
	s_add_co_ci_u32 s58, s79, s25
	s_mul_i32 s76, s75, s77
	s_add_co_ci_u32 s77, s73, 0
	s_wait_alu 0xfffe
	s_add_nc_u64 s[76:77], s[58:59], s[76:77]
	s_wait_alu 0xfffe
	s_add_co_u32 s25, s74, s76
	s_cselect_b32 s29, -1, 0
	s_wait_alu 0xfffe
	s_cmp_lg_u32 s29, 0
	s_add_co_ci_u32 s29, s75, s77
	s_ashr_i32 s74, s7, 31
	s_wait_alu 0xfffe
	s_mov_b32 s75, s74
	s_wait_alu 0xfffe
	s_add_nc_u64 s[76:77], s[6:7], s[74:75]
	s_wait_alu 0xfffe
	s_xor_b64 s[76:77], s[76:77], s[74:75]
	s_wait_alu 0xfffe
	s_mul_hi_u32 s79, s76, s29
	s_mul_i32 s78, s76, s29
	s_mul_hi_u32 s58, s76, s25
	s_mul_hi_u32 s81, s77, s25
	s_mul_i32 s25, s77, s25
	s_wait_alu 0xfffe
	s_add_nc_u64 s[78:79], s[58:59], s[78:79]
	s_mul_hi_u32 s73, s77, s29
	s_wait_alu 0xfffe
	s_add_co_u32 s25, s78, s25
	s_add_co_ci_u32 s58, s79, s81
	s_mul_i32 s80, s77, s29
	s_add_co_ci_u32 s81, s73, 0
	s_wait_alu 0xfffe
	s_add_nc_u64 s[78:79], s[58:59], s[80:81]
	s_wait_alu 0xfffe
	s_mul_u64 s[78:79], s[14:15], s[78:79]
	s_wait_alu 0xfffe
	s_sub_co_u32 s25, s76, s78
	s_cselect_b32 s29, -1, 0
	s_sub_co_i32 s58, s77, s79
	s_wait_alu 0xfffe
	s_cmp_lg_u32 s29, 0
	s_sub_co_ci_u32 s58, s58, s15
	s_sub_co_u32 s73, s25, s14
	s_cselect_b32 s76, -1, 0
	s_wait_alu 0xfffe
	s_cmp_lg_u32 s76, 0
	s_sub_co_ci_u32 s78, s58, 0
	s_wait_alu 0xfffe
	s_cmp_ge_u32 s78, s15
	s_cselect_b32 s80, -1, 0
	s_cmp_ge_u32 s73, s14
	s_cselect_b32 s81, -1, 0
	s_cmp_eq_u32 s78, s15
	s_wait_alu 0xfffe
	s_cselect_b32 s80, s81, s80
	s_cmp_lg_u32 s76, 0
	s_sub_co_ci_u32 s58, s58, s15
	s_sub_co_u32 s76, s73, s14
	s_cselect_b32 s81, -1, 0
	s_wait_alu 0xfffe
	s_cmp_lg_u32 s81, 0
	s_sub_co_ci_u32 s58, s58, 0
	s_cmp_lg_u32 s80, 0
	s_cselect_b32 s73, s76, s73
	s_wait_alu 0xfffe
	s_cselect_b32 s58, s58, s78
	s_cmp_lg_u32 s29, 0
	s_sub_co_ci_u32 s29, s77, s79
	s_wait_alu 0xfffe
	s_cmp_ge_u32 s29, s15
	s_cselect_b32 s76, -1, 0
	s_cmp_ge_u32 s25, s14
	s_cselect_b32 s14, -1, 0
	s_cmp_eq_u32 s29, s15
	s_wait_alu 0xfffe
	s_cselect_b32 s14, s14, s76
	s_wait_alu 0xfffe
	s_cmp_lg_u32 s14, 0
	s_cselect_b32 s15, s58, s29
	s_cselect_b32 s14, s73, s25
	s_wait_alu 0xfffe
	s_xor_b64 s[14:15], s[14:15], s[74:75]
	s_wait_alu 0xfffe
	s_sub_nc_u64 s[14:15], s[14:15], s[74:75]
	s_cbranch_execnz .LBB13_201
.LBB13_200:                             ;   in Loop: Header=BB13_16 Depth=1
	v_cvt_f32_u32_e32 v6, s56
	s_sub_co_i32 s15, 0, s56
	s_delay_alu instid0(VALU_DEP_1) | instskip(NEXT) | instid1(TRANS32_DEP_1)
	v_rcp_iflag_f32_e32 v6, v6
	v_mul_f32_e32 v6, 0x4f7ffffe, v6
	s_delay_alu instid0(VALU_DEP_1) | instskip(NEXT) | instid1(VALU_DEP_1)
	v_cvt_u32_f32_e32 v6, v6
	v_readfirstlane_b32 s14, v6
	s_wait_alu 0xfffe
	s_mul_i32 s15, s15, s14
	s_wait_alu 0xfffe
	s_mul_hi_u32 s15, s14, s15
	s_wait_alu 0xfffe
	s_add_co_i32 s14, s14, s15
	s_wait_alu 0xfffe
	s_mul_hi_u32 s14, s6, s14
	s_wait_alu 0xfffe
	s_mul_i32 s14, s14, s56
	s_wait_alu 0xfffe
	s_sub_co_i32 s14, s6, s14
	s_wait_alu 0xfffe
	s_sub_co_i32 s15, s14, s56
	s_cmp_ge_u32 s14, s56
	s_wait_alu 0xfffe
	s_cselect_b32 s14, s15, s14
	s_wait_alu 0xfffe
	s_sub_co_i32 s15, s14, s56
	s_cmp_ge_u32 s14, s56
	s_wait_alu 0xfffe
	s_cselect_b32 s58, s15, s14
	s_wait_alu 0xfffe
	s_mov_b64 s[14:15], s[58:59]
.LBB13_201:                             ;   in Loop: Header=BB13_16 Depth=1
	s_wait_alu 0xfffe
	s_sub_nc_u64 s[6:7], s[6:7], s[14:15]
	s_mov_b32 s14, exec_lo
                                        ; implicit-def: $vgpr44
	s_wait_alu 0xfffe
	v_cmpx_gt_i64_e64 s[6:7], v[0:1]
	s_cbranch_execz .LBB13_210
; %bb.202:                              ;   in Loop: Header=BB13_16 Depth=1
	v_dual_mov_b32 v8, v0 :: v_dual_mov_b32 v7, v1
	v_mov_b32_e32 v6, v0
	s_mov_b32 s15, 0
                                        ; implicit-def: $sgpr25
	s_branch .LBB13_205
.LBB13_203:                             ;   in Loop: Header=BB13_205 Depth=2
	s_wait_alu 0xfffe
	s_or_b32 exec_lo, exec_lo, s29
	s_wait_loadcnt_dscnt 0x0
	s_barrier_signal -1
	s_barrier_wait -1
	global_inv scope:SCOPE_SE
	ds_load_u16 v9, v3 offset:3072
	s_mov_b32 s29, -1
	s_mov_b32 s58, -1
	s_wait_loadcnt_dscnt 0x0
	s_barrier_signal -1
	s_barrier_wait -1
	global_inv scope:SCOPE_SE
	v_and_b32_e32 v10, 0xff, v9
	s_delay_alu instid0(VALU_DEP_1)
	v_cmp_eq_u32_e32 vcc_lo, 0, v10
	s_cbranch_vccnz .LBB13_208
.LBB13_204:                             ;   in Loop: Header=BB13_205 Depth=2
	s_wait_alu 0xfffe
	s_and_b32 s29, exec_lo, s29
	s_wait_alu 0xfffe
	s_or_b32 s15, s29, s15
	s_and_not1_b32 s25, s25, exec_lo
	s_and_b32 s29, s58, exec_lo
	s_wait_alu 0xfffe
	s_or_b32 s25, s25, s29
	s_and_not1_b32 exec_lo, exec_lo, s15
	s_cbranch_execz .LBB13_209
.LBB13_205:                             ;   Parent Loop BB13_16 Depth=1
                                        ; =>  This Inner Loop Header: Depth=2
	s_mov_b32 s29, exec_lo
	s_delay_alu instid0(VALU_DEP_1)
	v_cmpx_gt_u64_e64 s[12:13], v[6:7]
	s_cbranch_execz .LBB13_203
; %bb.206:                              ;   in Loop: Header=BB13_205 Depth=2
	ds_load_u8 v9, v8
	s_wait_dscnt 0x0
	v_bfe_i32 v10, v9, 0, 8
	s_delay_alu instid0(VALU_DEP_1) | instskip(NEXT) | instid1(VALU_DEP_1)
	v_add_nc_u32_e32 v10, 0x80, v10
	v_and_b32_e32 v10, v10, v43
	s_delay_alu instid0(VALU_DEP_1)
	v_cmp_eq_u32_e32 vcc_lo, v10, v22
	s_and_b32 exec_lo, exec_lo, vcc_lo
	s_cbranch_execz .LBB13_203
; %bb.207:                              ;   in Loop: Header=BB13_205 Depth=2
	v_lshlrev_b16 v9, 8, v9
	s_delay_alu instid0(VALU_DEP_1)
	v_or_b32_e32 v9, 1, v9
	ds_store_b16 v3, v9 offset:3072
	s_branch .LBB13_203
.LBB13_208:                             ;   in Loop: Header=BB13_205 Depth=2
	v_add_co_u32 v6, vcc_lo, v6, s56
	s_wait_alu 0xfffd
	v_add_co_ci_u32_e64 v7, null, 0, v7, vcc_lo
	v_add_nc_u32_e32 v8, s56, v8
	s_mov_b32 s58, 0
	s_delay_alu instid0(VALU_DEP_2)
	v_cmp_le_i64_e32 vcc_lo, s[6:7], v[6:7]
	s_or_not1_b32 s29, vcc_lo, exec_lo
	s_branch .LBB13_204
.LBB13_209:                             ;   in Loop: Header=BB13_16 Depth=1
	s_or_b32 exec_lo, exec_lo, s15
	v_and_b32_e32 v6, 0xffff, v9
	s_and_not1_b32 s6, s72, exec_lo
	s_wait_alu 0xfffe
	s_and_b32 s7, s25, exec_lo
	s_wait_alu 0xfffe
	s_or_b32 s72, s6, s7
	v_lshrrev_b32_e32 v44, 8, v6
.LBB13_210:                             ;   in Loop: Header=BB13_16 Depth=1
	s_or_b32 exec_lo, exec_lo, s14
	s_mov_b32 s25, 0
	s_mov_b32 s29, -1
.LBB13_211:                             ;   in Loop: Header=BB13_16 Depth=1
	s_wait_alu 0xfffe
	s_or_not1_b32 s6, s72, exec_lo
.LBB13_212:                             ;   in Loop: Header=BB13_16 Depth=1
	s_wait_alu 0xfffe
	s_or_b32 exec_lo, exec_lo, s31
	s_mov_b32 s7, 0
	s_and_saveexec_b32 s14, s6
	s_cbranch_execz .LBB13_270
; %bb.213:                              ;   in Loop: Header=BB13_16 Depth=1
	v_mov_b32_e32 v6, 1
	v_dual_mov_b32 v7, 0 :: v_dual_mov_b32 v2, 1
	s_xor_b32 s12, s30, -1
	s_wait_alu 0xfffe
	s_and_saveexec_b32 s6, s12
	s_cbranch_execz .LBB13_222
; %bb.214:                              ;   in Loop: Header=BB13_16 Depth=1
	s_mov_b32 s7, exec_lo
	v_cmpx_ge_i64_e64 s[10:11], v[4:5]
	s_wait_alu 0xfffe
	s_xor_b32 s7, exec_lo, s7
	s_cbranch_execz .LBB13_219
; %bb.215:                              ;   in Loop: Header=BB13_16 Depth=1
	ds_load_b64 v[6:7], v3 offset:5120
	s_lshl_b32 s12, 2, s101
	v_or_b32_e32 v43, s16, v43
	s_wait_alu 0xfffe
	v_and_or_b32 v22, v22, s20, s12
	s_wait_dscnt 0x0
	v_cmp_ne_u64_e32 vcc_lo, 0, v[6:7]
	s_cbranch_vccnz .LBB13_219
; %bb.216:                              ;   in Loop: Header=BB13_16 Depth=1
	s_and_saveexec_b32 s12, s2
; %bb.217:                              ;   in Loop: Header=BB13_16 Depth=1
	v_dual_mov_b32 v6, s10 :: v_dual_mov_b32 v7, s11
	ds_store_b64 v3, v[6:7] offset:5128
; %bb.218:                              ;   in Loop: Header=BB13_16 Depth=1
	s_wait_alu 0xfffe
	s_or_b32 exec_lo, exec_lo, s12
	s_wait_loadcnt_dscnt 0x0
	s_barrier_signal -1
	s_barrier_wait -1
	global_inv scope:SCOPE_SE
.LBB13_219:                             ;   in Loop: Header=BB13_16 Depth=1
	s_wait_alu 0xfffe
	s_or_saveexec_b32 s7, s7
	v_mov_b32_e32 v2, 8
	s_mov_b32 s12, 0
	s_wait_alu 0xfffe
	s_xor_b32 exec_lo, exec_lo, s7
; %bb.220:                              ;   in Loop: Header=BB13_16 Depth=1
	v_sub_co_u32 v4, vcc_lo, v4, s10
	s_wait_alu 0xfffd
	v_subrev_co_ci_u32_e64 v5, null, s11, v5, vcc_lo
	v_mov_b32_e32 v2, 0
	s_mov_b32 s12, exec_lo
; %bb.221:                              ;   in Loop: Header=BB13_16 Depth=1
	s_or_b32 exec_lo, exec_lo, s7
	s_delay_alu instid0(VALU_DEP_2)
	v_dual_mov_b32 v7, v5 :: v_dual_mov_b32 v6, v4
	s_wait_alu 0xfffe
	s_and_b32 s7, s12, exec_lo
.LBB13_222:                             ;   in Loop: Header=BB13_16 Depth=1
	s_wait_alu 0xfffe
	s_or_b32 exec_lo, exec_lo, s6
	s_mov_b32 s6, -1
                                        ; implicit-def: $sgpr72
                                        ; implicit-def: $sgpr31
	s_and_saveexec_b32 s15, s7
	s_cbranch_execz .LBB13_269
; %bb.223:                              ;   in Loop: Header=BB13_16 Depth=1
	v_cmp_eq_u64_e32 vcc_lo, 1, v[6:7]
	s_cmp_eq_u64 s[8:9], 1
	s_mov_b32 s7, -1
	s_cselect_b32 s6, -1, 0
                                        ; implicit-def: $sgpr72
                                        ; implicit-def: $sgpr31
	s_wait_alu 0xfffe
	s_and_b32 s20, s6, vcc_lo
	s_wait_alu 0xfffe
	s_and_saveexec_b32 s30, s20
	s_cbranch_execz .LBB13_257
; %bb.224:                              ;   in Loop: Header=BB13_16 Depth=1
	ds_load_b64 v[4:5], v3 offset:5120
	s_wait_loadcnt_dscnt 0x0
	s_barrier_signal -1
	s_barrier_wait -1
	global_inv scope:SCOPE_SE
	v_readfirstlane_b32 s10, v4
	v_readfirstlane_b32 s11, v5
	s_and_saveexec_b32 s6, s3
; %bb.225:                              ;   in Loop: Header=BB13_16 Depth=1
	ds_store_b8 v0, v3 offset:3072
; %bb.226:                              ;   in Loop: Header=BB13_16 Depth=1
	s_wait_alu 0xfffe
	s_or_b32 exec_lo, exec_lo, s6
	v_cmp_gt_i64_e64 s6, s[10:11], 0
	v_or_b32_e32 v22, s16, v22
	v_or_b32_e32 v43, s16, v43
	s_mov_b32 s31, -1
	s_mov_b32 s72, 0
	s_mov_b32 s73, 0
	s_and_b32 vcc_lo, exec_lo, s6
	s_wait_loadcnt_dscnt 0x0
	s_barrier_signal -1
	s_barrier_wait -1
	global_inv scope:SCOPE_SE
                                        ; implicit-def: $vgpr44
	s_wait_alu 0xfffe
	s_cbranch_vccnz .LBB13_242
; %bb.227:                              ;   in Loop: Header=BB13_16 Depth=1
	s_mov_b32 s6, s59
	s_mov_b32 s7, s67
	s_wait_alu 0xfffe
	s_cmp_lg_u64 s[6:7], 0
	s_cbranch_scc0 .LBB13_276
; %bb.228:                              ;   in Loop: Header=BB13_16 Depth=1
	s_add_nc_u64 s[6:7], s[56:57], 0
	s_wait_alu 0xfffe
	s_xor_b64 s[6:7], s[6:7], 0
	s_wait_alu 0xfffe
	s_cvt_f32_u32 s12, s6
	s_cvt_f32_u32 s13, s7
	s_sub_nc_u64 s[74:75], 0, s[6:7]
	s_wait_alu 0xfffe
	s_delay_alu instid0(SALU_CYCLE_1) | instskip(SKIP_1) | instid1(SALU_CYCLE_2)
	s_fmamk_f32 s12, s13, 0x4f800000, s12
	s_wait_alu 0xfffe
	v_s_rcp_f32 s12, s12
	s_delay_alu instid0(TRANS32_DEP_1) | instskip(SKIP_1) | instid1(SALU_CYCLE_2)
	s_mul_f32 s12, s12, 0x5f7ffffc
	s_wait_alu 0xfffe
	s_mul_f32 s13, s12, 0x2f800000
	s_wait_alu 0xfffe
	s_delay_alu instid0(SALU_CYCLE_2) | instskip(SKIP_1) | instid1(SALU_CYCLE_2)
	s_trunc_f32 s13, s13
	s_wait_alu 0xfffe
	s_fmamk_f32 s12, s13, 0xcf800000, s12
	s_cvt_u32_f32 s13, s13
	s_wait_alu 0xfffe
	s_delay_alu instid0(SALU_CYCLE_1) | instskip(SKIP_1) | instid1(SALU_CYCLE_2)
	s_cvt_u32_f32 s12, s12
	s_wait_alu 0xfffe
	s_mul_u64 s[76:77], s[74:75], s[12:13]
	s_wait_alu 0xfffe
	s_mul_hi_u32 s79, s12, s77
	s_mul_i32 s78, s12, s77
	s_mul_hi_u32 s58, s12, s76
	s_mul_i32 s80, s13, s76
	s_wait_alu 0xfffe
	s_add_nc_u64 s[78:79], s[58:59], s[78:79]
	s_mul_hi_u32 s73, s13, s76
	s_mul_hi_u32 s81, s13, s77
	s_wait_alu 0xfffe
	s_add_co_u32 s58, s78, s80
	s_add_co_ci_u32 s58, s79, s73
	s_mul_i32 s76, s13, s77
	s_add_co_ci_u32 s77, s81, 0
	s_wait_alu 0xfffe
	s_add_nc_u64 s[76:77], s[58:59], s[76:77]
	s_wait_alu 0xfffe
	s_add_co_u32 s12, s12, s76
	s_cselect_b32 s58, -1, 0
	s_wait_alu 0xfffe
	s_cmp_lg_u32 s58, 0
	s_add_co_ci_u32 s13, s13, s77
	s_wait_alu 0xfffe
	s_mul_u64 s[74:75], s[74:75], s[12:13]
	s_wait_alu 0xfffe
	s_mul_hi_u32 s77, s12, s75
	s_mul_i32 s76, s12, s75
	s_mul_hi_u32 s58, s12, s74
	s_mul_i32 s78, s13, s74
	s_wait_alu 0xfffe
	s_add_nc_u64 s[76:77], s[58:59], s[76:77]
	s_mul_hi_u32 s73, s13, s74
	s_mul_hi_u32 s79, s13, s75
	s_wait_alu 0xfffe
	s_add_co_u32 s58, s76, s78
	s_add_co_ci_u32 s58, s77, s73
	s_mul_i32 s74, s13, s75
	s_add_co_ci_u32 s75, s79, 0
	s_wait_alu 0xfffe
	s_add_nc_u64 s[74:75], s[58:59], s[74:75]
	s_wait_alu 0xfffe
	s_add_co_u32 s73, s12, s74
	s_cselect_b32 s12, -1, 0
	s_wait_alu 0xfffe
	s_cmp_lg_u32 s12, 0
	s_add_co_ci_u32 s78, s13, s75
	s_ashr_i32 s12, s67, 31
	s_wait_alu 0xfffe
	s_mov_b32 s13, s12
	s_wait_alu 0xfffe
	s_add_nc_u64 s[74:75], s[66:67], s[12:13]
	s_wait_alu 0xfffe
	s_xor_b64 s[74:75], s[74:75], s[12:13]
	s_wait_alu 0xfffe
	s_mul_hi_u32 s77, s74, s78
	s_mul_i32 s76, s74, s78
	s_mul_hi_u32 s58, s74, s73
	s_mul_hi_u32 s80, s75, s73
	s_mul_i32 s73, s75, s73
	s_wait_alu 0xfffe
	s_add_nc_u64 s[76:77], s[58:59], s[76:77]
	s_mul_hi_u32 s79, s75, s78
	s_wait_alu 0xfffe
	s_add_co_u32 s58, s76, s73
	s_add_co_ci_u32 s58, s77, s80
	s_mul_i32 s78, s75, s78
	s_add_co_ci_u32 s79, s79, 0
	s_wait_alu 0xfffe
	s_add_nc_u64 s[76:77], s[58:59], s[78:79]
	s_wait_alu 0xfffe
	s_mul_u64 s[76:77], s[6:7], s[76:77]
	s_wait_alu 0xfffe
	s_sub_co_u32 s58, s74, s76
	s_cselect_b32 s73, -1, 0
	s_sub_co_i32 s74, s75, s77
	s_wait_alu 0xfffe
	s_cmp_lg_u32 s73, 0
	s_sub_co_ci_u32 s74, s74, s7
	s_sub_co_u32 s76, s58, s6
	s_cselect_b32 s78, -1, 0
	s_wait_alu 0xfffe
	s_cmp_lg_u32 s78, 0
	s_sub_co_ci_u32 s79, s74, 0
	s_wait_alu 0xfffe
	s_cmp_ge_u32 s79, s7
	s_cselect_b32 s80, -1, 0
	s_cmp_ge_u32 s76, s6
	s_cselect_b32 s81, -1, 0
	s_cmp_eq_u32 s79, s7
	s_wait_alu 0xfffe
	s_cselect_b32 s80, s81, s80
	s_cmp_lg_u32 s78, 0
	s_sub_co_ci_u32 s74, s74, s7
	s_sub_co_u32 s78, s76, s6
	s_cselect_b32 s81, -1, 0
	s_wait_alu 0xfffe
	s_cmp_lg_u32 s81, 0
	s_sub_co_ci_u32 s74, s74, 0
	s_cmp_lg_u32 s80, 0
	s_cselect_b32 s76, s78, s76
	s_wait_alu 0xfffe
	s_cselect_b32 s74, s74, s79
	s_cmp_lg_u32 s73, 0
	s_sub_co_ci_u32 s73, s75, s77
	s_wait_alu 0xfffe
	s_cmp_ge_u32 s73, s7
	s_cselect_b32 s75, -1, 0
	s_cmp_ge_u32 s58, s6
	s_cselect_b32 s6, -1, 0
	s_cmp_eq_u32 s73, s7
	s_wait_alu 0xfffe
	s_cselect_b32 s6, s6, s75
	s_wait_alu 0xfffe
	s_cmp_lg_u32 s6, 0
	s_cselect_b32 s7, s74, s73
	s_cselect_b32 s6, s76, s58
	s_wait_alu 0xfffe
	s_xor_b64 s[6:7], s[6:7], s[12:13]
	s_wait_alu 0xfffe
	s_sub_nc_u64 s[6:7], s[6:7], s[12:13]
	s_cbranch_execnz .LBB13_230
.LBB13_229:                             ;   in Loop: Header=BB13_16 Depth=1
	v_cvt_f32_u32_e32 v4, s56
	s_sub_co_i32 s7, 0, s56
	s_delay_alu instid0(VALU_DEP_1) | instskip(NEXT) | instid1(TRANS32_DEP_1)
	v_rcp_iflag_f32_e32 v4, v4
	v_mul_f32_e32 v4, 0x4f7ffffe, v4
	s_delay_alu instid0(VALU_DEP_1) | instskip(NEXT) | instid1(VALU_DEP_1)
	v_cvt_u32_f32_e32 v4, v4
	v_readfirstlane_b32 s6, v4
	s_wait_alu 0xfffe
	s_mul_i32 s7, s7, s6
	s_wait_alu 0xfffe
	s_mul_hi_u32 s7, s6, s7
	s_wait_alu 0xfffe
	s_add_co_i32 s6, s6, s7
	s_wait_alu 0xfffe
	s_mul_hi_u32 s6, s66, s6
	s_wait_alu 0xfffe
	s_mul_i32 s6, s6, s56
	s_wait_alu 0xfffe
	s_sub_co_i32 s6, s66, s6
	s_wait_alu 0xfffe
	s_sub_co_i32 s7, s6, s56
	s_cmp_ge_u32 s6, s56
	s_wait_alu 0xfffe
	s_cselect_b32 s6, s7, s6
	s_wait_alu 0xfffe
	s_sub_co_i32 s7, s6, s56
	s_cmp_ge_u32 s6, s56
	s_wait_alu 0xfffe
	s_cselect_b32 s58, s7, s6
	s_wait_alu 0xfffe
	s_mov_b64 s[6:7], s[58:59]
.LBB13_230:                             ;   in Loop: Header=BB13_16 Depth=1
	s_wait_alu 0xfffe
	s_sub_nc_u64 s[12:13], s[66:67], s[6:7]
	s_mov_b32 s7, 0
	s_mov_b32 s73, 0
	s_mov_b32 s58, exec_lo
                                        ; implicit-def: $vgpr44
	s_wait_alu 0xfffe
	v_cmpx_gt_i64_e64 s[12:13], v[0:1]
	s_cbranch_execz .LBB13_241
; %bb.231:                              ;   in Loop: Header=BB13_16 Depth=1
	v_dual_mov_b32 v4, v12 :: v_dual_mov_b32 v5, v13
	v_dual_mov_b32 v9, v1 :: v_dual_mov_b32 v8, v0
                                        ; implicit-def: $sgpr74
	s_branch .LBB13_234
.LBB13_232:                             ;   in Loop: Header=BB13_234 Depth=2
	s_wait_alu 0xfffe
	s_or_b32 exec_lo, exec_lo, s6
	s_wait_loadcnt_dscnt 0x0
	s_barrier_signal -1
	s_barrier_wait -1
	global_inv scope:SCOPE_SE
	ds_load_u16 v10, v3 offset:3072
	s_mov_b32 s6, -1
	s_mov_b32 s75, -1
	s_wait_loadcnt_dscnt 0x0
	s_barrier_signal -1
	s_barrier_wait -1
	global_inv scope:SCOPE_SE
	v_and_b32_e32 v11, 0xff, v10
	s_delay_alu instid0(VALU_DEP_1)
	v_cmp_ne_u32_e32 vcc_lo, 0, v11
	s_cbranch_vccz .LBB13_237
.LBB13_233:                             ;   in Loop: Header=BB13_234 Depth=2
	s_wait_alu 0xfffe
	s_and_b32 s6, exec_lo, s6
	s_wait_alu 0xfffe
	s_or_b32 s73, s6, s73
	s_and_not1_b32 s6, s74, exec_lo
	s_and_b32 s74, s75, exec_lo
	s_wait_alu 0xfffe
	s_or_b32 s74, s6, s74
	s_and_not1_b32 exec_lo, exec_lo, s73
	s_cbranch_execz .LBB13_240
.LBB13_234:                             ;   Parent Loop BB13_16 Depth=1
                                        ; =>  This Inner Loop Header: Depth=2
	s_mov_b32 s6, exec_lo
	s_delay_alu instid0(VALU_DEP_1)
	v_cmpx_gt_i64_e64 s[36:37], v[8:9]
	s_cbranch_execz .LBB13_232
; %bb.235:                              ;   in Loop: Header=BB13_234 Depth=2
	global_load_u8 v10, v[4:5], off
	s_wait_loadcnt 0x0
	v_bfe_i32 v11, v10, 0, 8
	s_delay_alu instid0(VALU_DEP_1) | instskip(NEXT) | instid1(VALU_DEP_1)
	v_add_nc_u32_e32 v11, 0x80, v11
	v_and_b32_e32 v11, v11, v43
	s_delay_alu instid0(VALU_DEP_1)
	v_cmp_eq_u32_e32 vcc_lo, v11, v22
	s_and_b32 exec_lo, exec_lo, vcc_lo
	s_cbranch_execz .LBB13_232
; %bb.236:                              ;   in Loop: Header=BB13_234 Depth=2
	v_lshlrev_b16 v10, 8, v10
	s_delay_alu instid0(VALU_DEP_1)
	v_or_b32_e32 v10, 1, v10
	ds_store_b16 v3, v10 offset:3072
	s_branch .LBB13_232
.LBB13_237:                             ;   in Loop: Header=BB13_234 Depth=2
	v_add_co_u32 v8, vcc_lo, v8, s56
	s_wait_alu 0xfffd
	v_add_co_ci_u32_e64 v9, null, 0, v9, vcc_lo
	v_add_co_u32 v4, s6, v4, s60
	s_wait_alu 0xf1fe
	v_add_co_ci_u32_e64 v5, null, s61, v5, s6
	s_delay_alu instid0(VALU_DEP_3)
	v_cmp_le_i64_e32 vcc_lo, s[12:13], v[8:9]
	s_mov_b32 s75, 0
	s_or_not1_b32 s6, vcc_lo, exec_lo
	s_branch .LBB13_233
.LBB13_238:                             ;   in Loop: Header=BB13_16 Depth=1
                                        ; implicit-def: $sgpr6_sgpr7
	s_branch .LBB13_184
.LBB13_239:                             ;   in Loop: Header=BB13_16 Depth=1
                                        ; implicit-def: $sgpr14_sgpr15
	s_branch .LBB13_200
.LBB13_240:                             ;   in Loop: Header=BB13_16 Depth=1
	s_or_b32 exec_lo, exec_lo, s73
	v_and_b32_e32 v4, 0xffff, v10
	s_wait_alu 0xfffe
	s_and_b32 s73, s74, exec_lo
	s_delay_alu instid0(VALU_DEP_1)
	v_lshrrev_b32_e32 v44, 8, v4
.LBB13_241:                             ;   in Loop: Header=BB13_16 Depth=1
	s_or_b32 exec_lo, exec_lo, s58
.LBB13_242:                             ;   in Loop: Header=BB13_16 Depth=1
	s_delay_alu instid0(SALU_CYCLE_1)
	s_and_b32 vcc_lo, exec_lo, s7
	s_wait_alu 0xfffe
	s_cbranch_vccz .LBB13_256
; %bb.243:                              ;   in Loop: Header=BB13_16 Depth=1
	s_add_nc_u64 s[6:7], s[10:11], s[64:65]
	s_mov_b32 s12, s59
	s_wait_alu 0xfffe
	s_mov_b32 s13, s7
	s_wait_alu 0xfffe
	s_cmp_lg_u64 s[12:13], 0
	s_cbranch_scc0 .LBB13_277
; %bb.244:                              ;   in Loop: Header=BB13_16 Depth=1
	s_add_nc_u64 s[12:13], s[56:57], 0
	s_wait_alu 0xfffe
	s_xor_b64 s[12:13], s[12:13], 0
	s_wait_alu 0xfffe
	s_cvt_f32_u32 s31, s12
	s_cvt_f32_u32 s58, s13
	s_sub_nc_u64 s[76:77], 0, s[12:13]
	s_wait_alu 0xfffe
	s_delay_alu instid0(SALU_CYCLE_1) | instskip(SKIP_1) | instid1(SALU_CYCLE_2)
	s_fmamk_f32 s31, s58, 0x4f800000, s31
	s_wait_alu 0xfffe
	v_s_rcp_f32 s31, s31
	s_delay_alu instid0(TRANS32_DEP_1) | instskip(SKIP_1) | instid1(SALU_CYCLE_2)
	s_mul_f32 s31, s31, 0x5f7ffffc
	s_wait_alu 0xfffe
	s_mul_f32 s58, s31, 0x2f800000
	s_wait_alu 0xfffe
	s_delay_alu instid0(SALU_CYCLE_2) | instskip(SKIP_1) | instid1(SALU_CYCLE_2)
	s_trunc_f32 s58, s58
	s_wait_alu 0xfffe
	s_fmamk_f32 s31, s58, 0xcf800000, s31
	s_cvt_u32_f32 s75, s58
	s_wait_alu 0xfffe
	s_delay_alu instid0(SALU_CYCLE_1) | instskip(SKIP_1) | instid1(SALU_CYCLE_2)
	s_cvt_u32_f32 s74, s31
	s_wait_alu 0xfffe
	s_mul_u64 s[78:79], s[76:77], s[74:75]
	s_wait_alu 0xfffe
	s_mul_hi_u32 s81, s74, s79
	s_mul_i32 s80, s74, s79
	s_mul_hi_u32 s58, s74, s78
	s_mul_i32 s72, s75, s78
	s_wait_alu 0xfffe
	s_add_nc_u64 s[80:81], s[58:59], s[80:81]
	s_mul_hi_u32 s31, s75, s78
	s_mul_hi_u32 s82, s75, s79
	s_wait_alu 0xfffe
	s_add_co_u32 s58, s80, s72
	s_add_co_ci_u32 s58, s81, s31
	s_mul_i32 s78, s75, s79
	s_add_co_ci_u32 s79, s82, 0
	s_wait_alu 0xfffe
	s_add_nc_u64 s[78:79], s[58:59], s[78:79]
	s_wait_alu 0xfffe
	s_add_co_u32 s74, s74, s78
	s_cselect_b32 s31, -1, 0
	s_wait_alu 0xfffe
	s_cmp_lg_u32 s31, 0
	s_add_co_ci_u32 s75, s75, s79
	s_wait_alu 0xfffe
	s_mul_u64 s[76:77], s[76:77], s[74:75]
	s_wait_alu 0xfffe
	s_mul_hi_u32 s79, s74, s77
	s_mul_i32 s78, s74, s77
	s_mul_hi_u32 s58, s74, s76
	s_mul_i32 s72, s75, s76
	s_wait_alu 0xfffe
	s_add_nc_u64 s[78:79], s[58:59], s[78:79]
	s_mul_hi_u32 s31, s75, s76
	s_mul_hi_u32 s80, s75, s77
	s_wait_alu 0xfffe
	s_add_co_u32 s58, s78, s72
	s_add_co_ci_u32 s58, s79, s31
	s_mul_i32 s76, s75, s77
	s_add_co_ci_u32 s77, s80, 0
	s_wait_alu 0xfffe
	s_add_nc_u64 s[76:77], s[58:59], s[76:77]
	s_wait_alu 0xfffe
	s_add_co_u32 s31, s74, s76
	s_cselect_b32 s58, -1, 0
	s_wait_alu 0xfffe
	s_cmp_lg_u32 s58, 0
	s_add_co_ci_u32 s72, s75, s77
	s_ashr_i32 s74, s7, 31
	s_wait_alu 0xfffe
	s_mov_b32 s75, s74
	s_wait_alu 0xfffe
	s_add_nc_u64 s[76:77], s[6:7], s[74:75]
	s_wait_alu 0xfffe
	s_xor_b64 s[76:77], s[76:77], s[74:75]
	s_wait_alu 0xfffe
	s_mul_hi_u32 s79, s76, s72
	s_mul_i32 s78, s76, s72
	s_mul_hi_u32 s58, s76, s31
	s_mul_hi_u32 s82, s77, s31
	s_mul_i32 s31, s77, s31
	s_wait_alu 0xfffe
	s_add_nc_u64 s[78:79], s[58:59], s[78:79]
	s_mul_hi_u32 s81, s77, s72
	s_wait_alu 0xfffe
	s_add_co_u32 s31, s78, s31
	s_add_co_ci_u32 s58, s79, s82
	s_mul_i32 s80, s77, s72
	s_add_co_ci_u32 s81, s81, 0
	s_wait_alu 0xfffe
	s_add_nc_u64 s[78:79], s[58:59], s[80:81]
	s_wait_alu 0xfffe
	s_mul_u64 s[78:79], s[12:13], s[78:79]
	s_wait_alu 0xfffe
	s_sub_co_u32 s31, s76, s78
	s_cselect_b32 s58, -1, 0
	s_sub_co_i32 s72, s77, s79
	s_wait_alu 0xfffe
	s_cmp_lg_u32 s58, 0
	s_sub_co_ci_u32 s72, s72, s13
	s_sub_co_u32 s76, s31, s12
	s_cselect_b32 s78, -1, 0
	s_wait_alu 0xfffe
	s_cmp_lg_u32 s78, 0
	s_sub_co_ci_u32 s80, s72, 0
	s_wait_alu 0xfffe
	s_cmp_ge_u32 s80, s13
	s_cselect_b32 s81, -1, 0
	s_cmp_ge_u32 s76, s12
	s_cselect_b32 s82, -1, 0
	s_cmp_eq_u32 s80, s13
	s_wait_alu 0xfffe
	s_cselect_b32 s81, s82, s81
	s_cmp_lg_u32 s78, 0
	s_sub_co_ci_u32 s72, s72, s13
	s_sub_co_u32 s78, s76, s12
	s_cselect_b32 s82, -1, 0
	s_wait_alu 0xfffe
	s_cmp_lg_u32 s82, 0
	s_sub_co_ci_u32 s72, s72, 0
	s_cmp_lg_u32 s81, 0
	s_cselect_b32 s76, s78, s76
	s_wait_alu 0xfffe
	s_cselect_b32 s72, s72, s80
	s_cmp_lg_u32 s58, 0
	s_sub_co_ci_u32 s58, s77, s79
	s_wait_alu 0xfffe
	s_cmp_ge_u32 s58, s13
	s_cselect_b32 s77, -1, 0
	s_cmp_ge_u32 s31, s12
	s_cselect_b32 s12, -1, 0
	s_cmp_eq_u32 s58, s13
	s_wait_alu 0xfffe
	s_cselect_b32 s12, s12, s77
	s_wait_alu 0xfffe
	s_cmp_lg_u32 s12, 0
	s_cselect_b32 s13, s72, s58
	s_cselect_b32 s12, s76, s31
	s_wait_alu 0xfffe
	s_xor_b64 s[12:13], s[12:13], s[74:75]
	s_wait_alu 0xfffe
	s_sub_nc_u64 s[12:13], s[12:13], s[74:75]
	s_cbranch_execnz .LBB13_246
.LBB13_245:                             ;   in Loop: Header=BB13_16 Depth=1
	v_cvt_f32_u32_e32 v4, s56
	s_sub_co_i32 s13, 0, s56
	s_delay_alu instid0(VALU_DEP_1) | instskip(NEXT) | instid1(TRANS32_DEP_1)
	v_rcp_iflag_f32_e32 v4, v4
	v_mul_f32_e32 v4, 0x4f7ffffe, v4
	s_delay_alu instid0(VALU_DEP_1) | instskip(NEXT) | instid1(VALU_DEP_1)
	v_cvt_u32_f32_e32 v4, v4
	v_readfirstlane_b32 s12, v4
	s_wait_alu 0xfffe
	s_mul_i32 s13, s13, s12
	s_wait_alu 0xfffe
	s_mul_hi_u32 s13, s12, s13
	s_wait_alu 0xfffe
	s_add_co_i32 s12, s12, s13
	s_wait_alu 0xfffe
	s_mul_hi_u32 s12, s6, s12
	s_wait_alu 0xfffe
	s_mul_i32 s12, s12, s56
	s_wait_alu 0xfffe
	s_sub_co_i32 s12, s6, s12
	s_wait_alu 0xfffe
	s_sub_co_i32 s13, s12, s56
	s_cmp_ge_u32 s12, s56
	s_wait_alu 0xfffe
	s_cselect_b32 s12, s13, s12
	s_wait_alu 0xfffe
	s_sub_co_i32 s13, s12, s56
	s_cmp_ge_u32 s12, s56
	s_wait_alu 0xfffe
	s_cselect_b32 s58, s13, s12
	s_wait_alu 0xfffe
	s_mov_b64 s[12:13], s[58:59]
.LBB13_246:                             ;   in Loop: Header=BB13_16 Depth=1
	s_wait_alu 0xfffe
	s_sub_nc_u64 s[6:7], s[6:7], s[12:13]
	s_mov_b32 s12, exec_lo
                                        ; implicit-def: $vgpr44
	s_wait_alu 0xfffe
	v_cmpx_gt_i64_e64 s[6:7], v[0:1]
	s_cbranch_execz .LBB13_255
; %bb.247:                              ;   in Loop: Header=BB13_16 Depth=1
	v_dual_mov_b32 v8, v0 :: v_dual_mov_b32 v5, v1
	v_mov_b32_e32 v4, v0
	s_mov_b32 s13, 0
                                        ; implicit-def: $sgpr31
	s_branch .LBB13_250
.LBB13_248:                             ;   in Loop: Header=BB13_250 Depth=2
	s_wait_alu 0xfffe
	s_or_b32 exec_lo, exec_lo, s58
	s_wait_loadcnt_dscnt 0x0
	s_barrier_signal -1
	s_barrier_wait -1
	global_inv scope:SCOPE_SE
	ds_load_u16 v9, v3 offset:3072
	s_mov_b32 s58, -1
	s_mov_b32 s72, -1
	s_wait_loadcnt_dscnt 0x0
	s_barrier_signal -1
	s_barrier_wait -1
	global_inv scope:SCOPE_SE
	v_and_b32_e32 v10, 0xff, v9
	s_delay_alu instid0(VALU_DEP_1)
	v_cmp_eq_u32_e32 vcc_lo, 0, v10
	s_cbranch_vccnz .LBB13_253
.LBB13_249:                             ;   in Loop: Header=BB13_250 Depth=2
	s_wait_alu 0xfffe
	s_and_b32 s58, exec_lo, s58
	s_wait_alu 0xfffe
	s_or_b32 s13, s58, s13
	s_and_not1_b32 s31, s31, exec_lo
	s_and_b32 s58, s72, exec_lo
	s_wait_alu 0xfffe
	s_or_b32 s31, s31, s58
	s_and_not1_b32 exec_lo, exec_lo, s13
	s_cbranch_execz .LBB13_254
.LBB13_250:                             ;   Parent Loop BB13_16 Depth=1
                                        ; =>  This Inner Loop Header: Depth=2
	s_mov_b32 s58, exec_lo
	s_delay_alu instid0(VALU_DEP_1)
	v_cmpx_gt_u64_e64 s[10:11], v[4:5]
	s_cbranch_execz .LBB13_248
; %bb.251:                              ;   in Loop: Header=BB13_250 Depth=2
	ds_load_u8 v9, v8
	s_wait_dscnt 0x0
	v_bfe_i32 v10, v9, 0, 8
	s_delay_alu instid0(VALU_DEP_1) | instskip(NEXT) | instid1(VALU_DEP_1)
	v_add_nc_u32_e32 v10, 0x80, v10
	v_and_b32_e32 v10, v10, v43
	s_delay_alu instid0(VALU_DEP_1)
	v_cmp_eq_u32_e32 vcc_lo, v10, v22
	s_and_b32 exec_lo, exec_lo, vcc_lo
	s_cbranch_execz .LBB13_248
; %bb.252:                              ;   in Loop: Header=BB13_250 Depth=2
	v_lshlrev_b16 v9, 8, v9
	s_delay_alu instid0(VALU_DEP_1)
	v_or_b32_e32 v9, 1, v9
	ds_store_b16 v3, v9 offset:3072
	s_branch .LBB13_248
.LBB13_253:                             ;   in Loop: Header=BB13_250 Depth=2
	v_add_co_u32 v4, vcc_lo, v4, s56
	s_wait_alu 0xfffd
	v_add_co_ci_u32_e64 v5, null, 0, v5, vcc_lo
	v_add_nc_u32_e32 v8, s56, v8
	s_mov_b32 s72, 0
	s_delay_alu instid0(VALU_DEP_2)
	v_cmp_le_i64_e32 vcc_lo, s[6:7], v[4:5]
	s_or_not1_b32 s58, vcc_lo, exec_lo
	s_branch .LBB13_249
.LBB13_254:                             ;   in Loop: Header=BB13_16 Depth=1
	s_or_b32 exec_lo, exec_lo, s13
	v_and_b32_e32 v4, 0xffff, v9
	s_and_not1_b32 s6, s73, exec_lo
	s_wait_alu 0xfffe
	s_and_b32 s7, s31, exec_lo
	s_wait_alu 0xfffe
	s_or_b32 s73, s6, s7
	v_lshrrev_b32_e32 v44, 8, v4
.LBB13_255:                             ;   in Loop: Header=BB13_16 Depth=1
	s_or_b32 exec_lo, exec_lo, s12
	s_mov_b32 s31, 0
	s_mov_b32 s72, -1
.LBB13_256:                             ;   in Loop: Header=BB13_16 Depth=1
	s_wait_alu 0xfffe
	s_or_not1_b32 s7, s73, exec_lo
.LBB13_257:                             ;   in Loop: Header=BB13_16 Depth=1
	s_wait_alu 0xfffe
	s_or_b32 exec_lo, exec_lo, s30
	s_mov_b32 s10, 0
	s_and_saveexec_b32 s6, s7
	s_cbranch_execz .LBB13_268
; %bb.258:                              ;   in Loop: Header=BB13_16 Depth=1
	v_mov_b32_e32 v4, 1
	v_dual_mov_b32 v5, 0 :: v_dual_mov_b32 v2, 1
	s_xor_b32 s10, s20, -1
	s_wait_alu 0xfffe
	s_and_saveexec_b32 s7, s10
	s_cbranch_execz .LBB13_267
; %bb.259:                              ;   in Loop: Header=BB13_16 Depth=1
	s_mov_b32 s10, exec_lo
	v_cmpx_ge_i64_e64 s[8:9], v[6:7]
	s_wait_alu 0xfffe
	s_xor_b32 s10, exec_lo, s10
	s_cbranch_execz .LBB13_264
; %bb.260:                              ;   in Loop: Header=BB13_16 Depth=1
	ds_load_b64 v[4:5], v3 offset:5120
	v_or_b32_e32 v22, s16, v22
	v_or_b32_e32 v43, s16, v43
	s_wait_dscnt 0x0
	v_cmp_ne_u64_e32 vcc_lo, 0, v[4:5]
	s_cbranch_vccnz .LBB13_264
; %bb.261:                              ;   in Loop: Header=BB13_16 Depth=1
	s_and_saveexec_b32 s11, s2
; %bb.262:                              ;   in Loop: Header=BB13_16 Depth=1
	v_dual_mov_b32 v4, s8 :: v_dual_mov_b32 v5, s9
	ds_store_b64 v3, v[4:5] offset:5128
; %bb.263:                              ;   in Loop: Header=BB13_16 Depth=1
	s_wait_alu 0xfffe
	s_or_b32 exec_lo, exec_lo, s11
	s_wait_loadcnt_dscnt 0x0
	s_barrier_signal -1
	s_barrier_wait -1
	global_inv scope:SCOPE_SE
.LBB13_264:                             ;   in Loop: Header=BB13_16 Depth=1
	s_wait_alu 0xfffe
	s_and_not1_saveexec_b32 s10, s10
; %bb.265:                              ;   in Loop: Header=BB13_16 Depth=1
	v_sub_co_u32 v6, vcc_lo, v6, s8
	s_wait_alu 0xfffd
	v_subrev_co_ci_u32_e64 v7, null, s9, v7, vcc_lo
; %bb.266:                              ;   in Loop: Header=BB13_16 Depth=1
	s_wait_alu 0xfffe
	s_or_b32 exec_lo, exec_lo, s10
	v_mov_b32_e32 v4, v6
	s_delay_alu instid0(VALU_DEP_2)
	v_dual_mov_b32 v2, 8 :: v_dual_mov_b32 v5, v7
.LBB13_267:                             ;   in Loop: Header=BB13_16 Depth=1
	s_wait_alu 0xfffe
	s_or_b32 exec_lo, exec_lo, s7
	s_delay_alu instid0(VALU_DEP_1)
	v_dual_mov_b32 v7, v5 :: v_dual_mov_b32 v6, v4
	s_mov_b32 s10, exec_lo
.LBB13_268:                             ;   in Loop: Header=BB13_16 Depth=1
	s_wait_alu 0xfffe
	s_or_b32 exec_lo, exec_lo, s6
	s_delay_alu instid0(SALU_CYCLE_1)
	s_or_not1_b32 s6, s10, exec_lo
.LBB13_269:                             ;   in Loop: Header=BB13_16 Depth=1
	s_wait_alu 0xfffe
	s_or_b32 exec_lo, exec_lo, s15
	v_dual_mov_b32 v4, v6 :: v_dual_mov_b32 v5, v7
	s_and_not1_b32 s7, s29, exec_lo
	s_and_b32 s8, s72, exec_lo
	s_and_not1_b32 s9, s25, exec_lo
	s_and_b32 s10, s31, exec_lo
	s_wait_alu 0xfffe
	s_or_b32 s29, s7, s8
	s_or_b32 s25, s9, s10
	s_and_b32 s7, s6, exec_lo
.LBB13_270:                             ;   in Loop: Header=BB13_16 Depth=1
	s_wait_alu 0xfffe
	s_or_b32 exec_lo, exec_lo, s14
	s_delay_alu instid0(SALU_CYCLE_1)
	s_or_not1_b32 s6, s7, exec_lo
.LBB13_271:                             ;   in Loop: Header=BB13_16 Depth=1
	s_wait_alu 0xfffe
	s_or_b32 exec_lo, exec_lo, s24
	v_dual_mov_b32 v9, v5 :: v_dual_mov_b32 v8, v4
	s_and_not1_b32 s7, s22, exec_lo
	s_and_b32 s8, s29, exec_lo
	s_and_not1_b32 s9, s21, exec_lo
	s_and_b32 s10, s25, exec_lo
	s_wait_alu 0xfffe
	s_or_b32 s22, s7, s8
	s_or_b32 s21, s9, s10
	s_and_b32 s7, s6, exec_lo
.LBB13_272:                             ;   in Loop: Header=BB13_16 Depth=1
	s_wait_alu 0xfffe
	s_or_b32 exec_lo, exec_lo, s23
	s_delay_alu instid0(SALU_CYCLE_1)
	s_or_not1_b32 s6, s7, exec_lo
.LBB13_273:                             ;   in Loop: Header=BB13_16 Depth=1
	s_wait_alu 0xfffe
	s_or_b32 exec_lo, exec_lo, s19
	s_mov_b32 s7, 0
	s_and_saveexec_b32 s8, s6
	s_wait_alu 0xfffe
	s_xor_b32 s6, exec_lo, s8
	s_cbranch_execz .LBB13_14
; %bb.274:                              ;   in Loop: Header=BB13_16 Depth=1
	v_and_b32_e32 v2, 7, v2
	s_mov_b32 s8, -1
	s_mov_b32 s7, -1
	s_mov_b32 s9, exec_lo
	s_delay_alu instid0(VALU_DEP_1)
	v_cmpx_eq_u32_e32 0, v2
	s_cbranch_execz .LBB13_13
; %bb.275:                              ;   in Loop: Header=BB13_16 Depth=1
	s_xor_b32 s104, s104, 1
	s_add_co_i32 s10, s101, -2
	s_cmp_eq_u32 s101, 0
	s_wait_alu 0xfffe
	s_mov_b32 s101, s10
	s_cselect_b32 s8, -1, 0
	s_xor_b32 s7, exec_lo, -1
	s_wait_alu 0xfffe
	s_or_not1_b32 s8, s8, exec_lo
	s_branch .LBB13_13
.LBB13_276:                             ;   in Loop: Header=BB13_16 Depth=1
                                        ; implicit-def: $sgpr6_sgpr7
	s_branch .LBB13_229
.LBB13_277:                             ;   in Loop: Header=BB13_16 Depth=1
                                        ; implicit-def: $sgpr12_sgpr13
	s_branch .LBB13_245
.LBB13_278:
	s_or_b32 exec_lo, exec_lo, s103
	s_wait_alu 0xfffe
	s_xor_b32 s5, s28, -1
	s_xor_b32 s1, s54, -1
	s_xor_b32 s4, vcc_hi, -1
	s_mov_b32 s3, 0
	s_wait_alu 0xfffe
	s_and_saveexec_b32 s6, s1
	s_wait_alu 0xfffe
	s_xor_b32 s1, exec_lo, s6
	s_cbranch_execnz .LBB13_283
; %bb.279:
	s_wait_alu 0xfffe
	s_and_not1_saveexec_b32 s0, s1
	s_cbranch_execnz .LBB13_308
.LBB13_280:
	s_wait_alu 0xfffe
	s_or_b32 exec_lo, exec_lo, s0
	s_and_saveexec_b32 s0, s3
.LBB13_281:
	; divergent unreachable
.LBB13_282:
	s_endpgm
.LBB13_283:
	s_and_saveexec_b32 s3, s5
	s_delay_alu instid0(SALU_CYCLE_1)
	s_xor_b32 s3, exec_lo, s3
	s_cbranch_execz .LBB13_306
; %bb.284:
	s_and_saveexec_b32 s5, s4
	s_wait_alu 0xfffe
	s_xor_b32 s4, exec_lo, s5
; %bb.285:
	v_xor_b32_e32 v44, 0xffffff80, v22
; %bb.286:
	s_wait_alu 0xfffe
	s_or_b32 exec_lo, exec_lo, s4
	s_and_saveexec_b32 s4, s2
; %bb.287:
	v_dual_mov_b32 v2, 0 :: v_dual_mov_b32 v3, s36
	ds_store_b32 v2, v3 offset:5140
; %bb.288:
	s_wait_alu 0xfffe
	s_or_b32 exec_lo, exec_lo, s4
	s_wait_loadcnt_dscnt 0x0
	s_barrier_signal -1
	s_barrier_wait -1
	global_inv scope:SCOPE_SE
	s_and_saveexec_b32 s4, s0
	s_cbranch_execz .LBB13_303
; %bb.289:
	v_mov_b32_e32 v2, 0
	v_and_b32_e32 v6, 0xff, v44
	s_mov_b32 s5, 0
                                        ; implicit-def: $sgpr6
                                        ; implicit-def: $sgpr7
                                        ; implicit-def: $sgpr8
	ds_load_b32 v4, v2 offset:5140
	s_wait_dscnt 0x0
	v_ashrrev_i32_e32 v5, 31, v4
	s_branch .LBB13_292
.LBB13_290:                             ;   in Loop: Header=BB13_292 Depth=1
	s_wait_alu 0xfffe
	s_or_b32 exec_lo, exec_lo, s11
	s_delay_alu instid0(SALU_CYCLE_1)
	s_and_not1_b32 s8, s8, exec_lo
	s_and_b32 s10, s10, exec_lo
	s_and_not1_b32 s7, s7, exec_lo
	s_and_b32 s0, s0, exec_lo
	s_wait_alu 0xfffe
	s_or_b32 s8, s8, s10
	s_or_b32 s7, s7, s0
.LBB13_291:                             ;   in Loop: Header=BB13_292 Depth=1
	s_wait_alu 0xfffe
	s_or_b32 exec_lo, exec_lo, s9
	s_delay_alu instid0(SALU_CYCLE_1)
	s_and_b32 s0, exec_lo, s7
	s_wait_alu 0xfffe
	s_or_b32 s5, s0, s5
	s_and_not1_b32 s0, s6, exec_lo
	s_and_b32 s6, s8, exec_lo
	s_wait_alu 0xfffe
	s_or_b32 s6, s0, s6
	s_and_not1_b32 exec_lo, exec_lo, s5
	s_cbranch_execz .LBB13_298
.LBB13_292:                             ; =>This Inner Loop Header: Depth=1
	v_dual_mov_b32 v3, v1 :: v_dual_mov_b32 v2, v0
	s_or_b32 s8, s8, exec_lo
	s_or_b32 s7, s7, exec_lo
	s_mov_b32 s9, exec_lo
                                        ; implicit-def: $vgpr0_vgpr1
	s_delay_alu instid0(VALU_DEP_1)
	v_cmpx_lt_i64_e64 v[2:3], v[4:5]
	s_cbranch_execz .LBB13_291
; %bb.293:                              ;   in Loop: Header=BB13_292 Depth=1
	global_load_u8 v0, v[12:13], off
	s_mov_b32 s0, -1
	s_mov_b32 s10, 0
	s_wait_loadcnt 0x0
	v_cmp_ne_u16_e32 vcc_lo, v0, v6
                                        ; implicit-def: $vgpr0_vgpr1
	s_and_saveexec_b32 s11, vcc_lo
	s_cbranch_execz .LBB13_290
; %bb.294:                              ;   in Loop: Header=BB13_292 Depth=1
	v_add_co_u32 v0, vcc_lo, v2, s56
	s_wait_alu 0xfffd
	v_add_co_ci_u32_e64 v1, null, 0, v3, vcc_lo
	v_add_co_u32 v12, s0, v12, s60
	s_wait_alu 0xf1fe
	v_add_co_ci_u32_e64 v13, null, s61, v13, s0
	s_delay_alu instid0(VALU_DEP_3)
	v_cmp_le_i64_e32 vcc_lo, s[36:37], v[0:1]
	s_mov_b32 s10, exec_lo
	s_or_not1_b32 s0, vcc_lo, exec_lo
	s_branch .LBB13_290
.LBB13_295:
                                        ; implicit-def: $sgpr12_sgpr13
	s_branch .LBB13_3
.LBB13_296:
                                        ; implicit-def: $sgpr48_sgpr49
	s_branch .LBB13_6
.LBB13_297:
                                        ; implicit-def: $sgpr50_sgpr51
	s_branch .LBB13_9
.LBB13_298:
	s_or_b32 exec_lo, exec_lo, s5
	s_wait_alu 0xfffe
	s_xor_b32 s0, s6, -1
	s_wait_alu 0xfffe
	s_and_saveexec_b32 s5, s0
	s_wait_alu 0xfffe
	s_xor_b32 s5, exec_lo, s5
	s_cbranch_execz .LBB13_303
; %bb.299:
	s_mov_b32 s5, exec_lo
	s_brev_b32 s0, -2
.LBB13_300:                             ; =>This Inner Loop Header: Depth=1
	s_wait_alu 0xfffe
	s_ctz_i32_b32 s6, s5
	s_wait_alu 0xfffe
	v_readlane_b32 s7, v2, s6
	s_lshl_b32 s6, 1, s6
	s_wait_alu 0xfffe
	s_and_not1_b32 s5, s5, s6
	s_min_i32 s0, s0, s7
	s_wait_alu 0xfffe
	s_cmp_lg_u32 s5, 0
	s_cbranch_scc1 .LBB13_300
; %bb.301:
	v_mbcnt_lo_u32_b32 v0, exec_lo, 0
	s_mov_b32 s5, exec_lo
	s_delay_alu instid0(VALU_DEP_1)
	v_cmpx_eq_u32_e32 0, v0
	s_wait_alu 0xfffe
	s_xor_b32 s5, exec_lo, s5
; %bb.302:
	v_dual_mov_b32 v0, 0 :: v_dual_mov_b32 v1, s0
	ds_min_i32 v0, v1 offset:5140
.LBB13_303:
	s_wait_alu 0xfffe
	s_or_b32 exec_lo, exec_lo, s4
	s_wait_loadcnt_dscnt 0x0
	s_barrier_signal -1
	s_barrier_wait -1
	global_inv scope:SCOPE_SE
	s_and_saveexec_b32 s0, s2
	s_cbranch_execz .LBB13_305
; %bb.304:
	v_mov_b32_e32 v2, 0
	v_readlane_b32 s12, v61, 0
	v_readlane_b32 s13, v61, 1
	s_mul_u64 s[6:7], s[48:49], s[44:45]
	v_readlane_b32 s14, v61, 2
	ds_load_b32 v0, v2 offset:5140
	v_readlane_b32 s15, v61, 3
	s_mul_u64 s[10:11], s[50:51], s[12:13]
	v_readlane_b32 s12, v61, 6
	v_readlane_b32 s13, v61, 7
	s_mul_u64 s[8:9], s[50:51], s[40:41]
	s_mul_u64 s[4:5], s[48:49], s[34:35]
	s_wait_alu 0xfffe
	s_sub_nc_u64 s[8:9], s[26:27], s[8:9]
	s_lshl_b64 s[10:11], s[10:11], 3
	s_add_nc_u64 s[6:7], s[12:13], s[6:7]
	v_readlane_b32 s12, v61, 4
	v_readlane_b32 s13, v61, 5
	s_wait_alu 0xfffe
	s_mul_u64 s[8:9], s[8:9], s[14:15]
	s_sub_nc_u64 s[4:5], s[26:27], s[4:5]
	s_wait_alu 0xfffe
	s_lshl_b64 s[8:9], s[8:9], 3
	s_mul_u64 s[4:5], s[4:5], s[46:47]
	s_add_nc_u64 s[10:11], s[12:13], s[10:11]
	s_wait_alu 0xfffe
	s_add_nc_u64 s[4:5], s[6:7], s[4:5]
	s_add_nc_u64 s[8:9], s[10:11], s[8:9]
	s_wait_dscnt 0x0
	v_ashrrev_i32_e32 v1, 31, v0
	s_clause 0x1
	global_store_b64 v2, v[0:1], s[8:9]
	global_store_b8 v2, v44, s[4:5]
.LBB13_305:
	s_wait_alu 0xfffe
	s_or_b32 exec_lo, exec_lo, s0
.LBB13_306:
	s_or_saveexec_b32 s0, s3
	s_mov_b32 s2, 0
	s_wait_alu 0xfffe
	s_xor_b32 exec_lo, exec_lo, s0
	s_cbranch_execnz .LBB13_309
.LBB13_307:
	s_or_b32 exec_lo, exec_lo, s0
	s_delay_alu instid0(SALU_CYCLE_1)
	s_and_b32 s3, s2, exec_lo
	s_and_not1_saveexec_b32 s0, s1
	s_cbranch_execz .LBB13_280
.LBB13_308:
	s_or_b32 s3, s3, exec_lo
	s_trap 2
	s_wait_alu 0xfffe
	s_or_b32 exec_lo, exec_lo, s0
	s_and_saveexec_b32 s0, s3
	s_cbranch_execnz .LBB13_281
	s_branch .LBB13_282
.LBB13_309:
	s_mov_b32 s2, exec_lo
	s_trap 2
	s_branch .LBB13_307
	.section	.rodata,"a",@progbits
	.p2align	6, 0x0
	.amdhsa_kernel _ZN2at6native12_GLOBAL__N_114gatherKthValueIalLi2EEEvNS_4cuda6detail10TensorInfoIKT_T0_EES8_S8_S8_S8_NS5_IS6_S8_EENS5_IlS8_EE
		.amdhsa_group_segment_fixed_size 5144
		.amdhsa_private_segment_fixed_size 0
		.amdhsa_kernarg_size 1536
		.amdhsa_user_sgpr_count 2
		.amdhsa_user_sgpr_dispatch_ptr 0
		.amdhsa_user_sgpr_queue_ptr 0
		.amdhsa_user_sgpr_kernarg_segment_ptr 1
		.amdhsa_user_sgpr_dispatch_id 0
		.amdhsa_user_sgpr_private_segment_size 0
		.amdhsa_wavefront_size32 1
		.amdhsa_uses_dynamic_stack 0
		.amdhsa_enable_private_segment 0
		.amdhsa_system_sgpr_workgroup_id_x 1
		.amdhsa_system_sgpr_workgroup_id_y 1
		.amdhsa_system_sgpr_workgroup_id_z 1
		.amdhsa_system_sgpr_workgroup_info 0
		.amdhsa_system_vgpr_workitem_id 0
		.amdhsa_next_free_vgpr 62
		.amdhsa_next_free_sgpr 105
		.amdhsa_reserve_vcc 1
		.amdhsa_float_round_mode_32 0
		.amdhsa_float_round_mode_16_64 0
		.amdhsa_float_denorm_mode_32 3
		.amdhsa_float_denorm_mode_16_64 3
		.amdhsa_fp16_overflow 0
		.amdhsa_workgroup_processor_mode 1
		.amdhsa_memory_ordered 1
		.amdhsa_forward_progress 1
		.amdhsa_inst_pref_size 172
		.amdhsa_round_robin_scheduling 0
		.amdhsa_exception_fp_ieee_invalid_op 0
		.amdhsa_exception_fp_denorm_src 0
		.amdhsa_exception_fp_ieee_div_zero 0
		.amdhsa_exception_fp_ieee_overflow 0
		.amdhsa_exception_fp_ieee_underflow 0
		.amdhsa_exception_fp_ieee_inexact 0
		.amdhsa_exception_int_div_zero 0
	.end_amdhsa_kernel
	.section	.text._ZN2at6native12_GLOBAL__N_114gatherKthValueIalLi2EEEvNS_4cuda6detail10TensorInfoIKT_T0_EES8_S8_S8_S8_NS5_IS6_S8_EENS5_IlS8_EE,"axG",@progbits,_ZN2at6native12_GLOBAL__N_114gatherKthValueIalLi2EEEvNS_4cuda6detail10TensorInfoIKT_T0_EES8_S8_S8_S8_NS5_IS6_S8_EENS5_IlS8_EE,comdat
.Lfunc_end13:
	.size	_ZN2at6native12_GLOBAL__N_114gatherKthValueIalLi2EEEvNS_4cuda6detail10TensorInfoIKT_T0_EES8_S8_S8_S8_NS5_IS6_S8_EENS5_IlS8_EE, .Lfunc_end13-_ZN2at6native12_GLOBAL__N_114gatherKthValueIalLi2EEEvNS_4cuda6detail10TensorInfoIKT_T0_EES8_S8_S8_S8_NS5_IS6_S8_EENS5_IlS8_EE
                                        ; -- End function
	.set _ZN2at6native12_GLOBAL__N_114gatherKthValueIalLi2EEEvNS_4cuda6detail10TensorInfoIKT_T0_EES8_S8_S8_S8_NS5_IS6_S8_EENS5_IlS8_EE.num_vgpr, 62
	.set _ZN2at6native12_GLOBAL__N_114gatherKthValueIalLi2EEEvNS_4cuda6detail10TensorInfoIKT_T0_EES8_S8_S8_S8_NS5_IS6_S8_EENS5_IlS8_EE.num_agpr, 0
	.set _ZN2at6native12_GLOBAL__N_114gatherKthValueIalLi2EEEvNS_4cuda6detail10TensorInfoIKT_T0_EES8_S8_S8_S8_NS5_IS6_S8_EENS5_IlS8_EE.numbered_sgpr, 105
	.set _ZN2at6native12_GLOBAL__N_114gatherKthValueIalLi2EEEvNS_4cuda6detail10TensorInfoIKT_T0_EES8_S8_S8_S8_NS5_IS6_S8_EENS5_IlS8_EE.num_named_barrier, 0
	.set _ZN2at6native12_GLOBAL__N_114gatherKthValueIalLi2EEEvNS_4cuda6detail10TensorInfoIKT_T0_EES8_S8_S8_S8_NS5_IS6_S8_EENS5_IlS8_EE.private_seg_size, 0
	.set _ZN2at6native12_GLOBAL__N_114gatherKthValueIalLi2EEEvNS_4cuda6detail10TensorInfoIKT_T0_EES8_S8_S8_S8_NS5_IS6_S8_EENS5_IlS8_EE.uses_vcc, 1
	.set _ZN2at6native12_GLOBAL__N_114gatherKthValueIalLi2EEEvNS_4cuda6detail10TensorInfoIKT_T0_EES8_S8_S8_S8_NS5_IS6_S8_EENS5_IlS8_EE.uses_flat_scratch, 0
	.set _ZN2at6native12_GLOBAL__N_114gatherKthValueIalLi2EEEvNS_4cuda6detail10TensorInfoIKT_T0_EES8_S8_S8_S8_NS5_IS6_S8_EENS5_IlS8_EE.has_dyn_sized_stack, 0
	.set _ZN2at6native12_GLOBAL__N_114gatherKthValueIalLi2EEEvNS_4cuda6detail10TensorInfoIKT_T0_EES8_S8_S8_S8_NS5_IS6_S8_EENS5_IlS8_EE.has_recursion, 0
	.set _ZN2at6native12_GLOBAL__N_114gatherKthValueIalLi2EEEvNS_4cuda6detail10TensorInfoIKT_T0_EES8_S8_S8_S8_NS5_IS6_S8_EENS5_IlS8_EE.has_indirect_call, 0
	.section	.AMDGPU.csdata,"",@progbits
; Kernel info:
; codeLenInByte = 21964
; TotalNumSgprs: 107
; NumVgprs: 62
; ScratchSize: 0
; MemoryBound: 0
; FloatMode: 240
; IeeeMode: 1
; LDSByteSize: 5144 bytes/workgroup (compile time only)
; SGPRBlocks: 0
; VGPRBlocks: 7
; NumSGPRsForWavesPerEU: 107
; NumVGPRsForWavesPerEU: 62
; Occupancy: 16
; WaveLimiterHint : 1
; COMPUTE_PGM_RSRC2:SCRATCH_EN: 0
; COMPUTE_PGM_RSRC2:USER_SGPR: 2
; COMPUTE_PGM_RSRC2:TRAP_HANDLER: 0
; COMPUTE_PGM_RSRC2:TGID_X_EN: 1
; COMPUTE_PGM_RSRC2:TGID_Y_EN: 1
; COMPUTE_PGM_RSRC2:TGID_Z_EN: 1
; COMPUTE_PGM_RSRC2:TIDIG_COMP_CNT: 0
	.section	.text._ZN2at6native12_GLOBAL__N_114gatherKthValueIalLi3EEEvNS_4cuda6detail10TensorInfoIKT_T0_EES8_S8_S8_S8_NS5_IS6_S8_EENS5_IlS8_EE,"axG",@progbits,_ZN2at6native12_GLOBAL__N_114gatherKthValueIalLi3EEEvNS_4cuda6detail10TensorInfoIKT_T0_EES8_S8_S8_S8_NS5_IS6_S8_EENS5_IlS8_EE,comdat
	.globl	_ZN2at6native12_GLOBAL__N_114gatherKthValueIalLi3EEEvNS_4cuda6detail10TensorInfoIKT_T0_EES8_S8_S8_S8_NS5_IS6_S8_EENS5_IlS8_EE ; -- Begin function _ZN2at6native12_GLOBAL__N_114gatherKthValueIalLi3EEEvNS_4cuda6detail10TensorInfoIKT_T0_EES8_S8_S8_S8_NS5_IS6_S8_EENS5_IlS8_EE
	.p2align	8
	.type	_ZN2at6native12_GLOBAL__N_114gatherKthValueIalLi3EEEvNS_4cuda6detail10TensorInfoIKT_T0_EES8_S8_S8_S8_NS5_IS6_S8_EENS5_IlS8_EE,@function
_ZN2at6native12_GLOBAL__N_114gatherKthValueIalLi3EEEvNS_4cuda6detail10TensorInfoIKT_T0_EES8_S8_S8_S8_NS5_IS6_S8_EENS5_IlS8_EE: ; @_ZN2at6native12_GLOBAL__N_114gatherKthValueIalLi3EEEvNS_4cuda6detail10TensorInfoIKT_T0_EES8_S8_S8_S8_NS5_IS6_S8_EENS5_IlS8_EE
; %bb.0:
	s_clause 0x1
	s_load_b64 s[12:13], s[0:1], 0x500
	s_load_b256 s[36:43], s[0:1], 0x1a0
	s_lshr_b32 s2, ttmp7, 16
	s_and_b32 s3, ttmp7, 0xffff
	s_mov_b32 s27, 0
	s_wait_kmcnt 0x0
	s_mul_i32 s2, s13, s2
	s_delay_alu instid0(SALU_CYCLE_1) | instskip(NEXT) | instid1(SALU_CYCLE_1)
	s_add_co_i32 s2, s2, s3
	s_mul_i32 s2, s2, s12
	s_delay_alu instid0(SALU_CYCLE_1) | instskip(NEXT) | instid1(SALU_CYCLE_1)
	s_add_co_i32 s26, s2, ttmp9
	v_cmp_le_i64_e64 s2, s[40:41], s[26:27]
	s_and_b32 vcc_lo, exec_lo, s2
	s_cbranch_vccnz .LBB14_298
; %bb.1:
	s_load_b128 s[4:7], s[0:1], 0x10
	s_mov_b32 s2, s27
	s_wait_kmcnt 0x0
	s_mov_b32 s3, s7
	s_delay_alu instid0(SALU_CYCLE_1)
	s_cmp_lg_u64 s[2:3], 0
	s_add_nc_u64 s[2:3], s[26:27], 0
	s_cbranch_scc0 .LBB14_18
; %bb.2:
	s_ashr_i32 s8, s7, 31
	s_mov_b32 s17, 0
	s_mov_b32 s9, s8
	s_delay_alu instid0(SALU_CYCLE_1) | instskip(NEXT) | instid1(SALU_CYCLE_1)
	s_add_nc_u64 s[10:11], s[6:7], s[8:9]
	s_xor_b64 s[10:11], s[10:11], s[8:9]
	s_delay_alu instid0(SALU_CYCLE_1) | instskip(SKIP_2) | instid1(SALU_CYCLE_2)
	s_cvt_f32_u32 s13, s10
	s_cvt_f32_u32 s14, s11
	s_sub_nc_u64 s[18:19], 0, s[10:11]
	s_fmamk_f32 s13, s14, 0x4f800000, s13
	s_delay_alu instid0(SALU_CYCLE_3) | instskip(NEXT) | instid1(TRANS32_DEP_1)
	v_s_rcp_f32 s13, s13
	s_mul_f32 s13, s13, 0x5f7ffffc
	s_wait_alu 0xfffe
	s_delay_alu instid0(SALU_CYCLE_2) | instskip(NEXT) | instid1(SALU_CYCLE_3)
	s_mul_f32 s14, s13, 0x2f800000
	s_trunc_f32 s14, s14
	s_delay_alu instid0(SALU_CYCLE_3) | instskip(SKIP_2) | instid1(SALU_CYCLE_1)
	s_fmamk_f32 s13, s14, 0xcf800000, s13
	s_cvt_u32_f32 s15, s14
	s_wait_alu 0xfffe
	s_cvt_u32_f32 s14, s13
	s_delay_alu instid0(SALU_CYCLE_3) | instskip(NEXT) | instid1(SALU_CYCLE_1)
	s_mul_u64 s[20:21], s[18:19], s[14:15]
	s_mul_hi_u32 s23, s14, s21
	s_mul_i32 s22, s14, s21
	s_mul_hi_u32 s16, s14, s20
	s_mul_i32 s24, s15, s20
	s_add_nc_u64 s[22:23], s[16:17], s[22:23]
	s_mul_hi_u32 s13, s15, s20
	s_mul_hi_u32 s25, s15, s21
	s_add_co_u32 s16, s22, s24
	s_wait_alu 0xfffe
	s_add_co_ci_u32 s16, s23, s13
	s_mul_i32 s20, s15, s21
	s_add_co_ci_u32 s21, s25, 0
	s_delay_alu instid0(SALU_CYCLE_1) | instskip(NEXT) | instid1(SALU_CYCLE_1)
	s_add_nc_u64 s[20:21], s[16:17], s[20:21]
	s_add_co_u32 s14, s14, s20
	s_cselect_b32 s13, -1, 0
	s_wait_alu 0xfffe
	s_cmp_lg_u32 s13, 0
	s_add_co_ci_u32 s15, s15, s21
	s_delay_alu instid0(SALU_CYCLE_1) | instskip(NEXT) | instid1(SALU_CYCLE_1)
	s_mul_u64 s[18:19], s[18:19], s[14:15]
	s_mul_hi_u32 s21, s14, s19
	s_mul_i32 s20, s14, s19
	s_mul_hi_u32 s16, s14, s18
	s_mul_i32 s22, s15, s18
	s_add_nc_u64 s[20:21], s[16:17], s[20:21]
	s_mul_hi_u32 s13, s15, s18
	s_mul_hi_u32 s23, s15, s19
	s_add_co_u32 s16, s20, s22
	s_wait_alu 0xfffe
	s_add_co_ci_u32 s16, s21, s13
	s_mul_i32 s18, s15, s19
	s_add_co_ci_u32 s19, s23, 0
	s_delay_alu instid0(SALU_CYCLE_1) | instskip(NEXT) | instid1(SALU_CYCLE_1)
	s_add_nc_u64 s[18:19], s[16:17], s[18:19]
	s_add_co_u32 s13, s14, s18
	s_cselect_b32 s14, -1, 0
	s_delay_alu instid0(SALU_CYCLE_1) | instskip(SKIP_2) | instid1(SALU_CYCLE_1)
	s_cmp_lg_u32 s14, 0
	s_add_co_ci_u32 s20, s15, s19
	s_xor_b64 s[14:15], s[2:3], 0
	s_mul_hi_u32 s19, s14, s20
	s_mul_i32 s18, s14, s20
	s_wait_alu 0xfffe
	s_mul_hi_u32 s16, s14, s13
	s_mul_hi_u32 s22, s15, s13
	s_mul_i32 s13, s15, s13
	s_add_nc_u64 s[18:19], s[16:17], s[18:19]
	s_mul_hi_u32 s21, s15, s20
	s_wait_alu 0xfffe
	s_add_co_u32 s13, s18, s13
	s_add_co_ci_u32 s16, s19, s22
	s_mul_i32 s20, s15, s20
	s_add_co_ci_u32 s21, s21, 0
	s_delay_alu instid0(SALU_CYCLE_1) | instskip(NEXT) | instid1(SALU_CYCLE_1)
	s_add_nc_u64 s[18:19], s[16:17], s[20:21]
	s_mul_u64 s[20:21], s[10:11], s[18:19]
	s_delay_alu instid0(SALU_CYCLE_1)
	s_sub_co_u32 s13, s14, s20
	s_cselect_b32 s14, -1, 0
	s_sub_co_i32 s16, s15, s21
	s_cmp_lg_u32 s14, 0
	s_sub_co_ci_u32 s16, s16, s11
	s_wait_alu 0xfffe
	s_sub_co_u32 s20, s13, s10
	s_cselect_b32 s22, -1, 0
	s_delay_alu instid0(SALU_CYCLE_1) | instskip(SKIP_2) | instid1(SALU_CYCLE_1)
	s_cmp_lg_u32 s22, 0
	s_add_nc_u64 s[22:23], s[18:19], 1
	s_sub_co_ci_u32 s16, s16, 0
	s_cmp_ge_u32 s16, s11
	s_cselect_b32 s24, -1, 0
	s_cmp_ge_u32 s20, s10
	s_cselect_b32 s20, -1, 0
	s_cmp_eq_u32 s16, s11
	s_cselect_b32 s16, s20, s24
	s_add_nc_u64 s[24:25], s[18:19], 2
	s_cmp_lg_u32 s16, 0
	s_cselect_b32 s16, s24, s22
	s_cselect_b32 s20, s25, s23
	s_cmp_lg_u32 s14, 0
	s_sub_co_ci_u32 s14, s15, s21
	s_delay_alu instid0(SALU_CYCLE_1)
	s_cmp_ge_u32 s14, s11
	s_cselect_b32 s15, -1, 0
	s_cmp_ge_u32 s13, s10
	s_cselect_b32 s10, -1, 0
	s_cmp_eq_u32 s14, s11
	s_cselect_b32 s10, s10, s15
	s_delay_alu instid0(SALU_CYCLE_1) | instskip(SKIP_3) | instid1(SALU_CYCLE_1)
	s_cmp_lg_u32 s10, 0
	s_cselect_b32 s11, s20, s19
	s_cselect_b32 s10, s16, s18
	s_xor_b64 s[8:9], 0, s[8:9]
	s_xor_b64 s[10:11], s[10:11], s[8:9]
	s_delay_alu instid0(SALU_CYCLE_1)
	s_sub_nc_u64 s[14:15], s[10:11], s[8:9]
	s_cbranch_execnz .LBB14_4
.LBB14_3:
	v_cvt_f32_u32_e32 v1, s6
	s_sub_co_i32 s9, 0, s6
	s_mov_b32 s15, 0
	s_delay_alu instid0(VALU_DEP_1) | instskip(NEXT) | instid1(TRANS32_DEP_1)
	v_rcp_iflag_f32_e32 v1, v1
	v_mul_f32_e32 v1, 0x4f7ffffe, v1
	s_delay_alu instid0(VALU_DEP_1) | instskip(NEXT) | instid1(VALU_DEP_1)
	v_cvt_u32_f32_e32 v1, v1
	v_readfirstlane_b32 s8, v1
	s_mul_i32 s9, s9, s8
	s_delay_alu instid0(SALU_CYCLE_1) | instskip(NEXT) | instid1(SALU_CYCLE_1)
	s_mul_hi_u32 s9, s8, s9
	s_add_co_i32 s8, s8, s9
	s_delay_alu instid0(SALU_CYCLE_1) | instskip(NEXT) | instid1(SALU_CYCLE_1)
	s_mul_hi_u32 s8, s26, s8
	s_mul_i32 s9, s8, s6
	s_add_co_i32 s10, s8, 1
	s_sub_co_i32 s9, s26, s9
	s_delay_alu instid0(SALU_CYCLE_1)
	s_sub_co_i32 s11, s9, s6
	s_cmp_ge_u32 s9, s6
	s_cselect_b32 s8, s10, s8
	s_cselect_b32 s9, s11, s9
	s_add_co_i32 s10, s8, 1
	s_cmp_ge_u32 s9, s6
	s_cselect_b32 s14, s10, s8
.LBB14_4:
	s_delay_alu instid0(SALU_CYCLE_1) | instskip(SKIP_1) | instid1(SALU_CYCLE_1)
	s_or_b64 s[8:9], s[14:15], s[4:5]
	s_mov_b32 s8, 0
	s_cmp_lg_u64 s[8:9], 0
	s_cbranch_scc0 .LBB14_19
; %bb.5:
	s_ashr_i32 s10, s5, 31
	s_mov_b32 s23, s8
	s_mov_b32 s11, s10
	;; [unrolled: 1-line block ×3, first 2 shown]
	s_add_nc_u64 s[16:17], s[4:5], s[10:11]
	s_delay_alu instid0(SALU_CYCLE_1) | instskip(NEXT) | instid1(SALU_CYCLE_1)
	s_xor_b64 s[16:17], s[16:17], s[10:11]
	s_cvt_f32_u32 s9, s16
	s_cvt_f32_u32 s13, s17
	s_sub_nc_u64 s[20:21], 0, s[16:17]
	s_wait_alu 0xfffe
	s_delay_alu instid0(SALU_CYCLE_1) | instskip(NEXT) | instid1(SALU_CYCLE_3)
	s_fmamk_f32 s9, s13, 0x4f800000, s9
	v_s_rcp_f32 s9, s9
	s_delay_alu instid0(TRANS32_DEP_1) | instskip(SKIP_1) | instid1(SALU_CYCLE_2)
	s_mul_f32 s9, s9, 0x5f7ffffc
	s_wait_alu 0xfffe
	s_mul_f32 s13, s9, 0x2f800000
	s_wait_alu 0xfffe
	s_delay_alu instid0(SALU_CYCLE_2) | instskip(SKIP_1) | instid1(SALU_CYCLE_2)
	s_trunc_f32 s13, s13
	s_wait_alu 0xfffe
	s_fmamk_f32 s9, s13, 0xcf800000, s9
	s_cvt_u32_f32 s19, s13
	s_wait_alu 0xfffe
	s_delay_alu instid0(SALU_CYCLE_1) | instskip(NEXT) | instid1(SALU_CYCLE_3)
	s_cvt_u32_f32 s18, s9
	s_mul_u64 s[24:25], s[20:21], s[18:19]
	s_delay_alu instid0(SALU_CYCLE_1)
	s_mul_hi_u32 s31, s18, s25
	s_mul_i32 s30, s18, s25
	s_mul_hi_u32 s22, s18, s24
	s_mul_i32 s13, s19, s24
	s_add_nc_u64 s[22:23], s[22:23], s[30:31]
	s_mul_hi_u32 s9, s19, s24
	s_mul_hi_u32 s33, s19, s25
	s_wait_alu 0xfffe
	s_add_co_u32 s13, s22, s13
	s_add_co_ci_u32 s28, s23, s9
	s_mul_i32 s24, s19, s25
	s_add_co_ci_u32 s25, s33, 0
	s_delay_alu instid0(SALU_CYCLE_1)
	s_add_nc_u64 s[22:23], s[28:29], s[24:25]
	s_mov_b32 s25, s8
	s_add_co_u32 s18, s18, s22
	s_cselect_b32 s9, -1, 0
	s_wait_alu 0xfffe
	s_cmp_lg_u32 s9, 0
	s_add_co_ci_u32 s19, s19, s23
	s_mov_b32 s23, s8
	s_mul_u64 s[20:21], s[20:21], s[18:19]
	s_delay_alu instid0(SALU_CYCLE_1)
	s_mul_hi_u32 s29, s18, s21
	s_mul_i32 s28, s18, s21
	s_mul_hi_u32 s22, s18, s20
	s_mul_i32 s13, s19, s20
	s_add_nc_u64 s[22:23], s[22:23], s[28:29]
	s_mul_hi_u32 s9, s19, s20
	s_mul_hi_u32 s30, s19, s21
	s_wait_alu 0xfffe
	s_add_co_u32 s13, s22, s13
	s_add_co_ci_u32 s24, s23, s9
	s_mul_i32 s20, s19, s21
	s_add_co_ci_u32 s21, s30, 0
	s_mov_b32 s23, s8
	s_add_nc_u64 s[20:21], s[24:25], s[20:21]
	s_delay_alu instid0(SALU_CYCLE_1)
	s_add_co_u32 s9, s18, s20
	s_cselect_b32 s13, -1, 0
	s_wait_alu 0xfffe
	s_cmp_lg_u32 s13, 0
	s_add_co_ci_u32 s13, s19, s21
	s_ashr_i32 s18, s15, 31
	s_delay_alu instid0(SALU_CYCLE_1) | instskip(NEXT) | instid1(SALU_CYCLE_1)
	s_mov_b32 s19, s18
	s_add_nc_u64 s[20:21], s[14:15], s[18:19]
	s_delay_alu instid0(SALU_CYCLE_1)
	s_xor_b64 s[20:21], s[20:21], s[18:19]
	s_wait_alu 0xfffe
	s_mul_hi_u32 s29, s20, s13
	s_mul_i32 s28, s20, s13
	s_mul_hi_u32 s22, s20, s9
	s_mul_hi_u32 s24, s21, s9
	s_mul_i32 s9, s21, s9
	s_add_nc_u64 s[22:23], s[22:23], s[28:29]
	s_mul_hi_u32 s30, s21, s13
	s_wait_alu 0xfffe
	s_add_co_u32 s9, s22, s9
	s_add_co_ci_u32 s24, s23, s24
	s_mul_i32 s28, s21, s13
	s_add_co_ci_u32 s29, s30, 0
	s_delay_alu instid0(SALU_CYCLE_1) | instskip(NEXT) | instid1(SALU_CYCLE_1)
	s_add_nc_u64 s[22:23], s[24:25], s[28:29]
	s_mul_u64 s[24:25], s[16:17], s[22:23]
	s_delay_alu instid0(SALU_CYCLE_1)
	s_sub_co_u32 s9, s20, s24
	s_cselect_b32 s13, -1, 0
	s_sub_co_i32 s20, s21, s25
	s_wait_alu 0xfffe
	s_cmp_lg_u32 s13, 0
	s_sub_co_ci_u32 s20, s20, s17
	s_sub_co_u32 s24, s9, s16
	s_cselect_b32 s28, -1, 0
	s_delay_alu instid0(SALU_CYCLE_1) | instskip(SKIP_2) | instid1(SALU_CYCLE_1)
	s_cmp_lg_u32 s28, 0
	s_add_nc_u64 s[28:29], s[22:23], 1
	s_sub_co_ci_u32 s20, s20, 0
	s_cmp_ge_u32 s20, s17
	s_cselect_b32 s30, -1, 0
	s_cmp_ge_u32 s24, s16
	s_cselect_b32 s24, -1, 0
	s_cmp_eq_u32 s20, s17
	s_cselect_b32 s20, s24, s30
	s_add_nc_u64 s[30:31], s[22:23], 2
	s_cmp_lg_u32 s20, 0
	s_cselect_b32 s20, s30, s28
	s_cselect_b32 s24, s31, s29
	s_cmp_lg_u32 s13, 0
	s_sub_co_ci_u32 s13, s21, s25
	s_wait_alu 0xfffe
	s_cmp_ge_u32 s13, s17
	s_cselect_b32 s21, -1, 0
	s_cmp_ge_u32 s9, s16
	s_cselect_b32 s9, -1, 0
	s_cmp_eq_u32 s13, s17
	s_wait_alu 0xfffe
	s_cselect_b32 s9, s9, s21
	s_wait_alu 0xfffe
	s_cmp_lg_u32 s9, 0
	s_cselect_b32 s17, s24, s23
	s_cselect_b32 s16, s20, s22
	s_xor_b64 s[10:11], s[18:19], s[10:11]
	s_delay_alu instid0(SALU_CYCLE_1) | instskip(NEXT) | instid1(SALU_CYCLE_1)
	s_xor_b64 s[16:17], s[16:17], s[10:11]
	s_sub_nc_u64 s[16:17], s[16:17], s[10:11]
	s_load_b128 s[28:31], s[0:1], 0x1d0
	s_and_not1_b32 vcc_lo, exec_lo, s8
	s_cbranch_vccnz .LBB14_7
.LBB14_6:
	v_cvt_f32_u32_e32 v1, s4
	s_sub_co_i32 s9, 0, s4
	s_mov_b32 s17, 0
	s_delay_alu instid0(VALU_DEP_1) | instskip(NEXT) | instid1(TRANS32_DEP_1)
	v_rcp_iflag_f32_e32 v1, v1
	v_mul_f32_e32 v1, 0x4f7ffffe, v1
	s_delay_alu instid0(VALU_DEP_1) | instskip(NEXT) | instid1(VALU_DEP_1)
	v_cvt_u32_f32_e32 v1, v1
	v_readfirstlane_b32 s8, v1
	s_wait_alu 0xfffe
	s_mul_i32 s9, s9, s8
	s_wait_alu 0xfffe
	s_mul_hi_u32 s9, s8, s9
	s_wait_alu 0xfffe
	s_add_co_i32 s8, s8, s9
	s_wait_alu 0xfffe
	s_mul_hi_u32 s8, s14, s8
	s_wait_alu 0xfffe
	s_mul_i32 s9, s8, s4
	s_add_co_i32 s10, s8, 1
	s_wait_alu 0xfffe
	s_sub_co_i32 s9, s14, s9
	s_wait_alu 0xfffe
	s_sub_co_i32 s11, s9, s4
	s_cmp_ge_u32 s9, s4
	s_cselect_b32 s8, s10, s8
	s_cselect_b32 s9, s11, s9
	s_wait_alu 0xfffe
	s_add_co_i32 s10, s8, 1
	s_cmp_ge_u32 s9, s4
	s_cselect_b32 s16, s10, s8
.LBB14_7:
	s_mov_b32 s8, 0
	s_wait_kmcnt 0x0
	s_mov_b32 s9, s31
	s_wait_alu 0xfffe
	s_cmp_lg_u64 s[8:9], 0
	s_cbranch_scc0 .LBB14_20
; %bb.8:
	s_ashr_i32 s10, s31, 31
	s_mov_b32 s25, s8
	s_mov_b32 s11, s10
	;; [unrolled: 1-line block ×3, first 2 shown]
	s_add_nc_u64 s[18:19], s[30:31], s[10:11]
	s_delay_alu instid0(SALU_CYCLE_1) | instskip(NEXT) | instid1(SALU_CYCLE_1)
	s_xor_b64 s[18:19], s[18:19], s[10:11]
	s_cvt_f32_u32 s9, s18
	s_cvt_f32_u32 s13, s19
	s_sub_nc_u64 s[22:23], 0, s[18:19]
	s_wait_alu 0xfffe
	s_delay_alu instid0(SALU_CYCLE_1) | instskip(SKIP_1) | instid1(SALU_CYCLE_2)
	s_fmamk_f32 s9, s13, 0x4f800000, s9
	s_wait_alu 0xfffe
	v_s_rcp_f32 s9, s9
	s_delay_alu instid0(TRANS32_DEP_1) | instskip(SKIP_1) | instid1(SALU_CYCLE_2)
	s_mul_f32 s9, s9, 0x5f7ffffc
	s_wait_alu 0xfffe
	s_mul_f32 s13, s9, 0x2f800000
	s_wait_alu 0xfffe
	s_delay_alu instid0(SALU_CYCLE_2) | instskip(SKIP_1) | instid1(SALU_CYCLE_2)
	s_trunc_f32 s13, s13
	s_wait_alu 0xfffe
	s_fmamk_f32 s9, s13, 0xcf800000, s9
	s_cvt_u32_f32 s21, s13
	s_wait_alu 0xfffe
	s_delay_alu instid0(SALU_CYCLE_1) | instskip(NEXT) | instid1(SALU_CYCLE_3)
	s_cvt_u32_f32 s20, s9
	s_mul_u64 s[34:35], s[22:23], s[20:21]
	s_delay_alu instid0(SALU_CYCLE_1)
	s_mul_hi_u32 s45, s20, s35
	s_mul_i32 s44, s20, s35
	s_mul_hi_u32 s24, s20, s34
	s_mul_i32 s13, s21, s34
	s_add_nc_u64 s[24:25], s[24:25], s[44:45]
	s_mul_hi_u32 s9, s21, s34
	s_mul_hi_u32 s33, s21, s35
	s_wait_alu 0xfffe
	s_add_co_u32 s13, s24, s13
	s_add_co_ci_u32 s40, s25, s9
	s_mul_i32 s34, s21, s35
	s_add_co_ci_u32 s35, s33, 0
	s_wait_alu 0xfffe
	s_add_nc_u64 s[24:25], s[40:41], s[34:35]
	s_mov_b32 s35, s8
	s_add_co_u32 s20, s20, s24
	s_cselect_b32 s9, -1, 0
	s_wait_alu 0xfffe
	s_cmp_lg_u32 s9, 0
	s_add_co_ci_u32 s21, s21, s25
	s_mov_b32 s25, s8
	s_mul_u64 s[22:23], s[22:23], s[20:21]
	s_delay_alu instid0(SALU_CYCLE_1)
	s_mul_hi_u32 s41, s20, s23
	s_mul_i32 s40, s20, s23
	s_mul_hi_u32 s24, s20, s22
	s_mul_i32 s13, s21, s22
	s_wait_alu 0xfffe
	s_add_nc_u64 s[24:25], s[24:25], s[40:41]
	s_mul_hi_u32 s9, s21, s22
	s_mul_hi_u32 s33, s21, s23
	s_add_co_u32 s13, s24, s13
	s_wait_alu 0xfffe
	s_add_co_ci_u32 s34, s25, s9
	s_mul_i32 s22, s21, s23
	s_add_co_ci_u32 s23, s33, 0
	s_mov_b32 s25, s8
	s_add_nc_u64 s[22:23], s[34:35], s[22:23]
	s_delay_alu instid0(SALU_CYCLE_1)
	s_add_co_u32 s9, s20, s22
	s_cselect_b32 s13, -1, 0
	s_wait_alu 0xfffe
	s_cmp_lg_u32 s13, 0
	s_add_co_ci_u32 s13, s21, s23
	s_xor_b64 s[20:21], s[2:3], 0
	s_mov_b32 s23, s8
	s_wait_alu 0xfffe
	s_mul_hi_u32 s35, s20, s13
	s_mul_i32 s34, s20, s13
	s_mul_hi_u32 s24, s20, s9
	s_mul_hi_u32 s22, s21, s9
	s_mul_i32 s9, s21, s9
	s_add_nc_u64 s[24:25], s[24:25], s[34:35]
	s_mul_hi_u32 s33, s21, s13
	s_wait_alu 0xfffe
	s_add_co_u32 s9, s24, s9
	s_add_co_ci_u32 s22, s25, s22
	s_mul_i32 s34, s21, s13
	s_add_co_ci_u32 s35, s33, 0
	s_delay_alu instid0(SALU_CYCLE_1) | instskip(NEXT) | instid1(SALU_CYCLE_1)
	s_add_nc_u64 s[22:23], s[22:23], s[34:35]
	s_mul_u64 s[24:25], s[18:19], s[22:23]
	s_add_nc_u64 s[34:35], s[22:23], 1
	s_sub_co_u32 s9, s20, s24
	s_cselect_b32 s13, -1, 0
	s_sub_co_i32 s20, s21, s25
	s_wait_alu 0xfffe
	s_cmp_lg_u32 s13, 0
	s_add_nc_u64 s[40:41], s[22:23], 2
	s_sub_co_ci_u32 s20, s20, s19
	s_sub_co_u32 s24, s9, s18
	s_cselect_b32 s33, -1, 0
	s_delay_alu instid0(SALU_CYCLE_1) | instskip(SKIP_1) | instid1(SALU_CYCLE_1)
	s_cmp_lg_u32 s33, 0
	s_sub_co_ci_u32 s20, s20, 0
	s_cmp_ge_u32 s20, s19
	s_cselect_b32 s33, -1, 0
	s_cmp_ge_u32 s24, s18
	s_cselect_b32 s24, -1, 0
	s_cmp_eq_u32 s20, s19
	s_cselect_b32 s20, s24, s33
	s_delay_alu instid0(SALU_CYCLE_1)
	s_cmp_lg_u32 s20, 0
	s_wait_alu 0xfffe
	s_cselect_b32 s20, s40, s34
	s_cselect_b32 s24, s41, s35
	s_cmp_lg_u32 s13, 0
	s_sub_co_ci_u32 s13, s21, s25
	s_wait_alu 0xfffe
	s_cmp_ge_u32 s13, s19
	s_cselect_b32 s21, -1, 0
	s_cmp_ge_u32 s9, s18
	s_cselect_b32 s9, -1, 0
	s_cmp_eq_u32 s13, s19
	s_wait_alu 0xfffe
	s_cselect_b32 s9, s9, s21
	s_wait_alu 0xfffe
	s_cmp_lg_u32 s9, 0
	s_cselect_b32 s19, s24, s23
	s_cselect_b32 s18, s20, s22
	s_xor_b64 s[10:11], 0, s[10:11]
	s_delay_alu instid0(SALU_CYCLE_1) | instskip(NEXT) | instid1(SALU_CYCLE_1)
	s_xor_b64 s[18:19], s[18:19], s[10:11]
	s_sub_nc_u64 s[34:35], s[18:19], s[10:11]
	s_and_not1_b32 vcc_lo, exec_lo, s8
	s_cbranch_vccnz .LBB14_10
.LBB14_9:
	v_cvt_f32_u32_e32 v1, s30
	s_sub_co_i32 s9, 0, s30
	s_mov_b32 s35, 0
	s_delay_alu instid0(VALU_DEP_1) | instskip(NEXT) | instid1(TRANS32_DEP_1)
	v_rcp_iflag_f32_e32 v1, v1
	v_mul_f32_e32 v1, 0x4f7ffffe, v1
	s_delay_alu instid0(VALU_DEP_1) | instskip(NEXT) | instid1(VALU_DEP_1)
	v_cvt_u32_f32_e32 v1, v1
	v_readfirstlane_b32 s8, v1
	s_wait_alu 0xfffe
	s_mul_i32 s9, s9, s8
	s_wait_alu 0xfffe
	s_mul_hi_u32 s9, s8, s9
	s_wait_alu 0xfffe
	s_add_co_i32 s8, s8, s9
	s_wait_alu 0xfffe
	s_mul_hi_u32 s8, s26, s8
	s_wait_alu 0xfffe
	s_mul_i32 s9, s8, s30
	s_add_co_i32 s10, s8, 1
	s_wait_alu 0xfffe
	s_sub_co_i32 s9, s26, s9
	s_wait_alu 0xfffe
	s_sub_co_i32 s11, s9, s30
	s_cmp_ge_u32 s9, s30
	s_cselect_b32 s8, s10, s8
	s_cselect_b32 s9, s11, s9
	s_wait_alu 0xfffe
	s_add_co_i32 s10, s8, 1
	s_cmp_ge_u32 s9, s30
	s_cselect_b32 s34, s10, s8
.LBB14_10:
	s_delay_alu instid0(SALU_CYCLE_1)
	s_or_b64 s[8:9], s[34:35], s[28:29]
	s_mov_b32 s8, 0
	s_wait_alu 0xfffe
	s_cmp_lg_u64 s[8:9], 0
	s_cbranch_scc0 .LBB14_21
; %bb.11:
	s_ashr_i32 s10, s29, 31
	s_mov_b32 s25, s8
	s_mov_b32 s11, s10
	;; [unrolled: 1-line block ×3, first 2 shown]
	s_add_nc_u64 s[18:19], s[28:29], s[10:11]
	s_delay_alu instid0(SALU_CYCLE_1) | instskip(NEXT) | instid1(SALU_CYCLE_1)
	s_xor_b64 s[18:19], s[18:19], s[10:11]
	s_cvt_f32_u32 s9, s18
	s_cvt_f32_u32 s13, s19
	s_sub_nc_u64 s[22:23], 0, s[18:19]
	s_wait_alu 0xfffe
	s_delay_alu instid0(SALU_CYCLE_1) | instskip(SKIP_1) | instid1(SALU_CYCLE_2)
	s_fmamk_f32 s9, s13, 0x4f800000, s9
	s_wait_alu 0xfffe
	v_s_rcp_f32 s9, s9
	s_delay_alu instid0(TRANS32_DEP_1) | instskip(SKIP_1) | instid1(SALU_CYCLE_2)
	s_mul_f32 s9, s9, 0x5f7ffffc
	s_wait_alu 0xfffe
	s_mul_f32 s13, s9, 0x2f800000
	s_wait_alu 0xfffe
	s_delay_alu instid0(SALU_CYCLE_2) | instskip(SKIP_1) | instid1(SALU_CYCLE_2)
	s_trunc_f32 s13, s13
	s_wait_alu 0xfffe
	s_fmamk_f32 s9, s13, 0xcf800000, s9
	s_cvt_u32_f32 s21, s13
	s_wait_alu 0xfffe
	s_delay_alu instid0(SALU_CYCLE_1) | instskip(NEXT) | instid1(SALU_CYCLE_3)
	s_cvt_u32_f32 s20, s9
	s_mul_u64 s[40:41], s[22:23], s[20:21]
	s_wait_alu 0xfffe
	s_mul_hi_u32 s47, s20, s41
	s_mul_i32 s46, s20, s41
	s_mul_hi_u32 s24, s20, s40
	s_mul_i32 s13, s21, s40
	s_add_nc_u64 s[24:25], s[24:25], s[46:47]
	s_mul_hi_u32 s9, s21, s40
	s_mul_hi_u32 s33, s21, s41
	s_wait_alu 0xfffe
	s_add_co_u32 s13, s24, s13
	s_add_co_ci_u32 s44, s25, s9
	s_mul_i32 s40, s21, s41
	s_add_co_ci_u32 s41, s33, 0
	s_wait_alu 0xfffe
	s_add_nc_u64 s[24:25], s[44:45], s[40:41]
	s_mov_b32 s41, s8
	s_add_co_u32 s20, s20, s24
	s_cselect_b32 s9, -1, 0
	s_wait_alu 0xfffe
	s_cmp_lg_u32 s9, 0
	s_add_co_ci_u32 s21, s21, s25
	s_mov_b32 s25, s8
	s_mul_u64 s[22:23], s[22:23], s[20:21]
	s_delay_alu instid0(SALU_CYCLE_1)
	s_mul_hi_u32 s45, s20, s23
	s_mul_i32 s44, s20, s23
	s_mul_hi_u32 s24, s20, s22
	s_mul_i32 s13, s21, s22
	s_add_nc_u64 s[24:25], s[24:25], s[44:45]
	s_mul_hi_u32 s9, s21, s22
	s_mul_hi_u32 s33, s21, s23
	s_wait_alu 0xfffe
	s_add_co_u32 s13, s24, s13
	s_add_co_ci_u32 s40, s25, s9
	s_mul_i32 s22, s21, s23
	s_add_co_ci_u32 s23, s33, 0
	s_mov_b32 s25, s8
	s_wait_alu 0xfffe
	s_add_nc_u64 s[22:23], s[40:41], s[22:23]
	s_delay_alu instid0(SALU_CYCLE_1)
	s_add_co_u32 s9, s20, s22
	s_cselect_b32 s13, -1, 0
	s_wait_alu 0xfffe
	s_cmp_lg_u32 s13, 0
	s_add_co_ci_u32 s13, s21, s23
	s_ashr_i32 s20, s35, 31
	s_delay_alu instid0(SALU_CYCLE_1) | instskip(NEXT) | instid1(SALU_CYCLE_1)
	s_mov_b32 s21, s20
	s_add_nc_u64 s[22:23], s[34:35], s[20:21]
	s_delay_alu instid0(SALU_CYCLE_1)
	s_xor_b64 s[22:23], s[22:23], s[20:21]
	s_wait_alu 0xfffe
	s_mul_hi_u32 s45, s22, s13
	s_mul_i32 s44, s22, s13
	s_mul_hi_u32 s24, s22, s9
	s_mul_hi_u32 s40, s23, s9
	s_mul_i32 s9, s23, s9
	s_add_nc_u64 s[24:25], s[24:25], s[44:45]
	s_mul_hi_u32 s33, s23, s13
	s_wait_alu 0xfffe
	s_add_co_u32 s9, s24, s9
	s_add_co_ci_u32 s40, s25, s40
	s_mul_i32 s44, s23, s13
	s_add_co_ci_u32 s45, s33, 0
	s_wait_alu 0xfffe
	s_add_nc_u64 s[24:25], s[40:41], s[44:45]
	s_delay_alu instid0(SALU_CYCLE_1)
	s_mul_u64 s[40:41], s[18:19], s[24:25]
	s_add_nc_u64 s[44:45], s[24:25], 1
	s_wait_alu 0xfffe
	s_sub_co_u32 s9, s22, s40
	s_cselect_b32 s13, -1, 0
	s_sub_co_i32 s22, s23, s41
	s_wait_alu 0xfffe
	s_cmp_lg_u32 s13, 0
	s_add_nc_u64 s[46:47], s[24:25], 2
	s_sub_co_ci_u32 s22, s22, s19
	s_sub_co_u32 s33, s9, s18
	s_cselect_b32 s40, -1, 0
	s_wait_alu 0xfffe
	s_cmp_lg_u32 s40, 0
	s_sub_co_ci_u32 s22, s22, 0
	s_delay_alu instid0(SALU_CYCLE_1)
	s_cmp_ge_u32 s22, s19
	s_cselect_b32 s40, -1, 0
	s_cmp_ge_u32 s33, s18
	s_cselect_b32 s33, -1, 0
	s_cmp_eq_u32 s22, s19
	s_wait_alu 0xfffe
	s_cselect_b32 s22, s33, s40
	s_delay_alu instid0(SALU_CYCLE_1)
	s_cmp_lg_u32 s22, 0
	s_cselect_b32 s22, s46, s44
	s_cselect_b32 s33, s47, s45
	s_cmp_lg_u32 s13, 0
	s_sub_co_ci_u32 s13, s23, s41
	s_wait_alu 0xfffe
	s_cmp_ge_u32 s13, s19
	s_cselect_b32 s23, -1, 0
	s_cmp_ge_u32 s9, s18
	s_cselect_b32 s9, -1, 0
	s_cmp_eq_u32 s13, s19
	s_wait_alu 0xfffe
	s_cselect_b32 s9, s9, s23
	s_wait_alu 0xfffe
	s_cmp_lg_u32 s9, 0
	s_cselect_b32 s19, s33, s25
	s_cselect_b32 s18, s22, s24
	s_xor_b64 s[10:11], s[20:21], s[10:11]
	s_delay_alu instid0(SALU_CYCLE_1) | instskip(NEXT) | instid1(SALU_CYCLE_1)
	s_xor_b64 s[18:19], s[18:19], s[10:11]
	s_sub_nc_u64 s[40:41], s[18:19], s[10:11]
	s_load_b128 s[44:47], s[0:1], 0x370
	s_and_not1_b32 vcc_lo, exec_lo, s8
	s_cbranch_vccnz .LBB14_13
.LBB14_12:
	v_cvt_f32_u32_e32 v1, s28
	s_sub_co_i32 s9, 0, s28
	s_mov_b32 s41, 0
	s_delay_alu instid0(VALU_DEP_1) | instskip(NEXT) | instid1(TRANS32_DEP_1)
	v_rcp_iflag_f32_e32 v1, v1
	v_mul_f32_e32 v1, 0x4f7ffffe, v1
	s_delay_alu instid0(VALU_DEP_1) | instskip(NEXT) | instid1(VALU_DEP_1)
	v_cvt_u32_f32_e32 v1, v1
	v_readfirstlane_b32 s8, v1
	s_wait_alu 0xfffe
	s_mul_i32 s9, s9, s8
	s_wait_alu 0xfffe
	s_mul_hi_u32 s9, s8, s9
	s_wait_alu 0xfffe
	s_add_co_i32 s8, s8, s9
	s_wait_alu 0xfffe
	s_mul_hi_u32 s8, s34, s8
	s_wait_alu 0xfffe
	s_mul_i32 s9, s8, s28
	s_add_co_i32 s10, s8, 1
	s_wait_alu 0xfffe
	s_sub_co_i32 s9, s34, s9
	s_wait_alu 0xfffe
	s_sub_co_i32 s11, s9, s28
	s_cmp_ge_u32 s9, s28
	s_cselect_b32 s8, s10, s8
	s_cselect_b32 s9, s11, s9
	s_wait_alu 0xfffe
	s_add_co_i32 s10, s8, 1
	s_cmp_ge_u32 s9, s28
	s_cselect_b32 s40, s10, s8
.LBB14_13:
	s_mov_b32 s8, 0
	s_wait_kmcnt 0x0
	s_mov_b32 s9, s47
	s_wait_alu 0xfffe
	s_cmp_lg_u64 s[8:9], 0
	s_cbranch_scc0 .LBB14_22
; %bb.14:
	s_ashr_i32 s10, s47, 31
	s_mov_b32 s25, s8
	s_mov_b32 s11, s10
	;; [unrolled: 1-line block ×3, first 2 shown]
	s_add_nc_u64 s[18:19], s[46:47], s[10:11]
	s_delay_alu instid0(SALU_CYCLE_1) | instskip(NEXT) | instid1(SALU_CYCLE_1)
	s_xor_b64 s[18:19], s[18:19], s[10:11]
	s_cvt_f32_u32 s9, s18
	s_cvt_f32_u32 s13, s19
	s_sub_nc_u64 s[22:23], 0, s[18:19]
	s_wait_alu 0xfffe
	s_delay_alu instid0(SALU_CYCLE_1) | instskip(SKIP_1) | instid1(SALU_CYCLE_2)
	s_fmamk_f32 s9, s13, 0x4f800000, s9
	s_wait_alu 0xfffe
	v_s_rcp_f32 s9, s9
	s_delay_alu instid0(TRANS32_DEP_1) | instskip(SKIP_1) | instid1(SALU_CYCLE_2)
	s_mul_f32 s9, s9, 0x5f7ffffc
	s_wait_alu 0xfffe
	s_mul_f32 s13, s9, 0x2f800000
	s_wait_alu 0xfffe
	s_delay_alu instid0(SALU_CYCLE_2) | instskip(SKIP_1) | instid1(SALU_CYCLE_2)
	s_trunc_f32 s13, s13
	s_wait_alu 0xfffe
	s_fmamk_f32 s9, s13, 0xcf800000, s9
	s_cvt_u32_f32 s21, s13
	s_wait_alu 0xfffe
	s_delay_alu instid0(SALU_CYCLE_1) | instskip(NEXT) | instid1(SALU_CYCLE_3)
	s_cvt_u32_f32 s20, s9
	s_mul_u64 s[48:49], s[22:23], s[20:21]
	s_delay_alu instid0(SALU_CYCLE_1)
	s_mul_hi_u32 s53, s20, s49
	s_mul_i32 s52, s20, s49
	s_mul_hi_u32 s24, s20, s48
	s_mul_i32 s13, s21, s48
	s_add_nc_u64 s[24:25], s[24:25], s[52:53]
	s_mul_hi_u32 s9, s21, s48
	s_mul_hi_u32 s33, s21, s49
	s_wait_alu 0xfffe
	s_add_co_u32 s13, s24, s13
	s_add_co_ci_u32 s50, s25, s9
	s_mul_i32 s48, s21, s49
	s_add_co_ci_u32 s49, s33, 0
	s_delay_alu instid0(SALU_CYCLE_1)
	s_add_nc_u64 s[24:25], s[50:51], s[48:49]
	s_mov_b32 s49, s8
	s_add_co_u32 s20, s20, s24
	s_cselect_b32 s9, -1, 0
	s_wait_alu 0xfffe
	s_cmp_lg_u32 s9, 0
	s_add_co_ci_u32 s21, s21, s25
	s_mov_b32 s25, s8
	s_mul_u64 s[22:23], s[22:23], s[20:21]
	s_delay_alu instid0(SALU_CYCLE_1)
	s_mul_hi_u32 s51, s20, s23
	s_mul_i32 s50, s20, s23
	s_mul_hi_u32 s24, s20, s22
	s_mul_i32 s13, s21, s22
	s_add_nc_u64 s[24:25], s[24:25], s[50:51]
	s_mul_hi_u32 s9, s21, s22
	s_mul_hi_u32 s33, s21, s23
	s_wait_alu 0xfffe
	s_add_co_u32 s13, s24, s13
	s_add_co_ci_u32 s48, s25, s9
	s_mul_i32 s22, s21, s23
	s_add_co_ci_u32 s23, s33, 0
	s_mov_b32 s25, s8
	s_add_nc_u64 s[22:23], s[48:49], s[22:23]
	s_delay_alu instid0(SALU_CYCLE_1)
	s_add_co_u32 s9, s20, s22
	s_cselect_b32 s13, -1, 0
	s_wait_alu 0xfffe
	s_cmp_lg_u32 s13, 0
	s_add_co_ci_u32 s13, s21, s23
	s_xor_b64 s[2:3], s[2:3], 0
	s_mov_b32 s21, s8
	s_wait_alu 0xfffe
	s_mul_hi_u32 s23, s2, s13
	s_mul_i32 s22, s2, s13
	s_mul_hi_u32 s24, s2, s9
	s_mul_hi_u32 s20, s3, s9
	s_mul_i32 s9, s3, s9
	s_add_nc_u64 s[22:23], s[24:25], s[22:23]
	s_mul_hi_u32 s33, s3, s13
	s_wait_alu 0xfffe
	s_add_co_u32 s9, s22, s9
	s_add_co_ci_u32 s20, s23, s20
	s_mul_i32 s24, s3, s13
	s_add_co_ci_u32 s25, s33, 0
	s_delay_alu instid0(SALU_CYCLE_1) | instskip(NEXT) | instid1(SALU_CYCLE_1)
	s_add_nc_u64 s[20:21], s[20:21], s[24:25]
	s_mul_u64 s[22:23], s[18:19], s[20:21]
	s_add_nc_u64 s[48:49], s[20:21], 2
	s_sub_co_u32 s2, s2, s22
	s_cselect_b32 s9, -1, 0
	s_sub_co_i32 s13, s3, s23
	s_wait_alu 0xfffe
	s_cmp_lg_u32 s9, 0
	s_sub_co_ci_u32 s13, s13, s19
	s_sub_co_u32 s22, s2, s18
	s_cselect_b32 s24, -1, 0
	s_delay_alu instid0(SALU_CYCLE_1)
	s_cmp_lg_u32 s24, 0
	s_add_nc_u64 s[24:25], s[20:21], 1
	s_wait_alu 0xfffe
	s_sub_co_ci_u32 s13, s13, 0
	s_wait_alu 0xfffe
	s_cmp_ge_u32 s13, s19
	s_cselect_b32 s33, -1, 0
	s_cmp_ge_u32 s22, s18
	s_cselect_b32 s22, -1, 0
	s_cmp_eq_u32 s13, s19
	s_cselect_b32 s13, s22, s33
	s_wait_alu 0xfffe
	s_cmp_lg_u32 s13, 0
	s_cselect_b32 s13, s48, s24
	s_cselect_b32 s22, s49, s25
	s_cmp_lg_u32 s9, 0
	s_sub_co_ci_u32 s3, s3, s23
	s_delay_alu instid0(SALU_CYCLE_1)
	s_cmp_ge_u32 s3, s19
	s_cselect_b32 s9, -1, 0
	s_cmp_ge_u32 s2, s18
	s_cselect_b32 s2, -1, 0
	s_cmp_eq_u32 s3, s19
	s_wait_alu 0xfffe
	s_cselect_b32 s2, s2, s9
	s_delay_alu instid0(SALU_CYCLE_1) | instskip(SKIP_3) | instid1(SALU_CYCLE_1)
	s_cmp_lg_u32 s2, 0
	s_cselect_b32 s3, s22, s21
	s_cselect_b32 s2, s13, s20
	s_xor_b64 s[10:11], 0, s[10:11]
	s_xor_b64 s[2:3], s[2:3], s[10:11]
	s_delay_alu instid0(SALU_CYCLE_1)
	s_sub_nc_u64 s[56:57], s[2:3], s[10:11]
	s_and_not1_b32 vcc_lo, exec_lo, s8
	s_cbranch_vccnz .LBB14_16
.LBB14_15:
	v_cvt_f32_u32_e32 v1, s46
	s_sub_co_i32 s3, 0, s46
	s_mov_b32 s57, 0
	s_delay_alu instid0(VALU_DEP_1) | instskip(NEXT) | instid1(TRANS32_DEP_1)
	v_rcp_iflag_f32_e32 v1, v1
	v_mul_f32_e32 v1, 0x4f7ffffe, v1
	s_delay_alu instid0(VALU_DEP_1) | instskip(NEXT) | instid1(VALU_DEP_1)
	v_cvt_u32_f32_e32 v1, v1
	v_readfirstlane_b32 s2, v1
	s_mul_i32 s3, s3, s2
	s_delay_alu instid0(SALU_CYCLE_1) | instskip(NEXT) | instid1(SALU_CYCLE_1)
	s_mul_hi_u32 s3, s2, s3
	s_add_co_i32 s2, s2, s3
	s_delay_alu instid0(SALU_CYCLE_1) | instskip(NEXT) | instid1(SALU_CYCLE_1)
	s_mul_hi_u32 s2, s26, s2
	s_mul_i32 s3, s2, s46
	s_add_co_i32 s8, s2, 1
	s_sub_co_i32 s3, s26, s3
	s_delay_alu instid0(SALU_CYCLE_1)
	s_sub_co_i32 s9, s3, s46
	s_cmp_ge_u32 s3, s46
	s_wait_alu 0xfffe
	s_cselect_b32 s2, s8, s2
	s_cselect_b32 s3, s9, s3
	s_add_co_i32 s8, s2, 1
	s_cmp_ge_u32 s3, s46
	s_wait_alu 0xfffe
	s_cselect_b32 s56, s8, s2
.LBB14_16:
	s_clause 0x1
	s_load_b64 s[18:19], s[0:1], 0xe0
	s_load_b128 s[8:11], s[0:1], 0xd0
	s_or_b64 s[2:3], s[56:57], s[44:45]
	s_mov_b32 s2, 0
	s_delay_alu instid0(SALU_CYCLE_1)
	s_cmp_lg_u64 s[2:3], 0
	s_cbranch_scc0 .LBB14_23
; %bb.17:
	s_ashr_i32 s20, s45, 31
	s_mov_b32 s51, s2
	s_mov_b32 s21, s20
	;; [unrolled: 1-line block ×3, first 2 shown]
	s_add_nc_u64 s[22:23], s[44:45], s[20:21]
	s_delay_alu instid0(SALU_CYCLE_1) | instskip(NEXT) | instid1(SALU_CYCLE_1)
	s_xor_b64 s[22:23], s[22:23], s[20:21]
	s_cvt_f32_u32 s3, s22
	s_cvt_f32_u32 s13, s23
	s_sub_nc_u64 s[48:49], 0, s[22:23]
	s_wait_alu 0xfffe
	s_delay_alu instid0(SALU_CYCLE_1) | instskip(NEXT) | instid1(SALU_CYCLE_3)
	s_fmamk_f32 s3, s13, 0x4f800000, s3
	v_s_rcp_f32 s3, s3
	s_delay_alu instid0(TRANS32_DEP_1) | instskip(SKIP_1) | instid1(SALU_CYCLE_2)
	s_mul_f32 s3, s3, 0x5f7ffffc
	s_wait_alu 0xfffe
	s_mul_f32 s13, s3, 0x2f800000
	s_wait_alu 0xfffe
	s_delay_alu instid0(SALU_CYCLE_2) | instskip(SKIP_1) | instid1(SALU_CYCLE_2)
	s_trunc_f32 s13, s13
	s_wait_alu 0xfffe
	s_fmamk_f32 s3, s13, 0xcf800000, s3
	s_cvt_u32_f32 s25, s13
	s_wait_alu 0xfffe
	s_delay_alu instid0(SALU_CYCLE_1) | instskip(NEXT) | instid1(SALU_CYCLE_3)
	s_cvt_u32_f32 s24, s3
	s_mul_u64 s[52:53], s[48:49], s[24:25]
	s_delay_alu instid0(SALU_CYCLE_1)
	s_mul_hi_u32 s59, s24, s53
	s_mul_i32 s58, s24, s53
	s_mul_hi_u32 s50, s24, s52
	s_mul_i32 s13, s25, s52
	s_add_nc_u64 s[50:51], s[50:51], s[58:59]
	s_mul_hi_u32 s3, s25, s52
	s_mul_hi_u32 s33, s25, s53
	s_wait_alu 0xfffe
	s_add_co_u32 s13, s50, s13
	s_add_co_ci_u32 s54, s51, s3
	s_mul_i32 s52, s25, s53
	s_add_co_ci_u32 s53, s33, 0
	s_delay_alu instid0(SALU_CYCLE_1)
	s_add_nc_u64 s[50:51], s[54:55], s[52:53]
	s_mov_b32 s53, s2
	s_add_co_u32 s24, s24, s50
	s_cselect_b32 s3, -1, 0
	s_wait_alu 0xfffe
	s_cmp_lg_u32 s3, 0
	s_add_co_ci_u32 s25, s25, s51
	s_mov_b32 s51, s2
	s_mul_u64 s[48:49], s[48:49], s[24:25]
	s_delay_alu instid0(SALU_CYCLE_1)
	s_mul_hi_u32 s55, s24, s49
	s_mul_i32 s54, s24, s49
	s_mul_hi_u32 s50, s24, s48
	s_mul_i32 s13, s25, s48
	s_add_nc_u64 s[50:51], s[50:51], s[54:55]
	s_mul_hi_u32 s3, s25, s48
	s_mul_hi_u32 s33, s25, s49
	s_wait_alu 0xfffe
	s_add_co_u32 s13, s50, s13
	s_add_co_ci_u32 s52, s51, s3
	s_mul_i32 s48, s25, s49
	s_add_co_ci_u32 s49, s33, 0
	s_mov_b32 s51, s2
	s_add_nc_u64 s[48:49], s[52:53], s[48:49]
	s_delay_alu instid0(SALU_CYCLE_1)
	s_add_co_u32 s3, s24, s48
	s_cselect_b32 s13, -1, 0
	s_wait_alu 0xfffe
	s_cmp_lg_u32 s13, 0
	s_add_co_ci_u32 s13, s25, s49
	s_ashr_i32 s24, s57, 31
	s_delay_alu instid0(SALU_CYCLE_1) | instskip(NEXT) | instid1(SALU_CYCLE_1)
	s_mov_b32 s25, s24
	s_add_nc_u64 s[48:49], s[56:57], s[24:25]
	s_delay_alu instid0(SALU_CYCLE_1)
	s_xor_b64 s[48:49], s[48:49], s[24:25]
	s_wait_alu 0xfffe
	s_mul_hi_u32 s55, s48, s13
	s_mul_i32 s54, s48, s13
	s_mul_hi_u32 s50, s48, s3
	s_mul_hi_u32 s52, s49, s3
	s_mul_i32 s3, s49, s3
	s_add_nc_u64 s[50:51], s[50:51], s[54:55]
	s_mul_hi_u32 s33, s49, s13
	s_wait_alu 0xfffe
	s_add_co_u32 s3, s50, s3
	s_add_co_ci_u32 s52, s51, s52
	s_mul_i32 s54, s49, s13
	s_add_co_ci_u32 s55, s33, 0
	s_delay_alu instid0(SALU_CYCLE_1) | instskip(NEXT) | instid1(SALU_CYCLE_1)
	s_add_nc_u64 s[50:51], s[52:53], s[54:55]
	s_mul_u64 s[52:53], s[22:23], s[50:51]
	s_add_nc_u64 s[54:55], s[50:51], 1
	s_sub_co_u32 s3, s48, s52
	s_cselect_b32 s13, -1, 0
	s_sub_co_i32 s33, s49, s53
	s_wait_alu 0xfffe
	s_cmp_lg_u32 s13, 0
	s_add_nc_u64 s[58:59], s[50:51], 2
	s_sub_co_ci_u32 s33, s33, s23
	s_sub_co_u32 s48, s3, s22
	s_cselect_b32 s52, -1, 0
	s_delay_alu instid0(SALU_CYCLE_1) | instskip(SKIP_1) | instid1(SALU_CYCLE_1)
	s_cmp_lg_u32 s52, 0
	s_sub_co_ci_u32 s33, s33, 0
	s_cmp_ge_u32 s33, s23
	s_cselect_b32 s52, -1, 0
	s_cmp_ge_u32 s48, s22
	s_cselect_b32 s48, -1, 0
	s_cmp_eq_u32 s33, s23
	s_cselect_b32 s33, s48, s52
	s_delay_alu instid0(SALU_CYCLE_1)
	s_cmp_lg_u32 s33, 0
	s_cselect_b32 s33, s58, s54
	s_cselect_b32 s48, s59, s55
	s_cmp_lg_u32 s13, 0
	s_sub_co_ci_u32 s13, s49, s53
	s_wait_alu 0xfffe
	s_cmp_ge_u32 s13, s23
	s_cselect_b32 s49, -1, 0
	s_cmp_ge_u32 s3, s22
	s_cselect_b32 s3, -1, 0
	s_cmp_eq_u32 s13, s23
	s_wait_alu 0xfffe
	s_cselect_b32 s3, s3, s49
	s_wait_alu 0xfffe
	s_cmp_lg_u32 s3, 0
	s_cselect_b32 s23, s48, s51
	s_cselect_b32 s22, s33, s50
	s_xor_b64 s[20:21], s[24:25], s[20:21]
	s_delay_alu instid0(SALU_CYCLE_1) | instskip(NEXT) | instid1(SALU_CYCLE_1)
	s_xor_b64 s[22:23], s[22:23], s[20:21]
	s_sub_nc_u64 s[62:63], s[22:23], s[20:21]
	s_branch .LBB14_24
.LBB14_18:
                                        ; implicit-def: $sgpr14_sgpr15
	s_branch .LBB14_3
.LBB14_19:
                                        ; implicit-def: $sgpr16_sgpr17
	s_load_b128 s[28:31], s[0:1], 0x1d0
	s_branch .LBB14_6
.LBB14_20:
                                        ; implicit-def: $sgpr34_sgpr35
	s_branch .LBB14_9
.LBB14_21:
                                        ; implicit-def: $sgpr40_sgpr41
	s_load_b128 s[44:47], s[0:1], 0x370
	s_branch .LBB14_12
.LBB14_22:
                                        ; implicit-def: $sgpr56_sgpr57
	s_branch .LBB14_15
.LBB14_23:
	s_mov_b32 s2, -1
                                        ; implicit-def: $sgpr62_sgpr63
.LBB14_24:
	s_load_b64 s[20:21], s[0:1], 0x440
                                        ; implicit-def: $vgpr61 : SGPR spill to VGPR lane
	s_and_not1_b32 vcc_lo, exec_lo, s2
	s_wait_kmcnt 0x0
	v_writelane_b32 v61, s20, 0
	v_writelane_b32 v61, s21, 1
	s_load_b128 s[20:23], s[0:1], 0x430
	s_wait_kmcnt 0x0
	v_writelane_b32 v61, s20, 2
	v_writelane_b32 v61, s21, 3
	;; [unrolled: 1-line block ×4, first 2 shown]
	s_load_b64 s[20:21], s[0:1], 0x2a0
	s_wait_kmcnt 0x0
	v_writelane_b32 v61, s20, 6
	v_writelane_b32 v61, s21, 7
	s_load_b128 s[20:23], s[0:1], 0x290
	s_wait_kmcnt 0x0
	v_writelane_b32 v61, s20, 8
	v_writelane_b32 v61, s21, 9
	v_writelane_b32 v61, s22, 10
	v_writelane_b32 v61, s23, 11
	s_cbranch_vccnz .LBB14_26
; %bb.25:
	v_cvt_f32_u32_e32 v1, s44
	s_sub_co_i32 s3, 0, s44
	s_mov_b32 s63, 0
	s_delay_alu instid0(VALU_DEP_1) | instskip(NEXT) | instid1(TRANS32_DEP_1)
	v_rcp_iflag_f32_e32 v1, v1
	v_mul_f32_e32 v1, 0x4f7ffffe, v1
	s_delay_alu instid0(VALU_DEP_1) | instskip(NEXT) | instid1(VALU_DEP_1)
	v_cvt_u32_f32_e32 v1, v1
	v_readfirstlane_b32 s2, v1
	s_wait_alu 0xfffe
	s_mul_i32 s3, s3, s2
	s_wait_alu 0xfffe
	s_mul_hi_u32 s3, s2, s3
	s_wait_alu 0xfffe
	s_add_co_i32 s2, s2, s3
	s_wait_alu 0xfffe
	s_mul_hi_u32 s2, s56, s2
	s_wait_alu 0xfffe
	s_mul_i32 s3, s2, s44
	s_add_co_i32 s13, s2, 1
	s_wait_alu 0xfffe
	s_sub_co_i32 s3, s56, s3
	s_wait_alu 0xfffe
	s_sub_co_i32 s20, s3, s44
	s_cmp_ge_u32 s3, s44
	s_cselect_b32 s2, s13, s2
	s_wait_alu 0xfffe
	s_cselect_b32 s3, s20, s3
	s_add_co_i32 s13, s2, 1
	s_wait_alu 0xfffe
	s_cmp_ge_u32 s3, s44
	s_cselect_b32 s62, s13, s2
.LBB14_26:
	s_load_b64 s[22:23], s[0:1], 0x0
	v_cmp_eq_u32_e64 s2, 0, v0
	s_add_nc_u64 s[20:21], s[0:1], 0x500
	s_mov_b32 s71, 0
	s_and_saveexec_b32 s3, s2
	s_cbranch_execz .LBB14_28
; %bb.27:
	v_dual_mov_b32 v1, 0 :: v_dual_mov_b32 v4, s37
	s_delay_alu instid0(VALU_DEP_1)
	v_dual_mov_b32 v3, s36 :: v_dual_mov_b32 v2, v1
	ds_store_b32 v1, v1 offset:5136
	ds_store_b128 v1, v[1:4] offset:5120
.LBB14_28:
	s_wait_alu 0xfffe
	s_or_b32 exec_lo, exec_lo, s3
	s_clause 0x1
	s_load_b64 s[24:25], s[0:1], 0x360
	s_load_b64 s[0:1], s[0:1], 0x1c0
	v_mad_co_u64_u32 v[4:5], null, s42, v0, 0
	s_mul_u64 s[4:5], s[16:17], s[4:5]
	v_mbcnt_lo_u32_b32 v34, -1, 0
	s_wait_alu 0xfffe
	s_sub_nc_u64 s[4:5], s[14:15], s[4:5]
	v_cmp_gt_u32_e32 vcc_lo, 32, v0
	s_wait_alu 0xfffe
	s_mul_u64 s[10:11], s[4:5], s[10:11]
	v_dual_mov_b32 v3, 0 :: v_dual_lshlrev_b32 v16, 2, v0
	v_mov_b32_e32 v1, v5
	s_wait_dscnt 0x0
	s_barrier_signal -1
	s_barrier_wait -1
	global_inv scope:SCOPE_SE
	v_mad_co_u64_u32 v[6:7], null, s43, v0, v[1:2]
	v_add_nc_u32_e32 v2, 2, v0
	v_lshlrev_b64_e64 v[7:8], v34, -1
	s_wait_kmcnt 0x0
	v_writelane_b32 v61, s24, 12
	s_load_b32 s13, s[20:21], 0xc
	v_or_b32_e32 v9, 3, v16
	v_or_b32_e32 v11, 2, v16
	v_mad_co_u64_u32 v[25:26], null, s42, v16, s[42:43]
	v_writelane_b32 v61, s25, 13
	v_not_b32_e32 v35, v7
	v_not_b32_e32 v7, v0
	v_mad_co_u64_u32 v[21:22], null, s42, v9, 0
	v_writelane_b32 v61, s0, 14
	v_mov_b32_e32 v5, v6
	v_mad_co_u64_u32 v[23:24], null, s42, v11, 0
	v_mov_b32_e32 v17, v3
	v_writelane_b32 v61, s1, 15
	s_mul_u64 s[0:1], s[14:15], s[6:7]
	s_mul_u64 s[6:7], s[16:17], s[8:9]
	s_wait_alu 0xfffe
	s_sub_nc_u64 s[0:1], s[26:27], s[0:1]
	s_add_nc_u64 s[4:5], s[22:23], s[6:7]
	s_wait_alu 0xfffe
	s_mul_u64 s[8:9], s[0:1], s[18:19]
	v_cmp_gt_i32_e64 s0, 4, v34
	s_add_nc_u64 s[4:5], s[4:5], s[10:11]
	s_wait_kmcnt 0x0
	s_and_b32 s68, s13, 0xffff
	s_wait_alu 0xfffe
	s_add_nc_u64 s[74:75], s[4:5], s[8:9]
	s_bfe_u32 s5, s13, 0xb0005
	s_and_b32 s33, vcc_lo, s0
	v_add_co_u32 v14, vcc_lo, s74, v4
	s_delay_alu instid0(VALU_DEP_1)
	v_add_co_ci_u32_e64 v15, null, s75, v6, vcc_lo
	v_cmp_gt_i64_e32 vcc_lo, s[36:37], v[2:3]
	s_cmp_gt_u32 s68, 31
	s_movk_i32 s4, 0x3e0
	s_cselect_b32 s101, -1, 0
	s_cmp_lt_u32 ttmp9, s12
	s_wait_alu 0xfffe
	v_and_or_b32 v36, v0, s4, 0xc00
	s_wait_alu 0xfffd
	v_cndmask_b32_e64 v2, v2, s36, vcc_lo
	v_cndmask_b32_e64 v8, 0, s37, vcc_lo
	s_cselect_b32 s70, 12, 18
	s_add_nc_u64 s[6:7], s[6:7], s[8:9]
	s_bfe_u32 s65, s68, 0x30005
	v_add_co_u32 v7, vcc_lo, v2, v7
	v_mov_b32_e32 v1, v3
	s_wait_alu 0xfffd
	v_add_co_ci_u32_e64 v8, null, -1, v8, vcc_lo
	s_delay_alu instid0(VALU_DEP_3)
	v_and_b32_e32 v18, -4, v7
	s_wait_alu 0xfffe
	s_add_nc_u64 s[6:7], s[6:7], s[10:11]
	v_mul_lo_u32 v42, 0, s42
	v_cmp_lt_u64_e64 s4, 3, v[7:8]
	s_wait_alu 0xfffe
	s_add_nc_u64 s[80:81], s[22:23], s[6:7]
	v_add_co_u32 v20, vcc_lo, v18, v0
	s_wait_alu 0xfffd
	v_add_co_ci_u32_e64 v2, null, 0, v8, vcc_lo
	v_mov_b32_e32 v2, v22
	v_add_co_u32 v12, vcc_lo, s80, v4
	v_mov_b32_e32 v28, s38
	v_cmp_lt_i64_e64 s100, 0xc00, s[36:37]
	s_delay_alu instid0(VALU_DEP_4)
	v_mad_co_u64_u32 v[9:10], null, s43, v9, v[2:3]
	v_mov_b32_e32 v19, v8
	v_cmp_gt_i64_e64 s0, s[36:37], v[0:1]
	s_mov_b32 s69, s71
	v_cmp_eq_u32_e64 s1, 0, v34
	v_cmp_gt_u32_e64 s3, 2, v0
	v_cmp_ne_u64_e64 s12, v[7:8], v[18:19]
	v_dual_mov_b32 v7, v24 :: v_dual_mov_b32 v8, v26
	v_lshlrev_b64_e32 v[26:27], 2, v[4:5]
	v_mov_b32_e32 v24, v9
	v_lshl_or_b32 v41, v34, 3, 0xc00
	s_wait_alu 0xf1ff
	v_writelane_b32 v61, s12, 16
	s_add_co_i32 s12, s5, -1
	v_mad_co_u64_u32 v[10:11], null, s43, v11, v[7:8]
	v_mad_co_u64_u32 v[7:8], null, s43, v16, v[8:9]
	s_wait_alu 0xfffe
	s_and_b32 s12, s12, 0xffff
	s_wait_alu 0xfffd
	v_add_co_ci_u32_e64 v13, null, s81, v6, vcc_lo
	s_wait_alu 0xfffe
	s_cmp_gt_u32 s12, 6
	v_mov_b32_e32 v37, v10
	s_cselect_b32 vcc_hi, -1, 0
	s_and_b32 s66, s5, 0x7f8
	v_add_co_u32 v39, s5, s36, v0
	v_mov_b32_e32 v38, v7
	s_wait_alu 0xf1ff
	v_add_co_ci_u32_e64 v40, null, s37, 0, s5
	v_dual_mov_b32 v29, s39 :: v_dual_mov_b32 v44, 0
	v_dual_mov_b32 v22, 0 :: v_dual_mov_b32 v43, 0
	s_add_nc_u64 s[76:77], s[68:69], -1
	s_cmp_lg_u32 s65, 0
	s_add_nc_u64 s[78:79], s[76:77], s[36:37]
	s_mov_b32 s102, s42
	s_mov_b32 s103, s43
	;; [unrolled: 1-line block ×9, first 2 shown]
	s_cselect_b32 s48, -1, 0
	s_lshl_b64 s[82:83], s[42:43], 2
	s_mul_u64 s[72:73], s[42:43], s[68:69]
	s_add_nc_u64 s[38:39], s[20:21], s[70:71]
	s_mov_b32 s49, 0
	s_mov_b32 s50, 0
                                        ; implicit-def: $sgpr54
                                        ; implicit-def: $sgpr5
                                        ; implicit-def: $sgpr51
                                        ; implicit-def: $sgpr53
                                        ; implicit-def: $sgpr55
                                        ; implicit-def: $sgpr52
	s_branch .LBB14_32
.LBB14_29:                              ;   in Loop: Header=BB14_32 Depth=1
	s_wait_alu 0xfffe
	s_or_b32 exec_lo, exec_lo, s9
	s_delay_alu instid0(SALU_CYCLE_1)
	s_and_b32 s7, s7, exec_lo
	s_and_not1_b32 s22, s22, exec_lo
	s_and_not1_b32 s21, s21, exec_lo
	s_or_not1_b32 s18, s8, exec_lo
.LBB14_30:                              ;   in Loop: Header=BB14_32 Depth=1
	s_wait_alu 0xfffe
	s_or_b32 exec_lo, exec_lo, s6
	s_delay_alu instid0(SALU_CYCLE_1)
	s_and_not1_b32 s6, s52, exec_lo
	s_and_b32 s7, s7, exec_lo
	s_and_not1_b32 s8, s53, exec_lo
	s_wait_alu 0xfffe
	s_or_b32 s52, s6, s7
	s_and_not1_b32 s6, s55, exec_lo
	s_and_b32 s7, s22, exec_lo
	s_and_b32 s9, s21, exec_lo
	s_wait_alu 0xfffe
	s_or_b32 s55, s6, s7
	s_or_b32 s53, s8, s9
	s_or_not1_b32 s18, s18, exec_lo
.LBB14_31:                              ;   in Loop: Header=BB14_32 Depth=1
	s_wait_alu 0xfffe
	s_or_b32 exec_lo, exec_lo, s17
	s_delay_alu instid0(SALU_CYCLE_1)
	s_and_b32 s6, exec_lo, s18
	v_dual_mov_b32 v29, v9 :: v_dual_mov_b32 v28, v8
	s_wait_alu 0xfffe
	s_or_b32 s49, s6, s49
	s_and_not1_b32 s6, s51, exec_lo
	s_and_b32 s7, s52, exec_lo
	s_and_not1_b32 s5, s5, exec_lo
	s_wait_alu 0xfffe
	s_or_b32 s51, s6, s7
	s_and_b32 s6, s55, exec_lo
	s_and_not1_b32 s7, s54, exec_lo
	s_and_b32 s8, s53, exec_lo
	s_wait_alu 0xfffe
	s_or_b32 s5, s5, s6
	s_or_b32 s54, s7, s8
	s_and_not1_b32 exec_lo, exec_lo, s49
	s_cbranch_execz .LBB14_294
.LBB14_32:                              ; =>This Loop Header: Depth=1
                                        ;     Child Loop BB14_37 Depth 2
                                        ;     Child Loop BB14_51 Depth 2
	;; [unrolled: 1-line block ×17, first 2 shown]
	ds_load_b128 v[4:7], v3 offset:5120
	s_wait_dscnt 0x0
	v_readfirstlane_b32 s85, v5
	v_readfirstlane_b32 s84, v4
	s_wait_alu 0xf1ff
	s_delay_alu instid0(VALU_DEP_1)
	v_cmp_gt_i64_e64 s6, s[84:85], 0
	s_and_b32 vcc_lo, exec_lo, s6
	s_wait_alu 0xfffe
	s_cbranch_vccnz .LBB14_64
; %bb.33:                               ;   in Loop: Header=BB14_32 Depth=1
	s_and_b32 vcc_lo, exec_lo, s100
	s_wait_alu 0xfffe
	s_cbranch_vccz .LBB14_45
; %bb.34:                               ;   in Loop: Header=BB14_32 Depth=1
	v_cmp_gt_i64_e32 vcc_lo, 0xc01, v[6:7]
	s_mov_b32 s8, 0
	s_mov_b32 s6, 0
	s_cbranch_vccz .LBB14_46
; %bb.35:                               ;   in Loop: Header=BB14_32 Depth=1
	global_load_u16 v2, v3, s[38:39]
	global_load_u8 v8, v[14:15], off
	s_mov_b32 s9, 0
	s_wait_loadcnt 0x1
	v_and_b32_e32 v2, 0xffff, v2
	s_delay_alu instid0(VALU_DEP_1) | instskip(SKIP_3) | instid1(VALU_DEP_3)
	v_add_co_u32 v4, s6, v0, v2
	s_wait_alu 0xf1fe
	v_add_co_ci_u32_e64 v5, null, 0, 0, s6
	v_mul_lo_u32 v6, v2, s43
	v_mul_lo_u32 v10, s43, v4
	v_mul_hi_u32 v11, v2, s42
	s_delay_alu instid0(VALU_DEP_4) | instskip(SKIP_2) | instid1(VALU_DEP_2)
	v_mul_lo_u32 v7, s42, v5
	v_mad_co_u64_u32 v[4:5], null, s42, v4, s[80:81]
	v_add_nc_u32_e32 v6, v6, v42
	v_add3_u32 v5, v10, v5, v7
	s_delay_alu instid0(VALU_DEP_2)
	v_dual_mov_b32 v7, v1 :: v_dual_add_nc_u32 v10, v6, v11
	v_mul_lo_u32 v9, v2, s42
	v_mov_b32_e32 v6, v0
	s_branch .LBB14_37
.LBB14_36:                              ;   in Loop: Header=BB14_37 Depth=2
	s_wait_alu 0xfffe
	s_or_b32 exec_lo, exec_lo, s7
	v_add_co_u32 v4, vcc_lo, v4, v9
	s_wait_alu 0xfffd
	v_add_co_ci_u32_e64 v5, null, v5, v10, vcc_lo
	v_mov_b32_e32 v8, v11
	s_and_not1_b32 exec_lo, exec_lo, s9
	s_cbranch_execz .LBB14_98
.LBB14_37:                              ;   Parent Loop BB14_32 Depth=1
                                        ; =>  This Inner Loop Header: Depth=2
	s_delay_alu instid0(VALU_DEP_1)
	v_add_co_u32 v6, vcc_lo, v6, v2
	s_wait_alu 0xfffd
	v_add_co_ci_u32_e64 v7, null, 0, v7, vcc_lo
	s_wait_dscnt 0x0
	v_dual_mov_b32 v30, 0 :: v_dual_mov_b32 v11, 0
	s_mov_b32 s7, exec_lo
	s_delay_alu instid0(VALU_DEP_2)
	v_cmp_le_i64_e32 vcc_lo, s[36:37], v[6:7]
	v_cmpx_gt_i64_e64 s[36:37], v[6:7]
	s_cbranch_execz .LBB14_39
; %bb.38:                               ;   in Loop: Header=BB14_37 Depth=2
	global_load_u8 v11, v[4:5], off
.LBB14_39:                              ;   in Loop: Header=BB14_37 Depth=2
	s_wait_alu 0xfffe
	s_or_b32 exec_lo, exec_lo, s7
	s_wait_loadcnt 0x0
	v_bfe_i32 v31, v8, 0, 8
	s_delay_alu instid0(VALU_DEP_1) | instskip(NEXT) | instid1(VALU_DEP_1)
	v_add_nc_u32_e32 v31, 0x80, v31
	v_and_b32_e32 v31, v31, v43
	s_delay_alu instid0(VALU_DEP_1)
	v_cmp_eq_u32_e64 s6, v31, v22
	s_cmp_lg_u32 s6, 0
	s_cselect_b32 s7, -1, 0
	s_wait_alu 0xfffe
	s_and_b32 s7, s1, s7
	s_wait_alu 0xfffe
	s_and_saveexec_b32 s10, s7
	s_cbranch_execz .LBB14_43
; %bb.40:                               ;   in Loop: Header=BB14_37 Depth=2
	s_mov_b32 s13, exec_lo
	s_bcnt1_i32_b32 s11, s6
	s_wait_alu 0xfffe
	v_mbcnt_lo_u32_b32 v30, s13, 0
	s_mov_b32 s12, exec_lo
                                        ; implicit-def: $vgpr31
	s_delay_alu instid0(VALU_DEP_1)
	v_cmpx_eq_u32_e32 0, v30
; %bb.41:                               ;   in Loop: Header=BB14_37 Depth=2
	s_bcnt1_i32_b32 s7, s13
	s_wait_alu 0xfffe
	s_mul_i32 s7, s11, s7
	s_wait_alu 0xfffe
	v_mov_b32_e32 v31, s7
	ds_add_rtn_u32 v31, v3, v31 offset:5136
; %bb.42:                               ;   in Loop: Header=BB14_37 Depth=2
	s_or_b32 exec_lo, exec_lo, s12
	s_wait_dscnt 0x0
	v_readfirstlane_b32 s7, v31
	s_wait_alu 0xf1ff
	s_delay_alu instid0(VALU_DEP_1)
	v_mad_u32_u24 v30, s11, v30, s7
.LBB14_43:                              ;   in Loop: Header=BB14_37 Depth=2
	s_wait_alu 0xfffe
	s_or_b32 exec_lo, exec_lo, s10
	ds_bpermute_b32 v30, v3, v30
	s_and_b32 s7, exec_lo, vcc_lo
	s_wait_alu 0xfffe
	s_or_b32 s9, s7, s9
	s_and_saveexec_b32 s7, s6
	s_cbranch_execz .LBB14_36
; %bb.44:                               ;   in Loop: Header=BB14_37 Depth=2
	v_and_b32_e32 v31, s6, v35
	s_wait_dscnt 0x0
	s_delay_alu instid0(VALU_DEP_1)
	v_bcnt_u32_b32 v30, v31, v30
	ds_store_b8 v30, v8
	s_branch .LBB14_36
.LBB14_45:                              ;   in Loop: Header=BB14_32 Depth=1
	s_mov_b32 s8, -1
	s_mov_b32 s6, 0
.LBB14_46:                              ;   in Loop: Header=BB14_32 Depth=1
	s_wait_alu 0xfffe
	s_and_b32 vcc_lo, exec_lo, s8
	s_wait_alu 0xfffe
	s_cbranch_vccz .LBB14_62
.LBB14_47:                              ;   in Loop: Header=BB14_32 Depth=1
	s_and_saveexec_b32 s12, s0
	s_cbranch_execz .LBB14_59
; %bb.48:                               ;   in Loop: Header=BB14_32 Depth=1
	global_load_u16 v4, v3, s[38:39]
	global_load_u8 v32, v[14:15], off
	v_mov_b32_e32 v8, v0
	s_mov_b32 s13, exec_lo
	s_wait_loadcnt 0x1
	v_and_b32_e32 v2, 0xffff, v4
	v_readfirstlane_b32 s6, v4
	s_delay_alu instid0(VALU_DEP_2) | instskip(NEXT) | instid1(VALU_DEP_1)
	v_add_nc_u32_e32 v2, v2, v0
	v_cmpx_gt_i64_e64 s[36:37], v[2:3]
	s_cbranch_execz .LBB14_58
; %bb.49:                               ;   in Loop: Header=BB14_32 Depth=1
	s_and_b32 s70, s6, 0xffff
	v_dual_mov_b32 v7, v1 :: v_dual_mov_b32 v6, v0
	s_wait_alu 0xfffe
	s_cmp_eq_u32 s70, 1
	v_dual_mov_b32 v5, v3 :: v_dual_mov_b32 v4, v2
	s_cselect_b32 s6, -1, 0
                                        ; implicit-def: $vgpr8_vgpr9
	s_wait_alu 0xfffe
	s_and_b32 s7, s4, s6
	s_mov_b32 s6, -1
	s_wait_alu 0xfffe
	s_and_saveexec_b32 s8, s7
	s_cbranch_execz .LBB14_53
; %bb.50:                               ;   in Loop: Header=BB14_32 Depth=1
	v_add_co_u32 v8, s6, v2, 3
	s_wait_alu 0xf1ff
	v_add_co_ci_u32_e64 v9, null, 0, 0, s6
	v_add_co_u32 v6, s6, v2, 2
	s_wait_alu 0xf1ff
	v_add_co_ci_u32_e64 v7, null, 0, 0, s6
	v_add_co_u32 v4, s6, v2, 1
	s_wait_alu 0xf1ff
	v_add_co_ci_u32_e64 v5, null, 0, 0, s6
	v_mov_b32_e32 v11, v9
	v_dual_mov_b32 v31, v19 :: v_dual_mov_b32 v10, v8
	s_wait_loadcnt 0x0
	v_dual_mov_b32 v30, v18 :: v_dual_lshlrev_b32 v45, 24, v32
	v_mov_b32_e32 v9, v7
	v_dual_mov_b32 v33, v0 :: v_dual_mov_b32 v8, v6
	v_mov_b32_e32 v7, v5
	v_mov_b32_e32 v6, v4
	;; [unrolled: 1-line block ×4, first 2 shown]
	s_mov_b32 s9, 0
.LBB14_51:                              ;   Parent Loop BB14_32 Depth=1
                                        ; =>  This Inner Loop Header: Depth=2
	v_mul_lo_u32 v55, v7, s104
	v_mul_lo_u32 v56, v6, s58
	v_mad_co_u64_u32 v[48:49], null, v6, s104, 0
	v_mul_lo_u32 v32, v9, s59
	v_mul_lo_u32 v54, v8, s60
	v_mad_co_u64_u32 v[46:47], null, v8, s59, 0
	;; [unrolled: 3-line block ×3, first 2 shown]
	v_mad_co_u64_u32 v[52:53], null, v10, s61, s[74:75]
	v_mul_lo_u32 v59, v10, s64
	v_mul_lo_u32 v60, v11, s61
	v_add3_u32 v55, v49, v56, v55
	v_add3_u32 v32, v47, v54, v32
	;; [unrolled: 1-line block ×3, first 2 shown]
	v_add_co_u32 v54, s7, s74, v48
	v_add_co_u32 v49, s6, s74, v46
	v_add3_u32 v53, v60, v53, v59
	v_add_co_u32 v47, vcc_lo, s74, v50
	s_wait_alu 0xf1ff
	v_add_co_ci_u32_e64 v55, null, s75, v55, s7
	v_add_co_ci_u32_e64 v50, null, s75, v32, s6
	s_wait_alu 0xfffd
	v_add_co_ci_u32_e64 v48, null, s75, v51, vcc_lo
	s_clause 0x3
	global_load_u8 v32, v[52:53], off
	global_load_u8 v46, v[54:55], off
	;; [unrolled: 1-line block ×4, first 2 shown]
	v_add_co_u32 v10, vcc_lo, v10, 4
	s_wait_alu 0xfffd
	v_add_co_ci_u32_e64 v11, null, 0, v11, vcc_lo
	v_add_co_u32 v8, vcc_lo, v8, 4
	s_wait_alu 0xfffd
	v_add_co_ci_u32_e64 v9, null, 0, v9, vcc_lo
	;; [unrolled: 3-line block ×3, first 2 shown]
	v_add_co_u32 v30, vcc_lo, v30, -4
	s_wait_alu 0xfffd
	v_add_co_ci_u32_e64 v31, null, -1, v31, vcc_lo
	v_add_co_u32 v4, vcc_lo, v4, 4
	s_wait_alu 0xfffd
	v_add_co_ci_u32_e64 v5, null, 0, v5, vcc_lo
	s_delay_alu instid0(VALU_DEP_3)
	v_cmp_eq_u64_e64 s6, 0, v[30:31]
	s_wait_alu 0xfffe
	s_or_b32 s9, s6, s9
	s_wait_loadcnt 0x0
	v_perm_b32 v48, v47, v46, 0xc0c0004
	v_perm_b32 v46, v46, v49, 0xc0c0004
	;; [unrolled: 1-line block ×4, first 2 shown]
	s_delay_alu instid0(VALU_DEP_2) | instskip(NEXT) | instid1(VALU_DEP_2)
	v_lshl_or_b32 v45, v46, 16, v45
	v_lshl_or_b32 v46, v47, 16, v48
	ds_store_b32 v33, v45
	v_add_nc_u32_e32 v33, 4, v33
	v_mov_b32_e32 v45, v46
	s_wait_alu 0xfffe
	s_and_not1_b32 exec_lo, exec_lo, s9
	s_cbranch_execnz .LBB14_51
; %bb.52:                               ;   in Loop: Header=BB14_32 Depth=1
	s_or_b32 exec_lo, exec_lo, s9
	v_add_co_u32 v4, vcc_lo, v2, v18
	v_readlane_b32 s6, v61, 16
	s_wait_alu 0xfffd
	v_add_co_ci_u32_e64 v5, null, 0, v19, vcc_lo
	s_delay_alu instid0(VALU_DEP_3)
	v_add_co_u32 v8, vcc_lo, v4, -1
	v_dual_mov_b32 v6, v20 :: v_dual_mov_b32 v7, v21
	s_or_not1_b32 s6, s6, exec_lo
	s_wait_alu 0xfffd
	v_add_co_ci_u32_e64 v2, null, -1, v5, vcc_lo
.LBB14_53:                              ;   in Loop: Header=BB14_32 Depth=1
	s_wait_alu 0xfffe
	s_or_b32 exec_lo, exec_lo, s8
	s_and_saveexec_b32 s7, s6
	s_cbranch_execz .LBB14_57
; %bb.54:                               ;   in Loop: Header=BB14_32 Depth=1
	v_mad_co_u64_u32 v[9:10], null, s42, v4, s[80:81]
	v_mul_lo_u32 v2, s42, v5
	v_mul_lo_u32 v7, s43, v4
	s_sub_nc_u64 s[8:9], 0, s[70:71]
	s_mul_u64 s[10:11], s[42:43], s[70:71]
	s_mov_b32 s14, 0
	s_delay_alu instid0(VALU_DEP_1)
	v_add3_u32 v10, v7, v10, v2
.LBB14_55:                              ;   Parent Loop BB14_32 Depth=1
                                        ; =>  This Inner Loop Header: Depth=2
	global_load_u8 v2, v[9:10], off
	v_dual_mov_b32 v8, v5 :: v_dual_mov_b32 v7, v4
	s_wait_alu 0xfffe
	v_add_co_u32 v9, vcc_lo, v9, s10
	s_wait_alu 0xfffd
	v_add_co_ci_u32_e64 v10, null, s11, v10, vcc_lo
	v_add_co_u32 v4, s6, v7, s70
	s_wait_alu 0xf1ff
	v_add_co_ci_u32_e64 v5, null, 0, v8, s6
	s_wait_loadcnt 0x1
	ds_store_b8 v6, v32
	v_mov_b32_e32 v6, v7
	v_mov_b32_e32 v7, v8
	v_cmp_le_i64_e32 vcc_lo, s[36:37], v[4:5]
	v_add_co_u32 v8, s6, s8, v4
	s_wait_alu 0xf1ff
	v_add_co_ci_u32_e64 v7, null, s9, v5, s6
	s_or_b32 s14, vcc_lo, s14
	s_wait_loadcnt 0x0
	v_mov_b32_e32 v32, v2
	s_wait_alu 0xfffe
	s_and_not1_b32 exec_lo, exec_lo, s14
	s_cbranch_execnz .LBB14_55
; %bb.56:                               ;   in Loop: Header=BB14_32 Depth=1
	s_or_b32 exec_lo, exec_lo, s14
	v_mov_b32_e32 v32, v2
.LBB14_57:                              ;   in Loop: Header=BB14_32 Depth=1
	s_wait_alu 0xfffe
	s_or_b32 exec_lo, exec_lo, s7
.LBB14_58:                              ;   in Loop: Header=BB14_32 Depth=1
	s_wait_alu 0xfffe
	s_or_b32 exec_lo, exec_lo, s13
	s_wait_loadcnt 0x0
	ds_store_b8 v8, v32
.LBB14_59:                              ;   in Loop: Header=BB14_32 Depth=1
	s_wait_alu 0xfffe
	s_or_b32 exec_lo, exec_lo, s12
	s_wait_loadcnt_dscnt 0x0
	s_barrier_signal -1
	s_barrier_wait -1
	global_inv scope:SCOPE_SE
	s_and_saveexec_b32 s6, s2
; %bb.60:                               ;   in Loop: Header=BB14_32 Depth=1
	v_dual_mov_b32 v4, s36 :: v_dual_mov_b32 v5, s37
	ds_store_b64 v3, v[4:5] offset:5120
; %bb.61:                               ;   in Loop: Header=BB14_32 Depth=1
	s_wait_alu 0xfffe
	s_or_b32 exec_lo, exec_lo, s6
	s_mov_b32 s6, -1
	s_wait_loadcnt_dscnt 0x0
	s_barrier_signal -1
	s_barrier_wait -1
.LBB14_62:                              ;   in Loop: Header=BB14_32 Depth=1
	s_wait_alu 0xfffe
	s_and_b32 vcc_lo, exec_lo, s6
	s_wait_alu 0xfffe
	s_cbranch_vccz .LBB14_64
; %bb.63:                               ;   in Loop: Header=BB14_32 Depth=1
	s_wait_loadcnt 0x0
	global_inv scope:SCOPE_SE
	ds_load_b64 v[4:5], v3 offset:5120
	s_wait_dscnt 0x0
	v_readfirstlane_b32 s84, v4
.LBB14_64:                              ;   in Loop: Header=BB14_32 Depth=1
	s_delay_alu instid0(VALU_DEP_1)
	s_cmp_lt_i32 s84, 1
	s_mov_b32 s6, -1
                                        ; implicit-def: $vgpr10_vgpr11
                                        ; implicit-def: $vgpr6_vgpr7
	s_cbranch_scc1 .LBB14_74
; %bb.65:                               ;   in Loop: Header=BB14_32 Depth=1
	s_wait_alu 0xfffe
	s_and_b32 vcc_lo, exec_lo, s6
	s_wait_alu 0xfffe
	s_cbranch_vccnz .LBB14_88
.LBB14_66:                              ;   in Loop: Header=BB14_32 Depth=1
	s_lshl_b32 s6, s50, 7
	s_and_saveexec_b32 s7, s1
	s_cbranch_execz .LBB14_68
.LBB14_67:                              ;   in Loop: Header=BB14_32 Depth=1
	s_wait_alu 0xfffe
	v_lshl_add_u32 v2, s6, 3, v36
	ds_store_b128 v2, v[4:7]
	ds_store_b128 v2, v[8:11] offset:16
.LBB14_68:                              ;   in Loop: Header=BB14_32 Depth=1
	s_wait_alu 0xfffe
	s_or_b32 exec_lo, exec_lo, s7
	s_wait_loadcnt_dscnt 0x0
	s_barrier_signal -1
	s_barrier_wait -1
	global_inv scope:SCOPE_SE
	s_and_saveexec_b32 s7, s33
	s_cbranch_execz .LBB14_105
; %bb.69:                               ;   in Loop: Header=BB14_32 Depth=1
	v_mov_b32_e32 v4, 0
	v_mov_b32_e32 v5, 0
	s_and_not1_b32 vcc_lo, exec_lo, s101
	s_wait_alu 0xfffe
	s_cbranch_vccnz .LBB14_104
; %bb.70:                               ;   in Loop: Header=BB14_32 Depth=1
	v_mov_b32_e32 v4, 0
	v_mov_b32_e32 v5, 0
	s_and_not1_b32 vcc_lo, exec_lo, vcc_hi
	s_wait_alu 0xfffe
	s_cbranch_vccnz .LBB14_101
; %bb.71:                               ;   in Loop: Header=BB14_32 Depth=1
	v_lshl_add_u32 v2, s50, 10, v41
	s_mov_b32 s8, 0
.LBB14_72:                              ;   Parent Loop BB14_32 Depth=1
                                        ; =>  This Inner Loop Header: Depth=2
	ds_load_2addr_b64 v[6:9], v2 offset1:4
	ds_load_2addr_b64 v[30:33], v2 offset0:8 offset1:12
	ds_load_2addr_b64 v[45:48], v2 offset0:16 offset1:20
	s_wait_alu 0xfffe
	s_add_co_i32 s8, s8, 8
	s_wait_alu 0xfffe
	s_cmp_eq_u32 s66, s8
	s_wait_dscnt 0x2
	v_add_co_u32 v4, vcc_lo, v6, v4
	s_wait_alu 0xfffd
	v_add_co_ci_u32_e64 v5, null, v7, v5, vcc_lo
	s_delay_alu instid0(VALU_DEP_2) | instskip(SKIP_1) | instid1(VALU_DEP_2)
	v_add_co_u32 v8, vcc_lo, v8, v4
	s_wait_alu 0xfffd
	v_add_co_ci_u32_e64 v9, null, v9, v5, vcc_lo
	ds_load_2addr_b64 v[4:7], v2 offset0:24 offset1:28
	s_wait_dscnt 0x2
	v_add_co_u32 v8, vcc_lo, v30, v8
	s_wait_alu 0xfffd
	v_add_co_ci_u32_e64 v9, null, v31, v9, vcc_lo
	v_add_nc_u32_e32 v2, 0x100, v2
	s_delay_alu instid0(VALU_DEP_3) | instskip(SKIP_1) | instid1(VALU_DEP_3)
	v_add_co_u32 v8, vcc_lo, v32, v8
	s_wait_alu 0xfffd
	v_add_co_ci_u32_e64 v9, null, v33, v9, vcc_lo
	s_wait_dscnt 0x1
	s_delay_alu instid0(VALU_DEP_2) | instskip(SKIP_1) | instid1(VALU_DEP_2)
	v_add_co_u32 v8, vcc_lo, v45, v8
	s_wait_alu 0xfffd
	v_add_co_ci_u32_e64 v9, null, v46, v9, vcc_lo
	s_delay_alu instid0(VALU_DEP_2) | instskip(SKIP_1) | instid1(VALU_DEP_2)
	v_add_co_u32 v8, vcc_lo, v47, v8
	s_wait_alu 0xfffd
	v_add_co_ci_u32_e64 v9, null, v48, v9, vcc_lo
	s_wait_dscnt 0x0
	s_delay_alu instid0(VALU_DEP_2) | instskip(SKIP_1) | instid1(VALU_DEP_2)
	v_add_co_u32 v4, vcc_lo, v4, v8
	s_wait_alu 0xfffd
	v_add_co_ci_u32_e64 v5, null, v5, v9, vcc_lo
	s_delay_alu instid0(VALU_DEP_2) | instskip(SKIP_1) | instid1(VALU_DEP_2)
	v_add_co_u32 v4, vcc_lo, v6, v4
	s_wait_alu 0xfffd
	v_add_co_ci_u32_e64 v5, null, v7, v5, vcc_lo
	s_cbranch_scc0 .LBB14_72
; %bb.73:                               ;   in Loop: Header=BB14_32 Depth=1
	s_mov_b32 s8, s66
	s_and_not1_b32 vcc_lo, exec_lo, s48
	s_wait_alu 0xfffe
	s_cbranch_vccz .LBB14_102
	s_branch .LBB14_104
.LBB14_74:                              ;   in Loop: Header=BB14_32 Depth=1
	global_load_u16 v2, v3, s[38:39]
	s_mov_b32 s7, s37
	s_wait_loadcnt 0x0
	v_readfirstlane_b32 s6, v2
	s_wait_alu 0xfffe
	s_and_b32 s8, 0xffff, s6
	s_mov_b32 s6, s71
	s_wait_alu 0xfffe
	s_lshl_b32 s86, s8, 2
	s_cmp_lg_u64 s[6:7], 0
	s_cbranch_scc0 .LBB14_97
; %bb.75:                               ;   in Loop: Header=BB14_32 Depth=1
	s_mov_b32 s87, s71
	s_wait_alu 0xfffe
	s_add_nc_u64 s[6:7], s[86:87], 0
	s_wait_alu 0xfffe
	s_xor_b64 s[6:7], s[6:7], 0
	s_wait_alu 0xfffe
	s_cvt_f32_u32 s8, s6
	s_cvt_f32_u32 s9, s7
	s_sub_nc_u64 s[10:11], 0, s[6:7]
	s_wait_alu 0xfffe
	s_delay_alu instid0(SALU_CYCLE_1) | instskip(SKIP_1) | instid1(SALU_CYCLE_2)
	s_fmamk_f32 s8, s9, 0x4f800000, s8
	s_wait_alu 0xfffe
	v_s_rcp_f32 s8, s8
	s_delay_alu instid0(TRANS32_DEP_1) | instskip(SKIP_1) | instid1(SALU_CYCLE_2)
	s_mul_f32 s8, s8, 0x5f7ffffc
	s_wait_alu 0xfffe
	s_mul_f32 s9, s8, 0x2f800000
	s_wait_alu 0xfffe
	s_delay_alu instid0(SALU_CYCLE_2) | instskip(SKIP_1) | instid1(SALU_CYCLE_2)
	s_trunc_f32 s9, s9
	s_wait_alu 0xfffe
	s_fmamk_f32 s8, s9, 0xcf800000, s8
	s_cvt_u32_f32 s9, s9
	s_wait_alu 0xfffe
	s_delay_alu instid0(SALU_CYCLE_1) | instskip(SKIP_1) | instid1(SALU_CYCLE_2)
	s_cvt_u32_f32 s8, s8
	s_wait_alu 0xfffe
	s_mul_u64 s[12:13], s[10:11], s[8:9]
	s_wait_alu 0xfffe
	s_mul_hi_u32 s15, s8, s13
	s_mul_i32 s14, s8, s13
	s_mul_hi_u32 s70, s8, s12
	s_mul_i32 s17, s9, s12
	s_wait_alu 0xfffe
	s_add_nc_u64 s[14:15], s[70:71], s[14:15]
	s_mul_hi_u32 s16, s9, s12
	s_mul_hi_u32 s18, s9, s13
	s_mul_i32 s12, s9, s13
	s_wait_alu 0xfffe
	s_add_co_u32 s13, s14, s17
	s_add_co_ci_u32 s70, s15, s16
	s_add_co_ci_u32 s13, s18, 0
	s_wait_alu 0xfffe
	s_add_nc_u64 s[12:13], s[70:71], s[12:13]
	s_wait_alu 0xfffe
	s_add_co_u32 s8, s8, s12
	s_cselect_b32 s12, -1, 0
	s_wait_alu 0xfffe
	s_cmp_lg_u32 s12, 0
	s_add_co_ci_u32 s9, s9, s13
	s_wait_alu 0xfffe
	s_mul_u64 s[10:11], s[10:11], s[8:9]
	s_wait_alu 0xfffe
	s_mul_hi_u32 s13, s8, s11
	s_mul_i32 s12, s8, s11
	s_mul_hi_u32 s70, s8, s10
	s_mul_i32 s15, s9, s10
	s_wait_alu 0xfffe
	s_add_nc_u64 s[12:13], s[70:71], s[12:13]
	s_mul_hi_u32 s14, s9, s10
	s_mul_hi_u32 s16, s9, s11
	s_mul_i32 s10, s9, s11
	s_wait_alu 0xfffe
	s_add_co_u32 s11, s12, s15
	s_add_co_ci_u32 s70, s13, s14
	s_add_co_ci_u32 s11, s16, 0
	s_wait_alu 0xfffe
	s_add_nc_u64 s[10:11], s[70:71], s[10:11]
	s_wait_alu 0xfffe
	s_add_co_u32 s14, s8, s10
	s_cselect_b32 s8, -1, 0
	s_wait_alu 0xfffe
	s_cmp_lg_u32 s8, 0
	s_add_co_ci_u32 s15, s9, s11
	s_ashr_i32 s8, s37, 31
	s_wait_alu 0xfffe
	s_mov_b32 s9, s8
	s_wait_alu 0xfffe
	s_add_nc_u64 s[10:11], s[36:37], s[8:9]
	s_wait_alu 0xfffe
	s_xor_b64 s[10:11], s[10:11], s[8:9]
	s_wait_alu 0xfffe
	s_mul_hi_u32 s13, s10, s15
	s_mul_i32 s12, s10, s15
	s_mul_hi_u32 s70, s10, s14
	s_mul_i32 s18, s11, s14
	s_wait_alu 0xfffe
	s_add_nc_u64 s[12:13], s[70:71], s[12:13]
	s_mul_hi_u32 s17, s11, s14
	s_mul_hi_u32 s16, s11, s15
	s_wait_alu 0xfffe
	s_add_co_u32 s12, s12, s18
	s_add_co_ci_u32 s70, s13, s17
	s_mul_i32 s14, s11, s15
	s_add_co_ci_u32 s15, s16, 0
	s_wait_alu 0xfffe
	s_add_nc_u64 s[12:13], s[70:71], s[14:15]
	s_wait_alu 0xfffe
	s_mul_u64 s[12:13], s[6:7], s[12:13]
	s_wait_alu 0xfffe
	s_sub_co_u32 s10, s10, s12
	s_cselect_b32 s12, -1, 0
	s_sub_co_i32 s14, s11, s13
	s_wait_alu 0xfffe
	s_cmp_lg_u32 s12, 0
	s_sub_co_ci_u32 s14, s14, s7
	s_sub_co_u32 s15, s10, s6
	s_cselect_b32 s16, -1, 0
	s_wait_alu 0xfffe
	s_cmp_lg_u32 s16, 0
	s_sub_co_ci_u32 s17, s14, 0
	s_wait_alu 0xfffe
	s_cmp_ge_u32 s17, s7
	s_cselect_b32 s18, -1, 0
	s_cmp_ge_u32 s15, s6
	s_cselect_b32 s19, -1, 0
	s_cmp_eq_u32 s17, s7
	s_wait_alu 0xfffe
	s_cselect_b32 s18, s19, s18
	s_cmp_lg_u32 s16, 0
	s_sub_co_ci_u32 s14, s14, s7
	s_sub_co_u32 s16, s15, s6
	s_cselect_b32 s19, -1, 0
	s_wait_alu 0xfffe
	s_cmp_lg_u32 s19, 0
	s_sub_co_ci_u32 s14, s14, 0
	s_cmp_lg_u32 s18, 0
	s_cselect_b32 s15, s16, s15
	s_wait_alu 0xfffe
	s_cselect_b32 s14, s14, s17
	s_cmp_lg_u32 s12, 0
	s_sub_co_ci_u32 s11, s11, s13
	s_wait_alu 0xfffe
	s_cmp_ge_u32 s11, s7
	s_cselect_b32 s12, -1, 0
	s_cmp_ge_u32 s10, s6
	s_cselect_b32 s6, -1, 0
	s_cmp_eq_u32 s11, s7
	s_wait_alu 0xfffe
	s_cselect_b32 s6, s6, s12
	s_wait_alu 0xfffe
	s_cmp_lg_u32 s6, 0
	s_cselect_b32 s7, s14, s11
	s_cselect_b32 s6, s15, s10
	s_wait_alu 0xfffe
	s_xor_b64 s[6:7], s[6:7], s[8:9]
	s_wait_alu 0xfffe
	s_sub_nc_u64 s[88:89], s[6:7], s[8:9]
	s_cbranch_execnz .LBB14_77
.LBB14_76:                              ;   in Loop: Header=BB14_32 Depth=1
	s_wait_alu 0xfffe
	v_cvt_f32_u32_e32 v4, s86
	s_sub_co_i32 s7, 0, s86
	s_delay_alu instid0(VALU_DEP_1) | instskip(NEXT) | instid1(TRANS32_DEP_1)
	v_rcp_iflag_f32_e32 v4, v4
	v_mul_f32_e32 v4, 0x4f7ffffe, v4
	s_delay_alu instid0(VALU_DEP_1) | instskip(NEXT) | instid1(VALU_DEP_1)
	v_cvt_u32_f32_e32 v4, v4
	v_readfirstlane_b32 s6, v4
	s_wait_alu 0xfffe
	s_mul_i32 s7, s7, s6
	s_wait_alu 0xfffe
	s_mul_hi_u32 s7, s6, s7
	s_wait_alu 0xfffe
	s_add_co_i32 s6, s6, s7
	s_wait_alu 0xfffe
	s_mul_hi_u32 s6, s36, s6
	s_wait_alu 0xfffe
	s_mul_i32 s6, s6, s86
	s_wait_alu 0xfffe
	s_sub_co_i32 s6, s36, s6
	s_wait_alu 0xfffe
	s_sub_co_i32 s7, s6, s86
	s_cmp_ge_u32 s6, s86
	s_wait_alu 0xfffe
	s_cselect_b32 s6, s7, s6
	s_wait_alu 0xfffe
	s_sub_co_i32 s7, s6, s86
	s_cmp_ge_u32 s6, s86
	s_wait_alu 0xfffe
	s_cselect_b32 s70, s7, s6
	s_wait_alu 0xfffe
	s_mov_b64 s[88:89], s[70:71]
.LBB14_77:                              ;   in Loop: Header=BB14_32 Depth=1
	v_mov_b32_e32 v4, 0
	v_dual_mov_b32 v8, 0 :: v_dual_mov_b32 v5, 0
	v_dual_mov_b32 v6, 0 :: v_dual_mov_b32 v9, 0
	;; [unrolled: 1-line block ×3, first 2 shown]
	v_dual_mov_b32 v11, 0 :: v_dual_and_b32 v2, 0xffff, v2
	s_wait_alu 0xfffe
	s_sub_nc_u64 s[90:91], s[36:37], s[88:89]
	s_mov_b32 s25, exec_lo
	s_wait_alu 0xfffe
	v_cmpx_gt_i64_e64 s[90:91], v[16:17]
	s_cbranch_execz .LBB14_81
; %bb.78:                               ;   in Loop: Header=BB14_32 Depth=1
	v_mul_lo_u32 v4, v2, s83
	v_mul_lo_u32 v5, 0, s82
	v_mul_hi_u32 v6, v2, s82
	v_mul_lo_u32 v45, v2, s82
	v_dual_mov_b32 v30, s74 :: v_dual_mov_b32 v33, v17
	v_mov_b32_e32 v32, v16
	s_mov_b64 s[92:93], 0
	v_dual_mov_b32 v31, s75 :: v_dual_add_nc_u32 v4, v4, v5
	s_mov_b32 s85, 0
	s_mov_b64 s[94:95], 0
	s_mov_b64 s[96:97], 0
	;; [unrolled: 1-line block ×3, first 2 shown]
	v_add_nc_u32_e32 v46, v4, v6
.LBB14_79:                              ;   Parent Loop BB14_32 Depth=1
                                        ; =>  This Inner Loop Header: Depth=2
	v_add_co_u32 v4, vcc_lo, v30, v26
	s_wait_alu 0xfffd
	v_add_co_ci_u32_e64 v5, null, v31, v27, vcc_lo
	global_load_i8 v6, v[4:5], off
	v_add_co_u32 v4, vcc_lo, v30, v25
	s_wait_alu 0xfffd
	v_add_co_ci_u32_e64 v5, null, v31, v38, vcc_lo
	global_load_i8 v7, v[4:5], off
	;; [unrolled: 4-line block ×4, first 2 shown]
	s_wait_loadcnt 0x3
	v_add_nc_u32_e32 v5, 0x80, v6
	s_delay_alu instid0(VALU_DEP_1) | instskip(SKIP_1) | instid1(VALU_DEP_2)
	v_and_b32_e32 v6, v5, v43
	v_bfe_u32 v5, v5, s67, 2
	v_cmp_eq_u32_e32 vcc_lo, v6, v22
	s_wait_loadcnt 0x2
	v_add_nc_u32_e32 v6, 0x80, v7
	s_delay_alu instid0(VALU_DEP_3)
	v_cmp_eq_u32_e64 s9, 0, v5
	v_cmp_eq_u32_e64 s10, 1, v5
	;; [unrolled: 1-line block ×4, first 2 shown]
	v_and_b32_e32 v7, v6, v43
	v_bfe_u32 v5, v6, s67, 2
	s_and_b32 s9, vcc_lo, s9
	s_and_b32 s10, vcc_lo, s10
	;; [unrolled: 1-line block ×3, first 2 shown]
	v_cmp_eq_u32_e64 s6, v7, v22
	s_wait_loadcnt 0x1
	v_add_nc_u32_e32 v7, 0x80, v8
	v_cmp_eq_u32_e64 s13, 0, v5
	s_wait_loadcnt 0x0
	v_add_nc_u32_e32 v4, 0x80, v4
	v_cmp_eq_u32_e64 s14, 1, v5
	v_cmp_eq_u32_e64 s15, 2, v5
	v_and_b32_e32 v8, v7, v43
	v_cmp_eq_u32_e64 s16, 3, v5
	v_bfe_u32 v5, v7, s67, 2
	s_and_b32 s13, s6, s13
	s_and_b32 s14, s6, s14
	v_cmp_eq_u32_e64 s7, v8, v22
	v_and_b32_e32 v8, v4, v43
	v_bfe_u32 v4, v4, s67, 2
	v_cmp_eq_u32_e64 s17, 0, v5
	v_cmp_eq_u32_e64 s18, 1, v5
	;; [unrolled: 1-line block ×8, first 2 shown]
	s_wait_alu 0xfffe
	v_cndmask_b32_e64 v4, 0, 1, s9
	s_and_b32 s17, s7, s17
	s_and_b32 s21, s8, s21
	s_and_b32 s18, s7, s18
	s_and_b32 s22, s8, s22
	v_cmp_ne_u32_e64 s9, 0, v4
	v_cndmask_b32_e64 v4, 0, 1, s13
	s_and_b32 s15, s6, s15
	s_and_b32 s19, s7, s19
	;; [unrolled: 1-line block ×3, first 2 shown]
	s_and_b32 s12, vcc_lo, s12
	v_cmp_ne_u32_e64 s13, 0, v4
	s_wait_alu 0xfffe
	v_cndmask_b32_e64 v4, 0, 1, s17
	v_cmp_eq_u32_e64 s20, 3, v5
	s_and_b32 s6, s6, s16
	s_and_b32 s8, s8, s24
	v_add_co_u32 v30, s16, v30, v45
	v_cmp_ne_u32_e64 s17, 0, v4
	v_cndmask_b32_e64 v4, 0, 1, s21
	s_and_b32 s7, s7, s20
	s_bcnt1_i32_b32 s9, s9
	s_bcnt1_i32_b32 s13, s13
	v_add_co_ci_u32_e64 v31, null, v31, v46, s16
	v_cmp_ne_u32_e64 s21, 0, v4
	v_cndmask_b32_e64 v4, 0, 1, s10
	s_bcnt1_i32_b32 s16, s17
	s_wait_alu 0xfffe
	s_add_co_i32 s9, s13, s9
	s_bcnt1_i32_b32 s17, s21
	v_cmp_ne_u32_e64 s10, 0, v4
	v_cndmask_b32_e64 v4, 0, 1, s14
	s_wait_alu 0xfffe
	s_add_co_i32 s9, s9, s16
	s_wait_alu 0xfffe
	s_add_co_i32 s70, s9, s17
	s_bcnt1_i32_b32 s10, s10
	v_cmp_ne_u32_e64 s14, 0, v4
	v_cndmask_b32_e64 v4, 0, 1, s18
	s_wait_alu 0xfffe
	s_add_nc_u64 s[98:99], s[98:99], s[70:71]
	s_bcnt1_i32_b32 s14, s14
	s_delay_alu instid0(VALU_DEP_1) | instskip(SKIP_4) | instid1(VALU_DEP_1)
	v_cmp_ne_u32_e64 s18, 0, v4
	v_cndmask_b32_e64 v4, 0, 1, s22
	s_wait_alu 0xfffe
	s_add_co_i32 s10, s14, s10
	s_bcnt1_i32_b32 s18, s18
	v_cmp_ne_u32_e64 s22, 0, v4
	v_cndmask_b32_e64 v4, 0, 1, s11
	s_wait_alu 0xfffe
	s_add_co_i32 s10, s10, s18
	s_bcnt1_i32_b32 s20, s22
	s_delay_alu instid0(VALU_DEP_1)
	v_cmp_ne_u32_e64 s11, 0, v4
	v_cndmask_b32_e64 v4, 0, 1, s15
	s_wait_alu 0xfffe
	s_add_co_i32 s70, s10, s20
	s_wait_alu 0xfffe
	s_add_nc_u64 s[96:97], s[96:97], s[70:71]
	s_bcnt1_i32_b32 s11, s11
	v_cmp_ne_u32_e64 s15, 0, v4
	v_cndmask_b32_e64 v4, 0, 1, s19
	s_wait_alu 0xfffe
	v_dual_mov_b32 v6, s96 :: v_dual_mov_b32 v7, s97
	s_bcnt1_i32_b32 s15, s15
	s_delay_alu instid0(VALU_DEP_2) | instskip(SKIP_4) | instid1(VALU_DEP_1)
	v_cmp_ne_u32_e64 s19, 0, v4
	v_cndmask_b32_e64 v4, 0, 1, s23
	s_wait_alu 0xfffe
	s_add_co_i32 s11, s15, s11
	s_bcnt1_i32_b32 s19, s19
	v_cmp_ne_u32_e64 s23, 0, v4
	v_cndmask_b32_e64 v4, 0, 1, s12
	v_add_co_u32 v32, s12, v32, s86
	s_wait_alu 0xfffe
	s_add_co_i32 s11, s11, s19
	s_bcnt1_i32_b32 s21, s23
	v_cmp_ne_u32_e32 vcc_lo, 0, v4
	v_cndmask_b32_e64 v4, 0, 1, s6
	v_add_co_ci_u32_e64 v33, null, 0, v33, s12
	s_wait_alu 0xfffe
	s_add_co_i32 s70, s11, s21
	s_bcnt1_i32_b32 s22, vcc_lo
	v_cmp_ne_u32_e64 s6, 0, v4
	v_cndmask_b32_e64 v4, 0, 1, s7
	s_wait_alu 0xfffe
	s_add_nc_u64 s[94:95], s[94:95], s[70:71]
	v_cmp_le_i64_e64 s12, s[90:91], v[32:33]
	s_wait_alu 0xfffe
	v_mov_b32_e32 v8, s94
	s_bcnt1_i32_b32 s6, s6
	v_cmp_ne_u32_e64 s7, 0, v4
	v_cndmask_b32_e64 v4, 0, 1, s8
	s_wait_alu 0xfffe
	s_add_co_i32 s6, s6, s22
	v_mov_b32_e32 v9, s95
	s_bcnt1_i32_b32 s7, s7
	v_cmp_ne_u32_e64 s8, 0, v4
	s_wait_alu 0xfffe
	s_add_co_i32 s6, s6, s7
	v_dual_mov_b32 v4, s98 :: v_dual_mov_b32 v5, s99
	s_bcnt1_i32_b32 s8, s8
	s_wait_alu 0xfffe
	s_add_co_i32 s70, s6, s8
	s_or_b32 s85, s12, s85
	s_wait_alu 0xfffe
	s_add_nc_u64 s[92:93], s[92:93], s[70:71]
	s_wait_alu 0xfffe
	v_dual_mov_b32 v10, s92 :: v_dual_mov_b32 v11, s93
	s_and_not1_b32 exec_lo, exec_lo, s85
	s_cbranch_execnz .LBB14_79
; %bb.80:                               ;   in Loop: Header=BB14_32 Depth=1
	s_or_b32 exec_lo, exec_lo, s85
.LBB14_81:                              ;   in Loop: Header=BB14_32 Depth=1
	s_wait_alu 0xfffe
	s_or_b32 exec_lo, exec_lo, s25
	v_add_co_u32 v30, s6, s90, v0
	s_wait_alu 0xf1ff
	v_add_co_ci_u32_e64 v31, null, s91, 0, s6
	s_mov_b32 s10, exec_lo
	v_cmpx_gt_i64_e64 s[36:37], v[30:31]
	s_cbranch_execz .LBB14_87
; %bb.82:                               ;   in Loop: Header=BB14_32 Depth=1
	v_mad_co_u64_u32 v[32:33], null, v30, s42, s[74:75]
	v_mul_lo_u32 v45, v30, s43
	v_mul_lo_u32 v46, v31, s42
	v_mul_hi_u32 v49, v2, s42
	s_mov_b32 s11, 0
	s_delay_alu instid0(VALU_DEP_2)
	v_add3_u32 v33, v46, v33, v45
	v_mul_lo_u32 v45, v2, s43
	global_load_u8 v48, v[32:33], off
	v_add_co_u32 v32, vcc_lo, v39, v2
	s_wait_alu 0xfffd
	v_add_co_ci_u32_e64 v33, null, 0, v40, vcc_lo
	v_add_nc_u32_e32 v50, v45, v42
	s_delay_alu instid0(VALU_DEP_3) | instskip(SKIP_1) | instid1(VALU_DEP_3)
	v_sub_co_u32 v32, vcc_lo, v32, s88
	s_wait_alu 0xfffd
	v_subrev_co_ci_u32_e64 v33, null, s89, v33, vcc_lo
	v_mul_lo_u32 v45, v2, s42
	s_delay_alu instid0(VALU_DEP_3) | instskip(NEXT) | instid1(VALU_DEP_3)
	v_mul_lo_u32 v47, s43, v32
	v_mul_lo_u32 v46, s42, v33
	v_mad_co_u64_u32 v[32:33], null, s42, v32, s[80:81]
	s_delay_alu instid0(VALU_DEP_1)
	v_add3_u32 v33, v47, v33, v46
	v_add_nc_u32_e32 v46, v50, v49
	s_branch .LBB14_84
.LBB14_83:                              ;   in Loop: Header=BB14_84 Depth=2
	s_wait_alu 0xfffe
	s_or_b32 exec_lo, exec_lo, s7
	s_wait_loadcnt 0x0
	v_bfe_i32 v48, v48, 0, 8
	s_and_b32 s8, exec_lo, vcc_lo
	s_wait_alu 0xfffe
	s_or_b32 s11, s8, s11
	s_delay_alu instid0(VALU_DEP_1) | instskip(NEXT) | instid1(VALU_DEP_1)
	v_add_nc_u32_e32 v48, 0x80, v48
	v_and_b32_e32 v49, v48, v43
	v_bfe_u32 v48, v48, s67, 2
	s_delay_alu instid0(VALU_DEP_2) | instskip(NEXT) | instid1(VALU_DEP_2)
	v_cmp_eq_u32_e64 s6, v49, v22
	v_cmp_eq_u32_e64 s7, 0, v48
	v_cmp_eq_u32_e32 vcc_lo, 1, v48
	v_cmp_eq_u32_e64 s8, 2, v48
	s_and_b32 s7, s6, s7
	s_wait_alu 0xfffe
	v_cndmask_b32_e64 v49, 0, 1, s7
	s_and_b32 s7, s6, vcc_lo
	v_cmp_eq_u32_e32 vcc_lo, 3, v48
	s_wait_alu 0xfffe
	v_cndmask_b32_e64 v50, 0, 1, s7
	s_and_b32 s7, s6, s8
	s_wait_alu 0xfffe
	v_cndmask_b32_e64 v51, 0, 1, s7
	v_cmp_ne_u32_e64 s7, 0, v49
	v_cmp_ne_u32_e64 s8, 0, v50
	s_and_b32 s6, s6, vcc_lo
	s_wait_alu 0xfffe
	v_cndmask_b32_e64 v48, 0, 1, s6
	s_bcnt1_i32_b32 s6, s7
	v_cmp_ne_u32_e64 s9, 0, v51
	s_bcnt1_i32_b32 s7, s8
	s_wait_alu 0xfffe
	v_add_co_u32 v4, vcc_lo, v4, s6
	s_wait_alu 0xfffd
	v_add_co_ci_u32_e64 v5, null, 0, v5, vcc_lo
	v_add_co_u32 v6, vcc_lo, v6, s7
	s_wait_alu 0xfffd
	v_add_co_ci_u32_e64 v7, null, 0, v7, vcc_lo
	v_cmp_ne_u32_e32 vcc_lo, 0, v48
	s_bcnt1_i32_b32 s8, s9
	v_mov_b32_e32 v48, v47
	s_wait_alu 0xfffe
	v_add_co_u32 v8, s6, v8, s8
	s_wait_alu 0xf1ff
	v_add_co_ci_u32_e64 v9, null, 0, v9, s6
	s_bcnt1_i32_b32 s6, vcc_lo
	s_wait_alu 0xfffe
	v_add_co_u32 v10, vcc_lo, v10, s6
	s_wait_alu 0xfffd
	v_add_co_ci_u32_e64 v11, null, 0, v11, vcc_lo
	v_add_co_u32 v32, vcc_lo, v32, v45
	s_wait_alu 0xfffd
	v_add_co_ci_u32_e64 v33, null, v33, v46, vcc_lo
	s_and_not1_b32 exec_lo, exec_lo, s11
	s_cbranch_execz .LBB14_86
.LBB14_84:                              ;   Parent Loop BB14_32 Depth=1
                                        ; =>  This Inner Loop Header: Depth=2
	v_add_co_u32 v30, vcc_lo, v30, v2
	s_wait_alu 0xfffd
	v_add_co_ci_u32_e64 v31, null, 0, v31, vcc_lo
	v_mov_b32_e32 v47, 0
	s_mov_b32 s7, exec_lo
	s_delay_alu instid0(VALU_DEP_2)
	v_cmp_le_i64_e32 vcc_lo, s[36:37], v[30:31]
	v_cmpx_gt_i64_e64 s[36:37], v[30:31]
	s_cbranch_execz .LBB14_83
; %bb.85:                               ;   in Loop: Header=BB14_84 Depth=2
	global_load_u8 v47, v[32:33], off
	s_branch .LBB14_83
.LBB14_86:                              ;   in Loop: Header=BB14_32 Depth=1
	s_or_b32 exec_lo, exec_lo, s11
.LBB14_87:                              ;   in Loop: Header=BB14_32 Depth=1
	s_wait_alu 0xfffe
	s_or_b32 exec_lo, exec_lo, s10
	s_branch .LBB14_66
.LBB14_88:                              ;   in Loop: Header=BB14_32 Depth=1
	global_load_u16 v2, v3, s[38:39]
	v_mov_b32_e32 v6, 0
	v_mov_b32_e32 v8, 0
	v_dual_mov_b32 v10, 0 :: v_dual_mov_b32 v9, 0
	v_mov_b32_e32 v11, 0
	s_mov_b32 s96, exec_lo
	v_mov_b32_e32 v7, 0
	s_wait_loadcnt 0x0
	v_readfirstlane_b32 s6, v2
	v_and_b32_e32 v2, 0xffff, v2
	s_and_b32 s85, 0xffff, s6
	s_wait_alu 0xfffe
	s_lshl_b32 s95, s85, 2
	s_wait_alu 0xfffe
	s_cvt_f32_u32 s6, s95
	s_sub_co_i32 s7, 0, s95
	s_wait_alu 0xfffe
	s_delay_alu instid0(SALU_CYCLE_1) | instskip(NEXT) | instid1(TRANS32_DEP_1)
	v_rcp_iflag_f32_e32 v4, s6
	v_readfirstlane_b32 s6, v4
	s_mul_f32 s6, s6, 0x4f7ffffe
	s_wait_alu 0xfffe
	s_delay_alu instid0(SALU_CYCLE_2) | instskip(SKIP_1) | instid1(SALU_CYCLE_2)
	s_cvt_u32_f32 s6, s6
	s_wait_alu 0xfffe
	s_mul_i32 s7, s7, s6
	s_wait_alu 0xfffe
	s_mul_hi_u32 s7, s6, s7
	s_wait_alu 0xfffe
	s_add_co_i32 s6, s6, s7
	s_wait_alu 0xfffe
	s_mul_hi_u32 s6, s84, s6
	s_wait_alu 0xfffe
	s_mul_i32 s7, s6, s95
	s_add_co_i32 s8, s6, 1
	s_wait_alu 0xfffe
	s_sub_co_i32 s7, s84, s7
	s_wait_alu 0xfffe
	s_sub_co_i32 s9, s7, s95
	s_cmp_ge_u32 s7, s95
	s_cselect_b32 s6, s8, s6
	s_wait_alu 0xfffe
	s_cselect_b32 s7, s9, s7
	s_add_co_i32 s8, s6, 1
	s_wait_alu 0xfffe
	s_cmp_ge_u32 s7, s95
	s_cselect_b32 s94, s8, s6
	s_wait_alu 0xfffe
	v_mul_hi_u32 v5, s94, v2
	v_mul_lo_u32 v4, s94, v2
	s_delay_alu instid0(VALU_DEP_1) | instskip(SKIP_2) | instid1(VALU_DEP_3)
	v_lshlrev_b64_e32 v[30:31], 2, v[4:5]
	v_mov_b32_e32 v4, 0
	v_mov_b32_e32 v5, 0
	v_cmpx_gt_u64_e64 v[30:31], v[16:17]
	s_cbranch_execz .LBB14_92
; %bb.89:                               ;   in Loop: Header=BB14_32 Depth=1
	v_mov_b32_e32 v33, v17
	v_dual_mov_b32 v45, v16 :: v_dual_mov_b32 v32, v16
	s_mov_b64 s[86:87], 0
	s_mov_b32 s97, 0
	s_mov_b64 s[88:89], 0
	s_mov_b64 s[90:91], 0
	;; [unrolled: 1-line block ×3, first 2 shown]
.LBB14_90:                              ;   Parent Loop BB14_32 Depth=1
                                        ; =>  This Inner Loop Header: Depth=2
	ds_load_b32 v4, v45
	v_add_co_u32 v32, vcc_lo, v32, s95
	s_wait_alu 0xfffd
	v_add_co_ci_u32_e64 v33, null, 0, v33, vcc_lo
	s_delay_alu instid0(VALU_DEP_1)
	v_cmp_ge_u64_e32 vcc_lo, v[32:33], v[30:31]
	s_wait_dscnt 0x0
	v_bfe_i32 v5, v4, 0, 8
	v_bfe_i32 v6, v4, 8, 8
	;; [unrolled: 1-line block ×3, first 2 shown]
	v_ashrrev_i32_e32 v4, 24, v4
	s_delay_alu instid0(VALU_DEP_4) | instskip(NEXT) | instid1(VALU_DEP_4)
	v_add_nc_u32_e32 v5, 0x80, v5
	v_add_nc_u32_e32 v6, 0x80, v6
	s_delay_alu instid0(VALU_DEP_4) | instskip(NEXT) | instid1(VALU_DEP_4)
	v_add_nc_u32_e32 v7, 0x80, v7
	v_add_nc_u32_e32 v4, 0x80, v4
	s_delay_alu instid0(VALU_DEP_4) | instskip(NEXT) | instid1(VALU_DEP_4)
	v_and_b32_e32 v8, v5, v43
	v_and_b32_e32 v9, v6, v43
	v_bfe_u32 v5, v5, s67, 2
	v_bfe_u32 v6, v6, s67, 2
	s_delay_alu instid0(VALU_DEP_4)
	v_cmp_eq_u32_e64 s6, v8, v22
	v_and_b32_e32 v8, v7, v43
	v_bfe_u32 v7, v7, s67, 2
	v_cmp_eq_u32_e64 s7, v9, v22
	v_and_b32_e32 v9, v4, v43
	v_bfe_u32 v4, v4, s67, 2
	v_cmp_eq_u32_e64 s10, 0, v5
	v_cmp_eq_u32_e64 s11, 0, v6
	;; [unrolled: 1-line block ×9, first 2 shown]
	s_and_b32 s10, s6, s10
	s_and_b32 s11, s7, s11
	v_cmp_eq_u32_e64 s15, 1, v6
	v_cmp_eq_u32_e64 s18, 2, v5
	;; [unrolled: 1-line block ×7, first 2 shown]
	s_and_b32 s12, s8, s12
	s_wait_alu 0xfffe
	v_cndmask_b32_e64 v4, 0, 1, s10
	v_cndmask_b32_e64 v5, 0, 1, s11
	s_and_b32 s13, s9, s13
	v_cmp_eq_u32_e64 s20, 2, v7
	v_cmp_eq_u32_e64 s24, 3, v7
	v_cndmask_b32_e64 v6, 0, 1, s12
	s_and_b32 s14, s6, s14
	s_and_b32 s16, s8, s16
	;; [unrolled: 1-line block ×3, first 2 shown]
	s_wait_alu 0xfffe
	v_cndmask_b32_e64 v7, 0, 1, s13
	s_and_b32 s15, s7, s15
	s_and_b32 s18, s6, s18
	;; [unrolled: 1-line block ×5, first 2 shown]
	v_cndmask_b32_e64 v8, 0, 1, s14
	v_cmp_ne_u32_e64 s6, 0, v4
	v_cndmask_b32_e64 v4, 0, 1, s16
	v_cmp_ne_u32_e64 s7, 0, v5
	v_cndmask_b32_e64 v5, 0, 1, s17
	s_wait_alu 0xfffe
	v_cndmask_b32_e64 v9, 0, 1, s15
	s_and_b32 s20, s8, s20
	s_and_b32 s24, s8, s24
	v_cmp_ne_u32_e64 s8, 0, v6
	v_cndmask_b32_e64 v6, 0, 1, s18
	s_and_b32 s21, s9, s21
	s_and_b32 s25, s9, s25
	v_cmp_ne_u32_e64 s9, 0, v7
	v_cndmask_b32_e64 v7, 0, 1, s19
	v_cmp_ne_u32_e64 s10, 0, v8
	s_wait_alu 0xfffe
	v_cndmask_b32_e64 v8, 0, 1, s20
	v_cmp_ne_u32_e64 s12, 0, v4
	v_cndmask_b32_e64 v4, 0, 1, s22
	v_cmp_ne_u32_e64 s13, 0, v5
	;; [unrolled: 2-line block ×5, first 2 shown]
	v_cndmask_b32_e64 v7, 0, 1, s25
	s_bcnt1_i32_b32 s6, s6
	s_bcnt1_i32_b32 s7, s7
	v_cmp_ne_u32_e64 s16, 0, v8
	v_cmp_ne_u32_e64 s18, 0, v4
	;; [unrolled: 1-line block ×3, first 2 shown]
	s_bcnt1_i32_b32 s8, s8
	s_bcnt1_i32_b32 s10, s10
	;; [unrolled: 1-line block ×3, first 2 shown]
	s_wait_alu 0xfffe
	s_add_co_i32 s6, s7, s6
	v_cmp_ne_u32_e64 s17, 0, v9
	v_cmp_ne_u32_e64 s20, 0, v6
	s_bcnt1_i32_b32 s9, s9
	s_bcnt1_i32_b32 s12, s12
	;; [unrolled: 1-line block ×4, first 2 shown]
	s_add_co_i32 s7, s11, s10
	s_wait_alu 0xfffe
	s_add_co_i32 s6, s6, s8
	v_cmp_ne_u32_e64 s21, 0, v7
	s_bcnt1_i32_b32 s13, s13
	s_bcnt1_i32_b32 s16, s16
	;; [unrolled: 1-line block ×4, first 2 shown]
	s_add_co_i32 s10, s15, s14
	s_add_co_i32 s7, s7, s12
	s_wait_alu 0xfffe
	s_add_co_i32 s70, s6, s9
	s_bcnt1_i32_b32 s17, s17
	s_bcnt1_i32_b32 s20, s20
	s_add_co_i32 s11, s19, s18
	s_add_co_i32 s8, s10, s16
	s_wait_alu 0xfffe
	s_add_nc_u64 s[92:93], s[92:93], s[70:71]
	s_add_co_i32 s70, s7, s13
	s_bcnt1_i32_b32 s21, s21
	s_add_co_i32 s10, s11, s20
	s_wait_alu 0xfffe
	s_add_nc_u64 s[90:91], s[90:91], s[70:71]
	s_add_co_i32 s70, s8, s17
	v_dual_mov_b32 v4, s92 :: v_dual_add_nc_u32 v45, s95, v45
	s_wait_alu 0xfffe
	s_add_nc_u64 s[88:89], s[88:89], s[70:71]
	s_add_co_i32 s70, s10, s21
	v_mov_b32_e32 v6, s90
	s_wait_alu 0xfffe
	s_add_nc_u64 s[86:87], s[86:87], s[70:71]
	v_mov_b32_e32 v8, s88
	s_wait_alu 0xfffe
	v_dual_mov_b32 v10, s86 :: v_dual_mov_b32 v5, s93
	v_mov_b32_e32 v7, s91
	v_mov_b32_e32 v9, s89
	;; [unrolled: 1-line block ×3, first 2 shown]
	s_or_b32 s97, vcc_lo, s97
	s_wait_alu 0xfffe
	s_and_not1_b32 exec_lo, exec_lo, s97
	s_cbranch_execnz .LBB14_90
; %bb.91:                               ;   in Loop: Header=BB14_32 Depth=1
	s_or_b32 exec_lo, exec_lo, s97
.LBB14_92:                              ;   in Loop: Header=BB14_32 Depth=1
	s_delay_alu instid0(SALU_CYCLE_1)
	s_or_b32 exec_lo, exec_lo, s96
	v_add_co_u32 v30, vcc_lo, v30, v0
	s_wait_alu 0xfffd
	v_add_co_ci_u32_e64 v31, null, 0, v31, vcc_lo
	s_and_b32 s70, s84, 0x7fffffff
	s_mov_b32 s11, exec_lo
	s_wait_alu 0xfffe
	v_cmpx_gt_u64_e64 s[70:71], v[30:31]
	s_cbranch_execz .LBB14_96
; %bb.93:                               ;   in Loop: Header=BB14_32 Depth=1
	s_mul_i32 s94, s94, s85
	s_mov_b32 s12, 0
	s_wait_alu 0xfffe
	v_lshl_add_u32 v32, s94, 2, v0
.LBB14_94:                              ;   Parent Loop BB14_32 Depth=1
                                        ; =>  This Inner Loop Header: Depth=2
	ds_load_i8 v33, v32
	v_add_co_u32 v30, vcc_lo, v30, v2
	s_wait_alu 0xfffd
	v_add_co_ci_u32_e64 v31, null, 0, v31, vcc_lo
	v_add_nc_u32_e32 v32, s85, v32
	s_delay_alu instid0(VALU_DEP_2) | instskip(SKIP_2) | instid1(VALU_DEP_1)
	v_cmp_le_u64_e32 vcc_lo, s[70:71], v[30:31]
	s_wait_dscnt 0x0
	v_add_nc_u32_e32 v33, 0x80, v33
	v_and_b32_e32 v45, v33, v43
	v_bfe_u32 v33, v33, s67, 2
	s_delay_alu instid0(VALU_DEP_2) | instskip(NEXT) | instid1(VALU_DEP_2)
	v_cmp_eq_u32_e64 s6, v45, v22
	v_cmp_eq_u32_e64 s7, 0, v33
	;; [unrolled: 1-line block ×5, first 2 shown]
	s_and_b32 s7, s6, s7
	s_wait_alu 0xfffe
	v_cndmask_b32_e64 v33, 0, 1, s7
	s_and_b32 s7, s6, s8
	s_wait_alu 0xfffe
	v_cndmask_b32_e64 v45, 0, 1, s7
	s_and_b32 s7, s6, s9
	s_and_b32 s6, s6, s10
	s_wait_alu 0xfffe
	v_cndmask_b32_e64 v46, 0, 1, s7
	v_cndmask_b32_e64 v47, 0, 1, s6
	v_cmp_ne_u32_e64 s6, 0, v33
	v_cmp_ne_u32_e64 s7, 0, v45
	s_delay_alu instid0(VALU_DEP_4) | instskip(NEXT) | instid1(VALU_DEP_4)
	v_cmp_ne_u32_e64 s8, 0, v46
	v_cmp_ne_u32_e64 s9, 0, v47
	s_bcnt1_i32_b32 s6, s6
	s_bcnt1_i32_b32 s7, s7
	s_wait_alu 0xfffe
	v_add_co_u32 v4, s6, v4, s6
	s_bcnt1_i32_b32 s8, s8
	v_add_co_ci_u32_e64 v5, null, 0, v5, s6
	v_add_co_u32 v6, s6, v6, s7
	s_bcnt1_i32_b32 s9, s9
	v_add_co_ci_u32_e64 v7, null, 0, v7, s6
	s_wait_alu 0xfffe
	v_add_co_u32 v8, s6, v8, s8
	s_wait_alu 0xf1ff
	v_add_co_ci_u32_e64 v9, null, 0, v9, s6
	v_add_co_u32 v10, s6, v10, s9
	s_wait_alu 0xf1ff
	v_add_co_ci_u32_e64 v11, null, 0, v11, s6
	s_or_b32 s12, vcc_lo, s12
	s_wait_alu 0xfffe
	s_and_not1_b32 exec_lo, exec_lo, s12
	s_cbranch_execnz .LBB14_94
; %bb.95:                               ;   in Loop: Header=BB14_32 Depth=1
	s_or_b32 exec_lo, exec_lo, s12
.LBB14_96:                              ;   in Loop: Header=BB14_32 Depth=1
	s_delay_alu instid0(SALU_CYCLE_1)
	s_or_b32 exec_lo, exec_lo, s11
	s_lshl_b32 s6, s50, 7
	s_and_saveexec_b32 s7, s1
	s_cbranch_execnz .LBB14_67
	s_branch .LBB14_68
.LBB14_97:                              ;   in Loop: Header=BB14_32 Depth=1
                                        ; implicit-def: $sgpr88_sgpr89
	s_branch .LBB14_76
.LBB14_98:                              ;   in Loop: Header=BB14_32 Depth=1
	s_or_b32 exec_lo, exec_lo, s9
	s_wait_dscnt 0x0
	s_barrier_signal -1
	s_barrier_wait -1
	global_inv scope:SCOPE_SE
	s_and_saveexec_b32 s6, s2
	s_cbranch_execz .LBB14_100
; %bb.99:                               ;   in Loop: Header=BB14_32 Depth=1
	ds_load_b32 v4, v3 offset:5136
	s_wait_dscnt 0x0
	v_ashrrev_i32_e32 v5, 31, v4
	ds_store_b64 v3, v[4:5] offset:5120
.LBB14_100:                             ;   in Loop: Header=BB14_32 Depth=1
	s_wait_alu 0xfffe
	s_or_b32 exec_lo, exec_lo, s6
	s_wait_loadcnt_dscnt 0x0
	s_barrier_signal -1
	s_mov_b32 s6, -1
	s_barrier_wait -1
	s_and_b32 vcc_lo, exec_lo, s8
	s_wait_alu 0xfffe
	s_cbranch_vccnz .LBB14_47
	s_branch .LBB14_62
.LBB14_101:                             ;   in Loop: Header=BB14_32 Depth=1
	s_mov_b32 s8, 0
	s_and_not1_b32 vcc_lo, exec_lo, s48
	s_wait_alu 0xfffe
	s_cbranch_vccnz .LBB14_104
.LBB14_102:                             ;   in Loop: Header=BB14_32 Depth=1
	s_lshl_b32 s9, s50, 10
	s_lshl_b32 s8, s8, 5
	s_wait_alu 0xfffe
	v_add3_u32 v2, s9, s8, v41
	s_mov_b32 s8, s65
.LBB14_103:                             ;   Parent Loop BB14_32 Depth=1
                                        ; =>  This Inner Loop Header: Depth=2
	ds_load_b64 v[6:7], v2
	v_add_nc_u32_e32 v2, 32, v2
	s_wait_alu 0xfffe
	s_add_co_i32 s8, s8, -1
	s_wait_alu 0xfffe
	s_cmp_lg_u32 s8, 0
	s_wait_dscnt 0x0
	v_add_co_u32 v4, vcc_lo, v6, v4
	s_wait_alu 0xfffd
	v_add_co_ci_u32_e64 v5, null, v7, v5, vcc_lo
	s_cbranch_scc1 .LBB14_103
.LBB14_104:                             ;   in Loop: Header=BB14_32 Depth=1
	v_add_lshl_u32 v2, s6, v34, 3
	ds_store_b64 v2, v[4:5] offset:3072
.LBB14_105:                             ;   in Loop: Header=BB14_32 Depth=1
	s_wait_alu 0xfffe
	s_or_b32 exec_lo, exec_lo, s7
	s_lshl_b32 s6, s6, 3
	s_wait_loadcnt_dscnt 0x0
	s_wait_alu 0xfffe
	v_mov_b32_e32 v2, s6
	s_barrier_signal -1
	s_barrier_wait -1
	global_inv scope:SCOPE_SE
	v_cmp_eq_u64_e32 vcc_lo, 1, v[28:29]
	ds_load_b128 v[4:7], v2 offset:3072
	ds_load_b128 v[8:11], v2 offset:3088
	s_lshl_b32 s16, 3, s67
	s_mov_b32 s18, -1
	s_wait_alu 0xfffe
	s_not_b32 s20, s16
                                        ; implicit-def: $sgpr22
                                        ; implicit-def: $sgpr21
	s_wait_dscnt 0x1
	v_cmp_eq_u64_e64 s6, 1, v[4:5]
	s_wait_dscnt 0x0
	v_readfirstlane_b32 s10, v8
	v_readfirstlane_b32 s11, v9
	;; [unrolled: 1-line block ×4, first 2 shown]
	s_and_b32 s19, s6, vcc_lo
	s_mov_b32 s6, -1
	s_wait_alu 0xfffe
	s_and_saveexec_b32 s17, s19
	s_cbranch_execz .LBB14_137
; %bb.106:                              ;   in Loop: Header=BB14_32 Depth=1
	ds_load_b64 v[8:9], v3 offset:5120
	s_wait_loadcnt_dscnt 0x0
	s_barrier_signal -1
	s_barrier_wait -1
	global_inv scope:SCOPE_SE
	v_readfirstlane_b32 s12, v8
	v_readfirstlane_b32 s13, v9
	s_and_saveexec_b32 s6, s3
; %bb.107:                              ;   in Loop: Header=BB14_32 Depth=1
	ds_store_b8 v0, v3 offset:3072
; %bb.108:                              ;   in Loop: Header=BB14_32 Depth=1
	s_wait_alu 0xfffe
	s_or_b32 exec_lo, exec_lo, s6
	v_cmp_lt_i64_e64 s6, s[12:13], 1
	v_and_b32_e32 v22, s20, v22
	v_or_b32_e32 v43, s16, v43
	s_mov_b32 s21, -1
	s_mov_b32 s22, 0
	s_mov_b32 s23, 0
	s_and_b32 vcc_lo, exec_lo, s6
	s_mov_b32 s7, -1
	s_wait_loadcnt_dscnt 0x0
	s_barrier_signal -1
	s_barrier_wait -1
	global_inv scope:SCOPE_SE
                                        ; implicit-def: $vgpr44
	s_wait_alu 0xfffe
	s_cbranch_vccz .LBB14_122
; %bb.109:                              ;   in Loop: Header=BB14_32 Depth=1
	s_mov_b32 s6, s71
	s_mov_b32 s7, s79
	s_wait_alu 0xfffe
	s_cmp_lg_u64 s[6:7], 0
	s_cbranch_scc0 .LBB14_163
; %bb.110:                              ;   in Loop: Header=BB14_32 Depth=1
	s_add_nc_u64 s[6:7], s[68:69], 0
	s_wait_alu 0xfffe
	s_xor_b64 s[6:7], s[6:7], 0
	s_wait_alu 0xfffe
	s_cvt_f32_u32 s14, s6
	s_cvt_f32_u32 s15, s7
	s_sub_nc_u64 s[24:25], 0, s[6:7]
	s_wait_alu 0xfffe
	s_delay_alu instid0(SALU_CYCLE_1) | instskip(SKIP_1) | instid1(SALU_CYCLE_2)
	s_fmamk_f32 s14, s15, 0x4f800000, s14
	s_wait_alu 0xfffe
	v_s_rcp_f32 s14, s14
	s_delay_alu instid0(TRANS32_DEP_1) | instskip(SKIP_1) | instid1(SALU_CYCLE_2)
	s_mul_f32 s14, s14, 0x5f7ffffc
	s_wait_alu 0xfffe
	s_mul_f32 s15, s14, 0x2f800000
	s_wait_alu 0xfffe
	s_delay_alu instid0(SALU_CYCLE_2) | instskip(SKIP_1) | instid1(SALU_CYCLE_2)
	s_trunc_f32 s15, s15
	s_wait_alu 0xfffe
	s_fmamk_f32 s14, s15, 0xcf800000, s14
	s_cvt_u32_f32 s15, s15
	s_wait_alu 0xfffe
	s_delay_alu instid0(SALU_CYCLE_1) | instskip(SKIP_1) | instid1(SALU_CYCLE_2)
	s_cvt_u32_f32 s14, s14
	s_wait_alu 0xfffe
	s_mul_u64 s[84:85], s[24:25], s[14:15]
	s_wait_alu 0xfffe
	s_mul_hi_u32 s87, s14, s85
	s_mul_i32 s86, s14, s85
	s_mul_hi_u32 s70, s14, s84
	s_mul_i32 s88, s15, s84
	s_wait_alu 0xfffe
	s_add_nc_u64 s[86:87], s[70:71], s[86:87]
	s_mul_hi_u32 s23, s15, s84
	s_mul_hi_u32 s89, s15, s85
	s_wait_alu 0xfffe
	s_add_co_u32 s70, s86, s88
	s_add_co_ci_u32 s70, s87, s23
	s_mul_i32 s84, s15, s85
	s_add_co_ci_u32 s85, s89, 0
	s_wait_alu 0xfffe
	s_add_nc_u64 s[84:85], s[70:71], s[84:85]
	s_wait_alu 0xfffe
	s_add_co_u32 s14, s14, s84
	s_cselect_b32 s23, -1, 0
	s_wait_alu 0xfffe
	s_cmp_lg_u32 s23, 0
	s_add_co_ci_u32 s15, s15, s85
	s_wait_alu 0xfffe
	s_mul_u64 s[24:25], s[24:25], s[14:15]
	s_wait_alu 0xfffe
	s_mul_hi_u32 s85, s14, s25
	s_mul_i32 s84, s14, s25
	s_mul_hi_u32 s70, s14, s24
	s_mul_i32 s86, s15, s24
	s_wait_alu 0xfffe
	s_add_nc_u64 s[84:85], s[70:71], s[84:85]
	s_mul_hi_u32 s23, s15, s24
	s_mul_hi_u32 s87, s15, s25
	s_mul_i32 s24, s15, s25
	s_wait_alu 0xfffe
	s_add_co_u32 s25, s84, s86
	s_add_co_ci_u32 s70, s85, s23
	s_add_co_ci_u32 s25, s87, 0
	s_wait_alu 0xfffe
	s_add_nc_u64 s[24:25], s[70:71], s[24:25]
	s_wait_alu 0xfffe
	s_add_co_u32 s23, s14, s24
	s_cselect_b32 s14, -1, 0
	s_wait_alu 0xfffe
	s_cmp_lg_u32 s14, 0
	s_add_co_ci_u32 s86, s15, s25
	s_ashr_i32 s14, s79, 31
	s_wait_alu 0xfffe
	s_mov_b32 s15, s14
	s_wait_alu 0xfffe
	s_add_nc_u64 s[24:25], s[78:79], s[14:15]
	s_wait_alu 0xfffe
	s_xor_b64 s[24:25], s[24:25], s[14:15]
	s_wait_alu 0xfffe
	s_mul_hi_u32 s85, s24, s86
	s_mul_i32 s84, s24, s86
	s_mul_hi_u32 s70, s24, s23
	s_mul_hi_u32 s88, s25, s23
	s_mul_i32 s23, s25, s23
	s_wait_alu 0xfffe
	s_add_nc_u64 s[84:85], s[70:71], s[84:85]
	s_mul_hi_u32 s87, s25, s86
	s_wait_alu 0xfffe
	s_add_co_u32 s23, s84, s23
	s_add_co_ci_u32 s70, s85, s88
	s_mul_i32 s86, s25, s86
	s_add_co_ci_u32 s87, s87, 0
	s_wait_alu 0xfffe
	s_add_nc_u64 s[84:85], s[70:71], s[86:87]
	s_wait_alu 0xfffe
	s_mul_u64 s[84:85], s[6:7], s[84:85]
	s_wait_alu 0xfffe
	s_sub_co_u32 s23, s24, s84
	s_cselect_b32 s24, -1, 0
	s_sub_co_i32 s70, s25, s85
	s_wait_alu 0xfffe
	s_cmp_lg_u32 s24, 0
	s_sub_co_ci_u32 s70, s70, s7
	s_sub_co_u32 s84, s23, s6
	s_cselect_b32 s86, -1, 0
	s_wait_alu 0xfffe
	s_cmp_lg_u32 s86, 0
	s_sub_co_ci_u32 s87, s70, 0
	s_wait_alu 0xfffe
	s_cmp_ge_u32 s87, s7
	s_cselect_b32 s88, -1, 0
	s_cmp_ge_u32 s84, s6
	s_cselect_b32 s89, -1, 0
	s_cmp_eq_u32 s87, s7
	s_wait_alu 0xfffe
	s_cselect_b32 s88, s89, s88
	s_cmp_lg_u32 s86, 0
	s_sub_co_ci_u32 s70, s70, s7
	s_sub_co_u32 s86, s84, s6
	s_cselect_b32 s89, -1, 0
	s_wait_alu 0xfffe
	s_cmp_lg_u32 s89, 0
	s_sub_co_ci_u32 s70, s70, 0
	s_cmp_lg_u32 s88, 0
	s_cselect_b32 s84, s86, s84
	s_wait_alu 0xfffe
	s_cselect_b32 s70, s70, s87
	s_cmp_lg_u32 s24, 0
	s_sub_co_ci_u32 s24, s25, s85
	s_wait_alu 0xfffe
	s_cmp_ge_u32 s24, s7
	s_cselect_b32 s25, -1, 0
	s_cmp_ge_u32 s23, s6
	s_cselect_b32 s6, -1, 0
	s_cmp_eq_u32 s24, s7
	s_wait_alu 0xfffe
	s_cselect_b32 s6, s6, s25
	s_wait_alu 0xfffe
	s_cmp_lg_u32 s6, 0
	s_cselect_b32 s7, s70, s24
	s_cselect_b32 s6, s84, s23
	s_wait_alu 0xfffe
	s_xor_b64 s[6:7], s[6:7], s[14:15]
	s_wait_alu 0xfffe
	s_sub_nc_u64 s[6:7], s[6:7], s[14:15]
	s_cbranch_execnz .LBB14_112
.LBB14_111:                             ;   in Loop: Header=BB14_32 Depth=1
	v_cvt_f32_u32_e32 v2, s68
	s_sub_co_i32 s7, 0, s68
	s_delay_alu instid0(VALU_DEP_1) | instskip(NEXT) | instid1(TRANS32_DEP_1)
	v_rcp_iflag_f32_e32 v2, v2
	v_mul_f32_e32 v2, 0x4f7ffffe, v2
	s_delay_alu instid0(VALU_DEP_1) | instskip(NEXT) | instid1(VALU_DEP_1)
	v_cvt_u32_f32_e32 v2, v2
	v_readfirstlane_b32 s6, v2
	s_wait_alu 0xfffe
	s_mul_i32 s7, s7, s6
	s_wait_alu 0xfffe
	s_mul_hi_u32 s7, s6, s7
	s_wait_alu 0xfffe
	s_add_co_i32 s6, s6, s7
	s_wait_alu 0xfffe
	s_mul_hi_u32 s6, s78, s6
	s_wait_alu 0xfffe
	s_mul_i32 s6, s6, s68
	s_wait_alu 0xfffe
	s_sub_co_i32 s6, s78, s6
	s_wait_alu 0xfffe
	s_sub_co_i32 s7, s6, s68
	s_cmp_ge_u32 s6, s68
	s_wait_alu 0xfffe
	s_cselect_b32 s6, s7, s6
	s_wait_alu 0xfffe
	s_sub_co_i32 s7, s6, s68
	s_cmp_ge_u32 s6, s68
	s_wait_alu 0xfffe
	s_cselect_b32 s70, s7, s6
	s_wait_alu 0xfffe
	s_mov_b64 s[6:7], s[70:71]
.LBB14_112:                             ;   in Loop: Header=BB14_32 Depth=1
	s_wait_alu 0xfffe
	s_sub_nc_u64 s[14:15], s[78:79], s[6:7]
	s_mov_b32 s7, 0
	s_mov_b32 s23, 0
	s_mov_b32 s24, exec_lo
                                        ; implicit-def: $vgpr44
	s_wait_alu 0xfffe
	v_cmpx_gt_i64_e64 s[14:15], v[0:1]
	s_cbranch_execz .LBB14_121
; %bb.113:                              ;   in Loop: Header=BB14_32 Depth=1
	v_dual_mov_b32 v8, v12 :: v_dual_mov_b32 v9, v13
	v_dual_mov_b32 v11, v1 :: v_dual_mov_b32 v10, v0
                                        ; implicit-def: $sgpr25
	s_branch .LBB14_116
.LBB14_114:                             ;   in Loop: Header=BB14_116 Depth=2
	s_wait_alu 0xfffe
	s_or_b32 exec_lo, exec_lo, s6
	s_wait_loadcnt_dscnt 0x0
	s_barrier_signal -1
	s_barrier_wait -1
	global_inv scope:SCOPE_SE
	ds_load_u16 v2, v3 offset:3072
	s_mov_b32 s6, -1
	s_mov_b32 s70, -1
	s_wait_loadcnt_dscnt 0x0
	s_barrier_signal -1
	s_barrier_wait -1
	global_inv scope:SCOPE_SE
	v_and_b32_e32 v30, 0xff, v2
	s_delay_alu instid0(VALU_DEP_1)
	v_cmp_ne_u32_e32 vcc_lo, 0, v30
	s_cbranch_vccz .LBB14_119
.LBB14_115:                             ;   in Loop: Header=BB14_116 Depth=2
	s_wait_alu 0xfffe
	s_and_b32 s6, exec_lo, s6
	s_wait_alu 0xfffe
	s_or_b32 s23, s6, s23
	s_and_not1_b32 s6, s25, exec_lo
	s_and_b32 s25, s70, exec_lo
	s_wait_alu 0xfffe
	s_or_b32 s25, s6, s25
	s_and_not1_b32 exec_lo, exec_lo, s23
	s_cbranch_execz .LBB14_120
.LBB14_116:                             ;   Parent Loop BB14_32 Depth=1
                                        ; =>  This Inner Loop Header: Depth=2
	s_mov_b32 s6, exec_lo
	s_delay_alu instid0(VALU_DEP_1)
	v_cmpx_gt_i64_e64 s[36:37], v[10:11]
	s_cbranch_execz .LBB14_114
; %bb.117:                              ;   in Loop: Header=BB14_116 Depth=2
	global_load_u8 v2, v[8:9], off
	s_wait_loadcnt 0x0
	v_bfe_i32 v30, v2, 0, 8
	s_delay_alu instid0(VALU_DEP_1) | instskip(NEXT) | instid1(VALU_DEP_1)
	v_add_nc_u32_e32 v30, 0x80, v30
	v_and_b32_e32 v30, v30, v43
	s_delay_alu instid0(VALU_DEP_1)
	v_cmp_eq_u32_e32 vcc_lo, v30, v22
	s_and_b32 exec_lo, exec_lo, vcc_lo
	s_cbranch_execz .LBB14_114
; %bb.118:                              ;   in Loop: Header=BB14_116 Depth=2
	v_lshlrev_b16 v2, 8, v2
	s_delay_alu instid0(VALU_DEP_1)
	v_or_b32_e32 v2, 1, v2
	ds_store_b16 v3, v2 offset:3072
	s_branch .LBB14_114
.LBB14_119:                             ;   in Loop: Header=BB14_116 Depth=2
	v_add_co_u32 v10, vcc_lo, v10, s68
	s_wait_alu 0xfffd
	v_add_co_ci_u32_e64 v11, null, 0, v11, vcc_lo
	v_add_co_u32 v8, s6, v8, s72
	s_wait_alu 0xf1fe
	v_add_co_ci_u32_e64 v9, null, s73, v9, s6
	s_delay_alu instid0(VALU_DEP_3)
	v_cmp_le_i64_e32 vcc_lo, s[14:15], v[10:11]
	s_mov_b32 s70, 0
	s_or_not1_b32 s6, vcc_lo, exec_lo
	s_branch .LBB14_115
.LBB14_120:                             ;   in Loop: Header=BB14_32 Depth=1
	s_or_b32 exec_lo, exec_lo, s23
	v_and_b32_e32 v2, 0xffff, v2
	s_wait_alu 0xfffe
	s_and_b32 s23, s25, exec_lo
	s_delay_alu instid0(VALU_DEP_1)
	v_lshrrev_b32_e32 v44, 8, v2
.LBB14_121:                             ;   in Loop: Header=BB14_32 Depth=1
	s_or_b32 exec_lo, exec_lo, s24
.LBB14_122:                             ;   in Loop: Header=BB14_32 Depth=1
	s_delay_alu instid0(SALU_CYCLE_1)
	s_and_b32 vcc_lo, exec_lo, s7
	s_wait_alu 0xfffe
	s_cbranch_vccz .LBB14_136
; %bb.123:                              ;   in Loop: Header=BB14_32 Depth=1
	s_add_nc_u64 s[6:7], s[12:13], s[76:77]
	s_mov_b32 s14, s71
	s_wait_alu 0xfffe
	s_mov_b32 s15, s7
	s_wait_alu 0xfffe
	s_cmp_lg_u64 s[14:15], 0
	s_cbranch_scc0 .LBB14_164
; %bb.124:                              ;   in Loop: Header=BB14_32 Depth=1
	s_add_nc_u64 s[14:15], s[68:69], 0
	s_wait_alu 0xfffe
	s_xor_b64 s[14:15], s[14:15], 0
	s_wait_alu 0xfffe
	s_cvt_f32_u32 s21, s14
	s_cvt_f32_u32 s22, s15
	s_sub_nc_u64 s[84:85], 0, s[14:15]
	s_wait_alu 0xfffe
	s_delay_alu instid0(SALU_CYCLE_1) | instskip(SKIP_1) | instid1(SALU_CYCLE_2)
	s_fmamk_f32 s21, s22, 0x4f800000, s21
	s_wait_alu 0xfffe
	v_s_rcp_f32 s21, s21
	s_delay_alu instid0(TRANS32_DEP_1) | instskip(SKIP_1) | instid1(SALU_CYCLE_2)
	s_mul_f32 s21, s21, 0x5f7ffffc
	s_wait_alu 0xfffe
	s_mul_f32 s22, s21, 0x2f800000
	s_wait_alu 0xfffe
	s_delay_alu instid0(SALU_CYCLE_2) | instskip(SKIP_1) | instid1(SALU_CYCLE_2)
	s_trunc_f32 s22, s22
	s_wait_alu 0xfffe
	s_fmamk_f32 s21, s22, 0xcf800000, s21
	s_cvt_u32_f32 s25, s22
	s_wait_alu 0xfffe
	s_delay_alu instid0(SALU_CYCLE_1) | instskip(SKIP_1) | instid1(SALU_CYCLE_2)
	s_cvt_u32_f32 s24, s21
	s_wait_alu 0xfffe
	s_mul_u64 s[86:87], s[84:85], s[24:25]
	s_wait_alu 0xfffe
	s_mul_hi_u32 s89, s24, s87
	s_mul_i32 s88, s24, s87
	s_mul_hi_u32 s70, s24, s86
	s_mul_i32 s22, s25, s86
	s_wait_alu 0xfffe
	s_add_nc_u64 s[88:89], s[70:71], s[88:89]
	s_mul_hi_u32 s21, s25, s86
	s_mul_hi_u32 s90, s25, s87
	s_wait_alu 0xfffe
	s_add_co_u32 s22, s88, s22
	s_add_co_ci_u32 s70, s89, s21
	s_mul_i32 s86, s25, s87
	s_add_co_ci_u32 s87, s90, 0
	s_wait_alu 0xfffe
	s_add_nc_u64 s[86:87], s[70:71], s[86:87]
	s_wait_alu 0xfffe
	s_add_co_u32 s24, s24, s86
	s_cselect_b32 s21, -1, 0
	s_wait_alu 0xfffe
	s_cmp_lg_u32 s21, 0
	s_add_co_ci_u32 s25, s25, s87
	s_wait_alu 0xfffe
	s_mul_u64 s[84:85], s[84:85], s[24:25]
	s_wait_alu 0xfffe
	s_mul_hi_u32 s87, s24, s85
	s_mul_i32 s86, s24, s85
	s_mul_hi_u32 s70, s24, s84
	s_mul_i32 s22, s25, s84
	s_wait_alu 0xfffe
	s_add_nc_u64 s[86:87], s[70:71], s[86:87]
	s_mul_hi_u32 s21, s25, s84
	s_mul_hi_u32 s88, s25, s85
	s_wait_alu 0xfffe
	s_add_co_u32 s22, s86, s22
	s_add_co_ci_u32 s70, s87, s21
	s_mul_i32 s84, s25, s85
	s_add_co_ci_u32 s85, s88, 0
	s_wait_alu 0xfffe
	s_add_nc_u64 s[84:85], s[70:71], s[84:85]
	s_wait_alu 0xfffe
	s_add_co_u32 s21, s24, s84
	s_cselect_b32 s22, -1, 0
	s_wait_alu 0xfffe
	s_cmp_lg_u32 s22, 0
	s_add_co_ci_u32 s22, s25, s85
	s_ashr_i32 s24, s7, 31
	s_wait_alu 0xfffe
	s_mov_b32 s25, s24
	s_wait_alu 0xfffe
	s_add_nc_u64 s[84:85], s[6:7], s[24:25]
	s_wait_alu 0xfffe
	s_xor_b64 s[84:85], s[84:85], s[24:25]
	s_wait_alu 0xfffe
	s_mul_hi_u32 s87, s84, s22
	s_mul_i32 s86, s84, s22
	s_mul_hi_u32 s70, s84, s21
	s_mul_hi_u32 s90, s85, s21
	s_mul_i32 s21, s85, s21
	s_wait_alu 0xfffe
	s_add_nc_u64 s[86:87], s[70:71], s[86:87]
	s_mul_hi_u32 s89, s85, s22
	s_wait_alu 0xfffe
	s_add_co_u32 s21, s86, s21
	s_add_co_ci_u32 s70, s87, s90
	s_mul_i32 s88, s85, s22
	s_add_co_ci_u32 s89, s89, 0
	s_wait_alu 0xfffe
	s_add_nc_u64 s[86:87], s[70:71], s[88:89]
	s_wait_alu 0xfffe
	s_mul_u64 s[86:87], s[14:15], s[86:87]
	s_wait_alu 0xfffe
	s_sub_co_u32 s21, s84, s86
	s_cselect_b32 s22, -1, 0
	s_sub_co_i32 s70, s85, s87
	s_wait_alu 0xfffe
	s_cmp_lg_u32 s22, 0
	s_sub_co_ci_u32 s70, s70, s15
	s_sub_co_u32 s84, s21, s14
	s_cselect_b32 s86, -1, 0
	s_wait_alu 0xfffe
	s_cmp_lg_u32 s86, 0
	s_sub_co_ci_u32 s88, s70, 0
	s_wait_alu 0xfffe
	s_cmp_ge_u32 s88, s15
	s_cselect_b32 s89, -1, 0
	s_cmp_ge_u32 s84, s14
	s_cselect_b32 s90, -1, 0
	s_cmp_eq_u32 s88, s15
	s_wait_alu 0xfffe
	s_cselect_b32 s89, s90, s89
	s_cmp_lg_u32 s86, 0
	s_sub_co_ci_u32 s70, s70, s15
	s_sub_co_u32 s86, s84, s14
	s_cselect_b32 s90, -1, 0
	s_wait_alu 0xfffe
	s_cmp_lg_u32 s90, 0
	s_sub_co_ci_u32 s70, s70, 0
	s_cmp_lg_u32 s89, 0
	s_cselect_b32 s84, s86, s84
	s_wait_alu 0xfffe
	s_cselect_b32 s70, s70, s88
	s_cmp_lg_u32 s22, 0
	s_sub_co_ci_u32 s22, s85, s87
	s_wait_alu 0xfffe
	s_cmp_ge_u32 s22, s15
	s_cselect_b32 s85, -1, 0
	s_cmp_ge_u32 s21, s14
	s_cselect_b32 s14, -1, 0
	s_cmp_eq_u32 s22, s15
	s_wait_alu 0xfffe
	s_cselect_b32 s14, s14, s85
	s_wait_alu 0xfffe
	s_cmp_lg_u32 s14, 0
	s_cselect_b32 s15, s70, s22
	s_cselect_b32 s14, s84, s21
	s_wait_alu 0xfffe
	s_xor_b64 s[14:15], s[14:15], s[24:25]
	s_wait_alu 0xfffe
	s_sub_nc_u64 s[14:15], s[14:15], s[24:25]
	s_cbranch_execnz .LBB14_126
.LBB14_125:                             ;   in Loop: Header=BB14_32 Depth=1
	v_cvt_f32_u32_e32 v2, s68
	s_sub_co_i32 s15, 0, s68
	s_delay_alu instid0(VALU_DEP_1) | instskip(NEXT) | instid1(TRANS32_DEP_1)
	v_rcp_iflag_f32_e32 v2, v2
	v_mul_f32_e32 v2, 0x4f7ffffe, v2
	s_delay_alu instid0(VALU_DEP_1) | instskip(NEXT) | instid1(VALU_DEP_1)
	v_cvt_u32_f32_e32 v2, v2
	v_readfirstlane_b32 s14, v2
	s_wait_alu 0xfffe
	s_mul_i32 s15, s15, s14
	s_wait_alu 0xfffe
	s_mul_hi_u32 s15, s14, s15
	s_wait_alu 0xfffe
	s_add_co_i32 s14, s14, s15
	s_wait_alu 0xfffe
	s_mul_hi_u32 s14, s6, s14
	s_wait_alu 0xfffe
	s_mul_i32 s14, s14, s68
	s_wait_alu 0xfffe
	s_sub_co_i32 s14, s6, s14
	s_wait_alu 0xfffe
	s_sub_co_i32 s15, s14, s68
	s_cmp_ge_u32 s14, s68
	s_wait_alu 0xfffe
	s_cselect_b32 s14, s15, s14
	s_wait_alu 0xfffe
	s_sub_co_i32 s15, s14, s68
	s_cmp_ge_u32 s14, s68
	s_wait_alu 0xfffe
	s_cselect_b32 s70, s15, s14
	s_wait_alu 0xfffe
	s_mov_b64 s[14:15], s[70:71]
.LBB14_126:                             ;   in Loop: Header=BB14_32 Depth=1
	s_wait_alu 0xfffe
	s_sub_nc_u64 s[6:7], s[6:7], s[14:15]
	s_mov_b32 s14, exec_lo
                                        ; implicit-def: $vgpr44
	s_wait_alu 0xfffe
	v_cmpx_gt_i64_e64 s[6:7], v[0:1]
	s_cbranch_execz .LBB14_135
; %bb.127:                              ;   in Loop: Header=BB14_32 Depth=1
	v_dual_mov_b32 v2, v0 :: v_dual_mov_b32 v9, v1
	v_mov_b32_e32 v8, v0
	s_mov_b32 s21, 0
                                        ; implicit-def: $sgpr15
	s_branch .LBB14_130
.LBB14_128:                             ;   in Loop: Header=BB14_130 Depth=2
	s_wait_alu 0xfffe
	s_or_b32 exec_lo, exec_lo, s22
	s_wait_loadcnt_dscnt 0x0
	s_barrier_signal -1
	s_barrier_wait -1
	global_inv scope:SCOPE_SE
	ds_load_u16 v10, v3 offset:3072
	s_mov_b32 s22, -1
	s_mov_b32 s24, -1
	s_wait_loadcnt_dscnt 0x0
	s_barrier_signal -1
	s_barrier_wait -1
	global_inv scope:SCOPE_SE
	v_and_b32_e32 v11, 0xff, v10
	s_delay_alu instid0(VALU_DEP_1)
	v_cmp_ne_u32_e32 vcc_lo, 0, v11
	s_cbranch_vccz .LBB14_133
.LBB14_129:                             ;   in Loop: Header=BB14_130 Depth=2
	s_wait_alu 0xfffe
	s_and_b32 s22, exec_lo, s22
	s_wait_alu 0xfffe
	s_or_b32 s21, s22, s21
	s_and_not1_b32 s15, s15, exec_lo
	s_and_b32 s22, s24, exec_lo
	s_wait_alu 0xfffe
	s_or_b32 s15, s15, s22
	s_and_not1_b32 exec_lo, exec_lo, s21
	s_cbranch_execz .LBB14_134
.LBB14_130:                             ;   Parent Loop BB14_32 Depth=1
                                        ; =>  This Inner Loop Header: Depth=2
	s_mov_b32 s22, exec_lo
	s_delay_alu instid0(VALU_DEP_1)
	v_cmpx_gt_u64_e64 s[12:13], v[8:9]
	s_cbranch_execz .LBB14_128
; %bb.131:                              ;   in Loop: Header=BB14_130 Depth=2
	ds_load_u8 v10, v2
	s_wait_dscnt 0x0
	v_bfe_i32 v11, v10, 0, 8
	s_delay_alu instid0(VALU_DEP_1) | instskip(NEXT) | instid1(VALU_DEP_1)
	v_add_nc_u32_e32 v11, 0x80, v11
	v_and_b32_e32 v11, v11, v43
	s_delay_alu instid0(VALU_DEP_1)
	v_cmp_eq_u32_e32 vcc_lo, v11, v22
	s_and_b32 exec_lo, exec_lo, vcc_lo
	s_cbranch_execz .LBB14_128
; %bb.132:                              ;   in Loop: Header=BB14_130 Depth=2
	v_lshlrev_b16 v10, 8, v10
	s_delay_alu instid0(VALU_DEP_1)
	v_or_b32_e32 v10, 1, v10
	ds_store_b16 v3, v10 offset:3072
	s_branch .LBB14_128
.LBB14_133:                             ;   in Loop: Header=BB14_130 Depth=2
	v_add_co_u32 v8, vcc_lo, v8, s68
	s_wait_alu 0xfffd
	v_add_co_ci_u32_e64 v9, null, 0, v9, vcc_lo
	v_add_nc_u32_e32 v2, s68, v2
	s_mov_b32 s24, 0
	s_delay_alu instid0(VALU_DEP_2)
	v_cmp_le_i64_e32 vcc_lo, s[6:7], v[8:9]
	s_or_not1_b32 s22, vcc_lo, exec_lo
	s_branch .LBB14_129
.LBB14_134:                             ;   in Loop: Header=BB14_32 Depth=1
	s_or_b32 exec_lo, exec_lo, s21
	v_and_b32_e32 v2, 0xffff, v10
	s_and_not1_b32 s6, s23, exec_lo
	s_wait_alu 0xfffe
	s_and_b32 s7, s15, exec_lo
	s_wait_alu 0xfffe
	s_or_b32 s23, s6, s7
	v_lshrrev_b32_e32 v44, 8, v2
.LBB14_135:                             ;   in Loop: Header=BB14_32 Depth=1
	s_or_b32 exec_lo, exec_lo, s14
	s_mov_b32 s21, 0
	s_mov_b32 s22, -1
.LBB14_136:                             ;   in Loop: Header=BB14_32 Depth=1
	s_wait_alu 0xfffe
	s_or_not1_b32 s6, s23, exec_lo
.LBB14_137:                             ;   in Loop: Header=BB14_32 Depth=1
	s_wait_alu 0xfffe
	s_or_b32 exec_lo, exec_lo, s17
	s_delay_alu instid0(SALU_CYCLE_1)
	s_and_not1_b32 s7, s55, exec_lo
	s_and_b32 s12, s22, exec_lo
	s_and_not1_b32 s13, s53, exec_lo
	s_and_b32 s14, s21, exec_lo
	s_and_not1_b32 s52, s52, exec_lo
	s_wait_alu 0xfffe
	s_or_b32 s55, s7, s12
	s_or_b32 s53, s13, s14
                                        ; implicit-def: $vgpr8_vgpr9
	s_and_saveexec_b32 s17, s6
	s_cbranch_execz .LBB14_31
; %bb.138:                              ;   in Loop: Header=BB14_32 Depth=1
	v_mov_b32_e32 v8, 1
	v_dual_mov_b32 v9, 0 :: v_dual_mov_b32 v2, 1
	s_xor_b32 s12, s19, -1
	s_mov_b32 s7, 0
	s_wait_alu 0xfffe
	s_and_saveexec_b32 s6, s12
	s_cbranch_execz .LBB14_147
; %bb.139:                              ;   in Loop: Header=BB14_32 Depth=1
	s_mov_b32 s7, exec_lo
	v_cmpx_le_i64_e64 v[28:29], v[4:5]
	s_wait_alu 0xfffe
	s_xor_b32 s7, exec_lo, s7
	s_cbranch_execz .LBB14_144
; %bb.140:                              ;   in Loop: Header=BB14_32 Depth=1
	ds_load_b64 v[8:9], v3 offset:5120
	v_and_b32_e32 v22, s20, v22
	v_or_b32_e32 v43, s16, v43
	s_wait_dscnt 0x0
	v_cmp_ne_u64_e32 vcc_lo, 0, v[8:9]
	s_cbranch_vccnz .LBB14_144
; %bb.141:                              ;   in Loop: Header=BB14_32 Depth=1
	s_and_saveexec_b32 s12, s2
; %bb.142:                              ;   in Loop: Header=BB14_32 Depth=1
	ds_store_b64 v3, v[4:5] offset:5128
; %bb.143:                              ;   in Loop: Header=BB14_32 Depth=1
	s_wait_alu 0xfffe
	s_or_b32 exec_lo, exec_lo, s12
	s_wait_loadcnt_dscnt 0x0
	s_barrier_signal -1
	s_barrier_wait -1
	global_inv scope:SCOPE_SE
.LBB14_144:                             ;   in Loop: Header=BB14_32 Depth=1
	s_wait_alu 0xfffe
	s_or_saveexec_b32 s7, s7
	v_mov_b32_e32 v2, 8
	s_mov_b32 s12, 0
	s_wait_alu 0xfffe
	s_xor_b32 exec_lo, exec_lo, s7
; %bb.145:                              ;   in Loop: Header=BB14_32 Depth=1
	v_sub_co_u32 v28, vcc_lo, v28, v4
	s_wait_alu 0xfffd
	v_sub_co_ci_u32_e64 v29, null, v29, v5, vcc_lo
	v_mov_b32_e32 v2, 0
	s_mov_b32 s12, exec_lo
; %bb.146:                              ;   in Loop: Header=BB14_32 Depth=1
	s_or_b32 exec_lo, exec_lo, s7
	s_delay_alu instid0(VALU_DEP_2)
	v_dual_mov_b32 v8, v28 :: v_dual_mov_b32 v9, v29
	s_wait_alu 0xfffe
	s_and_b32 s7, s12, exec_lo
.LBB14_147:                             ;   in Loop: Header=BB14_32 Depth=1
	s_wait_alu 0xfffe
	s_or_b32 exec_lo, exec_lo, s6
	s_mov_b32 s18, -1
	s_mov_b32 s6, -1
                                        ; implicit-def: $sgpr21
                                        ; implicit-def: $sgpr22
	s_and_saveexec_b32 s12, s7
	s_wait_alu 0xfffe
	s_xor_b32 s19, exec_lo, s12
	s_cbranch_execz .LBB14_289
; %bb.148:                              ;   in Loop: Header=BB14_32 Depth=1
	v_cmp_eq_u64_e32 vcc_lo, 1, v[6:7]
	v_cmp_eq_u64_e64 s6, 1, v[8:9]
                                        ; implicit-def: $sgpr22
                                        ; implicit-def: $sgpr21
	s_and_b32 s24, vcc_lo, s6
	s_mov_b32 s6, -1
	s_wait_alu 0xfffe
	s_and_saveexec_b32 s23, s24
	s_cbranch_execz .LBB14_182
; %bb.149:                              ;   in Loop: Header=BB14_32 Depth=1
	ds_load_b64 v[4:5], v3 offset:5120
	s_wait_loadcnt_dscnt 0x0
	s_barrier_signal -1
	s_barrier_wait -1
	global_inv scope:SCOPE_SE
	v_readfirstlane_b32 s12, v4
	v_readfirstlane_b32 s13, v5
	s_and_saveexec_b32 s6, s3
; %bb.150:                              ;   in Loop: Header=BB14_32 Depth=1
	ds_store_b8 v0, v3 offset:3072
; %bb.151:                              ;   in Loop: Header=BB14_32 Depth=1
	s_wait_alu 0xfffe
	s_or_b32 exec_lo, exec_lo, s6
	s_lshl_b32 s6, 1, s67
	v_or_b32_e32 v43, s16, v43
	s_wait_alu 0xfffe
	v_and_or_b32 v22, v22, s20, s6
	v_cmp_gt_i64_e64 s6, s[12:13], 0
	s_mov_b32 s21, -1
	s_mov_b32 s22, 0
	s_mov_b32 s25, 0
	s_mov_b32 s7, -1
	s_wait_loadcnt_dscnt 0x0
	s_and_b32 vcc_lo, exec_lo, s6
	s_barrier_signal -1
	s_barrier_wait -1
	global_inv scope:SCOPE_SE
                                        ; implicit-def: $vgpr44
	s_wait_alu 0xfffe
	s_cbranch_vccnz .LBB14_167
; %bb.152:                              ;   in Loop: Header=BB14_32 Depth=1
	s_mov_b32 s6, s71
	s_mov_b32 s7, s79
	s_wait_alu 0xfffe
	s_cmp_lg_u64 s[6:7], 0
	s_cbranch_scc0 .LBB14_209
; %bb.153:                              ;   in Loop: Header=BB14_32 Depth=1
	s_add_nc_u64 s[6:7], s[68:69], 0
	s_wait_alu 0xfffe
	s_xor_b64 s[6:7], s[6:7], 0
	s_wait_alu 0xfffe
	s_cvt_f32_u32 s14, s6
	s_cvt_f32_u32 s15, s7
	s_sub_nc_u64 s[84:85], 0, s[6:7]
	s_wait_alu 0xfffe
	s_delay_alu instid0(SALU_CYCLE_1) | instskip(SKIP_1) | instid1(SALU_CYCLE_2)
	s_fmamk_f32 s14, s15, 0x4f800000, s14
	s_wait_alu 0xfffe
	v_s_rcp_f32 s14, s14
	s_delay_alu instid0(TRANS32_DEP_1) | instskip(SKIP_1) | instid1(SALU_CYCLE_2)
	s_mul_f32 s14, s14, 0x5f7ffffc
	s_wait_alu 0xfffe
	s_mul_f32 s15, s14, 0x2f800000
	s_wait_alu 0xfffe
	s_delay_alu instid0(SALU_CYCLE_2) | instskip(SKIP_1) | instid1(SALU_CYCLE_2)
	s_trunc_f32 s15, s15
	s_wait_alu 0xfffe
	s_fmamk_f32 s14, s15, 0xcf800000, s14
	s_cvt_u32_f32 s15, s15
	s_wait_alu 0xfffe
	s_delay_alu instid0(SALU_CYCLE_1) | instskip(SKIP_1) | instid1(SALU_CYCLE_2)
	s_cvt_u32_f32 s14, s14
	s_wait_alu 0xfffe
	s_mul_u64 s[86:87], s[84:85], s[14:15]
	s_wait_alu 0xfffe
	s_mul_hi_u32 s89, s14, s87
	s_mul_i32 s88, s14, s87
	s_mul_hi_u32 s70, s14, s86
	s_mul_i32 s90, s15, s86
	s_wait_alu 0xfffe
	s_add_nc_u64 s[88:89], s[70:71], s[88:89]
	s_mul_hi_u32 s25, s15, s86
	s_mul_hi_u32 s91, s15, s87
	s_wait_alu 0xfffe
	s_add_co_u32 s70, s88, s90
	s_add_co_ci_u32 s70, s89, s25
	s_mul_i32 s86, s15, s87
	s_add_co_ci_u32 s87, s91, 0
	s_wait_alu 0xfffe
	s_add_nc_u64 s[86:87], s[70:71], s[86:87]
	s_wait_alu 0xfffe
	s_add_co_u32 s14, s14, s86
	s_cselect_b32 s25, -1, 0
	s_wait_alu 0xfffe
	s_cmp_lg_u32 s25, 0
	s_add_co_ci_u32 s15, s15, s87
	s_wait_alu 0xfffe
	s_mul_u64 s[84:85], s[84:85], s[14:15]
	s_wait_alu 0xfffe
	s_mul_hi_u32 s87, s14, s85
	s_mul_i32 s86, s14, s85
	s_mul_hi_u32 s70, s14, s84
	s_mul_i32 s88, s15, s84
	s_wait_alu 0xfffe
	s_add_nc_u64 s[86:87], s[70:71], s[86:87]
	s_mul_hi_u32 s25, s15, s84
	s_mul_hi_u32 s89, s15, s85
	s_wait_alu 0xfffe
	s_add_co_u32 s70, s86, s88
	s_add_co_ci_u32 s70, s87, s25
	s_mul_i32 s84, s15, s85
	s_add_co_ci_u32 s85, s89, 0
	s_wait_alu 0xfffe
	s_add_nc_u64 s[84:85], s[70:71], s[84:85]
	s_wait_alu 0xfffe
	s_add_co_u32 s25, s14, s84
	s_cselect_b32 s14, -1, 0
	s_wait_alu 0xfffe
	s_cmp_lg_u32 s14, 0
	s_add_co_ci_u32 s88, s15, s85
	s_ashr_i32 s14, s79, 31
	s_wait_alu 0xfffe
	s_mov_b32 s15, s14
	s_wait_alu 0xfffe
	s_add_nc_u64 s[84:85], s[78:79], s[14:15]
	s_wait_alu 0xfffe
	s_xor_b64 s[84:85], s[84:85], s[14:15]
	s_wait_alu 0xfffe
	s_mul_hi_u32 s87, s84, s88
	s_mul_i32 s86, s84, s88
	s_mul_hi_u32 s70, s84, s25
	s_mul_hi_u32 s90, s85, s25
	s_mul_i32 s25, s85, s25
	s_wait_alu 0xfffe
	s_add_nc_u64 s[86:87], s[70:71], s[86:87]
	s_mul_hi_u32 s89, s85, s88
	s_wait_alu 0xfffe
	s_add_co_u32 s25, s86, s25
	s_add_co_ci_u32 s70, s87, s90
	s_mul_i32 s88, s85, s88
	s_add_co_ci_u32 s89, s89, 0
	s_wait_alu 0xfffe
	s_add_nc_u64 s[86:87], s[70:71], s[88:89]
	s_wait_alu 0xfffe
	s_mul_u64 s[86:87], s[6:7], s[86:87]
	s_wait_alu 0xfffe
	s_sub_co_u32 s25, s84, s86
	s_cselect_b32 s70, -1, 0
	s_sub_co_i32 s84, s85, s87
	s_wait_alu 0xfffe
	s_cmp_lg_u32 s70, 0
	s_sub_co_ci_u32 s84, s84, s7
	s_sub_co_u32 s86, s25, s6
	s_cselect_b32 s88, -1, 0
	s_wait_alu 0xfffe
	s_cmp_lg_u32 s88, 0
	s_sub_co_ci_u32 s89, s84, 0
	s_wait_alu 0xfffe
	s_cmp_ge_u32 s89, s7
	s_cselect_b32 s90, -1, 0
	s_cmp_ge_u32 s86, s6
	s_cselect_b32 s91, -1, 0
	s_cmp_eq_u32 s89, s7
	s_wait_alu 0xfffe
	s_cselect_b32 s90, s91, s90
	s_cmp_lg_u32 s88, 0
	s_sub_co_ci_u32 s84, s84, s7
	s_sub_co_u32 s88, s86, s6
	s_cselect_b32 s91, -1, 0
	s_wait_alu 0xfffe
	s_cmp_lg_u32 s91, 0
	s_sub_co_ci_u32 s84, s84, 0
	s_cmp_lg_u32 s90, 0
	s_cselect_b32 s86, s88, s86
	s_wait_alu 0xfffe
	s_cselect_b32 s84, s84, s89
	s_cmp_lg_u32 s70, 0
	s_sub_co_ci_u32 s70, s85, s87
	s_wait_alu 0xfffe
	s_cmp_ge_u32 s70, s7
	s_cselect_b32 s85, -1, 0
	s_cmp_ge_u32 s25, s6
	s_cselect_b32 s6, -1, 0
	s_cmp_eq_u32 s70, s7
	s_wait_alu 0xfffe
	s_cselect_b32 s6, s6, s85
	s_wait_alu 0xfffe
	s_cmp_lg_u32 s6, 0
	s_cselect_b32 s7, s84, s70
	s_cselect_b32 s6, s86, s25
	s_wait_alu 0xfffe
	s_xor_b64 s[6:7], s[6:7], s[14:15]
	s_wait_alu 0xfffe
	s_sub_nc_u64 s[6:7], s[6:7], s[14:15]
	s_cbranch_execnz .LBB14_155
.LBB14_154:                             ;   in Loop: Header=BB14_32 Depth=1
	v_cvt_f32_u32_e32 v4, s68
	s_sub_co_i32 s7, 0, s68
	s_delay_alu instid0(VALU_DEP_1) | instskip(NEXT) | instid1(TRANS32_DEP_1)
	v_rcp_iflag_f32_e32 v4, v4
	v_mul_f32_e32 v4, 0x4f7ffffe, v4
	s_delay_alu instid0(VALU_DEP_1) | instskip(NEXT) | instid1(VALU_DEP_1)
	v_cvt_u32_f32_e32 v4, v4
	v_readfirstlane_b32 s6, v4
	s_wait_alu 0xfffe
	s_mul_i32 s7, s7, s6
	s_wait_alu 0xfffe
	s_mul_hi_u32 s7, s6, s7
	s_wait_alu 0xfffe
	s_add_co_i32 s6, s6, s7
	s_wait_alu 0xfffe
	s_mul_hi_u32 s6, s78, s6
	s_wait_alu 0xfffe
	s_mul_i32 s6, s6, s68
	s_wait_alu 0xfffe
	s_sub_co_i32 s6, s78, s6
	s_wait_alu 0xfffe
	s_sub_co_i32 s7, s6, s68
	s_cmp_ge_u32 s6, s68
	s_wait_alu 0xfffe
	s_cselect_b32 s6, s7, s6
	s_wait_alu 0xfffe
	s_sub_co_i32 s7, s6, s68
	s_cmp_ge_u32 s6, s68
	s_wait_alu 0xfffe
	s_cselect_b32 s70, s7, s6
	s_wait_alu 0xfffe
	s_mov_b64 s[6:7], s[70:71]
.LBB14_155:                             ;   in Loop: Header=BB14_32 Depth=1
	s_wait_alu 0xfffe
	s_sub_nc_u64 s[14:15], s[78:79], s[6:7]
	s_mov_b32 s7, 0
	s_mov_b32 s25, 0
	s_mov_b32 s70, exec_lo
                                        ; implicit-def: $vgpr44
	s_wait_alu 0xfffe
	v_cmpx_gt_i64_e64 s[14:15], v[0:1]
	s_cbranch_execz .LBB14_166
; %bb.156:                              ;   in Loop: Header=BB14_32 Depth=1
	v_dual_mov_b32 v4, v12 :: v_dual_mov_b32 v5, v13
	v_dual_mov_b32 v11, v1 :: v_dual_mov_b32 v10, v0
                                        ; implicit-def: $sgpr84
	s_branch .LBB14_159
.LBB14_157:                             ;   in Loop: Header=BB14_159 Depth=2
	s_wait_alu 0xfffe
	s_or_b32 exec_lo, exec_lo, s6
	s_wait_loadcnt_dscnt 0x0
	s_barrier_signal -1
	s_barrier_wait -1
	global_inv scope:SCOPE_SE
	ds_load_u16 v28, v3 offset:3072
	s_mov_b32 s6, -1
	s_mov_b32 s85, -1
	s_wait_loadcnt_dscnt 0x0
	s_barrier_signal -1
	s_barrier_wait -1
	global_inv scope:SCOPE_SE
	v_and_b32_e32 v29, 0xff, v28
	s_delay_alu instid0(VALU_DEP_1)
	v_cmp_ne_u32_e32 vcc_lo, 0, v29
	s_cbranch_vccz .LBB14_162
.LBB14_158:                             ;   in Loop: Header=BB14_159 Depth=2
	s_wait_alu 0xfffe
	s_and_b32 s6, exec_lo, s6
	s_wait_alu 0xfffe
	s_or_b32 s25, s6, s25
	s_and_not1_b32 s6, s84, exec_lo
	s_and_b32 s84, s85, exec_lo
	s_wait_alu 0xfffe
	s_or_b32 s84, s6, s84
	s_and_not1_b32 exec_lo, exec_lo, s25
	s_cbranch_execz .LBB14_165
.LBB14_159:                             ;   Parent Loop BB14_32 Depth=1
                                        ; =>  This Inner Loop Header: Depth=2
	s_mov_b32 s6, exec_lo
	s_delay_alu instid0(VALU_DEP_1)
	v_cmpx_gt_i64_e64 s[36:37], v[10:11]
	s_cbranch_execz .LBB14_157
; %bb.160:                              ;   in Loop: Header=BB14_159 Depth=2
	global_load_u8 v28, v[4:5], off
	s_wait_loadcnt 0x0
	v_bfe_i32 v29, v28, 0, 8
	s_delay_alu instid0(VALU_DEP_1) | instskip(NEXT) | instid1(VALU_DEP_1)
	v_add_nc_u32_e32 v29, 0x80, v29
	v_and_b32_e32 v29, v29, v43
	s_delay_alu instid0(VALU_DEP_1)
	v_cmp_eq_u32_e32 vcc_lo, v29, v22
	s_and_b32 exec_lo, exec_lo, vcc_lo
	s_cbranch_execz .LBB14_157
; %bb.161:                              ;   in Loop: Header=BB14_159 Depth=2
	v_lshlrev_b16 v28, 8, v28
	s_delay_alu instid0(VALU_DEP_1)
	v_or_b32_e32 v28, 1, v28
	ds_store_b16 v3, v28 offset:3072
	s_branch .LBB14_157
.LBB14_162:                             ;   in Loop: Header=BB14_159 Depth=2
	v_add_co_u32 v10, vcc_lo, v10, s68
	s_wait_alu 0xfffd
	v_add_co_ci_u32_e64 v11, null, 0, v11, vcc_lo
	v_add_co_u32 v4, s6, v4, s72
	s_wait_alu 0xf1fe
	v_add_co_ci_u32_e64 v5, null, s73, v5, s6
	s_delay_alu instid0(VALU_DEP_3)
	v_cmp_le_i64_e32 vcc_lo, s[14:15], v[10:11]
	s_mov_b32 s85, 0
	s_or_not1_b32 s6, vcc_lo, exec_lo
	s_branch .LBB14_158
.LBB14_163:                             ;   in Loop: Header=BB14_32 Depth=1
                                        ; implicit-def: $sgpr6_sgpr7
	s_branch .LBB14_111
.LBB14_164:                             ;   in Loop: Header=BB14_32 Depth=1
                                        ; implicit-def: $sgpr14_sgpr15
	s_branch .LBB14_125
.LBB14_165:                             ;   in Loop: Header=BB14_32 Depth=1
	s_or_b32 exec_lo, exec_lo, s25
	v_and_b32_e32 v4, 0xffff, v28
	s_wait_alu 0xfffe
	s_and_b32 s25, s84, exec_lo
	s_delay_alu instid0(VALU_DEP_1)
	v_lshrrev_b32_e32 v44, 8, v4
.LBB14_166:                             ;   in Loop: Header=BB14_32 Depth=1
	s_or_b32 exec_lo, exec_lo, s70
.LBB14_167:                             ;   in Loop: Header=BB14_32 Depth=1
	s_delay_alu instid0(SALU_CYCLE_1)
	s_and_b32 vcc_lo, exec_lo, s7
	s_wait_alu 0xfffe
	s_cbranch_vccz .LBB14_181
; %bb.168:                              ;   in Loop: Header=BB14_32 Depth=1
	s_add_nc_u64 s[6:7], s[12:13], s[76:77]
	s_mov_b32 s14, s71
	s_wait_alu 0xfffe
	s_mov_b32 s15, s7
	s_wait_alu 0xfffe
	s_cmp_lg_u64 s[14:15], 0
	s_cbranch_scc0 .LBB14_210
; %bb.169:                              ;   in Loop: Header=BB14_32 Depth=1
	s_add_nc_u64 s[14:15], s[68:69], 0
	s_wait_alu 0xfffe
	s_xor_b64 s[14:15], s[14:15], 0
	s_wait_alu 0xfffe
	s_cvt_f32_u32 s21, s14
	s_cvt_f32_u32 s22, s15
	s_sub_nc_u64 s[86:87], 0, s[14:15]
	s_wait_alu 0xfffe
	s_delay_alu instid0(SALU_CYCLE_1) | instskip(SKIP_1) | instid1(SALU_CYCLE_2)
	s_fmamk_f32 s21, s22, 0x4f800000, s21
	s_wait_alu 0xfffe
	v_s_rcp_f32 s21, s21
	s_delay_alu instid0(TRANS32_DEP_1) | instskip(SKIP_1) | instid1(SALU_CYCLE_2)
	s_mul_f32 s21, s21, 0x5f7ffffc
	s_wait_alu 0xfffe
	s_mul_f32 s22, s21, 0x2f800000
	s_wait_alu 0xfffe
	s_delay_alu instid0(SALU_CYCLE_2) | instskip(SKIP_1) | instid1(SALU_CYCLE_2)
	s_trunc_f32 s22, s22
	s_wait_alu 0xfffe
	s_fmamk_f32 s21, s22, 0xcf800000, s21
	s_cvt_u32_f32 s85, s22
	s_wait_alu 0xfffe
	s_delay_alu instid0(SALU_CYCLE_1) | instskip(SKIP_1) | instid1(SALU_CYCLE_2)
	s_cvt_u32_f32 s84, s21
	s_wait_alu 0xfffe
	s_mul_u64 s[88:89], s[86:87], s[84:85]
	s_wait_alu 0xfffe
	s_mul_hi_u32 s91, s84, s89
	s_mul_i32 s90, s84, s89
	s_mul_hi_u32 s70, s84, s88
	s_mul_i32 s22, s85, s88
	s_wait_alu 0xfffe
	s_add_nc_u64 s[90:91], s[70:71], s[90:91]
	s_mul_hi_u32 s21, s85, s88
	s_mul_hi_u32 s92, s85, s89
	s_wait_alu 0xfffe
	s_add_co_u32 s22, s90, s22
	s_add_co_ci_u32 s70, s91, s21
	s_mul_i32 s88, s85, s89
	s_add_co_ci_u32 s89, s92, 0
	s_wait_alu 0xfffe
	s_add_nc_u64 s[88:89], s[70:71], s[88:89]
	s_wait_alu 0xfffe
	s_add_co_u32 s84, s84, s88
	s_cselect_b32 s21, -1, 0
	s_wait_alu 0xfffe
	s_cmp_lg_u32 s21, 0
	s_add_co_ci_u32 s85, s85, s89
	s_wait_alu 0xfffe
	s_mul_u64 s[86:87], s[86:87], s[84:85]
	s_wait_alu 0xfffe
	s_mul_hi_u32 s89, s84, s87
	s_mul_i32 s88, s84, s87
	s_mul_hi_u32 s70, s84, s86
	s_mul_i32 s22, s85, s86
	s_wait_alu 0xfffe
	s_add_nc_u64 s[88:89], s[70:71], s[88:89]
	s_mul_hi_u32 s21, s85, s86
	s_mul_hi_u32 s90, s85, s87
	s_wait_alu 0xfffe
	s_add_co_u32 s22, s88, s22
	s_add_co_ci_u32 s70, s89, s21
	s_mul_i32 s86, s85, s87
	s_add_co_ci_u32 s87, s90, 0
	s_wait_alu 0xfffe
	s_add_nc_u64 s[86:87], s[70:71], s[86:87]
	s_wait_alu 0xfffe
	s_add_co_u32 s21, s84, s86
	s_cselect_b32 s22, -1, 0
	s_wait_alu 0xfffe
	s_cmp_lg_u32 s22, 0
	s_add_co_ci_u32 s22, s85, s87
	s_ashr_i32 s84, s7, 31
	s_wait_alu 0xfffe
	s_mov_b32 s85, s84
	s_wait_alu 0xfffe
	s_add_nc_u64 s[86:87], s[6:7], s[84:85]
	s_wait_alu 0xfffe
	s_xor_b64 s[86:87], s[86:87], s[84:85]
	s_wait_alu 0xfffe
	s_mul_hi_u32 s89, s86, s22
	s_mul_i32 s88, s86, s22
	s_mul_hi_u32 s70, s86, s21
	s_mul_hi_u32 s92, s87, s21
	s_mul_i32 s21, s87, s21
	s_wait_alu 0xfffe
	s_add_nc_u64 s[88:89], s[70:71], s[88:89]
	s_mul_hi_u32 s91, s87, s22
	s_wait_alu 0xfffe
	s_add_co_u32 s21, s88, s21
	s_add_co_ci_u32 s70, s89, s92
	s_mul_i32 s90, s87, s22
	s_add_co_ci_u32 s91, s91, 0
	s_wait_alu 0xfffe
	s_add_nc_u64 s[88:89], s[70:71], s[90:91]
	s_wait_alu 0xfffe
	s_mul_u64 s[88:89], s[14:15], s[88:89]
	s_wait_alu 0xfffe
	s_sub_co_u32 s21, s86, s88
	s_cselect_b32 s22, -1, 0
	s_sub_co_i32 s70, s87, s89
	s_wait_alu 0xfffe
	s_cmp_lg_u32 s22, 0
	s_sub_co_ci_u32 s70, s70, s15
	s_sub_co_u32 s86, s21, s14
	s_cselect_b32 s88, -1, 0
	s_wait_alu 0xfffe
	s_cmp_lg_u32 s88, 0
	s_sub_co_ci_u32 s90, s70, 0
	s_wait_alu 0xfffe
	s_cmp_ge_u32 s90, s15
	s_cselect_b32 s91, -1, 0
	s_cmp_ge_u32 s86, s14
	s_cselect_b32 s92, -1, 0
	s_cmp_eq_u32 s90, s15
	s_wait_alu 0xfffe
	s_cselect_b32 s91, s92, s91
	s_cmp_lg_u32 s88, 0
	s_sub_co_ci_u32 s70, s70, s15
	s_sub_co_u32 s88, s86, s14
	s_cselect_b32 s92, -1, 0
	s_wait_alu 0xfffe
	s_cmp_lg_u32 s92, 0
	s_sub_co_ci_u32 s70, s70, 0
	s_cmp_lg_u32 s91, 0
	s_cselect_b32 s86, s88, s86
	s_wait_alu 0xfffe
	s_cselect_b32 s70, s70, s90
	s_cmp_lg_u32 s22, 0
	s_sub_co_ci_u32 s22, s87, s89
	s_wait_alu 0xfffe
	s_cmp_ge_u32 s22, s15
	s_cselect_b32 s87, -1, 0
	s_cmp_ge_u32 s21, s14
	s_cselect_b32 s14, -1, 0
	s_cmp_eq_u32 s22, s15
	s_wait_alu 0xfffe
	s_cselect_b32 s14, s14, s87
	s_wait_alu 0xfffe
	s_cmp_lg_u32 s14, 0
	s_cselect_b32 s15, s70, s22
	s_cselect_b32 s14, s86, s21
	s_wait_alu 0xfffe
	s_xor_b64 s[14:15], s[14:15], s[84:85]
	s_wait_alu 0xfffe
	s_sub_nc_u64 s[14:15], s[14:15], s[84:85]
	s_cbranch_execnz .LBB14_171
.LBB14_170:                             ;   in Loop: Header=BB14_32 Depth=1
	v_cvt_f32_u32_e32 v4, s68
	s_sub_co_i32 s15, 0, s68
	s_delay_alu instid0(VALU_DEP_1) | instskip(NEXT) | instid1(TRANS32_DEP_1)
	v_rcp_iflag_f32_e32 v4, v4
	v_mul_f32_e32 v4, 0x4f7ffffe, v4
	s_delay_alu instid0(VALU_DEP_1) | instskip(NEXT) | instid1(VALU_DEP_1)
	v_cvt_u32_f32_e32 v4, v4
	v_readfirstlane_b32 s14, v4
	s_wait_alu 0xfffe
	s_mul_i32 s15, s15, s14
	s_wait_alu 0xfffe
	s_mul_hi_u32 s15, s14, s15
	s_wait_alu 0xfffe
	s_add_co_i32 s14, s14, s15
	s_wait_alu 0xfffe
	s_mul_hi_u32 s14, s6, s14
	s_wait_alu 0xfffe
	s_mul_i32 s14, s14, s68
	s_wait_alu 0xfffe
	s_sub_co_i32 s14, s6, s14
	s_wait_alu 0xfffe
	s_sub_co_i32 s15, s14, s68
	s_cmp_ge_u32 s14, s68
	s_wait_alu 0xfffe
	s_cselect_b32 s14, s15, s14
	s_wait_alu 0xfffe
	s_sub_co_i32 s15, s14, s68
	s_cmp_ge_u32 s14, s68
	s_wait_alu 0xfffe
	s_cselect_b32 s70, s15, s14
	s_wait_alu 0xfffe
	s_mov_b64 s[14:15], s[70:71]
.LBB14_171:                             ;   in Loop: Header=BB14_32 Depth=1
	s_wait_alu 0xfffe
	s_sub_nc_u64 s[6:7], s[6:7], s[14:15]
	s_mov_b32 s14, exec_lo
                                        ; implicit-def: $vgpr44
	s_wait_alu 0xfffe
	v_cmpx_gt_i64_e64 s[6:7], v[0:1]
	s_cbranch_execz .LBB14_180
; %bb.172:                              ;   in Loop: Header=BB14_32 Depth=1
	v_dual_mov_b32 v10, v0 :: v_dual_mov_b32 v5, v1
	v_mov_b32_e32 v4, v0
	s_mov_b32 s15, 0
                                        ; implicit-def: $sgpr21
	s_branch .LBB14_175
.LBB14_173:                             ;   in Loop: Header=BB14_175 Depth=2
	s_wait_alu 0xfffe
	s_or_b32 exec_lo, exec_lo, s22
	s_wait_loadcnt_dscnt 0x0
	s_barrier_signal -1
	s_barrier_wait -1
	global_inv scope:SCOPE_SE
	ds_load_u16 v11, v3 offset:3072
	s_mov_b32 s22, -1
	s_mov_b32 s70, -1
	s_wait_loadcnt_dscnt 0x0
	s_barrier_signal -1
	s_barrier_wait -1
	global_inv scope:SCOPE_SE
	v_and_b32_e32 v28, 0xff, v11
	s_delay_alu instid0(VALU_DEP_1)
	v_cmp_eq_u32_e32 vcc_lo, 0, v28
	s_cbranch_vccnz .LBB14_178
.LBB14_174:                             ;   in Loop: Header=BB14_175 Depth=2
	s_wait_alu 0xfffe
	s_and_b32 s22, exec_lo, s22
	s_wait_alu 0xfffe
	s_or_b32 s15, s22, s15
	s_and_not1_b32 s21, s21, exec_lo
	s_and_b32 s22, s70, exec_lo
	s_wait_alu 0xfffe
	s_or_b32 s21, s21, s22
	s_and_not1_b32 exec_lo, exec_lo, s15
	s_cbranch_execz .LBB14_179
.LBB14_175:                             ;   Parent Loop BB14_32 Depth=1
                                        ; =>  This Inner Loop Header: Depth=2
	s_mov_b32 s22, exec_lo
	s_delay_alu instid0(VALU_DEP_1)
	v_cmpx_gt_u64_e64 s[12:13], v[4:5]
	s_cbranch_execz .LBB14_173
; %bb.176:                              ;   in Loop: Header=BB14_175 Depth=2
	ds_load_u8 v11, v10
	s_wait_dscnt 0x0
	v_bfe_i32 v28, v11, 0, 8
	s_delay_alu instid0(VALU_DEP_1) | instskip(NEXT) | instid1(VALU_DEP_1)
	v_add_nc_u32_e32 v28, 0x80, v28
	v_and_b32_e32 v28, v28, v43
	s_delay_alu instid0(VALU_DEP_1)
	v_cmp_eq_u32_e32 vcc_lo, v28, v22
	s_and_b32 exec_lo, exec_lo, vcc_lo
	s_cbranch_execz .LBB14_173
; %bb.177:                              ;   in Loop: Header=BB14_175 Depth=2
	v_lshlrev_b16 v11, 8, v11
	s_delay_alu instid0(VALU_DEP_1)
	v_or_b32_e32 v11, 1, v11
	ds_store_b16 v3, v11 offset:3072
	s_branch .LBB14_173
.LBB14_178:                             ;   in Loop: Header=BB14_175 Depth=2
	v_add_co_u32 v4, vcc_lo, v4, s68
	s_wait_alu 0xfffd
	v_add_co_ci_u32_e64 v5, null, 0, v5, vcc_lo
	v_add_nc_u32_e32 v10, s68, v10
	s_mov_b32 s70, 0
	s_delay_alu instid0(VALU_DEP_2)
	v_cmp_le_i64_e32 vcc_lo, s[6:7], v[4:5]
	s_or_not1_b32 s22, vcc_lo, exec_lo
	s_branch .LBB14_174
.LBB14_179:                             ;   in Loop: Header=BB14_32 Depth=1
	s_or_b32 exec_lo, exec_lo, s15
	v_and_b32_e32 v4, 0xffff, v11
	s_and_not1_b32 s6, s25, exec_lo
	s_wait_alu 0xfffe
	s_and_b32 s7, s21, exec_lo
	s_wait_alu 0xfffe
	s_or_b32 s25, s6, s7
	v_lshrrev_b32_e32 v44, 8, v4
.LBB14_180:                             ;   in Loop: Header=BB14_32 Depth=1
	s_or_b32 exec_lo, exec_lo, s14
	s_mov_b32 s21, 0
	s_mov_b32 s22, -1
.LBB14_181:                             ;   in Loop: Header=BB14_32 Depth=1
	s_wait_alu 0xfffe
	s_or_not1_b32 s6, s25, exec_lo
.LBB14_182:                             ;   in Loop: Header=BB14_32 Depth=1
	s_wait_alu 0xfffe
	s_or_b32 exec_lo, exec_lo, s23
	s_mov_b32 s7, 0
	s_and_saveexec_b32 s23, s6
	s_cbranch_execz .LBB14_288
; %bb.183:                              ;   in Loop: Header=BB14_32 Depth=1
	v_mov_b32_e32 v4, 1
	v_dual_mov_b32 v5, 0 :: v_dual_mov_b32 v2, 1
	s_xor_b32 s12, s24, -1
	s_wait_alu 0xfffe
	s_and_saveexec_b32 s6, s12
	s_cbranch_execz .LBB14_193
; %bb.184:                              ;   in Loop: Header=BB14_32 Depth=1
	s_mov_b32 s7, exec_lo
	v_cmpx_le_i64_e64 v[8:9], v[6:7]
	s_wait_alu 0xfffe
	s_xor_b32 s7, exec_lo, s7
	s_cbranch_execz .LBB14_190
; %bb.185:                              ;   in Loop: Header=BB14_32 Depth=1
	ds_load_b64 v[4:5], v3 offset:5120
	s_lshl_b32 s12, 1, s67
	v_or_b32_e32 v43, s16, v43
	s_wait_alu 0xfffe
	v_and_or_b32 v22, v22, s20, s12
	s_wait_dscnt 0x0
	v_cmp_ne_u64_e32 vcc_lo, 0, v[4:5]
	s_cbranch_vccnz .LBB14_189
; %bb.186:                              ;   in Loop: Header=BB14_32 Depth=1
	s_and_saveexec_b32 s12, s2
; %bb.187:                              ;   in Loop: Header=BB14_32 Depth=1
	ds_store_b64 v3, v[6:7] offset:5128
; %bb.188:                              ;   in Loop: Header=BB14_32 Depth=1
	s_wait_alu 0xfffe
	s_or_b32 exec_lo, exec_lo, s12
	s_wait_loadcnt_dscnt 0x0
	s_barrier_signal -1
	s_barrier_wait -1
	global_inv scope:SCOPE_SE
.LBB14_189:                             ;   in Loop: Header=BB14_32 Depth=1
                                        ; implicit-def: $vgpr4_vgpr5_vgpr6_vgpr7
.LBB14_190:                             ;   in Loop: Header=BB14_32 Depth=1
	s_wait_alu 0xfffe
	s_or_saveexec_b32 s7, s7
	v_mov_b32_e32 v2, 8
	s_mov_b32 s12, 0
	s_wait_alu 0xfffe
	s_xor_b32 exec_lo, exec_lo, s7
; %bb.191:                              ;   in Loop: Header=BB14_32 Depth=1
	v_sub_co_u32 v8, vcc_lo, v8, v6
	s_wait_alu 0xfffd
	v_sub_co_ci_u32_e64 v9, null, v9, v7, vcc_lo
	v_mov_b32_e32 v2, 0
	s_mov_b32 s12, exec_lo
; %bb.192:                              ;   in Loop: Header=BB14_32 Depth=1
	s_or_b32 exec_lo, exec_lo, s7
	s_delay_alu instid0(VALU_DEP_2)
	v_dual_mov_b32 v4, v8 :: v_dual_mov_b32 v5, v9
	s_wait_alu 0xfffe
	s_and_b32 s7, s12, exec_lo
.LBB14_193:                             ;   in Loop: Header=BB14_32 Depth=1
	s_wait_alu 0xfffe
	s_or_b32 exec_lo, exec_lo, s6
	s_mov_b32 s6, -1
                                        ; implicit-def: $sgpr25
                                        ; implicit-def: $sgpr84
	s_and_saveexec_b32 s24, s7
	s_cbranch_execz .LBB14_287
; %bb.194:                              ;   in Loop: Header=BB14_32 Depth=1
	v_cmp_eq_u64_e32 vcc_lo, 1, v[4:5]
	s_cmp_eq_u64 s[10:11], 1
                                        ; implicit-def: $sgpr84
                                        ; implicit-def: $sgpr25
	s_cselect_b32 s6, -1, 0
	s_wait_alu 0xfffe
	s_and_b32 s85, s6, vcc_lo
	s_mov_b32 s6, -1
	s_wait_alu 0xfffe
	s_and_saveexec_b32 s86, s85
	s_cbranch_execz .LBB14_228
; %bb.195:                              ;   in Loop: Header=BB14_32 Depth=1
	ds_load_b64 v[6:7], v3 offset:5120
	s_wait_loadcnt_dscnt 0x0
	s_barrier_signal -1
	s_barrier_wait -1
	global_inv scope:SCOPE_SE
	v_readfirstlane_b32 s12, v6
	v_readfirstlane_b32 s13, v7
	s_and_saveexec_b32 s6, s3
; %bb.196:                              ;   in Loop: Header=BB14_32 Depth=1
	ds_store_b8 v0, v3 offset:3072
; %bb.197:                              ;   in Loop: Header=BB14_32 Depth=1
	s_wait_alu 0xfffe
	s_or_b32 exec_lo, exec_lo, s6
	s_lshl_b32 s6, 2, s67
	v_or_b32_e32 v43, s16, v43
	s_wait_alu 0xfffe
	v_and_or_b32 v22, v22, s20, s6
	v_cmp_gt_i64_e64 s6, s[12:13], 0
	s_mov_b32 s25, -1
	s_mov_b32 s84, 0
	s_mov_b32 s87, 0
	s_mov_b32 s7, -1
	s_wait_loadcnt_dscnt 0x0
	s_and_b32 vcc_lo, exec_lo, s6
	s_barrier_signal -1
	s_barrier_wait -1
	global_inv scope:SCOPE_SE
                                        ; implicit-def: $vgpr44
	s_wait_alu 0xfffe
	s_cbranch_vccnz .LBB14_213
; %bb.198:                              ;   in Loop: Header=BB14_32 Depth=1
	s_mov_b32 s6, s71
	s_mov_b32 s7, s79
	s_wait_alu 0xfffe
	s_cmp_lg_u64 s[6:7], 0
	s_cbranch_scc0 .LBB14_254
; %bb.199:                              ;   in Loop: Header=BB14_32 Depth=1
	s_add_nc_u64 s[6:7], s[68:69], 0
	s_wait_alu 0xfffe
	s_xor_b64 s[6:7], s[6:7], 0
	s_wait_alu 0xfffe
	s_cvt_f32_u32 s14, s6
	s_cvt_f32_u32 s15, s7
	s_sub_nc_u64 s[88:89], 0, s[6:7]
	s_wait_alu 0xfffe
	s_delay_alu instid0(SALU_CYCLE_1) | instskip(SKIP_1) | instid1(SALU_CYCLE_2)
	s_fmamk_f32 s14, s15, 0x4f800000, s14
	s_wait_alu 0xfffe
	v_s_rcp_f32 s14, s14
	s_delay_alu instid0(TRANS32_DEP_1) | instskip(SKIP_1) | instid1(SALU_CYCLE_2)
	s_mul_f32 s14, s14, 0x5f7ffffc
	s_wait_alu 0xfffe
	s_mul_f32 s15, s14, 0x2f800000
	s_wait_alu 0xfffe
	s_delay_alu instid0(SALU_CYCLE_2) | instskip(SKIP_1) | instid1(SALU_CYCLE_2)
	s_trunc_f32 s15, s15
	s_wait_alu 0xfffe
	s_fmamk_f32 s14, s15, 0xcf800000, s14
	s_cvt_u32_f32 s15, s15
	s_wait_alu 0xfffe
	s_delay_alu instid0(SALU_CYCLE_1) | instskip(SKIP_1) | instid1(SALU_CYCLE_2)
	s_cvt_u32_f32 s14, s14
	s_wait_alu 0xfffe
	s_mul_u64 s[90:91], s[88:89], s[14:15]
	s_wait_alu 0xfffe
	s_mul_hi_u32 s93, s14, s91
	s_mul_i32 s92, s14, s91
	s_mul_hi_u32 s70, s14, s90
	s_mul_i32 s94, s15, s90
	s_wait_alu 0xfffe
	s_add_nc_u64 s[92:93], s[70:71], s[92:93]
	s_mul_hi_u32 s87, s15, s90
	s_mul_hi_u32 s95, s15, s91
	s_wait_alu 0xfffe
	s_add_co_u32 s70, s92, s94
	s_add_co_ci_u32 s70, s93, s87
	s_mul_i32 s90, s15, s91
	s_add_co_ci_u32 s91, s95, 0
	s_wait_alu 0xfffe
	s_add_nc_u64 s[90:91], s[70:71], s[90:91]
	s_wait_alu 0xfffe
	s_add_co_u32 s14, s14, s90
	s_cselect_b32 s70, -1, 0
	s_wait_alu 0xfffe
	s_cmp_lg_u32 s70, 0
	s_add_co_ci_u32 s15, s15, s91
	s_wait_alu 0xfffe
	s_mul_u64 s[88:89], s[88:89], s[14:15]
	s_wait_alu 0xfffe
	s_mul_hi_u32 s91, s14, s89
	s_mul_i32 s90, s14, s89
	s_mul_hi_u32 s70, s14, s88
	s_mul_i32 s92, s15, s88
	s_wait_alu 0xfffe
	s_add_nc_u64 s[90:91], s[70:71], s[90:91]
	s_mul_hi_u32 s87, s15, s88
	s_mul_hi_u32 s93, s15, s89
	s_wait_alu 0xfffe
	s_add_co_u32 s70, s90, s92
	s_add_co_ci_u32 s70, s91, s87
	s_mul_i32 s88, s15, s89
	s_add_co_ci_u32 s89, s93, 0
	s_wait_alu 0xfffe
	s_add_nc_u64 s[88:89], s[70:71], s[88:89]
	s_wait_alu 0xfffe
	s_add_co_u32 s87, s14, s88
	s_cselect_b32 s14, -1, 0
	s_wait_alu 0xfffe
	s_cmp_lg_u32 s14, 0
	s_add_co_ci_u32 s92, s15, s89
	s_ashr_i32 s14, s79, 31
	s_wait_alu 0xfffe
	s_mov_b32 s15, s14
	s_wait_alu 0xfffe
	s_add_nc_u64 s[88:89], s[78:79], s[14:15]
	s_wait_alu 0xfffe
	s_xor_b64 s[88:89], s[88:89], s[14:15]
	s_wait_alu 0xfffe
	s_mul_hi_u32 s91, s88, s92
	s_mul_i32 s90, s88, s92
	s_mul_hi_u32 s70, s88, s87
	s_mul_hi_u32 s94, s89, s87
	s_mul_i32 s87, s89, s87
	s_wait_alu 0xfffe
	s_add_nc_u64 s[90:91], s[70:71], s[90:91]
	s_mul_hi_u32 s93, s89, s92
	s_wait_alu 0xfffe
	s_add_co_u32 s70, s90, s87
	s_add_co_ci_u32 s70, s91, s94
	s_mul_i32 s92, s89, s92
	s_add_co_ci_u32 s93, s93, 0
	s_wait_alu 0xfffe
	s_add_nc_u64 s[90:91], s[70:71], s[92:93]
	s_wait_alu 0xfffe
	s_mul_u64 s[90:91], s[6:7], s[90:91]
	s_wait_alu 0xfffe
	s_sub_co_u32 s70, s88, s90
	s_cselect_b32 s87, -1, 0
	s_sub_co_i32 s88, s89, s91
	s_wait_alu 0xfffe
	s_cmp_lg_u32 s87, 0
	s_sub_co_ci_u32 s88, s88, s7
	s_sub_co_u32 s90, s70, s6
	s_cselect_b32 s92, -1, 0
	s_wait_alu 0xfffe
	s_cmp_lg_u32 s92, 0
	s_sub_co_ci_u32 s93, s88, 0
	s_wait_alu 0xfffe
	s_cmp_ge_u32 s93, s7
	s_cselect_b32 s94, -1, 0
	s_cmp_ge_u32 s90, s6
	s_cselect_b32 s95, -1, 0
	s_cmp_eq_u32 s93, s7
	s_wait_alu 0xfffe
	s_cselect_b32 s94, s95, s94
	s_cmp_lg_u32 s92, 0
	s_sub_co_ci_u32 s88, s88, s7
	s_sub_co_u32 s92, s90, s6
	s_cselect_b32 s95, -1, 0
	s_wait_alu 0xfffe
	s_cmp_lg_u32 s95, 0
	s_sub_co_ci_u32 s88, s88, 0
	s_cmp_lg_u32 s94, 0
	s_cselect_b32 s90, s92, s90
	s_wait_alu 0xfffe
	s_cselect_b32 s88, s88, s93
	s_cmp_lg_u32 s87, 0
	s_sub_co_ci_u32 s87, s89, s91
	s_wait_alu 0xfffe
	s_cmp_ge_u32 s87, s7
	s_cselect_b32 s89, -1, 0
	s_cmp_ge_u32 s70, s6
	s_cselect_b32 s6, -1, 0
	s_cmp_eq_u32 s87, s7
	s_wait_alu 0xfffe
	s_cselect_b32 s6, s6, s89
	s_wait_alu 0xfffe
	s_cmp_lg_u32 s6, 0
	s_cselect_b32 s7, s88, s87
	s_cselect_b32 s6, s90, s70
	s_wait_alu 0xfffe
	s_xor_b64 s[6:7], s[6:7], s[14:15]
	s_wait_alu 0xfffe
	s_sub_nc_u64 s[6:7], s[6:7], s[14:15]
	s_cbranch_execnz .LBB14_201
.LBB14_200:                             ;   in Loop: Header=BB14_32 Depth=1
	v_cvt_f32_u32_e32 v6, s68
	s_sub_co_i32 s7, 0, s68
	s_delay_alu instid0(VALU_DEP_1) | instskip(NEXT) | instid1(TRANS32_DEP_1)
	v_rcp_iflag_f32_e32 v6, v6
	v_mul_f32_e32 v6, 0x4f7ffffe, v6
	s_delay_alu instid0(VALU_DEP_1) | instskip(NEXT) | instid1(VALU_DEP_1)
	v_cvt_u32_f32_e32 v6, v6
	v_readfirstlane_b32 s6, v6
	s_wait_alu 0xfffe
	s_mul_i32 s7, s7, s6
	s_wait_alu 0xfffe
	s_mul_hi_u32 s7, s6, s7
	s_wait_alu 0xfffe
	s_add_co_i32 s6, s6, s7
	s_wait_alu 0xfffe
	s_mul_hi_u32 s6, s78, s6
	s_wait_alu 0xfffe
	s_mul_i32 s6, s6, s68
	s_wait_alu 0xfffe
	s_sub_co_i32 s6, s78, s6
	s_wait_alu 0xfffe
	s_sub_co_i32 s7, s6, s68
	s_cmp_ge_u32 s6, s68
	s_wait_alu 0xfffe
	s_cselect_b32 s6, s7, s6
	s_wait_alu 0xfffe
	s_sub_co_i32 s7, s6, s68
	s_cmp_ge_u32 s6, s68
	s_wait_alu 0xfffe
	s_cselect_b32 s70, s7, s6
	s_wait_alu 0xfffe
	s_mov_b64 s[6:7], s[70:71]
.LBB14_201:                             ;   in Loop: Header=BB14_32 Depth=1
	s_wait_alu 0xfffe
	s_sub_nc_u64 s[14:15], s[78:79], s[6:7]
	s_mov_b32 s7, 0
	s_mov_b32 s87, 0
	s_mov_b32 s70, exec_lo
                                        ; implicit-def: $vgpr44
	s_wait_alu 0xfffe
	v_cmpx_gt_i64_e64 s[14:15], v[0:1]
	s_cbranch_execz .LBB14_212
; %bb.202:                              ;   in Loop: Header=BB14_32 Depth=1
	v_dual_mov_b32 v6, v12 :: v_dual_mov_b32 v7, v13
	v_dual_mov_b32 v9, v1 :: v_dual_mov_b32 v8, v0
                                        ; implicit-def: $sgpr88
	s_branch .LBB14_205
.LBB14_203:                             ;   in Loop: Header=BB14_205 Depth=2
	s_wait_alu 0xfffe
	s_or_b32 exec_lo, exec_lo, s6
	s_wait_loadcnt_dscnt 0x0
	s_barrier_signal -1
	s_barrier_wait -1
	global_inv scope:SCOPE_SE
	ds_load_u16 v10, v3 offset:3072
	s_mov_b32 s6, -1
	s_mov_b32 s89, -1
	s_wait_loadcnt_dscnt 0x0
	s_barrier_signal -1
	s_barrier_wait -1
	global_inv scope:SCOPE_SE
	v_and_b32_e32 v11, 0xff, v10
	s_delay_alu instid0(VALU_DEP_1)
	v_cmp_ne_u32_e32 vcc_lo, 0, v11
	s_cbranch_vccz .LBB14_208
.LBB14_204:                             ;   in Loop: Header=BB14_205 Depth=2
	s_wait_alu 0xfffe
	s_and_b32 s6, exec_lo, s6
	s_wait_alu 0xfffe
	s_or_b32 s87, s6, s87
	s_and_not1_b32 s6, s88, exec_lo
	s_and_b32 s88, s89, exec_lo
	s_wait_alu 0xfffe
	s_or_b32 s88, s6, s88
	s_and_not1_b32 exec_lo, exec_lo, s87
	s_cbranch_execz .LBB14_211
.LBB14_205:                             ;   Parent Loop BB14_32 Depth=1
                                        ; =>  This Inner Loop Header: Depth=2
	s_mov_b32 s6, exec_lo
	s_delay_alu instid0(VALU_DEP_1)
	v_cmpx_gt_i64_e64 s[36:37], v[8:9]
	s_cbranch_execz .LBB14_203
; %bb.206:                              ;   in Loop: Header=BB14_205 Depth=2
	global_load_u8 v10, v[6:7], off
	s_wait_loadcnt 0x0
	v_bfe_i32 v11, v10, 0, 8
	s_delay_alu instid0(VALU_DEP_1) | instskip(NEXT) | instid1(VALU_DEP_1)
	v_add_nc_u32_e32 v11, 0x80, v11
	v_and_b32_e32 v11, v11, v43
	s_delay_alu instid0(VALU_DEP_1)
	v_cmp_eq_u32_e32 vcc_lo, v11, v22
	s_and_b32 exec_lo, exec_lo, vcc_lo
	s_cbranch_execz .LBB14_203
; %bb.207:                              ;   in Loop: Header=BB14_205 Depth=2
	v_lshlrev_b16 v10, 8, v10
	s_delay_alu instid0(VALU_DEP_1)
	v_or_b32_e32 v10, 1, v10
	ds_store_b16 v3, v10 offset:3072
	s_branch .LBB14_203
.LBB14_208:                             ;   in Loop: Header=BB14_205 Depth=2
	v_add_co_u32 v8, vcc_lo, v8, s68
	s_wait_alu 0xfffd
	v_add_co_ci_u32_e64 v9, null, 0, v9, vcc_lo
	v_add_co_u32 v6, s6, v6, s72
	s_wait_alu 0xf1fe
	v_add_co_ci_u32_e64 v7, null, s73, v7, s6
	s_delay_alu instid0(VALU_DEP_3)
	v_cmp_le_i64_e32 vcc_lo, s[14:15], v[8:9]
	s_mov_b32 s89, 0
	s_or_not1_b32 s6, vcc_lo, exec_lo
	s_branch .LBB14_204
.LBB14_209:                             ;   in Loop: Header=BB14_32 Depth=1
                                        ; implicit-def: $sgpr6_sgpr7
	s_branch .LBB14_154
.LBB14_210:                             ;   in Loop: Header=BB14_32 Depth=1
                                        ; implicit-def: $sgpr14_sgpr15
	s_branch .LBB14_170
.LBB14_211:                             ;   in Loop: Header=BB14_32 Depth=1
	s_or_b32 exec_lo, exec_lo, s87
	v_and_b32_e32 v6, 0xffff, v10
	s_wait_alu 0xfffe
	s_and_b32 s87, s88, exec_lo
	s_delay_alu instid0(VALU_DEP_1)
	v_lshrrev_b32_e32 v44, 8, v6
.LBB14_212:                             ;   in Loop: Header=BB14_32 Depth=1
	s_or_b32 exec_lo, exec_lo, s70
.LBB14_213:                             ;   in Loop: Header=BB14_32 Depth=1
	s_delay_alu instid0(SALU_CYCLE_1)
	s_and_b32 vcc_lo, exec_lo, s7
	s_wait_alu 0xfffe
	s_cbranch_vccz .LBB14_227
; %bb.214:                              ;   in Loop: Header=BB14_32 Depth=1
	s_add_nc_u64 s[6:7], s[12:13], s[76:77]
	s_mov_b32 s14, s71
	s_wait_alu 0xfffe
	s_mov_b32 s15, s7
	s_wait_alu 0xfffe
	s_cmp_lg_u64 s[14:15], 0
	s_cbranch_scc0 .LBB14_255
; %bb.215:                              ;   in Loop: Header=BB14_32 Depth=1
	s_add_nc_u64 s[14:15], s[68:69], 0
	s_wait_alu 0xfffe
	s_xor_b64 s[14:15], s[14:15], 0
	s_wait_alu 0xfffe
	s_cvt_f32_u32 s25, s14
	s_cvt_f32_u32 s70, s15
	s_sub_nc_u64 s[90:91], 0, s[14:15]
	s_wait_alu 0xfffe
	s_delay_alu instid0(SALU_CYCLE_1) | instskip(SKIP_1) | instid1(SALU_CYCLE_2)
	s_fmamk_f32 s25, s70, 0x4f800000, s25
	s_wait_alu 0xfffe
	v_s_rcp_f32 s25, s25
	s_delay_alu instid0(TRANS32_DEP_1) | instskip(SKIP_1) | instid1(SALU_CYCLE_2)
	s_mul_f32 s25, s25, 0x5f7ffffc
	s_wait_alu 0xfffe
	s_mul_f32 s70, s25, 0x2f800000
	s_wait_alu 0xfffe
	s_delay_alu instid0(SALU_CYCLE_2) | instskip(SKIP_1) | instid1(SALU_CYCLE_2)
	s_trunc_f32 s70, s70
	s_wait_alu 0xfffe
	s_fmamk_f32 s25, s70, 0xcf800000, s25
	s_cvt_u32_f32 s89, s70
	s_wait_alu 0xfffe
	s_delay_alu instid0(SALU_CYCLE_1) | instskip(SKIP_1) | instid1(SALU_CYCLE_2)
	s_cvt_u32_f32 s88, s25
	s_wait_alu 0xfffe
	s_mul_u64 s[92:93], s[90:91], s[88:89]
	s_wait_alu 0xfffe
	s_mul_hi_u32 s95, s88, s93
	s_mul_i32 s94, s88, s93
	s_mul_hi_u32 s70, s88, s92
	s_mul_i32 s84, s89, s92
	s_wait_alu 0xfffe
	s_add_nc_u64 s[94:95], s[70:71], s[94:95]
	s_mul_hi_u32 s25, s89, s92
	s_mul_hi_u32 s96, s89, s93
	s_wait_alu 0xfffe
	s_add_co_u32 s70, s94, s84
	s_add_co_ci_u32 s70, s95, s25
	s_mul_i32 s92, s89, s93
	s_add_co_ci_u32 s93, s96, 0
	s_wait_alu 0xfffe
	s_add_nc_u64 s[92:93], s[70:71], s[92:93]
	s_wait_alu 0xfffe
	s_add_co_u32 s88, s88, s92
	s_cselect_b32 s25, -1, 0
	s_wait_alu 0xfffe
	s_cmp_lg_u32 s25, 0
	s_add_co_ci_u32 s89, s89, s93
	s_wait_alu 0xfffe
	s_mul_u64 s[90:91], s[90:91], s[88:89]
	s_wait_alu 0xfffe
	s_mul_hi_u32 s93, s88, s91
	s_mul_i32 s92, s88, s91
	s_mul_hi_u32 s70, s88, s90
	s_mul_i32 s84, s89, s90
	s_wait_alu 0xfffe
	s_add_nc_u64 s[92:93], s[70:71], s[92:93]
	s_mul_hi_u32 s25, s89, s90
	s_mul_hi_u32 s94, s89, s91
	s_wait_alu 0xfffe
	s_add_co_u32 s70, s92, s84
	s_add_co_ci_u32 s70, s93, s25
	s_mul_i32 s90, s89, s91
	s_add_co_ci_u32 s91, s94, 0
	s_wait_alu 0xfffe
	s_add_nc_u64 s[90:91], s[70:71], s[90:91]
	s_wait_alu 0xfffe
	s_add_co_u32 s25, s88, s90
	s_cselect_b32 s70, -1, 0
	s_wait_alu 0xfffe
	s_cmp_lg_u32 s70, 0
	s_add_co_ci_u32 s84, s89, s91
	s_ashr_i32 s88, s7, 31
	s_wait_alu 0xfffe
	s_mov_b32 s89, s88
	s_wait_alu 0xfffe
	s_add_nc_u64 s[90:91], s[6:7], s[88:89]
	s_wait_alu 0xfffe
	s_xor_b64 s[90:91], s[90:91], s[88:89]
	s_wait_alu 0xfffe
	s_mul_hi_u32 s93, s90, s84
	s_mul_i32 s92, s90, s84
	s_mul_hi_u32 s70, s90, s25
	s_mul_hi_u32 s96, s91, s25
	s_mul_i32 s25, s91, s25
	s_wait_alu 0xfffe
	s_add_nc_u64 s[92:93], s[70:71], s[92:93]
	s_mul_hi_u32 s95, s91, s84
	s_wait_alu 0xfffe
	s_add_co_u32 s25, s92, s25
	s_add_co_ci_u32 s70, s93, s96
	s_mul_i32 s94, s91, s84
	s_add_co_ci_u32 s95, s95, 0
	s_wait_alu 0xfffe
	s_add_nc_u64 s[92:93], s[70:71], s[94:95]
	s_wait_alu 0xfffe
	s_mul_u64 s[92:93], s[14:15], s[92:93]
	s_wait_alu 0xfffe
	s_sub_co_u32 s25, s90, s92
	s_cselect_b32 s70, -1, 0
	s_sub_co_i32 s84, s91, s93
	s_wait_alu 0xfffe
	s_cmp_lg_u32 s70, 0
	s_sub_co_ci_u32 s84, s84, s15
	s_sub_co_u32 s90, s25, s14
	s_cselect_b32 s92, -1, 0
	s_wait_alu 0xfffe
	s_cmp_lg_u32 s92, 0
	s_sub_co_ci_u32 s94, s84, 0
	s_wait_alu 0xfffe
	s_cmp_ge_u32 s94, s15
	s_cselect_b32 s95, -1, 0
	s_cmp_ge_u32 s90, s14
	s_cselect_b32 s96, -1, 0
	s_cmp_eq_u32 s94, s15
	s_wait_alu 0xfffe
	s_cselect_b32 s95, s96, s95
	s_cmp_lg_u32 s92, 0
	s_sub_co_ci_u32 s84, s84, s15
	s_sub_co_u32 s92, s90, s14
	s_cselect_b32 s96, -1, 0
	s_wait_alu 0xfffe
	s_cmp_lg_u32 s96, 0
	s_sub_co_ci_u32 s84, s84, 0
	s_cmp_lg_u32 s95, 0
	s_cselect_b32 s90, s92, s90
	s_wait_alu 0xfffe
	s_cselect_b32 s84, s84, s94
	s_cmp_lg_u32 s70, 0
	s_sub_co_ci_u32 s70, s91, s93
	s_wait_alu 0xfffe
	s_cmp_ge_u32 s70, s15
	s_cselect_b32 s91, -1, 0
	s_cmp_ge_u32 s25, s14
	s_cselect_b32 s14, -1, 0
	s_cmp_eq_u32 s70, s15
	s_wait_alu 0xfffe
	s_cselect_b32 s14, s14, s91
	s_wait_alu 0xfffe
	s_cmp_lg_u32 s14, 0
	s_cselect_b32 s15, s84, s70
	s_cselect_b32 s14, s90, s25
	s_wait_alu 0xfffe
	s_xor_b64 s[14:15], s[14:15], s[88:89]
	s_wait_alu 0xfffe
	s_sub_nc_u64 s[14:15], s[14:15], s[88:89]
	s_cbranch_execnz .LBB14_217
.LBB14_216:                             ;   in Loop: Header=BB14_32 Depth=1
	v_cvt_f32_u32_e32 v6, s68
	s_sub_co_i32 s15, 0, s68
	s_delay_alu instid0(VALU_DEP_1) | instskip(NEXT) | instid1(TRANS32_DEP_1)
	v_rcp_iflag_f32_e32 v6, v6
	v_mul_f32_e32 v6, 0x4f7ffffe, v6
	s_delay_alu instid0(VALU_DEP_1) | instskip(NEXT) | instid1(VALU_DEP_1)
	v_cvt_u32_f32_e32 v6, v6
	v_readfirstlane_b32 s14, v6
	s_wait_alu 0xfffe
	s_mul_i32 s15, s15, s14
	s_wait_alu 0xfffe
	s_mul_hi_u32 s15, s14, s15
	s_wait_alu 0xfffe
	s_add_co_i32 s14, s14, s15
	s_wait_alu 0xfffe
	s_mul_hi_u32 s14, s6, s14
	s_wait_alu 0xfffe
	s_mul_i32 s14, s14, s68
	s_wait_alu 0xfffe
	s_sub_co_i32 s14, s6, s14
	s_wait_alu 0xfffe
	s_sub_co_i32 s15, s14, s68
	s_cmp_ge_u32 s14, s68
	s_wait_alu 0xfffe
	s_cselect_b32 s14, s15, s14
	s_wait_alu 0xfffe
	s_sub_co_i32 s15, s14, s68
	s_cmp_ge_u32 s14, s68
	s_wait_alu 0xfffe
	s_cselect_b32 s70, s15, s14
	s_wait_alu 0xfffe
	s_mov_b64 s[14:15], s[70:71]
.LBB14_217:                             ;   in Loop: Header=BB14_32 Depth=1
	s_wait_alu 0xfffe
	s_sub_nc_u64 s[6:7], s[6:7], s[14:15]
	s_mov_b32 s14, exec_lo
                                        ; implicit-def: $vgpr44
	s_wait_alu 0xfffe
	v_cmpx_gt_i64_e64 s[6:7], v[0:1]
	s_cbranch_execz .LBB14_226
; %bb.218:                              ;   in Loop: Header=BB14_32 Depth=1
	v_dual_mov_b32 v8, v0 :: v_dual_mov_b32 v7, v1
	v_mov_b32_e32 v6, v0
	s_mov_b32 s15, 0
                                        ; implicit-def: $sgpr25
	s_branch .LBB14_221
.LBB14_219:                             ;   in Loop: Header=BB14_221 Depth=2
	s_wait_alu 0xfffe
	s_or_b32 exec_lo, exec_lo, s70
	s_wait_loadcnt_dscnt 0x0
	s_barrier_signal -1
	s_barrier_wait -1
	global_inv scope:SCOPE_SE
	ds_load_u16 v9, v3 offset:3072
	s_mov_b32 s70, -1
	s_mov_b32 s84, -1
	s_wait_loadcnt_dscnt 0x0
	s_barrier_signal -1
	s_barrier_wait -1
	global_inv scope:SCOPE_SE
	v_and_b32_e32 v10, 0xff, v9
	s_delay_alu instid0(VALU_DEP_1)
	v_cmp_eq_u32_e32 vcc_lo, 0, v10
	s_cbranch_vccnz .LBB14_224
.LBB14_220:                             ;   in Loop: Header=BB14_221 Depth=2
	s_wait_alu 0xfffe
	s_and_b32 s70, exec_lo, s70
	s_wait_alu 0xfffe
	s_or_b32 s15, s70, s15
	s_and_not1_b32 s25, s25, exec_lo
	s_and_b32 s70, s84, exec_lo
	s_wait_alu 0xfffe
	s_or_b32 s25, s25, s70
	s_and_not1_b32 exec_lo, exec_lo, s15
	s_cbranch_execz .LBB14_225
.LBB14_221:                             ;   Parent Loop BB14_32 Depth=1
                                        ; =>  This Inner Loop Header: Depth=2
	s_mov_b32 s70, exec_lo
	s_delay_alu instid0(VALU_DEP_1)
	v_cmpx_gt_u64_e64 s[12:13], v[6:7]
	s_cbranch_execz .LBB14_219
; %bb.222:                              ;   in Loop: Header=BB14_221 Depth=2
	ds_load_u8 v9, v8
	s_wait_dscnt 0x0
	v_bfe_i32 v10, v9, 0, 8
	s_delay_alu instid0(VALU_DEP_1) | instskip(NEXT) | instid1(VALU_DEP_1)
	v_add_nc_u32_e32 v10, 0x80, v10
	v_and_b32_e32 v10, v10, v43
	s_delay_alu instid0(VALU_DEP_1)
	v_cmp_eq_u32_e32 vcc_lo, v10, v22
	s_and_b32 exec_lo, exec_lo, vcc_lo
	s_cbranch_execz .LBB14_219
; %bb.223:                              ;   in Loop: Header=BB14_221 Depth=2
	v_lshlrev_b16 v9, 8, v9
	s_delay_alu instid0(VALU_DEP_1)
	v_or_b32_e32 v9, 1, v9
	ds_store_b16 v3, v9 offset:3072
	s_branch .LBB14_219
.LBB14_224:                             ;   in Loop: Header=BB14_221 Depth=2
	v_add_co_u32 v6, vcc_lo, v6, s68
	s_wait_alu 0xfffd
	v_add_co_ci_u32_e64 v7, null, 0, v7, vcc_lo
	v_add_nc_u32_e32 v8, s68, v8
	s_mov_b32 s84, 0
	s_delay_alu instid0(VALU_DEP_2)
	v_cmp_le_i64_e32 vcc_lo, s[6:7], v[6:7]
	s_or_not1_b32 s70, vcc_lo, exec_lo
	s_branch .LBB14_220
.LBB14_225:                             ;   in Loop: Header=BB14_32 Depth=1
	s_or_b32 exec_lo, exec_lo, s15
	v_and_b32_e32 v6, 0xffff, v9
	s_and_not1_b32 s6, s87, exec_lo
	s_wait_alu 0xfffe
	s_and_b32 s7, s25, exec_lo
	s_wait_alu 0xfffe
	s_or_b32 s87, s6, s7
	v_lshrrev_b32_e32 v44, 8, v6
.LBB14_226:                             ;   in Loop: Header=BB14_32 Depth=1
	s_or_b32 exec_lo, exec_lo, s14
	s_mov_b32 s25, 0
	s_mov_b32 s84, -1
.LBB14_227:                             ;   in Loop: Header=BB14_32 Depth=1
	s_wait_alu 0xfffe
	s_or_not1_b32 s6, s87, exec_lo
.LBB14_228:                             ;   in Loop: Header=BB14_32 Depth=1
	s_wait_alu 0xfffe
	s_or_b32 exec_lo, exec_lo, s86
	s_mov_b32 s7, 0
	s_and_saveexec_b32 s14, s6
	s_cbranch_execz .LBB14_286
; %bb.229:                              ;   in Loop: Header=BB14_32 Depth=1
	v_mov_b32_e32 v6, 1
	v_dual_mov_b32 v7, 0 :: v_dual_mov_b32 v2, 1
	s_xor_b32 s12, s85, -1
	s_wait_alu 0xfffe
	s_and_saveexec_b32 s6, s12
	s_cbranch_execz .LBB14_238
; %bb.230:                              ;   in Loop: Header=BB14_32 Depth=1
	s_mov_b32 s7, exec_lo
	v_cmpx_ge_i64_e64 s[10:11], v[4:5]
	s_wait_alu 0xfffe
	s_xor_b32 s7, exec_lo, s7
	s_cbranch_execz .LBB14_235
; %bb.231:                              ;   in Loop: Header=BB14_32 Depth=1
	ds_load_b64 v[6:7], v3 offset:5120
	s_lshl_b32 s12, 2, s67
	v_or_b32_e32 v43, s16, v43
	s_wait_alu 0xfffe
	v_and_or_b32 v22, v22, s20, s12
	s_wait_dscnt 0x0
	v_cmp_ne_u64_e32 vcc_lo, 0, v[6:7]
	s_cbranch_vccnz .LBB14_235
; %bb.232:                              ;   in Loop: Header=BB14_32 Depth=1
	s_and_saveexec_b32 s12, s2
; %bb.233:                              ;   in Loop: Header=BB14_32 Depth=1
	v_dual_mov_b32 v6, s10 :: v_dual_mov_b32 v7, s11
	ds_store_b64 v3, v[6:7] offset:5128
; %bb.234:                              ;   in Loop: Header=BB14_32 Depth=1
	s_wait_alu 0xfffe
	s_or_b32 exec_lo, exec_lo, s12
	s_wait_loadcnt_dscnt 0x0
	s_barrier_signal -1
	s_barrier_wait -1
	global_inv scope:SCOPE_SE
.LBB14_235:                             ;   in Loop: Header=BB14_32 Depth=1
	s_wait_alu 0xfffe
	s_or_saveexec_b32 s7, s7
	v_mov_b32_e32 v2, 8
	s_mov_b32 s12, 0
	s_wait_alu 0xfffe
	s_xor_b32 exec_lo, exec_lo, s7
; %bb.236:                              ;   in Loop: Header=BB14_32 Depth=1
	v_sub_co_u32 v4, vcc_lo, v4, s10
	s_wait_alu 0xfffd
	v_subrev_co_ci_u32_e64 v5, null, s11, v5, vcc_lo
	v_mov_b32_e32 v2, 0
	s_mov_b32 s12, exec_lo
; %bb.237:                              ;   in Loop: Header=BB14_32 Depth=1
	s_or_b32 exec_lo, exec_lo, s7
	s_delay_alu instid0(VALU_DEP_2)
	v_dual_mov_b32 v7, v5 :: v_dual_mov_b32 v6, v4
	s_wait_alu 0xfffe
	s_and_b32 s7, s12, exec_lo
.LBB14_238:                             ;   in Loop: Header=BB14_32 Depth=1
	s_wait_alu 0xfffe
	s_or_b32 exec_lo, exec_lo, s6
	s_mov_b32 s6, -1
                                        ; implicit-def: $sgpr87
                                        ; implicit-def: $sgpr86
	s_and_saveexec_b32 s15, s7
	s_cbranch_execz .LBB14_285
; %bb.239:                              ;   in Loop: Header=BB14_32 Depth=1
	v_cmp_eq_u64_e32 vcc_lo, 1, v[6:7]
	s_cmp_eq_u64 s[8:9], 1
	s_mov_b32 s7, -1
	s_cselect_b32 s6, -1, 0
                                        ; implicit-def: $sgpr87
                                        ; implicit-def: $sgpr86
	s_wait_alu 0xfffe
	s_and_b32 s20, s6, vcc_lo
	s_wait_alu 0xfffe
	s_and_saveexec_b32 s85, s20
	s_cbranch_execz .LBB14_273
; %bb.240:                              ;   in Loop: Header=BB14_32 Depth=1
	ds_load_b64 v[4:5], v3 offset:5120
	s_wait_loadcnt_dscnt 0x0
	s_barrier_signal -1
	s_barrier_wait -1
	global_inv scope:SCOPE_SE
	v_readfirstlane_b32 s10, v4
	v_readfirstlane_b32 s11, v5
	s_and_saveexec_b32 s6, s3
; %bb.241:                              ;   in Loop: Header=BB14_32 Depth=1
	ds_store_b8 v0, v3 offset:3072
; %bb.242:                              ;   in Loop: Header=BB14_32 Depth=1
	s_wait_alu 0xfffe
	s_or_b32 exec_lo, exec_lo, s6
	v_cmp_gt_i64_e64 s6, s[10:11], 0
	v_or_b32_e32 v22, s16, v22
	v_or_b32_e32 v43, s16, v43
	s_mov_b32 s86, -1
	s_mov_b32 s87, 0
	s_mov_b32 s88, 0
	s_and_b32 vcc_lo, exec_lo, s6
	s_wait_loadcnt_dscnt 0x0
	s_barrier_signal -1
	s_barrier_wait -1
	global_inv scope:SCOPE_SE
                                        ; implicit-def: $vgpr44
	s_wait_alu 0xfffe
	s_cbranch_vccnz .LBB14_258
; %bb.243:                              ;   in Loop: Header=BB14_32 Depth=1
	s_mov_b32 s6, s71
	s_mov_b32 s7, s79
	s_wait_alu 0xfffe
	s_cmp_lg_u64 s[6:7], 0
	s_cbranch_scc0 .LBB14_292
; %bb.244:                              ;   in Loop: Header=BB14_32 Depth=1
	s_add_nc_u64 s[6:7], s[68:69], 0
	s_wait_alu 0xfffe
	s_xor_b64 s[6:7], s[6:7], 0
	s_wait_alu 0xfffe
	s_cvt_f32_u32 s12, s6
	s_cvt_f32_u32 s13, s7
	s_sub_nc_u64 s[88:89], 0, s[6:7]
	s_wait_alu 0xfffe
	s_delay_alu instid0(SALU_CYCLE_1) | instskip(SKIP_1) | instid1(SALU_CYCLE_2)
	s_fmamk_f32 s12, s13, 0x4f800000, s12
	s_wait_alu 0xfffe
	v_s_rcp_f32 s12, s12
	s_delay_alu instid0(TRANS32_DEP_1) | instskip(SKIP_1) | instid1(SALU_CYCLE_2)
	s_mul_f32 s12, s12, 0x5f7ffffc
	s_wait_alu 0xfffe
	s_mul_f32 s13, s12, 0x2f800000
	s_wait_alu 0xfffe
	s_delay_alu instid0(SALU_CYCLE_2) | instskip(SKIP_1) | instid1(SALU_CYCLE_2)
	s_trunc_f32 s13, s13
	s_wait_alu 0xfffe
	s_fmamk_f32 s12, s13, 0xcf800000, s12
	s_cvt_u32_f32 s13, s13
	s_wait_alu 0xfffe
	s_delay_alu instid0(SALU_CYCLE_1) | instskip(SKIP_1) | instid1(SALU_CYCLE_2)
	s_cvt_u32_f32 s12, s12
	s_wait_alu 0xfffe
	s_mul_u64 s[90:91], s[88:89], s[12:13]
	s_wait_alu 0xfffe
	s_mul_hi_u32 s93, s12, s91
	s_mul_i32 s92, s12, s91
	s_mul_hi_u32 s70, s12, s90
	s_mul_i32 s95, s13, s90
	s_wait_alu 0xfffe
	s_add_nc_u64 s[92:93], s[70:71], s[92:93]
	s_mul_hi_u32 s94, s13, s90
	s_mul_hi_u32 s96, s13, s91
	s_wait_alu 0xfffe
	s_add_co_u32 s70, s92, s95
	s_add_co_ci_u32 s70, s93, s94
	s_mul_i32 s90, s13, s91
	s_add_co_ci_u32 s91, s96, 0
	s_wait_alu 0xfffe
	s_add_nc_u64 s[90:91], s[70:71], s[90:91]
	s_wait_alu 0xfffe
	s_add_co_u32 s12, s12, s90
	s_cselect_b32 s70, -1, 0
	s_wait_alu 0xfffe
	s_cmp_lg_u32 s70, 0
	s_add_co_ci_u32 s13, s13, s91
	s_wait_alu 0xfffe
	s_mul_u64 s[88:89], s[88:89], s[12:13]
	s_wait_alu 0xfffe
	s_mul_hi_u32 s91, s12, s89
	s_mul_i32 s90, s12, s89
	s_mul_hi_u32 s70, s12, s88
	s_mul_i32 s93, s13, s88
	s_wait_alu 0xfffe
	s_add_nc_u64 s[90:91], s[70:71], s[90:91]
	s_mul_hi_u32 s92, s13, s88
	s_mul_hi_u32 s94, s13, s89
	s_wait_alu 0xfffe
	s_add_co_u32 s70, s90, s93
	s_add_co_ci_u32 s70, s91, s92
	s_mul_i32 s88, s13, s89
	s_add_co_ci_u32 s89, s94, 0
	s_wait_alu 0xfffe
	s_add_nc_u64 s[88:89], s[70:71], s[88:89]
	s_wait_alu 0xfffe
	s_add_co_u32 s92, s12, s88
	s_cselect_b32 s12, -1, 0
	s_wait_alu 0xfffe
	s_cmp_lg_u32 s12, 0
	s_add_co_ci_u32 s93, s13, s89
	s_ashr_i32 s12, s79, 31
	s_wait_alu 0xfffe
	s_mov_b32 s13, s12
	s_wait_alu 0xfffe
	s_add_nc_u64 s[88:89], s[78:79], s[12:13]
	s_wait_alu 0xfffe
	s_xor_b64 s[88:89], s[88:89], s[12:13]
	s_wait_alu 0xfffe
	s_mul_hi_u32 s91, s88, s93
	s_mul_i32 s90, s88, s93
	s_mul_hi_u32 s70, s88, s92
	s_mul_i32 s96, s89, s92
	s_wait_alu 0xfffe
	s_add_nc_u64 s[90:91], s[70:71], s[90:91]
	s_mul_hi_u32 s95, s89, s92
	s_mul_hi_u32 s94, s89, s93
	s_wait_alu 0xfffe
	s_add_co_u32 s70, s90, s96
	s_add_co_ci_u32 s70, s91, s95
	s_mul_i32 s92, s89, s93
	s_add_co_ci_u32 s93, s94, 0
	s_wait_alu 0xfffe
	s_add_nc_u64 s[90:91], s[70:71], s[92:93]
	s_wait_alu 0xfffe
	s_mul_u64 s[90:91], s[6:7], s[90:91]
	s_wait_alu 0xfffe
	s_sub_co_u32 s70, s88, s90
	s_cselect_b32 s88, -1, 0
	s_sub_co_i32 s90, s89, s91
	s_wait_alu 0xfffe
	s_cmp_lg_u32 s88, 0
	s_sub_co_ci_u32 s90, s90, s7
	s_sub_co_u32 s92, s70, s6
	s_cselect_b32 s93, -1, 0
	s_wait_alu 0xfffe
	s_cmp_lg_u32 s93, 0
	s_sub_co_ci_u32 s94, s90, 0
	s_wait_alu 0xfffe
	s_cmp_ge_u32 s94, s7
	s_cselect_b32 s95, -1, 0
	s_cmp_ge_u32 s92, s6
	s_cselect_b32 s96, -1, 0
	s_cmp_eq_u32 s94, s7
	s_wait_alu 0xfffe
	s_cselect_b32 s95, s96, s95
	s_cmp_lg_u32 s93, 0
	s_sub_co_ci_u32 s90, s90, s7
	s_sub_co_u32 s93, s92, s6
	s_cselect_b32 s96, -1, 0
	s_wait_alu 0xfffe
	s_cmp_lg_u32 s96, 0
	s_sub_co_ci_u32 s90, s90, 0
	s_cmp_lg_u32 s95, 0
	s_cselect_b32 s92, s93, s92
	s_wait_alu 0xfffe
	s_cselect_b32 s90, s90, s94
	s_cmp_lg_u32 s88, 0
	s_sub_co_ci_u32 s88, s89, s91
	s_wait_alu 0xfffe
	s_cmp_ge_u32 s88, s7
	s_cselect_b32 s89, -1, 0
	s_cmp_ge_u32 s70, s6
	s_cselect_b32 s6, -1, 0
	s_cmp_eq_u32 s88, s7
	s_wait_alu 0xfffe
	s_cselect_b32 s6, s6, s89
	s_wait_alu 0xfffe
	s_cmp_lg_u32 s6, 0
	s_cselect_b32 s7, s90, s88
	s_cselect_b32 s6, s92, s70
	s_wait_alu 0xfffe
	s_xor_b64 s[6:7], s[6:7], s[12:13]
	s_wait_alu 0xfffe
	s_sub_nc_u64 s[6:7], s[6:7], s[12:13]
	s_cbranch_execnz .LBB14_246
.LBB14_245:                             ;   in Loop: Header=BB14_32 Depth=1
	v_cvt_f32_u32_e32 v4, s68
	s_sub_co_i32 s7, 0, s68
	s_delay_alu instid0(VALU_DEP_1) | instskip(NEXT) | instid1(TRANS32_DEP_1)
	v_rcp_iflag_f32_e32 v4, v4
	v_mul_f32_e32 v4, 0x4f7ffffe, v4
	s_delay_alu instid0(VALU_DEP_1) | instskip(NEXT) | instid1(VALU_DEP_1)
	v_cvt_u32_f32_e32 v4, v4
	v_readfirstlane_b32 s6, v4
	s_wait_alu 0xfffe
	s_mul_i32 s7, s7, s6
	s_wait_alu 0xfffe
	s_mul_hi_u32 s7, s6, s7
	s_wait_alu 0xfffe
	s_add_co_i32 s6, s6, s7
	s_wait_alu 0xfffe
	s_mul_hi_u32 s6, s78, s6
	s_wait_alu 0xfffe
	s_mul_i32 s6, s6, s68
	s_wait_alu 0xfffe
	s_sub_co_i32 s6, s78, s6
	s_wait_alu 0xfffe
	s_sub_co_i32 s7, s6, s68
	s_cmp_ge_u32 s6, s68
	s_wait_alu 0xfffe
	s_cselect_b32 s6, s7, s6
	s_wait_alu 0xfffe
	s_sub_co_i32 s7, s6, s68
	s_cmp_ge_u32 s6, s68
	s_wait_alu 0xfffe
	s_cselect_b32 s70, s7, s6
	s_wait_alu 0xfffe
	s_mov_b64 s[6:7], s[70:71]
.LBB14_246:                             ;   in Loop: Header=BB14_32 Depth=1
	s_wait_alu 0xfffe
	s_sub_nc_u64 s[12:13], s[78:79], s[6:7]
	s_mov_b32 s7, 0
	s_mov_b32 s88, 0
	s_mov_b32 s70, exec_lo
                                        ; implicit-def: $vgpr44
	s_wait_alu 0xfffe
	v_cmpx_gt_i64_e64 s[12:13], v[0:1]
	s_cbranch_execz .LBB14_257
; %bb.247:                              ;   in Loop: Header=BB14_32 Depth=1
	v_dual_mov_b32 v4, v12 :: v_dual_mov_b32 v5, v13
	v_dual_mov_b32 v9, v1 :: v_dual_mov_b32 v8, v0
                                        ; implicit-def: $sgpr89
	s_branch .LBB14_250
.LBB14_248:                             ;   in Loop: Header=BB14_250 Depth=2
	s_wait_alu 0xfffe
	s_or_b32 exec_lo, exec_lo, s6
	s_wait_loadcnt_dscnt 0x0
	s_barrier_signal -1
	s_barrier_wait -1
	global_inv scope:SCOPE_SE
	ds_load_u16 v10, v3 offset:3072
	s_mov_b32 s6, -1
	s_mov_b32 s90, -1
	s_wait_loadcnt_dscnt 0x0
	s_barrier_signal -1
	s_barrier_wait -1
	global_inv scope:SCOPE_SE
	v_and_b32_e32 v11, 0xff, v10
	s_delay_alu instid0(VALU_DEP_1)
	v_cmp_ne_u32_e32 vcc_lo, 0, v11
	s_cbranch_vccz .LBB14_253
.LBB14_249:                             ;   in Loop: Header=BB14_250 Depth=2
	s_wait_alu 0xfffe
	s_and_b32 s6, exec_lo, s6
	s_wait_alu 0xfffe
	s_or_b32 s88, s6, s88
	s_and_not1_b32 s6, s89, exec_lo
	s_and_b32 s89, s90, exec_lo
	s_wait_alu 0xfffe
	s_or_b32 s89, s6, s89
	s_and_not1_b32 exec_lo, exec_lo, s88
	s_cbranch_execz .LBB14_256
.LBB14_250:                             ;   Parent Loop BB14_32 Depth=1
                                        ; =>  This Inner Loop Header: Depth=2
	s_mov_b32 s6, exec_lo
	s_delay_alu instid0(VALU_DEP_1)
	v_cmpx_gt_i64_e64 s[36:37], v[8:9]
	s_cbranch_execz .LBB14_248
; %bb.251:                              ;   in Loop: Header=BB14_250 Depth=2
	global_load_u8 v10, v[4:5], off
	s_wait_loadcnt 0x0
	v_bfe_i32 v11, v10, 0, 8
	s_delay_alu instid0(VALU_DEP_1) | instskip(NEXT) | instid1(VALU_DEP_1)
	v_add_nc_u32_e32 v11, 0x80, v11
	v_and_b32_e32 v11, v11, v43
	s_delay_alu instid0(VALU_DEP_1)
	v_cmp_eq_u32_e32 vcc_lo, v11, v22
	s_and_b32 exec_lo, exec_lo, vcc_lo
	s_cbranch_execz .LBB14_248
; %bb.252:                              ;   in Loop: Header=BB14_250 Depth=2
	v_lshlrev_b16 v10, 8, v10
	s_delay_alu instid0(VALU_DEP_1)
	v_or_b32_e32 v10, 1, v10
	ds_store_b16 v3, v10 offset:3072
	s_branch .LBB14_248
.LBB14_253:                             ;   in Loop: Header=BB14_250 Depth=2
	v_add_co_u32 v8, vcc_lo, v8, s68
	s_wait_alu 0xfffd
	v_add_co_ci_u32_e64 v9, null, 0, v9, vcc_lo
	v_add_co_u32 v4, s6, v4, s72
	s_wait_alu 0xf1fe
	v_add_co_ci_u32_e64 v5, null, s73, v5, s6
	s_delay_alu instid0(VALU_DEP_3)
	v_cmp_le_i64_e32 vcc_lo, s[12:13], v[8:9]
	s_mov_b32 s90, 0
	s_or_not1_b32 s6, vcc_lo, exec_lo
	s_branch .LBB14_249
.LBB14_254:                             ;   in Loop: Header=BB14_32 Depth=1
                                        ; implicit-def: $sgpr6_sgpr7
	s_branch .LBB14_200
.LBB14_255:                             ;   in Loop: Header=BB14_32 Depth=1
                                        ; implicit-def: $sgpr14_sgpr15
	s_branch .LBB14_216
.LBB14_256:                             ;   in Loop: Header=BB14_32 Depth=1
	s_or_b32 exec_lo, exec_lo, s88
	v_and_b32_e32 v4, 0xffff, v10
	s_wait_alu 0xfffe
	s_and_b32 s88, s89, exec_lo
	s_delay_alu instid0(VALU_DEP_1)
	v_lshrrev_b32_e32 v44, 8, v4
.LBB14_257:                             ;   in Loop: Header=BB14_32 Depth=1
	s_or_b32 exec_lo, exec_lo, s70
.LBB14_258:                             ;   in Loop: Header=BB14_32 Depth=1
	s_delay_alu instid0(SALU_CYCLE_1)
	s_and_b32 vcc_lo, exec_lo, s7
	s_wait_alu 0xfffe
	s_cbranch_vccz .LBB14_272
; %bb.259:                              ;   in Loop: Header=BB14_32 Depth=1
	s_add_nc_u64 s[6:7], s[10:11], s[76:77]
	s_mov_b32 s12, s71
	s_wait_alu 0xfffe
	s_mov_b32 s13, s7
	s_wait_alu 0xfffe
	s_cmp_lg_u64 s[12:13], 0
	s_cbranch_scc0 .LBB14_293
; %bb.260:                              ;   in Loop: Header=BB14_32 Depth=1
	s_add_nc_u64 s[12:13], s[68:69], 0
	s_wait_alu 0xfffe
	s_xor_b64 s[12:13], s[12:13], 0
	s_wait_alu 0xfffe
	s_cvt_f32_u32 s70, s12
	s_cvt_f32_u32 s86, s13
	s_sub_nc_u64 s[90:91], 0, s[12:13]
	s_wait_alu 0xfffe
	s_delay_alu instid0(SALU_CYCLE_1) | instskip(SKIP_1) | instid1(SALU_CYCLE_2)
	s_fmamk_f32 s70, s86, 0x4f800000, s70
	s_wait_alu 0xfffe
	v_s_rcp_f32 s70, s70
	s_delay_alu instid0(TRANS32_DEP_1) | instskip(SKIP_1) | instid1(SALU_CYCLE_2)
	s_mul_f32 s70, s70, 0x5f7ffffc
	s_wait_alu 0xfffe
	s_mul_f32 s86, s70, 0x2f800000
	s_wait_alu 0xfffe
	s_delay_alu instid0(SALU_CYCLE_2) | instskip(SKIP_1) | instid1(SALU_CYCLE_2)
	s_trunc_f32 s86, s86
	s_wait_alu 0xfffe
	s_fmamk_f32 s70, s86, 0xcf800000, s70
	s_cvt_u32_f32 s87, s86
	s_wait_alu 0xfffe
	s_delay_alu instid0(SALU_CYCLE_1) | instskip(SKIP_1) | instid1(SALU_CYCLE_2)
	s_cvt_u32_f32 s86, s70
	s_wait_alu 0xfffe
	s_mul_u64 s[92:93], s[90:91], s[86:87]
	s_wait_alu 0xfffe
	s_mul_hi_u32 s95, s86, s93
	s_mul_i32 s94, s86, s93
	s_mul_hi_u32 s70, s86, s92
	s_mul_i32 s96, s87, s92
	s_wait_alu 0xfffe
	s_add_nc_u64 s[94:95], s[70:71], s[94:95]
	s_mul_hi_u32 s89, s87, s92
	s_mul_hi_u32 s97, s87, s93
	s_wait_alu 0xfffe
	s_add_co_u32 s70, s94, s96
	s_add_co_ci_u32 s70, s95, s89
	s_mul_i32 s92, s87, s93
	s_add_co_ci_u32 s93, s97, 0
	s_wait_alu 0xfffe
	s_add_nc_u64 s[92:93], s[70:71], s[92:93]
	s_wait_alu 0xfffe
	s_add_co_u32 s86, s86, s92
	s_cselect_b32 s70, -1, 0
	s_wait_alu 0xfffe
	s_cmp_lg_u32 s70, 0
	s_add_co_ci_u32 s87, s87, s93
	s_wait_alu 0xfffe
	s_mul_u64 s[90:91], s[90:91], s[86:87]
	s_wait_alu 0xfffe
	s_mul_hi_u32 s93, s86, s91
	s_mul_i32 s92, s86, s91
	s_mul_hi_u32 s70, s86, s90
	s_mul_i32 s94, s87, s90
	s_wait_alu 0xfffe
	s_add_nc_u64 s[92:93], s[70:71], s[92:93]
	s_mul_hi_u32 s89, s87, s90
	s_mul_hi_u32 s95, s87, s91
	s_wait_alu 0xfffe
	s_add_co_u32 s70, s92, s94
	s_add_co_ci_u32 s70, s93, s89
	s_mul_i32 s90, s87, s91
	s_add_co_ci_u32 s91, s95, 0
	s_wait_alu 0xfffe
	s_add_nc_u64 s[90:91], s[70:71], s[90:91]
	s_wait_alu 0xfffe
	s_add_co_u32 s89, s86, s90
	s_cselect_b32 s70, -1, 0
	s_wait_alu 0xfffe
	s_cmp_lg_u32 s70, 0
	s_add_co_ci_u32 s94, s87, s91
	s_ashr_i32 s86, s7, 31
	s_wait_alu 0xfffe
	s_mov_b32 s87, s86
	s_wait_alu 0xfffe
	s_add_nc_u64 s[90:91], s[6:7], s[86:87]
	s_wait_alu 0xfffe
	s_xor_b64 s[90:91], s[90:91], s[86:87]
	s_wait_alu 0xfffe
	s_mul_hi_u32 s93, s90, s94
	s_mul_i32 s92, s90, s94
	s_mul_hi_u32 s70, s90, s89
	s_mul_hi_u32 s96, s91, s89
	s_mul_i32 s89, s91, s89
	s_wait_alu 0xfffe
	s_add_nc_u64 s[92:93], s[70:71], s[92:93]
	s_mul_hi_u32 s95, s91, s94
	s_wait_alu 0xfffe
	s_add_co_u32 s70, s92, s89
	s_add_co_ci_u32 s70, s93, s96
	s_mul_i32 s94, s91, s94
	s_add_co_ci_u32 s95, s95, 0
	s_wait_alu 0xfffe
	s_add_nc_u64 s[92:93], s[70:71], s[94:95]
	s_wait_alu 0xfffe
	s_mul_u64 s[92:93], s[12:13], s[92:93]
	s_wait_alu 0xfffe
	s_sub_co_u32 s70, s90, s92
	s_cselect_b32 s89, -1, 0
	s_sub_co_i32 s90, s91, s93
	s_wait_alu 0xfffe
	s_cmp_lg_u32 s89, 0
	s_sub_co_ci_u32 s90, s90, s13
	s_sub_co_u32 s92, s70, s12
	s_cselect_b32 s94, -1, 0
	s_wait_alu 0xfffe
	s_cmp_lg_u32 s94, 0
	s_sub_co_ci_u32 s95, s90, 0
	s_wait_alu 0xfffe
	s_cmp_ge_u32 s95, s13
	s_cselect_b32 s96, -1, 0
	s_cmp_ge_u32 s92, s12
	s_cselect_b32 s97, -1, 0
	s_cmp_eq_u32 s95, s13
	s_wait_alu 0xfffe
	s_cselect_b32 s96, s97, s96
	s_cmp_lg_u32 s94, 0
	s_sub_co_ci_u32 s90, s90, s13
	s_sub_co_u32 s94, s92, s12
	s_cselect_b32 s97, -1, 0
	s_wait_alu 0xfffe
	s_cmp_lg_u32 s97, 0
	s_sub_co_ci_u32 s90, s90, 0
	s_cmp_lg_u32 s96, 0
	s_cselect_b32 s92, s94, s92
	s_wait_alu 0xfffe
	s_cselect_b32 s90, s90, s95
	s_cmp_lg_u32 s89, 0
	s_sub_co_ci_u32 s89, s91, s93
	s_wait_alu 0xfffe
	s_cmp_ge_u32 s89, s13
	s_cselect_b32 s91, -1, 0
	s_cmp_ge_u32 s70, s12
	s_cselect_b32 s12, -1, 0
	s_cmp_eq_u32 s89, s13
	s_wait_alu 0xfffe
	s_cselect_b32 s12, s12, s91
	s_wait_alu 0xfffe
	s_cmp_lg_u32 s12, 0
	s_cselect_b32 s13, s90, s89
	s_cselect_b32 s12, s92, s70
	s_wait_alu 0xfffe
	s_xor_b64 s[12:13], s[12:13], s[86:87]
	s_wait_alu 0xfffe
	s_sub_nc_u64 s[12:13], s[12:13], s[86:87]
	s_cbranch_execnz .LBB14_262
.LBB14_261:                             ;   in Loop: Header=BB14_32 Depth=1
	v_cvt_f32_u32_e32 v4, s68
	s_sub_co_i32 s13, 0, s68
	s_delay_alu instid0(VALU_DEP_1) | instskip(NEXT) | instid1(TRANS32_DEP_1)
	v_rcp_iflag_f32_e32 v4, v4
	v_mul_f32_e32 v4, 0x4f7ffffe, v4
	s_delay_alu instid0(VALU_DEP_1) | instskip(NEXT) | instid1(VALU_DEP_1)
	v_cvt_u32_f32_e32 v4, v4
	v_readfirstlane_b32 s12, v4
	s_wait_alu 0xfffe
	s_mul_i32 s13, s13, s12
	s_wait_alu 0xfffe
	s_mul_hi_u32 s13, s12, s13
	s_wait_alu 0xfffe
	s_add_co_i32 s12, s12, s13
	s_wait_alu 0xfffe
	s_mul_hi_u32 s12, s6, s12
	s_wait_alu 0xfffe
	s_mul_i32 s12, s12, s68
	s_wait_alu 0xfffe
	s_sub_co_i32 s12, s6, s12
	s_wait_alu 0xfffe
	s_sub_co_i32 s13, s12, s68
	s_cmp_ge_u32 s12, s68
	s_wait_alu 0xfffe
	s_cselect_b32 s12, s13, s12
	s_wait_alu 0xfffe
	s_sub_co_i32 s13, s12, s68
	s_cmp_ge_u32 s12, s68
	s_wait_alu 0xfffe
	s_cselect_b32 s70, s13, s12
	s_wait_alu 0xfffe
	s_mov_b64 s[12:13], s[70:71]
.LBB14_262:                             ;   in Loop: Header=BB14_32 Depth=1
	s_wait_alu 0xfffe
	s_sub_nc_u64 s[6:7], s[6:7], s[12:13]
	s_mov_b32 s12, exec_lo
                                        ; implicit-def: $vgpr44
	s_wait_alu 0xfffe
	v_cmpx_gt_i64_e64 s[6:7], v[0:1]
	s_cbranch_execz .LBB14_271
; %bb.263:                              ;   in Loop: Header=BB14_32 Depth=1
	v_dual_mov_b32 v8, v0 :: v_dual_mov_b32 v5, v1
	v_mov_b32_e32 v4, v0
	s_mov_b32 s13, 0
                                        ; implicit-def: $sgpr70
	s_branch .LBB14_266
.LBB14_264:                             ;   in Loop: Header=BB14_266 Depth=2
	s_wait_alu 0xfffe
	s_or_b32 exec_lo, exec_lo, s86
	s_wait_loadcnt_dscnt 0x0
	s_barrier_signal -1
	s_barrier_wait -1
	global_inv scope:SCOPE_SE
	ds_load_u16 v9, v3 offset:3072
	s_mov_b32 s86, -1
	s_mov_b32 s87, -1
	s_wait_loadcnt_dscnt 0x0
	s_barrier_signal -1
	s_barrier_wait -1
	global_inv scope:SCOPE_SE
	v_and_b32_e32 v10, 0xff, v9
	s_delay_alu instid0(VALU_DEP_1)
	v_cmp_eq_u32_e32 vcc_lo, 0, v10
	s_cbranch_vccnz .LBB14_269
.LBB14_265:                             ;   in Loop: Header=BB14_266 Depth=2
	s_wait_alu 0xfffe
	s_and_b32 s86, exec_lo, s86
	s_wait_alu 0xfffe
	s_or_b32 s13, s86, s13
	s_and_not1_b32 s70, s70, exec_lo
	s_and_b32 s86, s87, exec_lo
	s_wait_alu 0xfffe
	s_or_b32 s70, s70, s86
	s_and_not1_b32 exec_lo, exec_lo, s13
	s_cbranch_execz .LBB14_270
.LBB14_266:                             ;   Parent Loop BB14_32 Depth=1
                                        ; =>  This Inner Loop Header: Depth=2
	s_mov_b32 s86, exec_lo
	s_delay_alu instid0(VALU_DEP_1)
	v_cmpx_gt_u64_e64 s[10:11], v[4:5]
	s_cbranch_execz .LBB14_264
; %bb.267:                              ;   in Loop: Header=BB14_266 Depth=2
	ds_load_u8 v9, v8
	s_wait_dscnt 0x0
	v_bfe_i32 v10, v9, 0, 8
	s_delay_alu instid0(VALU_DEP_1) | instskip(NEXT) | instid1(VALU_DEP_1)
	v_add_nc_u32_e32 v10, 0x80, v10
	v_and_b32_e32 v10, v10, v43
	s_delay_alu instid0(VALU_DEP_1)
	v_cmp_eq_u32_e32 vcc_lo, v10, v22
	s_and_b32 exec_lo, exec_lo, vcc_lo
	s_cbranch_execz .LBB14_264
; %bb.268:                              ;   in Loop: Header=BB14_266 Depth=2
	v_lshlrev_b16 v9, 8, v9
	s_delay_alu instid0(VALU_DEP_1)
	v_or_b32_e32 v9, 1, v9
	ds_store_b16 v3, v9 offset:3072
	s_branch .LBB14_264
.LBB14_269:                             ;   in Loop: Header=BB14_266 Depth=2
	v_add_co_u32 v4, vcc_lo, v4, s68
	s_wait_alu 0xfffd
	v_add_co_ci_u32_e64 v5, null, 0, v5, vcc_lo
	v_add_nc_u32_e32 v8, s68, v8
	s_mov_b32 s87, 0
	s_delay_alu instid0(VALU_DEP_2)
	v_cmp_le_i64_e32 vcc_lo, s[6:7], v[4:5]
	s_or_not1_b32 s86, vcc_lo, exec_lo
	s_branch .LBB14_265
.LBB14_270:                             ;   in Loop: Header=BB14_32 Depth=1
	s_or_b32 exec_lo, exec_lo, s13
	v_and_b32_e32 v4, 0xffff, v9
	s_and_not1_b32 s6, s88, exec_lo
	s_wait_alu 0xfffe
	s_and_b32 s7, s70, exec_lo
	s_wait_alu 0xfffe
	s_or_b32 s88, s6, s7
	v_lshrrev_b32_e32 v44, 8, v4
.LBB14_271:                             ;   in Loop: Header=BB14_32 Depth=1
	s_or_b32 exec_lo, exec_lo, s12
	s_mov_b32 s86, 0
	s_mov_b32 s87, -1
.LBB14_272:                             ;   in Loop: Header=BB14_32 Depth=1
	s_wait_alu 0xfffe
	s_or_not1_b32 s7, s88, exec_lo
.LBB14_273:                             ;   in Loop: Header=BB14_32 Depth=1
	s_wait_alu 0xfffe
	s_or_b32 exec_lo, exec_lo, s85
	s_mov_b32 s10, 0
	s_and_saveexec_b32 s6, s7
	s_cbranch_execz .LBB14_284
; %bb.274:                              ;   in Loop: Header=BB14_32 Depth=1
	v_mov_b32_e32 v4, 1
	v_dual_mov_b32 v5, 0 :: v_dual_mov_b32 v2, 1
	s_xor_b32 s10, s20, -1
	s_wait_alu 0xfffe
	s_and_saveexec_b32 s7, s10
	s_cbranch_execz .LBB14_283
; %bb.275:                              ;   in Loop: Header=BB14_32 Depth=1
	s_mov_b32 s10, exec_lo
	v_cmpx_ge_i64_e64 s[8:9], v[6:7]
	s_wait_alu 0xfffe
	s_xor_b32 s10, exec_lo, s10
	s_cbranch_execz .LBB14_280
; %bb.276:                              ;   in Loop: Header=BB14_32 Depth=1
	ds_load_b64 v[4:5], v3 offset:5120
	v_or_b32_e32 v22, s16, v22
	v_or_b32_e32 v43, s16, v43
	s_wait_dscnt 0x0
	v_cmp_ne_u64_e32 vcc_lo, 0, v[4:5]
	s_cbranch_vccnz .LBB14_280
; %bb.277:                              ;   in Loop: Header=BB14_32 Depth=1
	s_and_saveexec_b32 s11, s2
; %bb.278:                              ;   in Loop: Header=BB14_32 Depth=1
	v_dual_mov_b32 v4, s8 :: v_dual_mov_b32 v5, s9
	ds_store_b64 v3, v[4:5] offset:5128
; %bb.279:                              ;   in Loop: Header=BB14_32 Depth=1
	s_wait_alu 0xfffe
	s_or_b32 exec_lo, exec_lo, s11
	s_wait_loadcnt_dscnt 0x0
	s_barrier_signal -1
	s_barrier_wait -1
	global_inv scope:SCOPE_SE
.LBB14_280:                             ;   in Loop: Header=BB14_32 Depth=1
	s_wait_alu 0xfffe
	s_and_not1_saveexec_b32 s10, s10
; %bb.281:                              ;   in Loop: Header=BB14_32 Depth=1
	v_sub_co_u32 v6, vcc_lo, v6, s8
	s_wait_alu 0xfffd
	v_subrev_co_ci_u32_e64 v7, null, s9, v7, vcc_lo
; %bb.282:                              ;   in Loop: Header=BB14_32 Depth=1
	s_wait_alu 0xfffe
	s_or_b32 exec_lo, exec_lo, s10
	v_mov_b32_e32 v4, v6
	s_delay_alu instid0(VALU_DEP_2)
	v_dual_mov_b32 v2, 8 :: v_dual_mov_b32 v5, v7
.LBB14_283:                             ;   in Loop: Header=BB14_32 Depth=1
	s_wait_alu 0xfffe
	s_or_b32 exec_lo, exec_lo, s7
	s_delay_alu instid0(VALU_DEP_1)
	v_dual_mov_b32 v7, v5 :: v_dual_mov_b32 v6, v4
	s_mov_b32 s10, exec_lo
.LBB14_284:                             ;   in Loop: Header=BB14_32 Depth=1
	s_wait_alu 0xfffe
	s_or_b32 exec_lo, exec_lo, s6
	s_delay_alu instid0(SALU_CYCLE_1)
	s_or_not1_b32 s6, s10, exec_lo
.LBB14_285:                             ;   in Loop: Header=BB14_32 Depth=1
	s_wait_alu 0xfffe
	s_or_b32 exec_lo, exec_lo, s15
	v_dual_mov_b32 v4, v6 :: v_dual_mov_b32 v5, v7
	s_and_not1_b32 s7, s84, exec_lo
	s_and_b32 s8, s87, exec_lo
	s_and_not1_b32 s9, s25, exec_lo
	s_and_b32 s10, s86, exec_lo
	s_wait_alu 0xfffe
	s_or_b32 s84, s7, s8
	s_or_b32 s25, s9, s10
	s_and_b32 s7, s6, exec_lo
.LBB14_286:                             ;   in Loop: Header=BB14_32 Depth=1
	s_wait_alu 0xfffe
	s_or_b32 exec_lo, exec_lo, s14
	s_delay_alu instid0(SALU_CYCLE_1)
	s_or_not1_b32 s6, s7, exec_lo
.LBB14_287:                             ;   in Loop: Header=BB14_32 Depth=1
	s_wait_alu 0xfffe
	s_or_b32 exec_lo, exec_lo, s24
	v_dual_mov_b32 v9, v5 :: v_dual_mov_b32 v8, v4
	s_and_not1_b32 s7, s22, exec_lo
	s_and_b32 s8, s84, exec_lo
	s_and_not1_b32 s9, s21, exec_lo
	s_and_b32 s10, s25, exec_lo
	s_wait_alu 0xfffe
	s_or_b32 s22, s7, s8
	s_or_b32 s21, s9, s10
	s_and_b32 s7, s6, exec_lo
.LBB14_288:                             ;   in Loop: Header=BB14_32 Depth=1
	s_wait_alu 0xfffe
	s_or_b32 exec_lo, exec_lo, s23
	s_delay_alu instid0(SALU_CYCLE_1)
	s_or_not1_b32 s6, s7, exec_lo
.LBB14_289:                             ;   in Loop: Header=BB14_32 Depth=1
	s_wait_alu 0xfffe
	s_or_b32 exec_lo, exec_lo, s19
	s_mov_b32 s7, 0
	s_and_saveexec_b32 s8, s6
	s_wait_alu 0xfffe
	s_xor_b32 s6, exec_lo, s8
	s_cbranch_execz .LBB14_30
; %bb.290:                              ;   in Loop: Header=BB14_32 Depth=1
	v_and_b32_e32 v2, 7, v2
	s_mov_b32 s8, -1
	s_mov_b32 s7, -1
	s_mov_b32 s9, exec_lo
	s_delay_alu instid0(VALU_DEP_1)
	v_cmpx_eq_u32_e32 0, v2
	s_cbranch_execz .LBB14_29
; %bb.291:                              ;   in Loop: Header=BB14_32 Depth=1
	s_xor_b32 s50, s50, 1
	s_add_co_i32 s10, s67, -2
	s_cmp_eq_u32 s67, 0
	s_wait_alu 0xfffe
	s_mov_b32 s67, s10
	s_cselect_b32 s8, -1, 0
	s_xor_b32 s7, exec_lo, -1
	s_wait_alu 0xfffe
	s_or_not1_b32 s8, s8, exec_lo
	s_branch .LBB14_29
.LBB14_292:                             ;   in Loop: Header=BB14_32 Depth=1
                                        ; implicit-def: $sgpr6_sgpr7
	s_branch .LBB14_245
.LBB14_293:                             ;   in Loop: Header=BB14_32 Depth=1
                                        ; implicit-def: $sgpr12_sgpr13
	s_branch .LBB14_261
.LBB14_294:
	s_or_b32 exec_lo, exec_lo, s49
	s_wait_alu 0xfffe
	s_xor_b32 s5, s5, -1
	s_xor_b32 s1, s54, -1
	;; [unrolled: 1-line block ×3, first 2 shown]
	s_mov_b32 s3, 0
	s_wait_alu 0xfffe
	s_and_saveexec_b32 s6, s1
	s_wait_alu 0xfffe
	s_xor_b32 s1, exec_lo, s6
	s_cbranch_execnz .LBB14_299
; %bb.295:
	s_wait_alu 0xfffe
	s_and_not1_saveexec_b32 s0, s1
	s_cbranch_execnz .LBB14_321
.LBB14_296:
	s_wait_alu 0xfffe
	s_or_b32 exec_lo, exec_lo, s0
	s_and_saveexec_b32 s0, s3
.LBB14_297:
	; divergent unreachable
.LBB14_298:
	s_endpgm
.LBB14_299:
	s_and_saveexec_b32 s3, s5
	s_wait_alu 0xfffe
	s_xor_b32 s3, exec_lo, s3
	s_cbranch_execz .LBB14_319
; %bb.300:
	s_and_saveexec_b32 s5, s4
	s_wait_alu 0xfffe
	s_xor_b32 s4, exec_lo, s5
; %bb.301:
	v_xor_b32_e32 v44, 0xffffff80, v22
; %bb.302:
	s_wait_alu 0xfffe
	s_or_b32 exec_lo, exec_lo, s4
	s_and_saveexec_b32 s4, s2
; %bb.303:
	v_dual_mov_b32 v2, 0 :: v_dual_mov_b32 v3, s36
	ds_store_b32 v2, v3 offset:5140
; %bb.304:
	s_wait_alu 0xfffe
	s_or_b32 exec_lo, exec_lo, s4
	s_wait_loadcnt_dscnt 0x0
	s_barrier_signal -1
	s_barrier_wait -1
	global_inv scope:SCOPE_SE
	s_and_saveexec_b32 s4, s0
	s_cbranch_execz .LBB14_316
; %bb.305:
	v_mov_b32_e32 v2, 0
	v_and_b32_e32 v6, 0xff, v44
	s_mov_b32 s5, 0
                                        ; implicit-def: $sgpr6
                                        ; implicit-def: $sgpr7
                                        ; implicit-def: $sgpr8
	ds_load_b32 v4, v2 offset:5140
	s_wait_dscnt 0x0
	v_ashrrev_i32_e32 v5, 31, v4
	s_branch .LBB14_308
.LBB14_306:                             ;   in Loop: Header=BB14_308 Depth=1
	s_wait_alu 0xfffe
	s_or_b32 exec_lo, exec_lo, s11
	s_delay_alu instid0(SALU_CYCLE_1)
	s_and_not1_b32 s8, s8, exec_lo
	s_and_b32 s10, s10, exec_lo
	s_and_not1_b32 s7, s7, exec_lo
	s_and_b32 s0, s0, exec_lo
	s_wait_alu 0xfffe
	s_or_b32 s8, s8, s10
	s_or_b32 s7, s7, s0
.LBB14_307:                             ;   in Loop: Header=BB14_308 Depth=1
	s_wait_alu 0xfffe
	s_or_b32 exec_lo, exec_lo, s9
	s_delay_alu instid0(SALU_CYCLE_1)
	s_and_b32 s0, exec_lo, s7
	s_wait_alu 0xfffe
	s_or_b32 s5, s0, s5
	s_and_not1_b32 s0, s6, exec_lo
	s_and_b32 s6, s8, exec_lo
	s_wait_alu 0xfffe
	s_or_b32 s6, s0, s6
	s_and_not1_b32 exec_lo, exec_lo, s5
	s_cbranch_execz .LBB14_311
.LBB14_308:                             ; =>This Inner Loop Header: Depth=1
	v_dual_mov_b32 v3, v1 :: v_dual_mov_b32 v2, v0
	s_or_b32 s8, s8, exec_lo
	s_or_b32 s7, s7, exec_lo
	s_mov_b32 s9, exec_lo
                                        ; implicit-def: $vgpr0_vgpr1
	s_delay_alu instid0(VALU_DEP_1)
	v_cmpx_lt_i64_e64 v[2:3], v[4:5]
	s_cbranch_execz .LBB14_307
; %bb.309:                              ;   in Loop: Header=BB14_308 Depth=1
	global_load_u8 v0, v[12:13], off
	s_mov_b32 s0, -1
	s_mov_b32 s10, 0
	s_wait_loadcnt 0x0
	v_cmp_ne_u16_e32 vcc_lo, v0, v6
                                        ; implicit-def: $vgpr0_vgpr1
	s_and_saveexec_b32 s11, vcc_lo
	s_cbranch_execz .LBB14_306
; %bb.310:                              ;   in Loop: Header=BB14_308 Depth=1
	v_add_co_u32 v0, vcc_lo, v2, s68
	s_wait_alu 0xfffd
	v_add_co_ci_u32_e64 v1, null, 0, v3, vcc_lo
	v_add_co_u32 v12, s0, v12, s72
	s_wait_alu 0xf1fe
	v_add_co_ci_u32_e64 v13, null, s73, v13, s0
	s_delay_alu instid0(VALU_DEP_3)
	v_cmp_le_i64_e32 vcc_lo, s[36:37], v[0:1]
	s_mov_b32 s10, exec_lo
	s_or_not1_b32 s0, vcc_lo, exec_lo
	s_branch .LBB14_306
.LBB14_311:
	s_or_b32 exec_lo, exec_lo, s5
	s_wait_alu 0xfffe
	s_xor_b32 s0, s6, -1
	s_wait_alu 0xfffe
	s_and_saveexec_b32 s5, s0
	s_wait_alu 0xfffe
	s_xor_b32 s5, exec_lo, s5
	s_cbranch_execz .LBB14_316
; %bb.312:
	s_mov_b32 s5, exec_lo
	s_brev_b32 s0, -2
.LBB14_313:                             ; =>This Inner Loop Header: Depth=1
	s_wait_alu 0xfffe
	s_ctz_i32_b32 s6, s5
	s_wait_alu 0xfffe
	v_readlane_b32 s7, v2, s6
	s_lshl_b32 s6, 1, s6
	s_wait_alu 0xfffe
	s_and_not1_b32 s5, s5, s6
	s_min_i32 s0, s0, s7
	s_wait_alu 0xfffe
	s_cmp_lg_u32 s5, 0
	s_cbranch_scc1 .LBB14_313
; %bb.314:
	v_mbcnt_lo_u32_b32 v0, exec_lo, 0
	s_mov_b32 s5, exec_lo
	s_delay_alu instid0(VALU_DEP_1)
	v_cmpx_eq_u32_e32 0, v0
	s_wait_alu 0xfffe
	s_xor_b32 s5, exec_lo, s5
; %bb.315:
	v_dual_mov_b32 v0, 0 :: v_dual_mov_b32 v1, s0
	ds_min_i32 v0, v1 offset:5140
.LBB14_316:
	s_wait_alu 0xfffe
	s_or_b32 exec_lo, exec_lo, s4
	s_wait_loadcnt_dscnt 0x0
	s_barrier_signal -1
	s_barrier_wait -1
	global_inv scope:SCOPE_SE
	s_and_saveexec_b32 s0, s2
	s_cbranch_execz .LBB14_318
; %bb.317:
	v_readlane_b32 s16, v61, 2
	v_readlane_b32 s17, v61, 3
	;; [unrolled: 1-line block ×4, first 2 shown]
	v_mov_b32_e32 v2, 0
	s_mul_u64 s[4:5], s[56:57], s[46:47]
	s_mul_u64 s[14:15], s[62:63], s[16:17]
	v_readlane_b32 s16, v61, 14
	v_readlane_b32 s17, v61, 15
	s_mul_u64 s[8:9], s[40:41], s[20:21]
	ds_load_b32 v0, v2 offset:5140
	s_wait_alu 0xfffe
	s_sub_nc_u64 s[4:5], s[26:27], s[4:5]
	s_mul_u64 s[10:11], s[34:35], s[30:31]
	s_add_nc_u64 s[8:9], s[16:17], s[8:9]
	v_readlane_b32 s16, v61, 0
	v_readlane_b32 s17, v61, 1
	s_wait_alu 0xfffe
	s_sub_nc_u64 s[10:11], s[26:27], s[10:11]
	v_readlane_b32 s18, v61, 4
	v_readlane_b32 s19, v61, 5
	s_mul_u64 s[12:13], s[62:63], s[44:45]
	s_mul_u64 s[4:5], s[4:5], s[16:17]
	v_readlane_b32 s16, v61, 6
	v_readlane_b32 s17, v61, 7
	;; [unrolled: 1-line block ×4, first 2 shown]
	s_wait_alu 0xfffe
	s_sub_nc_u64 s[12:13], s[56:57], s[12:13]
	s_mul_u64 s[6:7], s[40:41], s[28:29]
	s_mul_u64 s[10:11], s[10:11], s[16:17]
	v_readlane_b32 s16, v61, 12
	v_readlane_b32 s17, v61, 13
	s_lshl_b64 s[14:15], s[14:15], 3
	s_wait_alu 0xfffe
	s_mul_u64 s[12:13], s[12:13], s[18:19]
	s_sub_nc_u64 s[6:7], s[34:35], s[6:7]
	s_wait_alu 0xfffe
	s_lshl_b64 s[12:13], s[12:13], 3
	s_add_nc_u64 s[14:15], s[16:17], s[14:15]
	s_mul_u64 s[6:7], s[6:7], s[22:23]
	s_wait_dscnt 0x0
	v_ashrrev_i32_e32 v1, 31, v0
	s_lshl_b64 s[4:5], s[4:5], 3
	s_wait_alu 0xfffe
	s_add_nc_u64 s[12:13], s[14:15], s[12:13]
	s_add_nc_u64 s[6:7], s[8:9], s[6:7]
	s_wait_alu 0xfffe
	s_add_nc_u64 s[4:5], s[12:13], s[4:5]
	s_add_nc_u64 s[6:7], s[6:7], s[10:11]
	s_clause 0x1
	global_store_b64 v2, v[0:1], s[4:5]
	global_store_b8 v2, v44, s[6:7]
.LBB14_318:
	s_wait_alu 0xfffe
	s_or_b32 exec_lo, exec_lo, s0
.LBB14_319:
	s_wait_alu 0xfffe
	s_or_saveexec_b32 s0, s3
	s_mov_b32 s2, 0
	s_wait_alu 0xfffe
	s_xor_b32 exec_lo, exec_lo, s0
	s_cbranch_execnz .LBB14_322
.LBB14_320:
	s_or_b32 exec_lo, exec_lo, s0
	s_wait_alu 0xfffe
	s_and_b32 s3, s2, exec_lo
	s_and_not1_saveexec_b32 s0, s1
	s_cbranch_execz .LBB14_296
.LBB14_321:
	s_wait_alu 0xfffe
	s_or_b32 s3, s3, exec_lo
	s_trap 2
	s_or_b32 exec_lo, exec_lo, s0
	s_wait_alu 0xfffe
	s_and_saveexec_b32 s0, s3
	s_cbranch_execnz .LBB14_297
	s_branch .LBB14_298
.LBB14_322:
	s_mov_b32 s2, exec_lo
	s_trap 2
	s_branch .LBB14_320
	.section	.rodata,"a",@progbits
	.p2align	6, 0x0
	.amdhsa_kernel _ZN2at6native12_GLOBAL__N_114gatherKthValueIalLi3EEEvNS_4cuda6detail10TensorInfoIKT_T0_EES8_S8_S8_S8_NS5_IS6_S8_EENS5_IlS8_EE
		.amdhsa_group_segment_fixed_size 5144
		.amdhsa_private_segment_fixed_size 0
		.amdhsa_kernarg_size 1536
		.amdhsa_user_sgpr_count 2
		.amdhsa_user_sgpr_dispatch_ptr 0
		.amdhsa_user_sgpr_queue_ptr 0
		.amdhsa_user_sgpr_kernarg_segment_ptr 1
		.amdhsa_user_sgpr_dispatch_id 0
		.amdhsa_user_sgpr_private_segment_size 0
		.amdhsa_wavefront_size32 1
		.amdhsa_uses_dynamic_stack 0
		.amdhsa_enable_private_segment 0
		.amdhsa_system_sgpr_workgroup_id_x 1
		.amdhsa_system_sgpr_workgroup_id_y 1
		.amdhsa_system_sgpr_workgroup_id_z 1
		.amdhsa_system_sgpr_workgroup_info 0
		.amdhsa_system_vgpr_workitem_id 0
		.amdhsa_next_free_vgpr 62
		.amdhsa_next_free_sgpr 105
		.amdhsa_reserve_vcc 1
		.amdhsa_float_round_mode_32 0
		.amdhsa_float_round_mode_16_64 0
		.amdhsa_float_denorm_mode_32 3
		.amdhsa_float_denorm_mode_16_64 3
		.amdhsa_fp16_overflow 0
		.amdhsa_workgroup_processor_mode 1
		.amdhsa_memory_ordered 1
		.amdhsa_forward_progress 1
		.amdhsa_inst_pref_size 192
		.amdhsa_round_robin_scheduling 0
		.amdhsa_exception_fp_ieee_invalid_op 0
		.amdhsa_exception_fp_denorm_src 0
		.amdhsa_exception_fp_ieee_div_zero 0
		.amdhsa_exception_fp_ieee_overflow 0
		.amdhsa_exception_fp_ieee_underflow 0
		.amdhsa_exception_fp_ieee_inexact 0
		.amdhsa_exception_int_div_zero 0
	.end_amdhsa_kernel
	.section	.text._ZN2at6native12_GLOBAL__N_114gatherKthValueIalLi3EEEvNS_4cuda6detail10TensorInfoIKT_T0_EES8_S8_S8_S8_NS5_IS6_S8_EENS5_IlS8_EE,"axG",@progbits,_ZN2at6native12_GLOBAL__N_114gatherKthValueIalLi3EEEvNS_4cuda6detail10TensorInfoIKT_T0_EES8_S8_S8_S8_NS5_IS6_S8_EENS5_IlS8_EE,comdat
.Lfunc_end14:
	.size	_ZN2at6native12_GLOBAL__N_114gatherKthValueIalLi3EEEvNS_4cuda6detail10TensorInfoIKT_T0_EES8_S8_S8_S8_NS5_IS6_S8_EENS5_IlS8_EE, .Lfunc_end14-_ZN2at6native12_GLOBAL__N_114gatherKthValueIalLi3EEEvNS_4cuda6detail10TensorInfoIKT_T0_EES8_S8_S8_S8_NS5_IS6_S8_EENS5_IlS8_EE
                                        ; -- End function
	.set _ZN2at6native12_GLOBAL__N_114gatherKthValueIalLi3EEEvNS_4cuda6detail10TensorInfoIKT_T0_EES8_S8_S8_S8_NS5_IS6_S8_EENS5_IlS8_EE.num_vgpr, 62
	.set _ZN2at6native12_GLOBAL__N_114gatherKthValueIalLi3EEEvNS_4cuda6detail10TensorInfoIKT_T0_EES8_S8_S8_S8_NS5_IS6_S8_EENS5_IlS8_EE.num_agpr, 0
	.set _ZN2at6native12_GLOBAL__N_114gatherKthValueIalLi3EEEvNS_4cuda6detail10TensorInfoIKT_T0_EES8_S8_S8_S8_NS5_IS6_S8_EENS5_IlS8_EE.numbered_sgpr, 105
	.set _ZN2at6native12_GLOBAL__N_114gatherKthValueIalLi3EEEvNS_4cuda6detail10TensorInfoIKT_T0_EES8_S8_S8_S8_NS5_IS6_S8_EENS5_IlS8_EE.num_named_barrier, 0
	.set _ZN2at6native12_GLOBAL__N_114gatherKthValueIalLi3EEEvNS_4cuda6detail10TensorInfoIKT_T0_EES8_S8_S8_S8_NS5_IS6_S8_EENS5_IlS8_EE.private_seg_size, 0
	.set _ZN2at6native12_GLOBAL__N_114gatherKthValueIalLi3EEEvNS_4cuda6detail10TensorInfoIKT_T0_EES8_S8_S8_S8_NS5_IS6_S8_EENS5_IlS8_EE.uses_vcc, 1
	.set _ZN2at6native12_GLOBAL__N_114gatherKthValueIalLi3EEEvNS_4cuda6detail10TensorInfoIKT_T0_EES8_S8_S8_S8_NS5_IS6_S8_EENS5_IlS8_EE.uses_flat_scratch, 0
	.set _ZN2at6native12_GLOBAL__N_114gatherKthValueIalLi3EEEvNS_4cuda6detail10TensorInfoIKT_T0_EES8_S8_S8_S8_NS5_IS6_S8_EENS5_IlS8_EE.has_dyn_sized_stack, 0
	.set _ZN2at6native12_GLOBAL__N_114gatherKthValueIalLi3EEEvNS_4cuda6detail10TensorInfoIKT_T0_EES8_S8_S8_S8_NS5_IS6_S8_EENS5_IlS8_EE.has_recursion, 0
	.set _ZN2at6native12_GLOBAL__N_114gatherKthValueIalLi3EEEvNS_4cuda6detail10TensorInfoIKT_T0_EES8_S8_S8_S8_NS5_IS6_S8_EENS5_IlS8_EE.has_indirect_call, 0
	.section	.AMDGPU.csdata,"",@progbits
; Kernel info:
; codeLenInByte = 24468
; TotalNumSgprs: 107
; NumVgprs: 62
; ScratchSize: 0
; MemoryBound: 0
; FloatMode: 240
; IeeeMode: 1
; LDSByteSize: 5144 bytes/workgroup (compile time only)
; SGPRBlocks: 0
; VGPRBlocks: 7
; NumSGPRsForWavesPerEU: 107
; NumVGPRsForWavesPerEU: 62
; Occupancy: 16
; WaveLimiterHint : 1
; COMPUTE_PGM_RSRC2:SCRATCH_EN: 0
; COMPUTE_PGM_RSRC2:USER_SGPR: 2
; COMPUTE_PGM_RSRC2:TRAP_HANDLER: 0
; COMPUTE_PGM_RSRC2:TGID_X_EN: 1
; COMPUTE_PGM_RSRC2:TGID_Y_EN: 1
; COMPUTE_PGM_RSRC2:TGID_Z_EN: 1
; COMPUTE_PGM_RSRC2:TIDIG_COMP_CNT: 0
	.section	.text._ZN2at6native12_GLOBAL__N_114gatherKthValueIalLin1EEEvNS_4cuda6detail10TensorInfoIKT_T0_EES8_S8_S8_S8_NS5_IS6_S8_EENS5_IlS8_EE,"axG",@progbits,_ZN2at6native12_GLOBAL__N_114gatherKthValueIalLin1EEEvNS_4cuda6detail10TensorInfoIKT_T0_EES8_S8_S8_S8_NS5_IS6_S8_EENS5_IlS8_EE,comdat
	.globl	_ZN2at6native12_GLOBAL__N_114gatherKthValueIalLin1EEEvNS_4cuda6detail10TensorInfoIKT_T0_EES8_S8_S8_S8_NS5_IS6_S8_EENS5_IlS8_EE ; -- Begin function _ZN2at6native12_GLOBAL__N_114gatherKthValueIalLin1EEEvNS_4cuda6detail10TensorInfoIKT_T0_EES8_S8_S8_S8_NS5_IS6_S8_EENS5_IlS8_EE
	.p2align	8
	.type	_ZN2at6native12_GLOBAL__N_114gatherKthValueIalLin1EEEvNS_4cuda6detail10TensorInfoIKT_T0_EES8_S8_S8_S8_NS5_IS6_S8_EENS5_IlS8_EE,@function
_ZN2at6native12_GLOBAL__N_114gatherKthValueIalLin1EEEvNS_4cuda6detail10TensorInfoIKT_T0_EES8_S8_S8_S8_NS5_IS6_S8_EENS5_IlS8_EE: ; @_ZN2at6native12_GLOBAL__N_114gatherKthValueIalLin1EEEvNS_4cuda6detail10TensorInfoIKT_T0_EES8_S8_S8_S8_NS5_IS6_S8_EENS5_IlS8_EE
; %bb.0:
	s_clause 0x1
	s_load_b64 s[4:5], s[0:1], 0x500
	s_load_b256 s[36:43], s[0:1], 0x1a0
	s_lshr_b32 s2, ttmp7, 16
	s_and_b32 s3, ttmp7, 0xffff
	s_wait_kmcnt 0x0
	s_mul_i32 s2, s5, s2
	s_delay_alu instid0(SALU_CYCLE_1) | instskip(SKIP_2) | instid1(SALU_CYCLE_1)
	s_add_co_i32 s2, s2, s3
	s_mov_b32 s3, 0
	s_mul_i32 s2, s2, s4
	s_add_co_i32 s2, s2, ttmp9
	s_delay_alu instid0(SALU_CYCLE_1)
	v_cmp_le_i64_e64 s5, s[40:41], s[2:3]
	s_and_b32 vcc_lo, exec_lo, s5
	s_cbranch_vccnz .LBB15_298
; %bb.1:
	s_load_b32 s5, s[0:1], 0x198
	s_mov_b64 s[6:7], 0
	s_mov_b64 s[10:11], s[2:3]
	s_wait_kmcnt 0x0
	s_cmp_lt_i32 s5, 2
	s_cbranch_scc1 .LBB15_9
; %bb.2:
	s_mov_b32 s8, 0
	s_add_co_i32 s6, s5, -1
	s_mov_b32 s7, s8
	s_add_co_i32 s5, s5, 1
	s_lshl_b64 s[6:7], s[6:7], 3
	s_mov_b64 s[14:15], s[2:3]
	s_add_nc_u64 s[10:11], s[0:1], s[6:7]
	s_mov_b64 s[6:7], 0
	s_add_nc_u64 s[12:13], s[10:11], 8
.LBB15_3:                               ; =>This Inner Loop Header: Depth=1
	s_load_b64 s[16:17], s[12:13], 0x0
	s_wait_kmcnt 0x0
	s_or_b64 s[10:11], s[14:15], s[16:17]
	s_delay_alu instid0(SALU_CYCLE_1)
	s_mov_b32 s9, s11
                                        ; implicit-def: $sgpr10_sgpr11
	s_wait_alu 0xfffe
	s_cmp_lg_u64 s[8:9], 0
	s_mov_b32 s9, -1
	s_cbranch_scc0 .LBB15_5
; %bb.4:                                ;   in Loop: Header=BB15_3 Depth=1
	s_ashr_i32 s10, s17, 31
	s_mov_b32 s25, s8
	s_mov_b32 s11, s10
	;; [unrolled: 1-line block ×3, first 2 shown]
	s_add_nc_u64 s[18:19], s[16:17], s[10:11]
	s_delay_alu instid0(SALU_CYCLE_1) | instskip(NEXT) | instid1(SALU_CYCLE_1)
	s_xor_b64 s[18:19], s[18:19], s[10:11]
	s_cvt_f32_u32 s9, s18
	s_cvt_f32_u32 s20, s19
	s_sub_nc_u64 s[22:23], 0, s[18:19]
	s_wait_alu 0xfffe
	s_delay_alu instid0(SALU_CYCLE_1) | instskip(SKIP_1) | instid1(SALU_CYCLE_2)
	s_fmamk_f32 s9, s20, 0x4f800000, s9
	s_wait_alu 0xfffe
	v_s_rcp_f32 s9, s9
	s_delay_alu instid0(TRANS32_DEP_1) | instskip(SKIP_1) | instid1(SALU_CYCLE_2)
	s_mul_f32 s9, s9, 0x5f7ffffc
	s_wait_alu 0xfffe
	s_mul_f32 s20, s9, 0x2f800000
	s_delay_alu instid0(SALU_CYCLE_3) | instskip(NEXT) | instid1(SALU_CYCLE_3)
	s_trunc_f32 s20, s20
	s_fmamk_f32 s9, s20, 0xcf800000, s9
	s_cvt_u32_f32 s21, s20
	s_wait_alu 0xfffe
	s_delay_alu instid0(SALU_CYCLE_1) | instskip(NEXT) | instid1(SALU_CYCLE_3)
	s_cvt_u32_f32 s20, s9
	s_mul_u64 s[26:27], s[22:23], s[20:21]
	s_delay_alu instid0(SALU_CYCLE_1)
	s_mul_hi_u32 s31, s20, s27
	s_mul_i32 s30, s20, s27
	s_mul_hi_u32 s24, s20, s26
	s_mul_i32 s28, s21, s26
	s_add_nc_u64 s[24:25], s[24:25], s[30:31]
	s_mul_hi_u32 s9, s21, s26
	s_mul_hi_u32 s33, s21, s27
	s_add_co_u32 s24, s24, s28
	s_wait_alu 0xfffe
	s_add_co_ci_u32 s28, s25, s9
	s_mul_i32 s26, s21, s27
	s_add_co_ci_u32 s27, s33, 0
	s_delay_alu instid0(SALU_CYCLE_1)
	s_add_nc_u64 s[24:25], s[28:29], s[26:27]
	s_mov_b32 s27, s8
	s_add_co_u32 s20, s20, s24
	s_cselect_b32 s9, -1, 0
	s_wait_alu 0xfffe
	s_cmp_lg_u32 s9, 0
	s_add_co_ci_u32 s21, s21, s25
	s_mov_b32 s25, s8
	s_mul_u64 s[22:23], s[22:23], s[20:21]
	s_delay_alu instid0(SALU_CYCLE_1)
	s_mul_hi_u32 s29, s20, s23
	s_mul_i32 s28, s20, s23
	s_mul_hi_u32 s24, s20, s22
	s_mul_i32 s26, s21, s22
	s_add_nc_u64 s[24:25], s[24:25], s[28:29]
	s_mul_hi_u32 s9, s21, s22
	s_mul_hi_u32 s30, s21, s23
	s_mul_i32 s22, s21, s23
	s_add_co_u32 s23, s24, s26
	s_wait_alu 0xfffe
	s_add_co_ci_u32 s26, s25, s9
	s_add_co_ci_u32 s23, s30, 0
	s_mov_b32 s25, s8
	s_add_nc_u64 s[22:23], s[26:27], s[22:23]
	s_delay_alu instid0(SALU_CYCLE_1) | instskip(SKIP_1) | instid1(SALU_CYCLE_1)
	s_add_co_u32 s9, s20, s22
	s_cselect_b32 s20, -1, 0
	s_cmp_lg_u32 s20, 0
	s_add_co_ci_u32 s26, s21, s23
	s_ashr_i32 s20, s15, 31
	s_delay_alu instid0(SALU_CYCLE_1) | instskip(NEXT) | instid1(SALU_CYCLE_1)
	s_mov_b32 s21, s20
	s_add_nc_u64 s[22:23], s[14:15], s[20:21]
	s_delay_alu instid0(SALU_CYCLE_1) | instskip(NEXT) | instid1(SALU_CYCLE_1)
	s_xor_b64 s[22:23], s[22:23], s[20:21]
	s_mul_hi_u32 s29, s22, s26
	s_mul_i32 s28, s22, s26
	s_wait_alu 0xfffe
	s_mul_hi_u32 s24, s22, s9
	s_mul_hi_u32 s31, s23, s9
	s_mul_i32 s9, s23, s9
	s_add_nc_u64 s[24:25], s[24:25], s[28:29]
	s_mul_hi_u32 s30, s23, s26
	s_wait_alu 0xfffe
	s_add_co_u32 s9, s24, s9
	s_mul_i32 s28, s23, s26
	s_add_co_ci_u32 s26, s25, s31
	s_add_co_ci_u32 s29, s30, 0
	s_delay_alu instid0(SALU_CYCLE_1) | instskip(NEXT) | instid1(SALU_CYCLE_1)
	s_add_nc_u64 s[24:25], s[26:27], s[28:29]
	s_mul_u64 s[26:27], s[18:19], s[24:25]
	s_delay_alu instid0(SALU_CYCLE_1)
	s_sub_co_u32 s9, s22, s26
	s_cselect_b32 s22, -1, 0
	s_sub_co_i32 s26, s23, s27
	s_cmp_lg_u32 s22, 0
	s_sub_co_ci_u32 s26, s26, s19
	s_wait_alu 0xfffe
	s_sub_co_u32 s28, s9, s18
	s_cselect_b32 s29, -1, 0
	s_delay_alu instid0(SALU_CYCLE_1) | instskip(SKIP_1) | instid1(SALU_CYCLE_1)
	s_cmp_lg_u32 s29, 0
	s_sub_co_ci_u32 s26, s26, 0
	s_cmp_ge_u32 s26, s19
	s_cselect_b32 s30, -1, 0
	s_cmp_ge_u32 s28, s18
	s_add_nc_u64 s[28:29], s[24:25], 1
	s_cselect_b32 s31, -1, 0
	s_cmp_eq_u32 s26, s19
	s_cselect_b32 s26, s31, s30
	s_add_nc_u64 s[30:31], s[24:25], 2
	s_cmp_lg_u32 s26, 0
	s_cselect_b32 s26, s30, s28
	s_cselect_b32 s28, s31, s29
	s_cmp_lg_u32 s22, 0
	s_sub_co_ci_u32 s22, s23, s27
	s_delay_alu instid0(SALU_CYCLE_1)
	s_cmp_ge_u32 s22, s19
	s_cselect_b32 s23, -1, 0
	s_cmp_ge_u32 s9, s18
	s_cselect_b32 s9, -1, 0
	s_cmp_eq_u32 s22, s19
	s_wait_alu 0xfffe
	s_cselect_b32 s9, s9, s23
	s_wait_alu 0xfffe
	s_cmp_lg_u32 s9, 0
	s_mov_b32 s9, 0
	s_cselect_b32 s19, s28, s25
	s_cselect_b32 s18, s26, s24
	s_xor_b64 s[10:11], s[20:21], s[10:11]
	s_delay_alu instid0(SALU_CYCLE_1) | instskip(NEXT) | instid1(SALU_CYCLE_1)
	s_xor_b64 s[18:19], s[18:19], s[10:11]
	s_sub_nc_u64 s[10:11], s[18:19], s[10:11]
.LBB15_5:                               ;   in Loop: Header=BB15_3 Depth=1
	s_wait_alu 0xfffe
	s_and_not1_b32 vcc_lo, exec_lo, s9
	s_cbranch_vccnz .LBB15_7
; %bb.6:                                ;   in Loop: Header=BB15_3 Depth=1
	v_cvt_f32_u32_e32 v1, s16
	s_sub_co_i32 s10, 0, s16
	s_delay_alu instid0(VALU_DEP_1) | instskip(NEXT) | instid1(TRANS32_DEP_1)
	v_rcp_iflag_f32_e32 v1, v1
	v_mul_f32_e32 v1, 0x4f7ffffe, v1
	s_delay_alu instid0(VALU_DEP_1) | instskip(NEXT) | instid1(VALU_DEP_1)
	v_cvt_u32_f32_e32 v1, v1
	v_readfirstlane_b32 s9, v1
	s_mul_i32 s10, s10, s9
	s_delay_alu instid0(SALU_CYCLE_1) | instskip(NEXT) | instid1(SALU_CYCLE_1)
	s_mul_hi_u32 s10, s9, s10
	s_add_co_i32 s9, s9, s10
	s_wait_alu 0xfffe
	s_mul_hi_u32 s9, s14, s9
	s_wait_alu 0xfffe
	s_mul_i32 s10, s9, s16
	s_add_co_i32 s11, s9, 1
	s_sub_co_i32 s10, s14, s10
	s_delay_alu instid0(SALU_CYCLE_1)
	s_sub_co_i32 s18, s10, s16
	s_cmp_ge_u32 s10, s16
	s_cselect_b32 s9, s11, s9
	s_cselect_b32 s10, s18, s10
	s_wait_alu 0xfffe
	s_add_co_i32 s11, s9, 1
	s_cmp_ge_u32 s10, s16
	s_cselect_b32 s10, s11, s9
	s_mov_b32 s11, s8
.LBB15_7:                               ;   in Loop: Header=BB15_3 Depth=1
	s_load_b64 s[18:19], s[12:13], 0xc8
	s_mul_u64 s[16:17], s[10:11], s[16:17]
	s_add_co_i32 s5, s5, -1
	s_wait_alu 0xfffe
	s_sub_nc_u64 s[14:15], s[14:15], s[16:17]
	s_cmp_gt_u32 s5, 2
	s_add_nc_u64 s[12:13], s[12:13], -8
	s_wait_kmcnt 0x0
	s_mul_u64 s[14:15], s[18:19], s[14:15]
	s_delay_alu instid0(SALU_CYCLE_1)
	s_add_nc_u64 s[6:7], s[14:15], s[6:7]
	s_cbranch_scc0 .LBB15_9
; %bb.8:                                ;   in Loop: Header=BB15_3 Depth=1
	s_mov_b64 s[14:15], s[10:11]
	s_branch .LBB15_3
.LBB15_9:
	s_load_b32 s5, s[0:1], 0x358
	s_add_nc_u64 s[8:9], s[0:1], 0x500
	s_add_nc_u64 s[12:13], s[0:1], 0x1c0
	s_mov_b64 s[26:27], 0
	s_mov_b64 s[28:29], s[2:3]
	s_wait_kmcnt 0x0
	s_cmp_lt_i32 s5, 2
	s_cbranch_scc1 .LBB15_17
; %bb.10:
	s_mov_b32 s14, 0
	s_add_co_i32 s16, s5, -1
	s_mov_b32 s17, s14
	s_add_co_i32 s5, s5, 1
	s_wait_alu 0xfffe
	s_lshl_b64 s[16:17], s[16:17], 3
	s_mov_b64 s[18:19], s[2:3]
	s_wait_alu 0xfffe
	s_add_nc_u64 s[16:17], s[12:13], s[16:17]
	s_wait_alu 0xfffe
	s_add_nc_u64 s[16:17], s[16:17], 8
.LBB15_11:                              ; =>This Inner Loop Header: Depth=1
	s_load_b64 s[20:21], s[16:17], 0x0
                                        ; implicit-def: $sgpr28_sgpr29
	s_wait_kmcnt 0x0
	s_or_b64 s[22:23], s[18:19], s[20:21]
	s_delay_alu instid0(SALU_CYCLE_1)
	s_mov_b32 s15, s23
	s_wait_alu 0xfffe
	s_cmp_lg_u64 s[14:15], 0
	s_mov_b32 s15, -1
	s_cbranch_scc0 .LBB15_13
; %bb.12:                               ;   in Loop: Header=BB15_11 Depth=1
	s_ashr_i32 s22, s21, 31
	s_mov_b32 s35, s14
	s_mov_b32 s23, s22
	;; [unrolled: 1-line block ×3, first 2 shown]
	s_add_nc_u64 s[24:25], s[20:21], s[22:23]
	s_delay_alu instid0(SALU_CYCLE_1) | instskip(NEXT) | instid1(SALU_CYCLE_1)
	s_xor_b64 s[24:25], s[24:25], s[22:23]
	s_cvt_f32_u32 s15, s24
	s_cvt_f32_u32 s28, s25
	s_sub_nc_u64 s[30:31], 0, s[24:25]
	s_wait_alu 0xfffe
	s_delay_alu instid0(SALU_CYCLE_1) | instskip(SKIP_1) | instid1(SALU_CYCLE_2)
	s_fmamk_f32 s15, s28, 0x4f800000, s15
	s_wait_alu 0xfffe
	v_s_rcp_f32 s15, s15
	s_delay_alu instid0(TRANS32_DEP_1) | instskip(SKIP_1) | instid1(SALU_CYCLE_2)
	s_mul_f32 s15, s15, 0x5f7ffffc
	s_wait_alu 0xfffe
	s_mul_f32 s28, s15, 0x2f800000
	s_delay_alu instid0(SALU_CYCLE_3) | instskip(NEXT) | instid1(SALU_CYCLE_3)
	s_trunc_f32 s28, s28
	s_fmamk_f32 s15, s28, 0xcf800000, s15
	s_cvt_u32_f32 s29, s28
	s_wait_alu 0xfffe
	s_delay_alu instid0(SALU_CYCLE_1) | instskip(NEXT) | instid1(SALU_CYCLE_3)
	s_cvt_u32_f32 s28, s15
	s_mul_u64 s[40:41], s[30:31], s[28:29]
	s_wait_alu 0xfffe
	s_mul_hi_u32 s47, s28, s41
	s_mul_i32 s46, s28, s41
	s_mul_hi_u32 s34, s28, s40
	s_mul_i32 s33, s29, s40
	s_add_nc_u64 s[34:35], s[34:35], s[46:47]
	s_mul_hi_u32 s15, s29, s40
	s_mul_hi_u32 s48, s29, s41
	s_add_co_u32 s33, s34, s33
	s_wait_alu 0xfffe
	s_add_co_ci_u32 s44, s35, s15
	s_mul_i32 s40, s29, s41
	s_add_co_ci_u32 s41, s48, 0
	s_wait_alu 0xfffe
	s_add_nc_u64 s[34:35], s[44:45], s[40:41]
	s_mov_b32 s41, s14
	s_add_co_u32 s28, s28, s34
	s_cselect_b32 s15, -1, 0
	s_wait_alu 0xfffe
	s_cmp_lg_u32 s15, 0
	s_add_co_ci_u32 s29, s29, s35
	s_mov_b32 s35, s14
	s_mul_u64 s[30:31], s[30:31], s[28:29]
	s_delay_alu instid0(SALU_CYCLE_1)
	s_mul_hi_u32 s45, s28, s31
	s_mul_i32 s44, s28, s31
	s_mul_hi_u32 s34, s28, s30
	s_mul_i32 s33, s29, s30
	s_add_nc_u64 s[34:35], s[34:35], s[44:45]
	s_mul_hi_u32 s15, s29, s30
	s_mul_hi_u32 s46, s29, s31
	s_mul_i32 s30, s29, s31
	s_add_co_u32 s31, s34, s33
	s_wait_alu 0xfffe
	s_add_co_ci_u32 s40, s35, s15
	s_add_co_ci_u32 s31, s46, 0
	s_mov_b32 s35, s14
	s_wait_alu 0xfffe
	s_add_nc_u64 s[30:31], s[40:41], s[30:31]
	s_delay_alu instid0(SALU_CYCLE_1) | instskip(SKIP_1) | instid1(SALU_CYCLE_1)
	s_add_co_u32 s15, s28, s30
	s_cselect_b32 s28, -1, 0
	s_cmp_lg_u32 s28, 0
	s_add_co_ci_u32 s33, s29, s31
	s_ashr_i32 s28, s19, 31
	s_delay_alu instid0(SALU_CYCLE_1) | instskip(NEXT) | instid1(SALU_CYCLE_1)
	s_mov_b32 s29, s28
	s_add_nc_u64 s[30:31], s[18:19], s[28:29]
	s_delay_alu instid0(SALU_CYCLE_1) | instskip(NEXT) | instid1(SALU_CYCLE_1)
	s_xor_b64 s[30:31], s[30:31], s[28:29]
	s_mul_hi_u32 s45, s30, s33
	s_mul_i32 s44, s30, s33
	s_wait_alu 0xfffe
	s_mul_hi_u32 s34, s30, s15
	s_mul_hi_u32 s40, s31, s15
	s_mul_i32 s15, s31, s15
	s_add_nc_u64 s[34:35], s[34:35], s[44:45]
	s_mul_hi_u32 s46, s31, s33
	s_wait_alu 0xfffe
	s_add_co_u32 s15, s34, s15
	s_add_co_ci_u32 s40, s35, s40
	s_mul_i32 s44, s31, s33
	s_add_co_ci_u32 s45, s46, 0
	s_wait_alu 0xfffe
	s_add_nc_u64 s[34:35], s[40:41], s[44:45]
	s_delay_alu instid0(SALU_CYCLE_1)
	s_mul_u64 s[40:41], s[24:25], s[34:35]
	s_wait_alu 0xfffe
	s_sub_co_u32 s15, s30, s40
	s_cselect_b32 s30, -1, 0
	s_sub_co_i32 s33, s31, s41
	s_cmp_lg_u32 s30, 0
	s_sub_co_ci_u32 s33, s33, s25
	s_wait_alu 0xfffe
	s_sub_co_u32 s40, s15, s24
	s_cselect_b32 s44, -1, 0
	s_delay_alu instid0(SALU_CYCLE_1) | instskip(SKIP_2) | instid1(SALU_CYCLE_1)
	s_cmp_lg_u32 s44, 0
	s_add_nc_u64 s[44:45], s[34:35], 1
	s_sub_co_ci_u32 s33, s33, 0
	s_cmp_ge_u32 s33, s25
	s_cselect_b32 s46, -1, 0
	s_wait_alu 0xfffe
	s_cmp_ge_u32 s40, s24
	s_cselect_b32 s40, -1, 0
	s_cmp_eq_u32 s33, s25
	s_wait_alu 0xfffe
	s_cselect_b32 s33, s40, s46
	s_add_nc_u64 s[46:47], s[34:35], 2
	s_cmp_lg_u32 s33, 0
	s_cselect_b32 s33, s46, s44
	s_cselect_b32 s40, s47, s45
	s_cmp_lg_u32 s30, 0
	s_sub_co_ci_u32 s30, s31, s41
	s_delay_alu instid0(SALU_CYCLE_1)
	s_cmp_ge_u32 s30, s25
	s_cselect_b32 s31, -1, 0
	s_cmp_ge_u32 s15, s24
	s_cselect_b32 s15, -1, 0
	s_cmp_eq_u32 s30, s25
	s_wait_alu 0xfffe
	s_cselect_b32 s15, s15, s31
	s_wait_alu 0xfffe
	s_cmp_lg_u32 s15, 0
	s_mov_b32 s15, 0
	s_cselect_b32 s25, s40, s35
	s_cselect_b32 s24, s33, s34
	s_xor_b64 s[22:23], s[28:29], s[22:23]
	s_delay_alu instid0(SALU_CYCLE_1) | instskip(NEXT) | instid1(SALU_CYCLE_1)
	s_xor_b64 s[24:25], s[24:25], s[22:23]
	s_sub_nc_u64 s[28:29], s[24:25], s[22:23]
.LBB15_13:                              ;   in Loop: Header=BB15_11 Depth=1
	s_wait_alu 0xfffe
	s_and_not1_b32 vcc_lo, exec_lo, s15
	s_cbranch_vccnz .LBB15_15
; %bb.14:                               ;   in Loop: Header=BB15_11 Depth=1
	v_cvt_f32_u32_e32 v1, s20
	s_sub_co_i32 s22, 0, s20
	s_mov_b32 s29, s14
	s_delay_alu instid0(VALU_DEP_1) | instskip(NEXT) | instid1(TRANS32_DEP_1)
	v_rcp_iflag_f32_e32 v1, v1
	v_mul_f32_e32 v1, 0x4f7ffffe, v1
	s_delay_alu instid0(VALU_DEP_1) | instskip(NEXT) | instid1(VALU_DEP_1)
	v_cvt_u32_f32_e32 v1, v1
	v_readfirstlane_b32 s15, v1
	s_mul_i32 s22, s22, s15
	s_delay_alu instid0(SALU_CYCLE_1) | instskip(NEXT) | instid1(SALU_CYCLE_1)
	s_mul_hi_u32 s22, s15, s22
	s_add_co_i32 s15, s15, s22
	s_wait_alu 0xfffe
	s_mul_hi_u32 s15, s18, s15
	s_wait_alu 0xfffe
	s_mul_i32 s22, s15, s20
	s_add_co_i32 s23, s15, 1
	s_sub_co_i32 s22, s18, s22
	s_delay_alu instid0(SALU_CYCLE_1)
	s_sub_co_i32 s24, s22, s20
	s_cmp_ge_u32 s22, s20
	s_cselect_b32 s15, s23, s15
	s_cselect_b32 s22, s24, s22
	s_wait_alu 0xfffe
	s_add_co_i32 s23, s15, 1
	s_cmp_ge_u32 s22, s20
	s_cselect_b32 s28, s23, s15
.LBB15_15:                              ;   in Loop: Header=BB15_11 Depth=1
	s_load_b64 s[22:23], s[16:17], 0xc8
	s_mul_u64 s[20:21], s[28:29], s[20:21]
	s_add_co_i32 s5, s5, -1
	s_wait_alu 0xfffe
	s_sub_nc_u64 s[18:19], s[18:19], s[20:21]
	s_cmp_gt_u32 s5, 2
	s_add_nc_u64 s[16:17], s[16:17], -8
	s_wait_kmcnt 0x0
	s_mul_u64 s[18:19], s[22:23], s[18:19]
	s_delay_alu instid0(SALU_CYCLE_1)
	s_add_nc_u64 s[26:27], s[18:19], s[26:27]
	s_cbranch_scc0 .LBB15_17
; %bb.16:                               ;   in Loop: Header=BB15_11 Depth=1
	s_mov_b64 s[18:19], s[28:29]
	s_branch .LBB15_11
.LBB15_17:
	s_clause 0x1
	s_load_b64 s[14:15], s[0:1], 0xd0
	s_load_b32 s5, s[0:1], 0x4f8
	s_mov_b64 s[30:31], 0
	s_wait_kmcnt 0x0
	s_cmp_lt_i32 s5, 2
	s_cbranch_scc1 .LBB15_25
; %bb.18:
	s_mov_b32 s16, 0
	s_add_co_i32 s18, s5, -1
	s_wait_alu 0xfffe
	s_mov_b32 s19, s16
	s_add_nc_u64 s[20:21], s[0:1], 0x360
	s_lshl_b64 s[18:19], s[18:19], 3
	s_add_co_i32 s5, s5, 1
	s_wait_alu 0xfffe
	s_add_nc_u64 s[18:19], s[20:21], s[18:19]
	s_delay_alu instid0(SALU_CYCLE_1)
	s_add_nc_u64 s[18:19], s[18:19], 8
.LBB15_19:                              ; =>This Inner Loop Header: Depth=1
	s_load_b64 s[20:21], s[18:19], 0x0
                                        ; implicit-def: $sgpr34_sgpr35
	s_wait_kmcnt 0x0
	s_or_b64 s[22:23], s[2:3], s[20:21]
	s_delay_alu instid0(SALU_CYCLE_1)
	s_mov_b32 s17, s23
	s_wait_alu 0xfffe
	s_cmp_lg_u64 s[16:17], 0
	s_mov_b32 s17, -1
	s_cbranch_scc0 .LBB15_21
; %bb.20:                               ;   in Loop: Header=BB15_19 Depth=1
	s_ashr_i32 s22, s21, 31
	s_mov_b32 s45, s16
	s_mov_b32 s23, s22
	;; [unrolled: 1-line block ×3, first 2 shown]
	s_add_nc_u64 s[24:25], s[20:21], s[22:23]
	s_delay_alu instid0(SALU_CYCLE_1) | instskip(NEXT) | instid1(SALU_CYCLE_1)
	s_xor_b64 s[24:25], s[24:25], s[22:23]
	s_cvt_f32_u32 s17, s24
	s_cvt_f32_u32 s33, s25
	s_sub_nc_u64 s[40:41], 0, s[24:25]
	s_wait_alu 0xfffe
	s_delay_alu instid0(SALU_CYCLE_1) | instskip(SKIP_1) | instid1(SALU_CYCLE_2)
	s_fmamk_f32 s17, s33, 0x4f800000, s17
	s_wait_alu 0xfffe
	v_s_rcp_f32 s17, s17
	s_delay_alu instid0(TRANS32_DEP_1) | instskip(SKIP_1) | instid1(SALU_CYCLE_2)
	s_mul_f32 s17, s17, 0x5f7ffffc
	s_wait_alu 0xfffe
	s_mul_f32 s33, s17, 0x2f800000
	s_delay_alu instid0(SALU_CYCLE_3) | instskip(NEXT) | instid1(SALU_CYCLE_3)
	s_trunc_f32 s33, s33
	s_fmamk_f32 s17, s33, 0xcf800000, s17
	s_cvt_u32_f32 s35, s33
	s_wait_alu 0xfffe
	s_delay_alu instid0(SALU_CYCLE_1) | instskip(NEXT) | instid1(SALU_CYCLE_3)
	s_cvt_u32_f32 s34, s17
	s_mul_u64 s[46:47], s[40:41], s[34:35]
	s_delay_alu instid0(SALU_CYCLE_1)
	s_mul_hi_u32 s51, s34, s47
	s_mul_i32 s50, s34, s47
	s_mul_hi_u32 s44, s34, s46
	s_mul_i32 s33, s35, s46
	s_add_nc_u64 s[44:45], s[44:45], s[50:51]
	s_mul_hi_u32 s17, s35, s46
	s_mul_hi_u32 s52, s35, s47
	s_add_co_u32 s33, s44, s33
	s_wait_alu 0xfffe
	s_add_co_ci_u32 s48, s45, s17
	s_mul_i32 s46, s35, s47
	s_add_co_ci_u32 s47, s52, 0
	s_delay_alu instid0(SALU_CYCLE_1)
	s_add_nc_u64 s[44:45], s[48:49], s[46:47]
	s_mov_b32 s47, s16
	s_add_co_u32 s34, s34, s44
	s_cselect_b32 s17, -1, 0
	s_wait_alu 0xfffe
	s_cmp_lg_u32 s17, 0
	s_add_co_ci_u32 s35, s35, s45
	s_mov_b32 s45, s16
	s_mul_u64 s[40:41], s[40:41], s[34:35]
	s_wait_alu 0xfffe
	s_mul_hi_u32 s49, s34, s41
	s_mul_i32 s48, s34, s41
	s_mul_hi_u32 s44, s34, s40
	s_mul_i32 s33, s35, s40
	s_add_nc_u64 s[44:45], s[44:45], s[48:49]
	s_mul_hi_u32 s17, s35, s40
	s_mul_hi_u32 s50, s35, s41
	s_add_co_u32 s33, s44, s33
	s_wait_alu 0xfffe
	s_add_co_ci_u32 s46, s45, s17
	s_mul_i32 s40, s35, s41
	s_add_co_ci_u32 s41, s50, 0
	s_mov_b32 s45, s16
	s_wait_alu 0xfffe
	s_add_nc_u64 s[40:41], s[46:47], s[40:41]
	s_wait_alu 0xfffe
	s_add_co_u32 s17, s34, s40
	s_cselect_b32 s33, -1, 0
	s_delay_alu instid0(SALU_CYCLE_1) | instskip(SKIP_2) | instid1(SALU_CYCLE_1)
	s_cmp_lg_u32 s33, 0
	s_add_co_ci_u32 s33, s35, s41
	s_ashr_i32 s34, s3, 31
	s_mov_b32 s35, s34
	s_delay_alu instid0(SALU_CYCLE_1)
	s_add_nc_u64 s[40:41], s[2:3], s[34:35]
	s_wait_alu 0xfffe
	s_xor_b64 s[40:41], s[40:41], s[34:35]
	s_wait_alu 0xfffe
	s_mul_hi_u32 s49, s40, s33
	s_mul_i32 s48, s40, s33
	s_mul_hi_u32 s44, s40, s17
	s_mul_hi_u32 s46, s41, s17
	s_mul_i32 s17, s41, s17
	s_add_nc_u64 s[44:45], s[44:45], s[48:49]
	s_mul_hi_u32 s50, s41, s33
	s_wait_alu 0xfffe
	s_add_co_u32 s17, s44, s17
	s_add_co_ci_u32 s46, s45, s46
	s_mul_i32 s48, s41, s33
	s_add_co_ci_u32 s49, s50, 0
	s_delay_alu instid0(SALU_CYCLE_1) | instskip(NEXT) | instid1(SALU_CYCLE_1)
	s_add_nc_u64 s[44:45], s[46:47], s[48:49]
	s_mul_u64 s[46:47], s[24:25], s[44:45]
	s_delay_alu instid0(SALU_CYCLE_1)
	s_sub_co_u32 s17, s40, s46
	s_cselect_b32 s33, -1, 0
	s_sub_co_i32 s40, s41, s47
	s_cmp_lg_u32 s33, 0
	s_wait_alu 0xfffe
	s_sub_co_ci_u32 s40, s40, s25
	s_sub_co_u32 s46, s17, s24
	s_cselect_b32 s48, -1, 0
	s_delay_alu instid0(SALU_CYCLE_1)
	s_cmp_lg_u32 s48, 0
	s_add_nc_u64 s[48:49], s[44:45], 1
	s_wait_alu 0xfffe
	s_sub_co_ci_u32 s40, s40, 0
	s_wait_alu 0xfffe
	s_cmp_ge_u32 s40, s25
	s_cselect_b32 s50, -1, 0
	s_cmp_ge_u32 s46, s24
	s_cselect_b32 s46, -1, 0
	s_cmp_eq_u32 s40, s25
	s_cselect_b32 s40, s46, s50
	s_add_nc_u64 s[50:51], s[44:45], 2
	s_wait_alu 0xfffe
	s_cmp_lg_u32 s40, 0
	s_cselect_b32 s40, s50, s48
	s_cselect_b32 s46, s51, s49
	s_cmp_lg_u32 s33, 0
	s_sub_co_ci_u32 s33, s41, s47
	s_delay_alu instid0(SALU_CYCLE_1)
	s_cmp_ge_u32 s33, s25
	s_cselect_b32 s41, -1, 0
	s_cmp_ge_u32 s17, s24
	s_cselect_b32 s17, -1, 0
	s_cmp_eq_u32 s33, s25
	s_wait_alu 0xfffe
	s_cselect_b32 s17, s17, s41
	s_wait_alu 0xfffe
	s_cmp_lg_u32 s17, 0
	s_mov_b32 s17, 0
	s_cselect_b32 s25, s46, s45
	s_cselect_b32 s24, s40, s44
	s_xor_b64 s[22:23], s[34:35], s[22:23]
	s_delay_alu instid0(SALU_CYCLE_1) | instskip(NEXT) | instid1(SALU_CYCLE_1)
	s_xor_b64 s[24:25], s[24:25], s[22:23]
	s_sub_nc_u64 s[34:35], s[24:25], s[22:23]
.LBB15_21:                              ;   in Loop: Header=BB15_19 Depth=1
	s_wait_alu 0xfffe
	s_and_not1_b32 vcc_lo, exec_lo, s17
	s_cbranch_vccnz .LBB15_23
; %bb.22:                               ;   in Loop: Header=BB15_19 Depth=1
	v_cvt_f32_u32_e32 v1, s20
	s_sub_co_i32 s22, 0, s20
	s_mov_b32 s35, s16
	s_delay_alu instid0(VALU_DEP_1) | instskip(NEXT) | instid1(TRANS32_DEP_1)
	v_rcp_iflag_f32_e32 v1, v1
	v_mul_f32_e32 v1, 0x4f7ffffe, v1
	s_delay_alu instid0(VALU_DEP_1) | instskip(NEXT) | instid1(VALU_DEP_1)
	v_cvt_u32_f32_e32 v1, v1
	v_readfirstlane_b32 s17, v1
	s_mul_i32 s22, s22, s17
	s_delay_alu instid0(SALU_CYCLE_1) | instskip(NEXT) | instid1(SALU_CYCLE_1)
	s_mul_hi_u32 s22, s17, s22
	s_add_co_i32 s17, s17, s22
	s_wait_alu 0xfffe
	s_mul_hi_u32 s17, s2, s17
	s_wait_alu 0xfffe
	s_mul_i32 s22, s17, s20
	s_add_co_i32 s23, s17, 1
	s_sub_co_i32 s22, s2, s22
	s_delay_alu instid0(SALU_CYCLE_1)
	s_sub_co_i32 s24, s22, s20
	s_cmp_ge_u32 s22, s20
	s_cselect_b32 s17, s23, s17
	s_cselect_b32 s22, s24, s22
	s_wait_alu 0xfffe
	s_add_co_i32 s23, s17, 1
	s_cmp_ge_u32 s22, s20
	s_cselect_b32 s34, s23, s17
.LBB15_23:                              ;   in Loop: Header=BB15_19 Depth=1
	s_load_b64 s[22:23], s[18:19], 0xc8
	s_mul_u64 s[20:21], s[34:35], s[20:21]
	s_add_co_i32 s5, s5, -1
	s_wait_alu 0xfffe
	s_sub_nc_u64 s[2:3], s[2:3], s[20:21]
	s_cmp_gt_u32 s5, 2
	s_add_nc_u64 s[18:19], s[18:19], -8
	s_wait_kmcnt 0x0
	s_wait_alu 0xfffe
	s_mul_u64 s[2:3], s[22:23], s[2:3]
	s_wait_alu 0xfffe
	s_add_nc_u64 s[30:31], s[2:3], s[30:31]
	s_cbranch_scc0 .LBB15_26
; %bb.24:                               ;   in Loop: Header=BB15_19 Depth=1
	s_mov_b64 s[2:3], s[34:35]
	s_branch .LBB15_19
.LBB15_25:
	s_mov_b64 s[34:35], s[2:3]
.LBB15_26:
	s_clause 0x1
	s_load_b64 s[40:41], s[12:13], 0xd0
	s_load_b64 s[12:13], s[0:1], 0x0
	v_cmp_eq_u32_e64 s2, 0, v0
	s_mov_b32 s53, 0
	s_and_saveexec_b32 s3, s2
	s_cbranch_execz .LBB15_28
; %bb.27:
	v_dual_mov_b32 v1, 0 :: v_dual_mov_b32 v4, s37
	s_delay_alu instid0(VALU_DEP_1)
	v_dual_mov_b32 v3, s36 :: v_dual_mov_b32 v2, v1
	ds_store_b32 v1, v1 offset:5136
	ds_store_b128 v1, v[1:4] offset:5120
.LBB15_28:
	s_wait_alu 0xfffe
	s_or_b32 exec_lo, exec_lo, s3
	v_mad_co_u64_u32 v[4:5], null, s42, v0, 0
	v_mbcnt_lo_u32_b32 v34, -1, 0
	s_mul_u64 s[10:11], s[14:15], s[10:11]
	s_clause 0x2
	s_load_b64 s[48:49], s[0:1], 0x430
	s_load_b64 s[44:45], s[0:1], 0x1c0
	;; [unrolled: 1-line block ×3, first 2 shown]
	v_cmp_gt_u32_e32 vcc_lo, 32, v0
	s_wait_kmcnt 0x0
	s_add_nc_u64 s[14:15], s[12:13], s[10:11]
	v_cmp_gt_i32_e64 s0, 4, v34
	v_mov_b32_e32 v1, v5
	v_dual_mov_b32 v3, 0 :: v_dual_lshlrev_b32 v16, 2, v0
	s_wait_alu 0xfffe
	s_add_nc_u64 s[56:57], s[14:15], s[6:7]
	s_and_b32 s33, vcc_lo, s0
	v_mad_co_u64_u32 v[6:7], null, s43, v0, v[1:2]
	v_add_nc_u32_e32 v2, 2, v0
	v_add_co_u32 v14, vcc_lo, s56, v4
	v_lshlrev_b64_e64 v[7:8], v34, -1
	s_wait_dscnt 0x0
	s_barrier_signal -1
	s_delay_alu instid0(VALU_DEP_4) | instskip(SKIP_1) | instid1(VALU_DEP_3)
	v_add_co_ci_u32_e64 v15, null, s57, v6, vcc_lo
	v_cmp_gt_i64_e32 vcc_lo, s[36:37], v[2:3]
	v_not_b32_e32 v35, v7
	v_not_b32_e32 v7, v0
	s_barrier_wait -1
	global_inv scope:SCOPE_SE
	s_load_b32 s5, s[8:9], 0xc
	v_cndmask_b32_e64 v2, v2, s36, vcc_lo
	v_cndmask_b32_e64 v8, 0, s37, vcc_lo
	v_or_b32_e32 v9, 3, v16
	v_or_b32_e32 v11, 2, v16
	v_mad_co_u64_u32 v[25:26], null, s42, v16, s[42:43]
	v_add_co_u32 v7, vcc_lo, v2, v7
	v_mov_b32_e32 v1, v3
	v_mad_co_u64_u32 v[21:22], null, s42, v9, 0
	s_delay_alu instid0(VALU_DEP_3)
	v_and_b32_e32 v18, -4, v7
	s_wait_alu 0xfffd
	v_add_co_ci_u32_e64 v8, null, -1, v8, vcc_lo
	v_mov_b32_e32 v5, v6
	v_mad_co_u64_u32 v[23:24], null, s42, v11, 0
	v_add_co_u32 v20, vcc_lo, v18, v0
	s_wait_alu 0xfffd
	v_add_co_ci_u32_e64 v2, null, 0, v8, vcc_lo
	v_mov_b32_e32 v2, v22
	s_wait_kmcnt 0x0
	s_and_b32 s50, s5, 0xffff
	s_bfe_u32 s14, s5, 0xb0005
	s_cmp_gt_u32 s50, 31
	s_movk_i32 s5, 0x3e0
	v_mad_co_u64_u32 v[9:10], null, s43, v9, v[2:3]
	v_mov_b32_e32 v19, v8
	v_mov_b32_e32 v17, v3
	s_cselect_b32 s83, -1, 0
	v_and_or_b32 v36, v0, s5, 0xc00
	s_cmp_lt_u32 ttmp9, s4
	v_cmp_lt_u64_e64 s4, 3, v[7:8]
	v_cmp_ne_u64_e64 s5, v[7:8], v[18:19]
	v_dual_mov_b32 v7, v24 :: v_dual_mov_b32 v28, s38
	v_mov_b32_e32 v8, v26
	s_cselect_b32 s52, 12, 18
	s_wait_alu 0xfffe
	s_add_co_i32 s15, s14, -1
	s_add_nc_u64 s[6:7], s[6:7], s[10:11]
	s_wait_alu 0xfffe
	s_and_b32 s15, s15, 0xffff
	v_mad_co_u64_u32 v[10:11], null, s43, v11, v[7:8]
	v_mad_co_u64_u32 v[7:8], null, s43, v16, v[8:9]
	s_add_nc_u64 s[62:63], s[12:13], s[6:7]
	s_bfe_u32 s92, s50, 0x30005
	v_mul_lo_u32 v42, 0, s42
	s_wait_alu 0xfffe
	s_cmp_gt_u32 s15, 6
	v_add_co_u32 v39, s6, s36, v0
	v_add_co_u32 v12, vcc_lo, s62, v4
	v_cmp_lt_i64_e64 s82, 0xc00, s[36:37]
	v_cmp_gt_i64_e64 s0, s[36:37], v[0:1]
	s_mov_b32 s51, s53
	v_lshlrev_b64_e32 v[26:27], 2, v[4:5]
	v_cmp_eq_u32_e64 s1, 0, v34
	v_cmp_gt_u32_e64 s3, 2, v0
	s_cselect_b32 s93, -1, 0
	s_and_b32 s94, s14, 0x7f8
	v_dual_mov_b32 v24, v9 :: v_dual_mov_b32 v37, v10
	v_mov_b32_e32 v38, v7
	v_add_co_ci_u32_e64 v40, null, s37, 0, s6
	v_lshl_or_b32 v41, v34, 3, 0xc00
	s_wait_alu 0xfffd
	v_add_co_ci_u32_e64 v13, null, s63, v6, vcc_lo
	v_dual_mov_b32 v29, s39 :: v_dual_mov_b32 v44, 0
	v_dual_mov_b32 v22, 0 :: v_dual_mov_b32 v43, 0
	s_add_nc_u64 s[58:59], s[50:51], -1
	s_cmp_lg_u32 s92, 0
	s_add_nc_u64 s[60:61], s[58:59], s[36:37]
	s_mov_b32 s84, s42
	s_mov_b32 s85, s43
	s_mov_b32 s86, s42
	s_mov_b32 s87, s43
	s_mov_b32 s88, s42
	s_mov_b32 s89, s43
	s_mov_b32 s90, s42
	s_mov_b32 s91, s43
	s_mov_b32 s95, 6
	s_cselect_b32 s96, -1, 0
	s_lshl_b64 s[64:65], s[42:43], 2
	s_mul_u64 s[54:55], s[42:43], s[50:51]
	s_add_nc_u64 s[38:39], s[8:9], s[52:53]
	s_mov_b32 s97, 0
	s_mov_b32 s98, 0
                                        ; implicit-def: $sgpr102
                                        ; implicit-def: $sgpr104
                                        ; implicit-def: $sgpr99
                                        ; implicit-def: $sgpr101
                                        ; implicit-def: $sgpr103
                                        ; implicit-def: $sgpr100
	s_branch .LBB15_32
.LBB15_29:                              ;   in Loop: Header=BB15_32 Depth=1
	s_wait_alu 0xfffe
	s_or_b32 exec_lo, exec_lo, s9
	s_delay_alu instid0(SALU_CYCLE_1)
	s_and_b32 s7, s7, exec_lo
	s_and_not1_b32 s22, s22, exec_lo
	s_and_not1_b32 s21, s21, exec_lo
	s_or_not1_b32 s18, s8, exec_lo
.LBB15_30:                              ;   in Loop: Header=BB15_32 Depth=1
	s_wait_alu 0xfffe
	s_or_b32 exec_lo, exec_lo, s6
	s_delay_alu instid0(SALU_CYCLE_1)
	s_and_not1_b32 s6, s100, exec_lo
	s_and_b32 s7, s7, exec_lo
	s_and_not1_b32 s8, s101, exec_lo
	s_wait_alu 0xfffe
	s_or_b32 s100, s6, s7
	s_and_not1_b32 s6, s103, exec_lo
	s_and_b32 s7, s22, exec_lo
	s_and_b32 s9, s21, exec_lo
	s_wait_alu 0xfffe
	s_or_b32 s103, s6, s7
	s_or_b32 s101, s8, s9
	s_or_not1_b32 s18, s18, exec_lo
.LBB15_31:                              ;   in Loop: Header=BB15_32 Depth=1
	s_wait_alu 0xfffe
	s_or_b32 exec_lo, exec_lo, s17
	s_delay_alu instid0(SALU_CYCLE_1)
	s_and_b32 s6, exec_lo, s18
	v_dual_mov_b32 v29, v9 :: v_dual_mov_b32 v28, v8
	s_wait_alu 0xfffe
	s_or_b32 s97, s6, s97
	s_and_not1_b32 s6, s99, exec_lo
	s_and_b32 s7, s100, exec_lo
	s_and_not1_b32 s8, s104, exec_lo
	s_wait_alu 0xfffe
	s_or_b32 s99, s6, s7
	s_and_b32 s6, s103, exec_lo
	s_and_not1_b32 s7, s102, exec_lo
	s_and_b32 s9, s101, exec_lo
	s_wait_alu 0xfffe
	s_or_b32 s104, s8, s6
	s_or_b32 s102, s7, s9
	s_and_not1_b32 exec_lo, exec_lo, s97
	s_cbranch_execz .LBB15_294
.LBB15_32:                              ; =>This Loop Header: Depth=1
                                        ;     Child Loop BB15_37 Depth 2
                                        ;     Child Loop BB15_51 Depth 2
	;; [unrolled: 1-line block ×17, first 2 shown]
	ds_load_b128 v[4:7], v3 offset:5120
	s_wait_dscnt 0x0
	v_readfirstlane_b32 s67, v5
	v_readfirstlane_b32 s66, v4
	s_wait_alu 0xf1ff
	s_delay_alu instid0(VALU_DEP_1)
	v_cmp_gt_i64_e64 s6, s[66:67], 0
	s_and_b32 vcc_lo, exec_lo, s6
	s_wait_alu 0xfffe
	s_cbranch_vccnz .LBB15_64
; %bb.33:                               ;   in Loop: Header=BB15_32 Depth=1
	s_and_b32 vcc_lo, exec_lo, s82
	s_wait_alu 0xfffe
	s_cbranch_vccz .LBB15_45
; %bb.34:                               ;   in Loop: Header=BB15_32 Depth=1
	v_cmp_gt_i64_e32 vcc_lo, 0xc01, v[6:7]
	s_mov_b32 s8, 0
	s_mov_b32 s6, 0
	s_cbranch_vccz .LBB15_46
; %bb.35:                               ;   in Loop: Header=BB15_32 Depth=1
	global_load_u16 v2, v3, s[38:39]
	global_load_u8 v8, v[14:15], off
	s_mov_b32 s9, 0
	s_wait_loadcnt 0x1
	v_and_b32_e32 v2, 0xffff, v2
	s_delay_alu instid0(VALU_DEP_1) | instskip(SKIP_3) | instid1(VALU_DEP_3)
	v_add_co_u32 v4, s6, v0, v2
	s_wait_alu 0xf1fe
	v_add_co_ci_u32_e64 v5, null, 0, 0, s6
	v_mul_lo_u32 v6, v2, s43
	v_mul_lo_u32 v10, s43, v4
	v_mul_hi_u32 v11, v2, s42
	s_delay_alu instid0(VALU_DEP_4) | instskip(SKIP_2) | instid1(VALU_DEP_2)
	v_mul_lo_u32 v7, s42, v5
	v_mad_co_u64_u32 v[4:5], null, s42, v4, s[62:63]
	v_add_nc_u32_e32 v6, v6, v42
	v_add3_u32 v5, v10, v5, v7
	s_delay_alu instid0(VALU_DEP_2)
	v_dual_mov_b32 v7, v1 :: v_dual_add_nc_u32 v10, v6, v11
	v_mul_lo_u32 v9, v2, s42
	v_mov_b32_e32 v6, v0
	s_branch .LBB15_37
.LBB15_36:                              ;   in Loop: Header=BB15_37 Depth=2
	s_wait_alu 0xfffe
	s_or_b32 exec_lo, exec_lo, s7
	v_add_co_u32 v4, vcc_lo, v4, v9
	s_wait_alu 0xfffd
	v_add_co_ci_u32_e64 v5, null, v5, v10, vcc_lo
	v_mov_b32_e32 v8, v11
	s_and_not1_b32 exec_lo, exec_lo, s9
	s_cbranch_execz .LBB15_98
.LBB15_37:                              ;   Parent Loop BB15_32 Depth=1
                                        ; =>  This Inner Loop Header: Depth=2
	s_delay_alu instid0(VALU_DEP_1)
	v_add_co_u32 v6, vcc_lo, v6, v2
	s_wait_alu 0xfffd
	v_add_co_ci_u32_e64 v7, null, 0, v7, vcc_lo
	s_wait_dscnt 0x0
	v_dual_mov_b32 v30, 0 :: v_dual_mov_b32 v11, 0
	s_mov_b32 s7, exec_lo
	s_delay_alu instid0(VALU_DEP_2)
	v_cmp_le_i64_e32 vcc_lo, s[36:37], v[6:7]
	v_cmpx_gt_i64_e64 s[36:37], v[6:7]
	s_cbranch_execz .LBB15_39
; %bb.38:                               ;   in Loop: Header=BB15_37 Depth=2
	global_load_u8 v11, v[4:5], off
.LBB15_39:                              ;   in Loop: Header=BB15_37 Depth=2
	s_wait_alu 0xfffe
	s_or_b32 exec_lo, exec_lo, s7
	s_wait_loadcnt 0x0
	v_bfe_i32 v31, v8, 0, 8
	s_delay_alu instid0(VALU_DEP_1) | instskip(NEXT) | instid1(VALU_DEP_1)
	v_add_nc_u32_e32 v31, 0x80, v31
	v_and_b32_e32 v31, v31, v43
	s_delay_alu instid0(VALU_DEP_1)
	v_cmp_eq_u32_e64 s6, v31, v22
	s_cmp_lg_u32 s6, 0
	s_cselect_b32 s7, -1, 0
	s_wait_alu 0xfffe
	s_and_b32 s7, s1, s7
	s_wait_alu 0xfffe
	s_and_saveexec_b32 s10, s7
	s_cbranch_execz .LBB15_43
; %bb.40:                               ;   in Loop: Header=BB15_37 Depth=2
	s_mov_b32 s13, exec_lo
	s_bcnt1_i32_b32 s11, s6
	s_wait_alu 0xfffe
	v_mbcnt_lo_u32_b32 v30, s13, 0
	s_mov_b32 s12, exec_lo
                                        ; implicit-def: $vgpr31
	s_delay_alu instid0(VALU_DEP_1)
	v_cmpx_eq_u32_e32 0, v30
; %bb.41:                               ;   in Loop: Header=BB15_37 Depth=2
	s_bcnt1_i32_b32 s7, s13
	s_wait_alu 0xfffe
	s_mul_i32 s7, s11, s7
	s_wait_alu 0xfffe
	v_mov_b32_e32 v31, s7
	ds_add_rtn_u32 v31, v3, v31 offset:5136
; %bb.42:                               ;   in Loop: Header=BB15_37 Depth=2
	s_or_b32 exec_lo, exec_lo, s12
	s_wait_dscnt 0x0
	v_readfirstlane_b32 s7, v31
	s_wait_alu 0xf1ff
	s_delay_alu instid0(VALU_DEP_1)
	v_mad_u32_u24 v30, s11, v30, s7
.LBB15_43:                              ;   in Loop: Header=BB15_37 Depth=2
	s_wait_alu 0xfffe
	s_or_b32 exec_lo, exec_lo, s10
	ds_bpermute_b32 v30, v3, v30
	s_and_b32 s7, exec_lo, vcc_lo
	s_wait_alu 0xfffe
	s_or_b32 s9, s7, s9
	s_and_saveexec_b32 s7, s6
	s_cbranch_execz .LBB15_36
; %bb.44:                               ;   in Loop: Header=BB15_37 Depth=2
	v_and_b32_e32 v31, s6, v35
	s_wait_dscnt 0x0
	s_delay_alu instid0(VALU_DEP_1)
	v_bcnt_u32_b32 v30, v31, v30
	ds_store_b8 v30, v8
	s_branch .LBB15_36
.LBB15_45:                              ;   in Loop: Header=BB15_32 Depth=1
	s_mov_b32 s8, -1
	s_mov_b32 s6, 0
.LBB15_46:                              ;   in Loop: Header=BB15_32 Depth=1
	s_wait_alu 0xfffe
	s_and_b32 vcc_lo, exec_lo, s8
	s_wait_alu 0xfffe
	s_cbranch_vccz .LBB15_62
.LBB15_47:                              ;   in Loop: Header=BB15_32 Depth=1
	s_and_saveexec_b32 s12, s0
	s_cbranch_execz .LBB15_59
; %bb.48:                               ;   in Loop: Header=BB15_32 Depth=1
	global_load_u16 v4, v3, s[38:39]
	global_load_u8 v32, v[14:15], off
	v_mov_b32_e32 v8, v0
	s_mov_b32 s13, exec_lo
	s_wait_loadcnt 0x1
	v_and_b32_e32 v2, 0xffff, v4
	v_readfirstlane_b32 s6, v4
	s_delay_alu instid0(VALU_DEP_2) | instskip(NEXT) | instid1(VALU_DEP_1)
	v_add_nc_u32_e32 v2, v2, v0
	v_cmpx_gt_i64_e64 s[36:37], v[2:3]
	s_cbranch_execz .LBB15_58
; %bb.49:                               ;   in Loop: Header=BB15_32 Depth=1
	s_and_b32 s52, s6, 0xffff
	v_dual_mov_b32 v7, v1 :: v_dual_mov_b32 v6, v0
	s_wait_alu 0xfffe
	s_cmp_eq_u32 s52, 1
	v_dual_mov_b32 v5, v3 :: v_dual_mov_b32 v4, v2
	s_cselect_b32 s6, -1, 0
                                        ; implicit-def: $vgpr8_vgpr9
	s_wait_alu 0xfffe
	s_and_b32 s7, s4, s6
	s_mov_b32 s6, -1
	s_wait_alu 0xfffe
	s_and_saveexec_b32 s8, s7
	s_cbranch_execz .LBB15_53
; %bb.50:                               ;   in Loop: Header=BB15_32 Depth=1
	v_add_co_u32 v8, s6, v2, 3
	s_wait_alu 0xf1ff
	v_add_co_ci_u32_e64 v9, null, 0, 0, s6
	v_add_co_u32 v6, s6, v2, 2
	s_wait_alu 0xf1ff
	v_add_co_ci_u32_e64 v7, null, 0, 0, s6
	;; [unrolled: 3-line block ×3, first 2 shown]
	v_mov_b32_e32 v11, v9
	v_dual_mov_b32 v31, v19 :: v_dual_mov_b32 v10, v8
	s_wait_loadcnt 0x0
	v_dual_mov_b32 v30, v18 :: v_dual_lshlrev_b32 v45, 24, v32
	v_mov_b32_e32 v9, v7
	v_dual_mov_b32 v33, v0 :: v_dual_mov_b32 v8, v6
	v_mov_b32_e32 v7, v5
	v_mov_b32_e32 v6, v4
	;; [unrolled: 1-line block ×4, first 2 shown]
	s_mov_b32 s9, 0
.LBB15_51:                              ;   Parent Loop BB15_32 Depth=1
                                        ; =>  This Inner Loop Header: Depth=2
	v_mul_lo_u32 v55, v7, s86
	v_mul_lo_u32 v56, v6, s87
	v_mad_co_u64_u32 v[48:49], null, v6, s86, 0
	v_mul_lo_u32 v32, v9, s88
	v_mul_lo_u32 v54, v8, s89
	v_mad_co_u64_u32 v[46:47], null, v8, s88, 0
	;; [unrolled: 3-line block ×3, first 2 shown]
	v_mad_co_u64_u32 v[52:53], null, v10, s90, s[56:57]
	v_mul_lo_u32 v59, v10, s91
	v_mul_lo_u32 v60, v11, s90
	v_add3_u32 v55, v49, v56, v55
	v_add3_u32 v32, v47, v54, v32
	;; [unrolled: 1-line block ×3, first 2 shown]
	v_add_co_u32 v54, s7, s56, v48
	v_add_co_u32 v49, s6, s56, v46
	v_add3_u32 v53, v60, v53, v59
	v_add_co_u32 v47, vcc_lo, s56, v50
	s_wait_alu 0xf1ff
	v_add_co_ci_u32_e64 v55, null, s57, v55, s7
	v_add_co_ci_u32_e64 v50, null, s57, v32, s6
	s_wait_alu 0xfffd
	v_add_co_ci_u32_e64 v48, null, s57, v51, vcc_lo
	s_clause 0x3
	global_load_u8 v32, v[52:53], off
	global_load_u8 v46, v[54:55], off
	global_load_u8 v49, v[49:50], off
	global_load_u8 v47, v[47:48], off
	v_add_co_u32 v10, vcc_lo, v10, 4
	s_wait_alu 0xfffd
	v_add_co_ci_u32_e64 v11, null, 0, v11, vcc_lo
	v_add_co_u32 v8, vcc_lo, v8, 4
	s_wait_alu 0xfffd
	v_add_co_ci_u32_e64 v9, null, 0, v9, vcc_lo
	;; [unrolled: 3-line block ×3, first 2 shown]
	v_add_co_u32 v30, vcc_lo, v30, -4
	s_wait_alu 0xfffd
	v_add_co_ci_u32_e64 v31, null, -1, v31, vcc_lo
	v_add_co_u32 v4, vcc_lo, v4, 4
	s_wait_alu 0xfffd
	v_add_co_ci_u32_e64 v5, null, 0, v5, vcc_lo
	s_delay_alu instid0(VALU_DEP_3)
	v_cmp_eq_u64_e64 s6, 0, v[30:31]
	s_wait_alu 0xfffe
	s_or_b32 s9, s6, s9
	s_wait_loadcnt 0x0
	v_perm_b32 v48, v47, v46, 0xc0c0004
	v_perm_b32 v46, v46, v49, 0xc0c0004
	;; [unrolled: 1-line block ×4, first 2 shown]
	s_delay_alu instid0(VALU_DEP_2) | instskip(NEXT) | instid1(VALU_DEP_2)
	v_lshl_or_b32 v45, v46, 16, v45
	v_lshl_or_b32 v46, v47, 16, v48
	ds_store_b32 v33, v45
	v_add_nc_u32_e32 v33, 4, v33
	v_mov_b32_e32 v45, v46
	s_wait_alu 0xfffe
	s_and_not1_b32 exec_lo, exec_lo, s9
	s_cbranch_execnz .LBB15_51
; %bb.52:                               ;   in Loop: Header=BB15_32 Depth=1
	s_or_b32 exec_lo, exec_lo, s9
	v_add_co_u32 v4, vcc_lo, v2, v18
	s_wait_alu 0xfffd
	v_add_co_ci_u32_e64 v5, null, 0, v19, vcc_lo
	v_dual_mov_b32 v6, v20 :: v_dual_mov_b32 v7, v21
	s_delay_alu instid0(VALU_DEP_3)
	v_add_co_u32 v8, vcc_lo, v4, -1
	s_or_not1_b32 s6, s5, exec_lo
	s_wait_alu 0xfffd
	v_add_co_ci_u32_e64 v2, null, -1, v5, vcc_lo
.LBB15_53:                              ;   in Loop: Header=BB15_32 Depth=1
	s_wait_alu 0xfffe
	s_or_b32 exec_lo, exec_lo, s8
	s_and_saveexec_b32 s7, s6
	s_cbranch_execz .LBB15_57
; %bb.54:                               ;   in Loop: Header=BB15_32 Depth=1
	v_mad_co_u64_u32 v[9:10], null, s42, v4, s[62:63]
	v_mul_lo_u32 v2, s42, v5
	v_mul_lo_u32 v7, s43, v4
	s_sub_nc_u64 s[8:9], 0, s[52:53]
	s_mul_u64 s[10:11], s[42:43], s[52:53]
	s_mov_b32 s14, 0
	s_delay_alu instid0(VALU_DEP_1)
	v_add3_u32 v10, v7, v10, v2
.LBB15_55:                              ;   Parent Loop BB15_32 Depth=1
                                        ; =>  This Inner Loop Header: Depth=2
	global_load_u8 v2, v[9:10], off
	v_dual_mov_b32 v8, v5 :: v_dual_mov_b32 v7, v4
	s_wait_alu 0xfffe
	v_add_co_u32 v9, vcc_lo, v9, s10
	s_wait_alu 0xfffd
	v_add_co_ci_u32_e64 v10, null, s11, v10, vcc_lo
	v_add_co_u32 v4, s6, v7, s52
	s_wait_alu 0xf1ff
	v_add_co_ci_u32_e64 v5, null, 0, v8, s6
	s_wait_loadcnt 0x1
	ds_store_b8 v6, v32
	v_mov_b32_e32 v6, v7
	v_mov_b32_e32 v7, v8
	v_cmp_le_i64_e32 vcc_lo, s[36:37], v[4:5]
	v_add_co_u32 v8, s6, s8, v4
	s_wait_alu 0xf1ff
	v_add_co_ci_u32_e64 v7, null, s9, v5, s6
	s_or_b32 s14, vcc_lo, s14
	s_wait_loadcnt 0x0
	v_mov_b32_e32 v32, v2
	s_wait_alu 0xfffe
	s_and_not1_b32 exec_lo, exec_lo, s14
	s_cbranch_execnz .LBB15_55
; %bb.56:                               ;   in Loop: Header=BB15_32 Depth=1
	s_or_b32 exec_lo, exec_lo, s14
	v_mov_b32_e32 v32, v2
.LBB15_57:                              ;   in Loop: Header=BB15_32 Depth=1
	s_wait_alu 0xfffe
	s_or_b32 exec_lo, exec_lo, s7
.LBB15_58:                              ;   in Loop: Header=BB15_32 Depth=1
	s_wait_alu 0xfffe
	s_or_b32 exec_lo, exec_lo, s13
	s_wait_loadcnt 0x0
	ds_store_b8 v8, v32
.LBB15_59:                              ;   in Loop: Header=BB15_32 Depth=1
	s_wait_alu 0xfffe
	s_or_b32 exec_lo, exec_lo, s12
	s_wait_loadcnt_dscnt 0x0
	s_barrier_signal -1
	s_barrier_wait -1
	global_inv scope:SCOPE_SE
	s_and_saveexec_b32 s6, s2
; %bb.60:                               ;   in Loop: Header=BB15_32 Depth=1
	v_dual_mov_b32 v4, s36 :: v_dual_mov_b32 v5, s37
	ds_store_b64 v3, v[4:5] offset:5120
; %bb.61:                               ;   in Loop: Header=BB15_32 Depth=1
	s_wait_alu 0xfffe
	s_or_b32 exec_lo, exec_lo, s6
	s_wait_loadcnt_dscnt 0x0
	s_barrier_signal -1
	s_mov_b32 s6, -1
	s_barrier_wait -1
.LBB15_62:                              ;   in Loop: Header=BB15_32 Depth=1
	s_wait_alu 0xfffe
	s_and_b32 vcc_lo, exec_lo, s6
	s_wait_alu 0xfffe
	s_cbranch_vccz .LBB15_64
; %bb.63:                               ;   in Loop: Header=BB15_32 Depth=1
	s_wait_loadcnt 0x0
	global_inv scope:SCOPE_SE
	ds_load_b64 v[4:5], v3 offset:5120
	s_wait_dscnt 0x0
	v_readfirstlane_b32 s66, v4
.LBB15_64:                              ;   in Loop: Header=BB15_32 Depth=1
	s_delay_alu instid0(VALU_DEP_1)
	s_cmp_lt_i32 s66, 1
	s_mov_b32 s6, -1
                                        ; implicit-def: $vgpr10_vgpr11
                                        ; implicit-def: $vgpr6_vgpr7
	s_cbranch_scc1 .LBB15_74
; %bb.65:                               ;   in Loop: Header=BB15_32 Depth=1
	s_wait_alu 0xfffe
	s_and_b32 vcc_lo, exec_lo, s6
	s_wait_alu 0xfffe
	s_cbranch_vccnz .LBB15_88
.LBB15_66:                              ;   in Loop: Header=BB15_32 Depth=1
	s_lshl_b32 s6, s98, 7
	s_and_saveexec_b32 s7, s1
	s_cbranch_execz .LBB15_68
.LBB15_67:                              ;   in Loop: Header=BB15_32 Depth=1
	s_wait_alu 0xfffe
	v_lshl_add_u32 v2, s6, 3, v36
	ds_store_b128 v2, v[4:7]
	ds_store_b128 v2, v[8:11] offset:16
.LBB15_68:                              ;   in Loop: Header=BB15_32 Depth=1
	s_wait_alu 0xfffe
	s_or_b32 exec_lo, exec_lo, s7
	s_wait_loadcnt_dscnt 0x0
	s_barrier_signal -1
	s_barrier_wait -1
	global_inv scope:SCOPE_SE
	s_and_saveexec_b32 s7, s33
	s_cbranch_execz .LBB15_105
; %bb.69:                               ;   in Loop: Header=BB15_32 Depth=1
	v_mov_b32_e32 v4, 0
	v_mov_b32_e32 v5, 0
	s_and_not1_b32 vcc_lo, exec_lo, s83
	s_wait_alu 0xfffe
	s_cbranch_vccnz .LBB15_104
; %bb.70:                               ;   in Loop: Header=BB15_32 Depth=1
	v_mov_b32_e32 v4, 0
	v_mov_b32_e32 v5, 0
	s_and_not1_b32 vcc_lo, exec_lo, s93
	s_wait_alu 0xfffe
	s_cbranch_vccnz .LBB15_101
; %bb.71:                               ;   in Loop: Header=BB15_32 Depth=1
	v_lshl_add_u32 v2, s98, 10, v41
	s_mov_b32 s8, 0
.LBB15_72:                              ;   Parent Loop BB15_32 Depth=1
                                        ; =>  This Inner Loop Header: Depth=2
	ds_load_2addr_b64 v[6:9], v2 offset1:4
	ds_load_2addr_b64 v[30:33], v2 offset0:8 offset1:12
	ds_load_2addr_b64 v[45:48], v2 offset0:16 offset1:20
	s_wait_alu 0xfffe
	s_add_co_i32 s8, s8, 8
	s_wait_alu 0xfffe
	s_cmp_eq_u32 s94, s8
	s_wait_dscnt 0x2
	v_add_co_u32 v4, vcc_lo, v6, v4
	s_wait_alu 0xfffd
	v_add_co_ci_u32_e64 v5, null, v7, v5, vcc_lo
	s_delay_alu instid0(VALU_DEP_2) | instskip(SKIP_1) | instid1(VALU_DEP_2)
	v_add_co_u32 v8, vcc_lo, v8, v4
	s_wait_alu 0xfffd
	v_add_co_ci_u32_e64 v9, null, v9, v5, vcc_lo
	ds_load_2addr_b64 v[4:7], v2 offset0:24 offset1:28
	s_wait_dscnt 0x2
	v_add_co_u32 v8, vcc_lo, v30, v8
	s_wait_alu 0xfffd
	v_add_co_ci_u32_e64 v9, null, v31, v9, vcc_lo
	v_add_nc_u32_e32 v2, 0x100, v2
	s_delay_alu instid0(VALU_DEP_3) | instskip(SKIP_1) | instid1(VALU_DEP_3)
	v_add_co_u32 v8, vcc_lo, v32, v8
	s_wait_alu 0xfffd
	v_add_co_ci_u32_e64 v9, null, v33, v9, vcc_lo
	s_wait_dscnt 0x1
	s_delay_alu instid0(VALU_DEP_2) | instskip(SKIP_1) | instid1(VALU_DEP_2)
	v_add_co_u32 v8, vcc_lo, v45, v8
	s_wait_alu 0xfffd
	v_add_co_ci_u32_e64 v9, null, v46, v9, vcc_lo
	s_delay_alu instid0(VALU_DEP_2) | instskip(SKIP_1) | instid1(VALU_DEP_2)
	v_add_co_u32 v8, vcc_lo, v47, v8
	s_wait_alu 0xfffd
	v_add_co_ci_u32_e64 v9, null, v48, v9, vcc_lo
	s_wait_dscnt 0x0
	s_delay_alu instid0(VALU_DEP_2) | instskip(SKIP_1) | instid1(VALU_DEP_2)
	v_add_co_u32 v4, vcc_lo, v4, v8
	s_wait_alu 0xfffd
	v_add_co_ci_u32_e64 v5, null, v5, v9, vcc_lo
	s_delay_alu instid0(VALU_DEP_2) | instskip(SKIP_1) | instid1(VALU_DEP_2)
	v_add_co_u32 v4, vcc_lo, v6, v4
	s_wait_alu 0xfffd
	v_add_co_ci_u32_e64 v5, null, v7, v5, vcc_lo
	s_cbranch_scc0 .LBB15_72
; %bb.73:                               ;   in Loop: Header=BB15_32 Depth=1
	s_mov_b32 s8, s94
	s_and_not1_b32 vcc_lo, exec_lo, s96
	s_wait_alu 0xfffe
	s_cbranch_vccz .LBB15_102
	s_branch .LBB15_104
.LBB15_74:                              ;   in Loop: Header=BB15_32 Depth=1
	global_load_u16 v2, v3, s[38:39]
	s_mov_b32 s7, s37
	s_wait_loadcnt 0x0
	v_readfirstlane_b32 s6, v2
	s_wait_alu 0xfffe
	s_and_b32 s8, 0xffff, s6
	s_mov_b32 s6, s53
	s_wait_alu 0xfffe
	s_lshl_b32 s68, s8, 2
	s_cmp_lg_u64 s[6:7], 0
	s_cbranch_scc0 .LBB15_97
; %bb.75:                               ;   in Loop: Header=BB15_32 Depth=1
	s_mov_b32 s69, s53
	s_wait_alu 0xfffe
	s_add_nc_u64 s[6:7], s[68:69], 0
	s_wait_alu 0xfffe
	s_xor_b64 s[6:7], s[6:7], 0
	s_wait_alu 0xfffe
	s_cvt_f32_u32 s8, s6
	s_cvt_f32_u32 s9, s7
	s_sub_nc_u64 s[10:11], 0, s[6:7]
	s_wait_alu 0xfffe
	s_delay_alu instid0(SALU_CYCLE_1) | instskip(SKIP_1) | instid1(SALU_CYCLE_2)
	s_fmamk_f32 s8, s9, 0x4f800000, s8
	s_wait_alu 0xfffe
	v_s_rcp_f32 s8, s8
	s_delay_alu instid0(TRANS32_DEP_1) | instskip(SKIP_1) | instid1(SALU_CYCLE_2)
	s_mul_f32 s8, s8, 0x5f7ffffc
	s_wait_alu 0xfffe
	s_mul_f32 s9, s8, 0x2f800000
	s_wait_alu 0xfffe
	s_delay_alu instid0(SALU_CYCLE_2) | instskip(SKIP_1) | instid1(SALU_CYCLE_2)
	s_trunc_f32 s9, s9
	s_wait_alu 0xfffe
	s_fmamk_f32 s8, s9, 0xcf800000, s8
	s_cvt_u32_f32 s9, s9
	s_wait_alu 0xfffe
	s_delay_alu instid0(SALU_CYCLE_1) | instskip(SKIP_1) | instid1(SALU_CYCLE_2)
	s_cvt_u32_f32 s8, s8
	s_wait_alu 0xfffe
	s_mul_u64 s[12:13], s[10:11], s[8:9]
	s_wait_alu 0xfffe
	s_mul_hi_u32 s15, s8, s13
	s_mul_i32 s14, s8, s13
	s_mul_hi_u32 s52, s8, s12
	s_mul_i32 s17, s9, s12
	s_wait_alu 0xfffe
	s_add_nc_u64 s[14:15], s[52:53], s[14:15]
	s_mul_hi_u32 s16, s9, s12
	s_mul_hi_u32 s18, s9, s13
	s_mul_i32 s12, s9, s13
	s_wait_alu 0xfffe
	s_add_co_u32 s13, s14, s17
	s_add_co_ci_u32 s52, s15, s16
	s_add_co_ci_u32 s13, s18, 0
	s_wait_alu 0xfffe
	s_add_nc_u64 s[12:13], s[52:53], s[12:13]
	s_wait_alu 0xfffe
	s_add_co_u32 s8, s8, s12
	s_cselect_b32 s12, -1, 0
	s_wait_alu 0xfffe
	s_cmp_lg_u32 s12, 0
	s_add_co_ci_u32 s9, s9, s13
	s_wait_alu 0xfffe
	s_mul_u64 s[10:11], s[10:11], s[8:9]
	s_wait_alu 0xfffe
	s_mul_hi_u32 s13, s8, s11
	s_mul_i32 s12, s8, s11
	s_mul_hi_u32 s52, s8, s10
	s_mul_i32 s15, s9, s10
	s_wait_alu 0xfffe
	s_add_nc_u64 s[12:13], s[52:53], s[12:13]
	s_mul_hi_u32 s14, s9, s10
	s_mul_hi_u32 s16, s9, s11
	s_mul_i32 s10, s9, s11
	s_wait_alu 0xfffe
	s_add_co_u32 s11, s12, s15
	s_add_co_ci_u32 s52, s13, s14
	s_add_co_ci_u32 s11, s16, 0
	s_wait_alu 0xfffe
	s_add_nc_u64 s[10:11], s[52:53], s[10:11]
	s_wait_alu 0xfffe
	s_add_co_u32 s14, s8, s10
	s_cselect_b32 s8, -1, 0
	s_wait_alu 0xfffe
	s_cmp_lg_u32 s8, 0
	s_add_co_ci_u32 s15, s9, s11
	s_ashr_i32 s8, s37, 31
	s_wait_alu 0xfffe
	s_mov_b32 s9, s8
	s_wait_alu 0xfffe
	s_add_nc_u64 s[10:11], s[36:37], s[8:9]
	s_wait_alu 0xfffe
	s_xor_b64 s[10:11], s[10:11], s[8:9]
	s_wait_alu 0xfffe
	s_mul_hi_u32 s13, s10, s15
	s_mul_i32 s12, s10, s15
	s_mul_hi_u32 s52, s10, s14
	s_mul_i32 s18, s11, s14
	s_wait_alu 0xfffe
	s_add_nc_u64 s[12:13], s[52:53], s[12:13]
	s_mul_hi_u32 s17, s11, s14
	s_mul_hi_u32 s16, s11, s15
	s_wait_alu 0xfffe
	s_add_co_u32 s12, s12, s18
	s_add_co_ci_u32 s52, s13, s17
	s_mul_i32 s14, s11, s15
	s_add_co_ci_u32 s15, s16, 0
	s_wait_alu 0xfffe
	s_add_nc_u64 s[12:13], s[52:53], s[14:15]
	s_wait_alu 0xfffe
	s_mul_u64 s[12:13], s[6:7], s[12:13]
	s_wait_alu 0xfffe
	s_sub_co_u32 s10, s10, s12
	s_cselect_b32 s12, -1, 0
	s_sub_co_i32 s14, s11, s13
	s_wait_alu 0xfffe
	s_cmp_lg_u32 s12, 0
	s_sub_co_ci_u32 s14, s14, s7
	s_sub_co_u32 s15, s10, s6
	s_cselect_b32 s16, -1, 0
	s_wait_alu 0xfffe
	s_cmp_lg_u32 s16, 0
	s_sub_co_ci_u32 s17, s14, 0
	s_wait_alu 0xfffe
	s_cmp_ge_u32 s17, s7
	s_cselect_b32 s18, -1, 0
	s_cmp_ge_u32 s15, s6
	s_cselect_b32 s19, -1, 0
	s_cmp_eq_u32 s17, s7
	s_cselect_b32 s18, s19, s18
	s_cmp_lg_u32 s16, 0
	s_sub_co_ci_u32 s14, s14, s7
	s_sub_co_u32 s16, s15, s6
	s_cselect_b32 s19, -1, 0
	s_delay_alu instid0(SALU_CYCLE_1)
	s_cmp_lg_u32 s19, 0
	s_wait_alu 0xfffe
	s_sub_co_ci_u32 s14, s14, 0
	s_cmp_lg_u32 s18, 0
	s_cselect_b32 s15, s16, s15
	s_wait_alu 0xfffe
	s_cselect_b32 s14, s14, s17
	s_cmp_lg_u32 s12, 0
	s_sub_co_ci_u32 s11, s11, s13
	s_wait_alu 0xfffe
	s_cmp_ge_u32 s11, s7
	s_cselect_b32 s12, -1, 0
	s_cmp_ge_u32 s10, s6
	s_cselect_b32 s6, -1, 0
	s_cmp_eq_u32 s11, s7
	s_wait_alu 0xfffe
	s_cselect_b32 s6, s6, s12
	s_wait_alu 0xfffe
	s_cmp_lg_u32 s6, 0
	s_cselect_b32 s7, s14, s11
	s_cselect_b32 s6, s15, s10
	s_wait_alu 0xfffe
	s_xor_b64 s[6:7], s[6:7], s[8:9]
	s_wait_alu 0xfffe
	s_sub_nc_u64 s[70:71], s[6:7], s[8:9]
	s_cbranch_execnz .LBB15_77
.LBB15_76:                              ;   in Loop: Header=BB15_32 Depth=1
	s_wait_alu 0xfffe
	v_cvt_f32_u32_e32 v4, s68
	s_sub_co_i32 s7, 0, s68
	s_delay_alu instid0(VALU_DEP_1) | instskip(NEXT) | instid1(TRANS32_DEP_1)
	v_rcp_iflag_f32_e32 v4, v4
	v_mul_f32_e32 v4, 0x4f7ffffe, v4
	s_delay_alu instid0(VALU_DEP_1) | instskip(NEXT) | instid1(VALU_DEP_1)
	v_cvt_u32_f32_e32 v4, v4
	v_readfirstlane_b32 s6, v4
	s_wait_alu 0xfffe
	s_mul_i32 s7, s7, s6
	s_wait_alu 0xfffe
	s_mul_hi_u32 s7, s6, s7
	s_wait_alu 0xfffe
	s_add_co_i32 s6, s6, s7
	s_wait_alu 0xfffe
	s_mul_hi_u32 s6, s36, s6
	s_wait_alu 0xfffe
	s_mul_i32 s6, s6, s68
	s_wait_alu 0xfffe
	s_sub_co_i32 s6, s36, s6
	s_wait_alu 0xfffe
	s_sub_co_i32 s7, s6, s68
	s_cmp_ge_u32 s6, s68
	s_wait_alu 0xfffe
	s_cselect_b32 s6, s7, s6
	s_wait_alu 0xfffe
	s_sub_co_i32 s7, s6, s68
	s_cmp_ge_u32 s6, s68
	s_wait_alu 0xfffe
	s_cselect_b32 s52, s7, s6
	s_wait_alu 0xfffe
	s_mov_b64 s[70:71], s[52:53]
.LBB15_77:                              ;   in Loop: Header=BB15_32 Depth=1
	v_mov_b32_e32 v4, 0
	v_dual_mov_b32 v8, 0 :: v_dual_mov_b32 v5, 0
	v_dual_mov_b32 v6, 0 :: v_dual_mov_b32 v9, 0
	;; [unrolled: 1-line block ×3, first 2 shown]
	v_dual_mov_b32 v11, 0 :: v_dual_and_b32 v2, 0xffff, v2
	s_wait_alu 0xfffe
	s_sub_nc_u64 s[72:73], s[36:37], s[70:71]
	s_mov_b32 s67, exec_lo
	s_wait_alu 0xfffe
	v_cmpx_gt_i64_e64 s[72:73], v[16:17]
	s_cbranch_execz .LBB15_81
; %bb.78:                               ;   in Loop: Header=BB15_32 Depth=1
	v_mul_lo_u32 v4, v2, s65
	v_mul_lo_u32 v5, 0, s64
	v_mul_hi_u32 v6, v2, s64
	v_mul_lo_u32 v45, v2, s64
	v_dual_mov_b32 v30, s56 :: v_dual_mov_b32 v33, v17
	v_mov_b32_e32 v32, v16
	s_mov_b64 s[74:75], 0
	v_dual_mov_b32 v31, s57 :: v_dual_add_nc_u32 v4, v4, v5
	s_mov_b32 s69, 0
	s_mov_b64 s[76:77], 0
	s_mov_b64 s[78:79], 0
	;; [unrolled: 1-line block ×3, first 2 shown]
	v_add_nc_u32_e32 v46, v4, v6
.LBB15_79:                              ;   Parent Loop BB15_32 Depth=1
                                        ; =>  This Inner Loop Header: Depth=2
	v_add_co_u32 v4, vcc_lo, v30, v26
	s_wait_alu 0xfffd
	v_add_co_ci_u32_e64 v5, null, v31, v27, vcc_lo
	v_add_co_u32 v6, vcc_lo, v30, v25
	s_wait_alu 0xfffd
	v_add_co_ci_u32_e64 v7, null, v31, v38, vcc_lo
	v_add_co_u32 v8, vcc_lo, v30, v23
	s_wait_alu 0xfffd
	v_add_co_ci_u32_e64 v9, null, v31, v37, vcc_lo
	v_add_co_u32 v10, vcc_lo, v30, v21
	s_wait_alu 0xfffd
	v_add_co_ci_u32_e64 v11, null, v31, v24, vcc_lo
	s_clause 0x3
	global_load_i8 v4, v[4:5], off
	global_load_i8 v5, v[6:7], off
	;; [unrolled: 1-line block ×4, first 2 shown]
	v_add_co_u32 v32, vcc_lo, v32, s68
	s_wait_alu 0xfffd
	v_add_co_ci_u32_e64 v33, null, 0, v33, vcc_lo
	v_add_co_u32 v30, vcc_lo, v30, v45
	s_wait_alu 0xfffd
	v_add_co_ci_u32_e64 v31, null, v31, v46, vcc_lo
	s_delay_alu instid0(VALU_DEP_3)
	v_cmp_le_i64_e32 vcc_lo, s[72:73], v[32:33]
	s_wait_loadcnt 0x3
	v_add_nc_u32_e32 v4, 0x80, v4
	s_wait_loadcnt 0x2
	v_add_nc_u32_e32 v5, 0x80, v5
	;; [unrolled: 2-line block ×4, first 2 shown]
	v_and_b32_e32 v8, v4, v43
	v_bfe_u32 v4, v4, s95, 2
	v_and_b32_e32 v9, v5, v43
	v_bfe_u32 v5, v5, s95, 2
	;; [unrolled: 2-line block ×3, first 2 shown]
	v_cmp_eq_u32_e64 s6, v8, v22
	v_cmp_eq_u32_e64 s10, 0, v4
	v_and_b32_e32 v11, v7, v43
	v_bfe_u32 v7, v7, s95, 2
	v_cmp_eq_u32_e64 s7, v9, v22
	v_cmp_eq_u32_e64 s11, 0, v5
	;; [unrolled: 1-line block ×4, first 2 shown]
	s_and_b32 s10, s6, s10
	v_cmp_eq_u32_e64 s9, v11, v22
	v_cmp_eq_u32_e64 s13, 0, v7
	;; [unrolled: 1-line block ×5, first 2 shown]
	s_wait_alu 0xfffe
	v_cndmask_b32_e64 v4, 0, 1, s10
	s_and_b32 s10, s7, s11
	v_cmp_eq_u32_e64 s15, 1, v5
	v_cmp_eq_u32_e64 s19, 2, v5
	v_cmp_eq_u32_e64 s23, 3, v5
	s_wait_alu 0xfffe
	v_cndmask_b32_e64 v5, 0, 1, s10
	s_and_b32 s10, s8, s12
	v_cmp_eq_u32_e64 s16, 1, v6
	v_cmp_eq_u32_e64 s20, 2, v6
	v_cmp_eq_u32_e64 s24, 3, v6
	;; [unrolled: 6-line block ×3, first 2 shown]
	s_wait_alu 0xfffe
	v_cndmask_b32_e64 v7, 0, 1, s10
	s_and_b32 s10, s6, s14
	s_wait_alu 0xfffe
	v_cndmask_b32_e64 v8, 0, 1, s10
	s_and_b32 s10, s7, s15
	;; [unrolled: 3-line block ×4, first 2 shown]
	v_cmp_ne_u32_e64 s11, 0, v9
	s_wait_alu 0xfffe
	v_cndmask_b32_e64 v11, 0, 1, s10
	s_and_b32 s10, s6, s18
	s_and_b32 s6, s6, s22
	s_wait_alu 0xfffe
	v_cndmask_b32_e64 v47, 0, 1, s10
	v_cndmask_b32_e64 v51, 0, 1, s6
	s_and_b32 s6, s7, s23
	s_and_b32 s10, s7, s19
	s_wait_alu 0xfffe
	v_cndmask_b32_e64 v52, 0, 1, s6
	s_and_b32 s6, s8, s24
	v_cndmask_b32_e64 v48, 0, 1, s10
	s_and_b32 s10, s8, s20
	s_wait_alu 0xfffe
	v_cndmask_b32_e64 v53, 0, 1, s6
	s_and_b32 s6, s9, s25
	v_cndmask_b32_e64 v49, 0, 1, s10
	s_and_b32 s10, s9, s21
	s_wait_alu 0xfffe
	v_cndmask_b32_e64 v54, 0, 1, s6
	v_cmp_ne_u32_e64 s6, 0, v4
	v_cmp_ne_u32_e64 s7, 0, v5
	v_cndmask_b32_e64 v50, 0, 1, s10
	v_cmp_ne_u32_e64 s8, 0, v6
	v_cmp_ne_u32_e64 s10, 0, v8
	;; [unrolled: 1-line block ×6, first 2 shown]
	s_bcnt1_i32_b32 s6, s6
	s_bcnt1_i32_b32 s7, s7
	v_cmp_ne_u32_e64 s13, 0, v11
	v_cmp_ne_u32_e64 s16, 0, v49
	;; [unrolled: 1-line block ×4, first 2 shown]
	s_bcnt1_i32_b32 s8, s8
	s_bcnt1_i32_b32 s10, s10
	;; [unrolled: 1-line block ×3, first 2 shown]
	s_wait_alu 0xfffe
	s_add_co_i32 s6, s7, s6
	v_cmp_ne_u32_e64 s17, 0, v50
	v_cmp_ne_u32_e64 s20, 0, v53
	s_bcnt1_i32_b32 s9, s9
	s_bcnt1_i32_b32 s12, s12
	;; [unrolled: 1-line block ×4, first 2 shown]
	s_add_co_i32 s7, s11, s10
	s_wait_alu 0xfffe
	s_add_co_i32 s6, s6, s8
	v_cmp_ne_u32_e64 s21, 0, v54
	s_bcnt1_i32_b32 s13, s13
	s_bcnt1_i32_b32 s16, s16
	;; [unrolled: 1-line block ×4, first 2 shown]
	s_add_co_i32 s10, s15, s14
	s_add_co_i32 s7, s7, s12
	s_wait_alu 0xfffe
	s_add_co_i32 s52, s6, s9
	s_bcnt1_i32_b32 s17, s17
	s_bcnt1_i32_b32 s20, s20
	s_add_co_i32 s11, s19, s18
	s_add_co_i32 s8, s10, s16
	s_wait_alu 0xfffe
	s_add_nc_u64 s[80:81], s[80:81], s[52:53]
	s_add_co_i32 s52, s7, s13
	s_bcnt1_i32_b32 s21, s21
	s_add_co_i32 s10, s11, s20
	s_wait_alu 0xfffe
	s_add_nc_u64 s[78:79], s[78:79], s[52:53]
	s_add_co_i32 s52, s8, s17
	v_mov_b32_e32 v4, s80
	s_wait_alu 0xfffe
	s_add_nc_u64 s[76:77], s[76:77], s[52:53]
	s_add_co_i32 s52, s10, s21
	v_mov_b32_e32 v6, s78
	s_wait_alu 0xfffe
	s_add_nc_u64 s[74:75], s[74:75], s[52:53]
	v_mov_b32_e32 v8, s76
	s_wait_alu 0xfffe
	v_dual_mov_b32 v10, s74 :: v_dual_mov_b32 v5, s81
	v_mov_b32_e32 v7, s79
	v_mov_b32_e32 v9, s77
	;; [unrolled: 1-line block ×3, first 2 shown]
	s_or_b32 s69, vcc_lo, s69
	s_wait_alu 0xfffe
	s_and_not1_b32 exec_lo, exec_lo, s69
	s_cbranch_execnz .LBB15_79
; %bb.80:                               ;   in Loop: Header=BB15_32 Depth=1
	s_or_b32 exec_lo, exec_lo, s69
.LBB15_81:                              ;   in Loop: Header=BB15_32 Depth=1
	s_wait_alu 0xfffe
	s_or_b32 exec_lo, exec_lo, s67
	v_add_co_u32 v30, s6, s72, v0
	s_wait_alu 0xf1ff
	v_add_co_ci_u32_e64 v31, null, s73, 0, s6
	s_mov_b32 s10, exec_lo
	v_cmpx_gt_i64_e64 s[36:37], v[30:31]
	s_cbranch_execz .LBB15_87
; %bb.82:                               ;   in Loop: Header=BB15_32 Depth=1
	v_mad_co_u64_u32 v[32:33], null, v30, s42, s[56:57]
	v_mul_lo_u32 v45, v30, s43
	v_mul_lo_u32 v46, v31, s42
	v_mul_hi_u32 v49, v2, s42
	s_mov_b32 s11, 0
	s_delay_alu instid0(VALU_DEP_2)
	v_add3_u32 v33, v46, v33, v45
	v_mul_lo_u32 v45, v2, s43
	global_load_u8 v48, v[32:33], off
	v_add_co_u32 v32, vcc_lo, v39, v2
	s_wait_alu 0xfffd
	v_add_co_ci_u32_e64 v33, null, 0, v40, vcc_lo
	v_add_nc_u32_e32 v50, v45, v42
	s_delay_alu instid0(VALU_DEP_3) | instskip(SKIP_1) | instid1(VALU_DEP_3)
	v_sub_co_u32 v32, vcc_lo, v32, s70
	s_wait_alu 0xfffd
	v_subrev_co_ci_u32_e64 v33, null, s71, v33, vcc_lo
	v_mul_lo_u32 v45, v2, s42
	s_delay_alu instid0(VALU_DEP_3) | instskip(NEXT) | instid1(VALU_DEP_3)
	v_mul_lo_u32 v47, s43, v32
	v_mul_lo_u32 v46, s42, v33
	v_mad_co_u64_u32 v[32:33], null, s42, v32, s[62:63]
	s_delay_alu instid0(VALU_DEP_1)
	v_add3_u32 v33, v47, v33, v46
	v_add_nc_u32_e32 v46, v50, v49
	s_branch .LBB15_84
.LBB15_83:                              ;   in Loop: Header=BB15_84 Depth=2
	s_wait_alu 0xfffe
	s_or_b32 exec_lo, exec_lo, s7
	s_wait_loadcnt 0x0
	v_bfe_i32 v48, v48, 0, 8
	s_and_b32 s8, exec_lo, vcc_lo
	s_wait_alu 0xfffe
	s_or_b32 s11, s8, s11
	s_delay_alu instid0(VALU_DEP_1) | instskip(NEXT) | instid1(VALU_DEP_1)
	v_add_nc_u32_e32 v48, 0x80, v48
	v_and_b32_e32 v49, v48, v43
	v_bfe_u32 v48, v48, s95, 2
	s_delay_alu instid0(VALU_DEP_2) | instskip(NEXT) | instid1(VALU_DEP_2)
	v_cmp_eq_u32_e64 s6, v49, v22
	v_cmp_eq_u32_e64 s7, 0, v48
	v_cmp_eq_u32_e32 vcc_lo, 1, v48
	v_cmp_eq_u32_e64 s8, 2, v48
	s_and_b32 s7, s6, s7
	s_wait_alu 0xfffe
	v_cndmask_b32_e64 v49, 0, 1, s7
	s_and_b32 s7, s6, vcc_lo
	v_cmp_eq_u32_e32 vcc_lo, 3, v48
	s_wait_alu 0xfffe
	v_cndmask_b32_e64 v50, 0, 1, s7
	s_and_b32 s7, s6, s8
	s_wait_alu 0xfffe
	v_cndmask_b32_e64 v51, 0, 1, s7
	v_cmp_ne_u32_e64 s7, 0, v49
	v_cmp_ne_u32_e64 s8, 0, v50
	s_and_b32 s6, s6, vcc_lo
	s_wait_alu 0xfffe
	v_cndmask_b32_e64 v48, 0, 1, s6
	s_bcnt1_i32_b32 s6, s7
	v_cmp_ne_u32_e64 s9, 0, v51
	s_bcnt1_i32_b32 s7, s8
	s_wait_alu 0xfffe
	v_add_co_u32 v4, vcc_lo, v4, s6
	s_wait_alu 0xfffd
	v_add_co_ci_u32_e64 v5, null, 0, v5, vcc_lo
	v_add_co_u32 v6, vcc_lo, v6, s7
	s_wait_alu 0xfffd
	v_add_co_ci_u32_e64 v7, null, 0, v7, vcc_lo
	v_cmp_ne_u32_e32 vcc_lo, 0, v48
	s_bcnt1_i32_b32 s8, s9
	v_mov_b32_e32 v48, v47
	s_wait_alu 0xfffe
	v_add_co_u32 v8, s6, v8, s8
	s_wait_alu 0xf1ff
	v_add_co_ci_u32_e64 v9, null, 0, v9, s6
	s_bcnt1_i32_b32 s6, vcc_lo
	s_wait_alu 0xfffe
	v_add_co_u32 v10, vcc_lo, v10, s6
	s_wait_alu 0xfffd
	v_add_co_ci_u32_e64 v11, null, 0, v11, vcc_lo
	v_add_co_u32 v32, vcc_lo, v32, v45
	s_wait_alu 0xfffd
	v_add_co_ci_u32_e64 v33, null, v33, v46, vcc_lo
	s_and_not1_b32 exec_lo, exec_lo, s11
	s_cbranch_execz .LBB15_86
.LBB15_84:                              ;   Parent Loop BB15_32 Depth=1
                                        ; =>  This Inner Loop Header: Depth=2
	v_add_co_u32 v30, vcc_lo, v30, v2
	s_wait_alu 0xfffd
	v_add_co_ci_u32_e64 v31, null, 0, v31, vcc_lo
	v_mov_b32_e32 v47, 0
	s_mov_b32 s7, exec_lo
	s_delay_alu instid0(VALU_DEP_2)
	v_cmp_le_i64_e32 vcc_lo, s[36:37], v[30:31]
	v_cmpx_gt_i64_e64 s[36:37], v[30:31]
	s_cbranch_execz .LBB15_83
; %bb.85:                               ;   in Loop: Header=BB15_84 Depth=2
	global_load_u8 v47, v[32:33], off
	s_branch .LBB15_83
.LBB15_86:                              ;   in Loop: Header=BB15_32 Depth=1
	s_or_b32 exec_lo, exec_lo, s11
.LBB15_87:                              ;   in Loop: Header=BB15_32 Depth=1
	s_wait_alu 0xfffe
	s_or_b32 exec_lo, exec_lo, s10
	s_branch .LBB15_66
.LBB15_88:                              ;   in Loop: Header=BB15_32 Depth=1
	global_load_u16 v2, v3, s[38:39]
	v_mov_b32_e32 v6, 0
	v_mov_b32_e32 v8, 0
	v_dual_mov_b32 v10, 0 :: v_dual_mov_b32 v9, 0
	v_mov_b32_e32 v11, 0
	s_mov_b32 s78, exec_lo
	v_mov_b32_e32 v7, 0
	s_wait_loadcnt 0x0
	v_readfirstlane_b32 s6, v2
	v_and_b32_e32 v2, 0xffff, v2
	s_and_b32 s67, 0xffff, s6
	s_wait_alu 0xfffe
	s_lshl_b32 s77, s67, 2
	s_wait_alu 0xfffe
	s_cvt_f32_u32 s6, s77
	s_sub_co_i32 s7, 0, s77
	s_wait_alu 0xfffe
	s_delay_alu instid0(SALU_CYCLE_1) | instskip(NEXT) | instid1(TRANS32_DEP_1)
	v_rcp_iflag_f32_e32 v4, s6
	v_readfirstlane_b32 s6, v4
	s_mul_f32 s6, s6, 0x4f7ffffe
	s_wait_alu 0xfffe
	s_delay_alu instid0(SALU_CYCLE_2) | instskip(SKIP_1) | instid1(SALU_CYCLE_2)
	s_cvt_u32_f32 s6, s6
	s_wait_alu 0xfffe
	s_mul_i32 s7, s7, s6
	s_wait_alu 0xfffe
	s_mul_hi_u32 s7, s6, s7
	s_wait_alu 0xfffe
	s_add_co_i32 s6, s6, s7
	s_wait_alu 0xfffe
	s_mul_hi_u32 s6, s66, s6
	s_wait_alu 0xfffe
	s_mul_i32 s7, s6, s77
	s_add_co_i32 s8, s6, 1
	s_wait_alu 0xfffe
	s_sub_co_i32 s7, s66, s7
	s_wait_alu 0xfffe
	s_sub_co_i32 s9, s7, s77
	s_cmp_ge_u32 s7, s77
	s_cselect_b32 s6, s8, s6
	s_wait_alu 0xfffe
	s_cselect_b32 s7, s9, s7
	s_add_co_i32 s8, s6, 1
	s_wait_alu 0xfffe
	s_cmp_ge_u32 s7, s77
	s_cselect_b32 s76, s8, s6
	s_wait_alu 0xfffe
	v_mul_hi_u32 v5, s76, v2
	v_mul_lo_u32 v4, s76, v2
	s_delay_alu instid0(VALU_DEP_1) | instskip(SKIP_2) | instid1(VALU_DEP_3)
	v_lshlrev_b64_e32 v[30:31], 2, v[4:5]
	v_mov_b32_e32 v4, 0
	v_mov_b32_e32 v5, 0
	v_cmpx_gt_u64_e64 v[30:31], v[16:17]
	s_cbranch_execz .LBB15_92
; %bb.89:                               ;   in Loop: Header=BB15_32 Depth=1
	v_mov_b32_e32 v33, v17
	v_dual_mov_b32 v45, v16 :: v_dual_mov_b32 v32, v16
	s_mov_b64 s[68:69], 0
	s_mov_b32 s79, 0
	s_mov_b64 s[70:71], 0
	s_mov_b64 s[72:73], 0
	;; [unrolled: 1-line block ×3, first 2 shown]
.LBB15_90:                              ;   Parent Loop BB15_32 Depth=1
                                        ; =>  This Inner Loop Header: Depth=2
	ds_load_b32 v4, v45
	v_add_co_u32 v32, vcc_lo, v32, s77
	s_wait_alu 0xfffd
	v_add_co_ci_u32_e64 v33, null, 0, v33, vcc_lo
	s_delay_alu instid0(VALU_DEP_1)
	v_cmp_ge_u64_e32 vcc_lo, v[32:33], v[30:31]
	s_wait_dscnt 0x0
	v_bfe_i32 v5, v4, 0, 8
	v_bfe_i32 v6, v4, 8, 8
	;; [unrolled: 1-line block ×3, first 2 shown]
	v_ashrrev_i32_e32 v4, 24, v4
	s_delay_alu instid0(VALU_DEP_4) | instskip(NEXT) | instid1(VALU_DEP_4)
	v_add_nc_u32_e32 v5, 0x80, v5
	v_add_nc_u32_e32 v6, 0x80, v6
	s_delay_alu instid0(VALU_DEP_4) | instskip(NEXT) | instid1(VALU_DEP_4)
	v_add_nc_u32_e32 v7, 0x80, v7
	v_add_nc_u32_e32 v4, 0x80, v4
	s_delay_alu instid0(VALU_DEP_4)
	v_and_b32_e32 v8, v5, v43
	v_bfe_u32 v5, v5, s95, 2
	v_and_b32_e32 v9, v6, v43
	v_bfe_u32 v6, v6, s95, 2
	;; [unrolled: 2-line block ×3, first 2 shown]
	v_cmp_eq_u32_e64 s6, v8, v22
	v_cmp_eq_u32_e64 s10, 0, v5
	v_and_b32_e32 v11, v4, v43
	v_bfe_u32 v4, v4, s95, 2
	v_cmp_eq_u32_e64 s7, v9, v22
	v_cmp_eq_u32_e64 s11, 0, v6
	;; [unrolled: 1-line block ×4, first 2 shown]
	s_and_b32 s10, s6, s10
	v_cmp_eq_u32_e64 s9, v11, v22
	v_cmp_eq_u32_e64 s13, 0, v4
	v_cmp_eq_u32_e64 s17, 1, v4
	v_cmp_eq_u32_e64 s21, 2, v4
	v_cmp_eq_u32_e64 s25, 3, v4
	s_wait_alu 0xfffe
	v_cndmask_b32_e64 v4, 0, 1, s10
	s_and_b32 s10, s7, s11
	v_cmp_eq_u32_e64 s14, 1, v5
	v_cmp_eq_u32_e64 s18, 2, v5
	v_cmp_eq_u32_e64 s22, 3, v5
	s_wait_alu 0xfffe
	v_cndmask_b32_e64 v5, 0, 1, s10
	s_and_b32 s10, s8, s12
	v_cmp_eq_u32_e64 s15, 1, v6
	v_cmp_eq_u32_e64 s19, 2, v6
	v_cmp_eq_u32_e64 s23, 3, v6
	;; [unrolled: 6-line block ×3, first 2 shown]
	s_wait_alu 0xfffe
	v_cndmask_b32_e64 v7, 0, 1, s10
	s_and_b32 s10, s6, s14
	s_wait_alu 0xfffe
	v_cndmask_b32_e64 v8, 0, 1, s10
	s_and_b32 s10, s7, s15
	;; [unrolled: 3-line block ×4, first 2 shown]
	v_cmp_ne_u32_e64 s11, 0, v9
	s_wait_alu 0xfffe
	v_cndmask_b32_e64 v11, 0, 1, s10
	s_and_b32 s10, s6, s18
	s_and_b32 s6, s6, s22
	s_wait_alu 0xfffe
	v_cndmask_b32_e64 v46, 0, 1, s10
	v_cndmask_b32_e64 v50, 0, 1, s6
	s_and_b32 s6, s7, s23
	s_and_b32 s10, s7, s19
	s_wait_alu 0xfffe
	v_cndmask_b32_e64 v51, 0, 1, s6
	s_and_b32 s6, s8, s24
	v_cndmask_b32_e64 v47, 0, 1, s10
	s_and_b32 s10, s8, s20
	s_wait_alu 0xfffe
	v_cndmask_b32_e64 v52, 0, 1, s6
	s_and_b32 s6, s9, s25
	v_cndmask_b32_e64 v48, 0, 1, s10
	s_and_b32 s10, s9, s21
	s_wait_alu 0xfffe
	v_cndmask_b32_e64 v53, 0, 1, s6
	v_cmp_ne_u32_e64 s6, 0, v4
	v_cmp_ne_u32_e64 s7, 0, v5
	v_cndmask_b32_e64 v49, 0, 1, s10
	v_cmp_ne_u32_e64 s8, 0, v6
	v_cmp_ne_u32_e64 s10, 0, v8
	;; [unrolled: 1-line block ×6, first 2 shown]
	s_bcnt1_i32_b32 s6, s6
	s_bcnt1_i32_b32 s7, s7
	v_cmp_ne_u32_e64 s13, 0, v11
	v_cmp_ne_u32_e64 s16, 0, v48
	;; [unrolled: 1-line block ×4, first 2 shown]
	s_bcnt1_i32_b32 s8, s8
	s_bcnt1_i32_b32 s10, s10
	;; [unrolled: 1-line block ×3, first 2 shown]
	s_wait_alu 0xfffe
	s_add_co_i32 s6, s7, s6
	v_cmp_ne_u32_e64 s17, 0, v49
	v_cmp_ne_u32_e64 s20, 0, v52
	s_bcnt1_i32_b32 s9, s9
	s_bcnt1_i32_b32 s12, s12
	;; [unrolled: 1-line block ×4, first 2 shown]
	s_add_co_i32 s7, s11, s10
	s_wait_alu 0xfffe
	s_add_co_i32 s6, s6, s8
	v_cmp_ne_u32_e64 s21, 0, v53
	s_bcnt1_i32_b32 s13, s13
	s_bcnt1_i32_b32 s16, s16
	;; [unrolled: 1-line block ×4, first 2 shown]
	s_add_co_i32 s10, s15, s14
	s_add_co_i32 s7, s7, s12
	s_wait_alu 0xfffe
	s_add_co_i32 s52, s6, s9
	s_bcnt1_i32_b32 s17, s17
	s_bcnt1_i32_b32 s20, s20
	s_add_co_i32 s11, s19, s18
	s_add_co_i32 s8, s10, s16
	s_wait_alu 0xfffe
	s_add_nc_u64 s[74:75], s[74:75], s[52:53]
	s_add_co_i32 s52, s7, s13
	s_bcnt1_i32_b32 s21, s21
	s_add_co_i32 s10, s11, s20
	s_wait_alu 0xfffe
	s_add_nc_u64 s[72:73], s[72:73], s[52:53]
	s_add_co_i32 s52, s8, s17
	v_dual_mov_b32 v4, s74 :: v_dual_add_nc_u32 v45, s77, v45
	s_wait_alu 0xfffe
	s_add_nc_u64 s[70:71], s[70:71], s[52:53]
	s_add_co_i32 s52, s10, s21
	v_mov_b32_e32 v6, s72
	s_wait_alu 0xfffe
	s_add_nc_u64 s[68:69], s[68:69], s[52:53]
	v_mov_b32_e32 v8, s70
	s_wait_alu 0xfffe
	v_dual_mov_b32 v10, s68 :: v_dual_mov_b32 v5, s75
	v_mov_b32_e32 v7, s73
	v_mov_b32_e32 v9, s71
	;; [unrolled: 1-line block ×3, first 2 shown]
	s_or_b32 s79, vcc_lo, s79
	s_wait_alu 0xfffe
	s_and_not1_b32 exec_lo, exec_lo, s79
	s_cbranch_execnz .LBB15_90
; %bb.91:                               ;   in Loop: Header=BB15_32 Depth=1
	s_or_b32 exec_lo, exec_lo, s79
.LBB15_92:                              ;   in Loop: Header=BB15_32 Depth=1
	s_delay_alu instid0(SALU_CYCLE_1)
	s_or_b32 exec_lo, exec_lo, s78
	v_add_co_u32 v30, vcc_lo, v30, v0
	s_wait_alu 0xfffd
	v_add_co_ci_u32_e64 v31, null, 0, v31, vcc_lo
	s_and_b32 s52, s66, 0x7fffffff
	s_mov_b32 s11, exec_lo
	s_wait_alu 0xfffe
	v_cmpx_gt_u64_e64 s[52:53], v[30:31]
	s_cbranch_execz .LBB15_96
; %bb.93:                               ;   in Loop: Header=BB15_32 Depth=1
	s_mul_i32 s76, s76, s67
	s_mov_b32 s12, 0
	s_wait_alu 0xfffe
	v_lshl_add_u32 v32, s76, 2, v0
.LBB15_94:                              ;   Parent Loop BB15_32 Depth=1
                                        ; =>  This Inner Loop Header: Depth=2
	ds_load_i8 v33, v32
	v_add_co_u32 v30, vcc_lo, v30, v2
	s_wait_alu 0xfffd
	v_add_co_ci_u32_e64 v31, null, 0, v31, vcc_lo
	v_add_nc_u32_e32 v32, s67, v32
	s_delay_alu instid0(VALU_DEP_2) | instskip(SKIP_2) | instid1(VALU_DEP_1)
	v_cmp_le_u64_e32 vcc_lo, s[52:53], v[30:31]
	s_wait_dscnt 0x0
	v_add_nc_u32_e32 v33, 0x80, v33
	v_and_b32_e32 v45, v33, v43
	v_bfe_u32 v33, v33, s95, 2
	s_delay_alu instid0(VALU_DEP_2) | instskip(NEXT) | instid1(VALU_DEP_2)
	v_cmp_eq_u32_e64 s6, v45, v22
	v_cmp_eq_u32_e64 s7, 0, v33
	;; [unrolled: 1-line block ×5, first 2 shown]
	s_and_b32 s7, s6, s7
	s_wait_alu 0xfffe
	v_cndmask_b32_e64 v33, 0, 1, s7
	s_and_b32 s7, s6, s8
	s_wait_alu 0xfffe
	v_cndmask_b32_e64 v45, 0, 1, s7
	s_and_b32 s7, s6, s9
	s_and_b32 s6, s6, s10
	s_wait_alu 0xfffe
	v_cndmask_b32_e64 v46, 0, 1, s7
	v_cndmask_b32_e64 v47, 0, 1, s6
	v_cmp_ne_u32_e64 s6, 0, v33
	v_cmp_ne_u32_e64 s7, 0, v45
	s_delay_alu instid0(VALU_DEP_4) | instskip(NEXT) | instid1(VALU_DEP_4)
	v_cmp_ne_u32_e64 s8, 0, v46
	v_cmp_ne_u32_e64 s9, 0, v47
	s_bcnt1_i32_b32 s6, s6
	s_bcnt1_i32_b32 s7, s7
	s_wait_alu 0xfffe
	v_add_co_u32 v4, s6, v4, s6
	s_bcnt1_i32_b32 s8, s8
	v_add_co_ci_u32_e64 v5, null, 0, v5, s6
	v_add_co_u32 v6, s6, v6, s7
	s_bcnt1_i32_b32 s9, s9
	v_add_co_ci_u32_e64 v7, null, 0, v7, s6
	s_wait_alu 0xfffe
	v_add_co_u32 v8, s6, v8, s8
	s_wait_alu 0xf1ff
	v_add_co_ci_u32_e64 v9, null, 0, v9, s6
	v_add_co_u32 v10, s6, v10, s9
	s_wait_alu 0xf1ff
	v_add_co_ci_u32_e64 v11, null, 0, v11, s6
	s_or_b32 s12, vcc_lo, s12
	s_wait_alu 0xfffe
	s_and_not1_b32 exec_lo, exec_lo, s12
	s_cbranch_execnz .LBB15_94
; %bb.95:                               ;   in Loop: Header=BB15_32 Depth=1
	s_or_b32 exec_lo, exec_lo, s12
.LBB15_96:                              ;   in Loop: Header=BB15_32 Depth=1
	s_delay_alu instid0(SALU_CYCLE_1)
	s_or_b32 exec_lo, exec_lo, s11
	s_lshl_b32 s6, s98, 7
	s_and_saveexec_b32 s7, s1
	s_cbranch_execnz .LBB15_67
	s_branch .LBB15_68
.LBB15_97:                              ;   in Loop: Header=BB15_32 Depth=1
                                        ; implicit-def: $sgpr70_sgpr71
	s_branch .LBB15_76
.LBB15_98:                              ;   in Loop: Header=BB15_32 Depth=1
	s_or_b32 exec_lo, exec_lo, s9
	s_wait_dscnt 0x0
	s_barrier_signal -1
	s_barrier_wait -1
	global_inv scope:SCOPE_SE
	s_and_saveexec_b32 s6, s2
	s_cbranch_execz .LBB15_100
; %bb.99:                               ;   in Loop: Header=BB15_32 Depth=1
	ds_load_b32 v4, v3 offset:5136
	s_wait_dscnt 0x0
	v_ashrrev_i32_e32 v5, 31, v4
	ds_store_b64 v3, v[4:5] offset:5120
.LBB15_100:                             ;   in Loop: Header=BB15_32 Depth=1
	s_wait_alu 0xfffe
	s_or_b32 exec_lo, exec_lo, s6
	s_wait_loadcnt_dscnt 0x0
	s_barrier_signal -1
	s_mov_b32 s6, -1
	s_barrier_wait -1
	s_and_b32 vcc_lo, exec_lo, s8
	s_wait_alu 0xfffe
	s_cbranch_vccnz .LBB15_47
	s_branch .LBB15_62
.LBB15_101:                             ;   in Loop: Header=BB15_32 Depth=1
	s_mov_b32 s8, 0
	s_and_not1_b32 vcc_lo, exec_lo, s96
	s_wait_alu 0xfffe
	s_cbranch_vccnz .LBB15_104
.LBB15_102:                             ;   in Loop: Header=BB15_32 Depth=1
	s_lshl_b32 s9, s98, 10
	s_lshl_b32 s8, s8, 5
	s_wait_alu 0xfffe
	v_add3_u32 v2, s9, s8, v41
	s_mov_b32 s8, s92
.LBB15_103:                             ;   Parent Loop BB15_32 Depth=1
                                        ; =>  This Inner Loop Header: Depth=2
	ds_load_b64 v[6:7], v2
	v_add_nc_u32_e32 v2, 32, v2
	s_wait_alu 0xfffe
	s_add_co_i32 s8, s8, -1
	s_wait_alu 0xfffe
	s_cmp_lg_u32 s8, 0
	s_wait_dscnt 0x0
	v_add_co_u32 v4, vcc_lo, v6, v4
	s_wait_alu 0xfffd
	v_add_co_ci_u32_e64 v5, null, v7, v5, vcc_lo
	s_cbranch_scc1 .LBB15_103
.LBB15_104:                             ;   in Loop: Header=BB15_32 Depth=1
	v_add_lshl_u32 v2, s6, v34, 3
	ds_store_b64 v2, v[4:5] offset:3072
.LBB15_105:                             ;   in Loop: Header=BB15_32 Depth=1
	s_wait_alu 0xfffe
	s_or_b32 exec_lo, exec_lo, s7
	s_lshl_b32 s6, s6, 3
	s_wait_loadcnt_dscnt 0x0
	s_wait_alu 0xfffe
	v_mov_b32_e32 v2, s6
	s_barrier_signal -1
	s_barrier_wait -1
	global_inv scope:SCOPE_SE
	v_cmp_eq_u64_e32 vcc_lo, 1, v[28:29]
	ds_load_b128 v[4:7], v2 offset:3072
	ds_load_b128 v[8:11], v2 offset:3088
	s_lshl_b32 s16, 3, s95
	s_mov_b32 s18, -1
	s_wait_alu 0xfffe
	s_not_b32 s20, s16
                                        ; implicit-def: $sgpr22
                                        ; implicit-def: $sgpr21
	s_wait_dscnt 0x1
	v_cmp_eq_u64_e64 s6, 1, v[4:5]
	s_wait_dscnt 0x0
	v_readfirstlane_b32 s10, v8
	v_readfirstlane_b32 s11, v9
	;; [unrolled: 1-line block ×4, first 2 shown]
	s_and_b32 s19, s6, vcc_lo
	s_mov_b32 s6, -1
	s_and_saveexec_b32 s17, s19
	s_cbranch_execz .LBB15_137
; %bb.106:                              ;   in Loop: Header=BB15_32 Depth=1
	ds_load_b64 v[8:9], v3 offset:5120
	s_wait_loadcnt_dscnt 0x0
	s_barrier_signal -1
	s_barrier_wait -1
	global_inv scope:SCOPE_SE
	v_readfirstlane_b32 s12, v8
	v_readfirstlane_b32 s13, v9
	s_and_saveexec_b32 s6, s3
; %bb.107:                              ;   in Loop: Header=BB15_32 Depth=1
	ds_store_b8 v0, v3 offset:3072
; %bb.108:                              ;   in Loop: Header=BB15_32 Depth=1
	s_wait_alu 0xfffe
	s_or_b32 exec_lo, exec_lo, s6
	v_cmp_lt_i64_e64 s6, s[12:13], 1
	v_and_b32_e32 v22, s20, v22
	v_or_b32_e32 v43, s16, v43
	s_mov_b32 s21, -1
	s_mov_b32 s22, 0
	s_mov_b32 s23, 0
	s_and_b32 vcc_lo, exec_lo, s6
	s_mov_b32 s7, -1
	s_wait_loadcnt_dscnt 0x0
	s_barrier_signal -1
	s_barrier_wait -1
	global_inv scope:SCOPE_SE
                                        ; implicit-def: $vgpr44
	s_wait_alu 0xfffe
	s_cbranch_vccz .LBB15_122
; %bb.109:                              ;   in Loop: Header=BB15_32 Depth=1
	s_mov_b32 s6, s53
	s_mov_b32 s7, s61
	s_wait_alu 0xfffe
	s_cmp_lg_u64 s[6:7], 0
	s_cbranch_scc0 .LBB15_163
; %bb.110:                              ;   in Loop: Header=BB15_32 Depth=1
	s_add_nc_u64 s[6:7], s[50:51], 0
	s_wait_alu 0xfffe
	s_xor_b64 s[6:7], s[6:7], 0
	s_wait_alu 0xfffe
	s_cvt_f32_u32 s14, s6
	s_cvt_f32_u32 s15, s7
	s_sub_nc_u64 s[24:25], 0, s[6:7]
	s_wait_alu 0xfffe
	s_delay_alu instid0(SALU_CYCLE_1) | instskip(SKIP_1) | instid1(SALU_CYCLE_2)
	s_fmamk_f32 s14, s15, 0x4f800000, s14
	s_wait_alu 0xfffe
	v_s_rcp_f32 s14, s14
	s_delay_alu instid0(TRANS32_DEP_1) | instskip(SKIP_1) | instid1(SALU_CYCLE_2)
	s_mul_f32 s14, s14, 0x5f7ffffc
	s_wait_alu 0xfffe
	s_mul_f32 s15, s14, 0x2f800000
	s_wait_alu 0xfffe
	s_delay_alu instid0(SALU_CYCLE_2) | instskip(SKIP_1) | instid1(SALU_CYCLE_2)
	s_trunc_f32 s15, s15
	s_wait_alu 0xfffe
	s_fmamk_f32 s14, s15, 0xcf800000, s14
	s_cvt_u32_f32 s15, s15
	s_wait_alu 0xfffe
	s_delay_alu instid0(SALU_CYCLE_1) | instskip(SKIP_1) | instid1(SALU_CYCLE_2)
	s_cvt_u32_f32 s14, s14
	s_wait_alu 0xfffe
	s_mul_u64 s[66:67], s[24:25], s[14:15]
	s_wait_alu 0xfffe
	s_mul_hi_u32 s69, s14, s67
	s_mul_i32 s68, s14, s67
	s_mul_hi_u32 s52, s14, s66
	s_mul_i32 s70, s15, s66
	s_wait_alu 0xfffe
	s_add_nc_u64 s[68:69], s[52:53], s[68:69]
	s_mul_hi_u32 s23, s15, s66
	s_mul_hi_u32 s71, s15, s67
	s_wait_alu 0xfffe
	s_add_co_u32 s52, s68, s70
	s_add_co_ci_u32 s52, s69, s23
	s_mul_i32 s66, s15, s67
	s_add_co_ci_u32 s67, s71, 0
	s_wait_alu 0xfffe
	s_add_nc_u64 s[66:67], s[52:53], s[66:67]
	s_wait_alu 0xfffe
	s_add_co_u32 s14, s14, s66
	s_cselect_b32 s23, -1, 0
	s_delay_alu instid0(SALU_CYCLE_1)
	s_cmp_lg_u32 s23, 0
	s_add_co_ci_u32 s15, s15, s67
	s_wait_alu 0xfffe
	s_mul_u64 s[24:25], s[24:25], s[14:15]
	s_wait_alu 0xfffe
	s_mul_hi_u32 s67, s14, s25
	s_mul_i32 s66, s14, s25
	s_mul_hi_u32 s52, s14, s24
	s_mul_i32 s68, s15, s24
	s_wait_alu 0xfffe
	s_add_nc_u64 s[66:67], s[52:53], s[66:67]
	s_mul_hi_u32 s23, s15, s24
	s_mul_hi_u32 s69, s15, s25
	s_mul_i32 s24, s15, s25
	s_wait_alu 0xfffe
	s_add_co_u32 s25, s66, s68
	s_add_co_ci_u32 s52, s67, s23
	s_add_co_ci_u32 s25, s69, 0
	s_wait_alu 0xfffe
	s_add_nc_u64 s[24:25], s[52:53], s[24:25]
	s_wait_alu 0xfffe
	s_add_co_u32 s23, s14, s24
	s_cselect_b32 s14, -1, 0
	s_wait_alu 0xfffe
	s_cmp_lg_u32 s14, 0
	s_add_co_ci_u32 s68, s15, s25
	s_ashr_i32 s14, s61, 31
	s_wait_alu 0xfffe
	s_mov_b32 s15, s14
	s_wait_alu 0xfffe
	s_add_nc_u64 s[24:25], s[60:61], s[14:15]
	s_wait_alu 0xfffe
	s_xor_b64 s[24:25], s[24:25], s[14:15]
	s_wait_alu 0xfffe
	s_mul_hi_u32 s67, s24, s68
	s_mul_i32 s66, s24, s68
	s_mul_hi_u32 s52, s24, s23
	s_mul_hi_u32 s70, s25, s23
	s_mul_i32 s23, s25, s23
	s_wait_alu 0xfffe
	s_add_nc_u64 s[66:67], s[52:53], s[66:67]
	s_mul_hi_u32 s69, s25, s68
	s_wait_alu 0xfffe
	s_add_co_u32 s23, s66, s23
	s_add_co_ci_u32 s52, s67, s70
	s_mul_i32 s68, s25, s68
	s_add_co_ci_u32 s69, s69, 0
	s_wait_alu 0xfffe
	s_add_nc_u64 s[66:67], s[52:53], s[68:69]
	s_wait_alu 0xfffe
	s_mul_u64 s[66:67], s[6:7], s[66:67]
	s_wait_alu 0xfffe
	s_sub_co_u32 s23, s24, s66
	s_cselect_b32 s24, -1, 0
	s_sub_co_i32 s52, s25, s67
	s_wait_alu 0xfffe
	s_cmp_lg_u32 s24, 0
	s_sub_co_ci_u32 s52, s52, s7
	s_sub_co_u32 s66, s23, s6
	s_cselect_b32 s68, -1, 0
	s_wait_alu 0xfffe
	s_cmp_lg_u32 s68, 0
	s_sub_co_ci_u32 s69, s52, 0
	s_wait_alu 0xfffe
	s_cmp_ge_u32 s69, s7
	s_cselect_b32 s70, -1, 0
	s_cmp_ge_u32 s66, s6
	s_cselect_b32 s71, -1, 0
	s_cmp_eq_u32 s69, s7
	s_wait_alu 0xfffe
	s_cselect_b32 s70, s71, s70
	s_cmp_lg_u32 s68, 0
	s_sub_co_ci_u32 s52, s52, s7
	s_sub_co_u32 s68, s66, s6
	s_cselect_b32 s71, -1, 0
	s_wait_alu 0xfffe
	s_cmp_lg_u32 s71, 0
	s_sub_co_ci_u32 s52, s52, 0
	s_cmp_lg_u32 s70, 0
	s_cselect_b32 s66, s68, s66
	s_wait_alu 0xfffe
	s_cselect_b32 s52, s52, s69
	s_cmp_lg_u32 s24, 0
	s_sub_co_ci_u32 s24, s25, s67
	s_wait_alu 0xfffe
	s_cmp_ge_u32 s24, s7
	s_cselect_b32 s25, -1, 0
	s_cmp_ge_u32 s23, s6
	s_cselect_b32 s6, -1, 0
	s_cmp_eq_u32 s24, s7
	s_wait_alu 0xfffe
	s_cselect_b32 s6, s6, s25
	s_wait_alu 0xfffe
	s_cmp_lg_u32 s6, 0
	s_cselect_b32 s7, s52, s24
	s_cselect_b32 s6, s66, s23
	s_wait_alu 0xfffe
	s_xor_b64 s[6:7], s[6:7], s[14:15]
	s_wait_alu 0xfffe
	s_sub_nc_u64 s[6:7], s[6:7], s[14:15]
	s_cbranch_execnz .LBB15_112
.LBB15_111:                             ;   in Loop: Header=BB15_32 Depth=1
	v_cvt_f32_u32_e32 v2, s50
	s_sub_co_i32 s7, 0, s50
	s_delay_alu instid0(VALU_DEP_1) | instskip(NEXT) | instid1(TRANS32_DEP_1)
	v_rcp_iflag_f32_e32 v2, v2
	v_mul_f32_e32 v2, 0x4f7ffffe, v2
	s_delay_alu instid0(VALU_DEP_1) | instskip(NEXT) | instid1(VALU_DEP_1)
	v_cvt_u32_f32_e32 v2, v2
	v_readfirstlane_b32 s6, v2
	s_wait_alu 0xfffe
	s_mul_i32 s7, s7, s6
	s_wait_alu 0xfffe
	s_mul_hi_u32 s7, s6, s7
	s_wait_alu 0xfffe
	s_add_co_i32 s6, s6, s7
	s_wait_alu 0xfffe
	s_mul_hi_u32 s6, s60, s6
	s_wait_alu 0xfffe
	s_mul_i32 s6, s6, s50
	s_wait_alu 0xfffe
	s_sub_co_i32 s6, s60, s6
	s_wait_alu 0xfffe
	s_sub_co_i32 s7, s6, s50
	s_cmp_ge_u32 s6, s50
	s_wait_alu 0xfffe
	s_cselect_b32 s6, s7, s6
	s_wait_alu 0xfffe
	s_sub_co_i32 s7, s6, s50
	s_cmp_ge_u32 s6, s50
	s_wait_alu 0xfffe
	s_cselect_b32 s52, s7, s6
	s_wait_alu 0xfffe
	s_mov_b64 s[6:7], s[52:53]
.LBB15_112:                             ;   in Loop: Header=BB15_32 Depth=1
	s_wait_alu 0xfffe
	s_sub_nc_u64 s[14:15], s[60:61], s[6:7]
	s_mov_b32 s7, 0
	s_mov_b32 s23, 0
	s_mov_b32 s24, exec_lo
                                        ; implicit-def: $vgpr44
	s_wait_alu 0xfffe
	v_cmpx_gt_i64_e64 s[14:15], v[0:1]
	s_cbranch_execz .LBB15_121
; %bb.113:                              ;   in Loop: Header=BB15_32 Depth=1
	v_dual_mov_b32 v8, v12 :: v_dual_mov_b32 v9, v13
	v_dual_mov_b32 v11, v1 :: v_dual_mov_b32 v10, v0
                                        ; implicit-def: $sgpr25
	s_branch .LBB15_116
.LBB15_114:                             ;   in Loop: Header=BB15_116 Depth=2
	s_wait_alu 0xfffe
	s_or_b32 exec_lo, exec_lo, s6
	s_wait_loadcnt_dscnt 0x0
	s_barrier_signal -1
	s_barrier_wait -1
	global_inv scope:SCOPE_SE
	ds_load_u16 v2, v3 offset:3072
	s_mov_b32 s6, -1
	s_mov_b32 s52, -1
	s_wait_loadcnt_dscnt 0x0
	s_barrier_signal -1
	s_barrier_wait -1
	global_inv scope:SCOPE_SE
	v_and_b32_e32 v30, 0xff, v2
	s_delay_alu instid0(VALU_DEP_1)
	v_cmp_ne_u32_e32 vcc_lo, 0, v30
	s_cbranch_vccz .LBB15_119
.LBB15_115:                             ;   in Loop: Header=BB15_116 Depth=2
	s_wait_alu 0xfffe
	s_and_b32 s6, exec_lo, s6
	s_wait_alu 0xfffe
	s_or_b32 s23, s6, s23
	s_and_not1_b32 s6, s25, exec_lo
	s_and_b32 s25, s52, exec_lo
	s_wait_alu 0xfffe
	s_or_b32 s25, s6, s25
	s_and_not1_b32 exec_lo, exec_lo, s23
	s_cbranch_execz .LBB15_120
.LBB15_116:                             ;   Parent Loop BB15_32 Depth=1
                                        ; =>  This Inner Loop Header: Depth=2
	s_mov_b32 s6, exec_lo
	s_delay_alu instid0(VALU_DEP_1)
	v_cmpx_gt_i64_e64 s[36:37], v[10:11]
	s_cbranch_execz .LBB15_114
; %bb.117:                              ;   in Loop: Header=BB15_116 Depth=2
	global_load_u8 v2, v[8:9], off
	s_wait_loadcnt 0x0
	v_bfe_i32 v30, v2, 0, 8
	s_delay_alu instid0(VALU_DEP_1) | instskip(NEXT) | instid1(VALU_DEP_1)
	v_add_nc_u32_e32 v30, 0x80, v30
	v_and_b32_e32 v30, v30, v43
	s_delay_alu instid0(VALU_DEP_1)
	v_cmp_eq_u32_e32 vcc_lo, v30, v22
	s_and_b32 exec_lo, exec_lo, vcc_lo
	s_cbranch_execz .LBB15_114
; %bb.118:                              ;   in Loop: Header=BB15_116 Depth=2
	v_lshlrev_b16 v2, 8, v2
	s_delay_alu instid0(VALU_DEP_1)
	v_or_b32_e32 v2, 1, v2
	ds_store_b16 v3, v2 offset:3072
	s_branch .LBB15_114
.LBB15_119:                             ;   in Loop: Header=BB15_116 Depth=2
	v_add_co_u32 v10, vcc_lo, v10, s50
	s_wait_alu 0xfffd
	v_add_co_ci_u32_e64 v11, null, 0, v11, vcc_lo
	v_add_co_u32 v8, s6, v8, s54
	s_wait_alu 0xf1fe
	v_add_co_ci_u32_e64 v9, null, s55, v9, s6
	s_delay_alu instid0(VALU_DEP_3)
	v_cmp_le_i64_e32 vcc_lo, s[14:15], v[10:11]
	s_mov_b32 s52, 0
	s_or_not1_b32 s6, vcc_lo, exec_lo
	s_branch .LBB15_115
.LBB15_120:                             ;   in Loop: Header=BB15_32 Depth=1
	s_or_b32 exec_lo, exec_lo, s23
	v_and_b32_e32 v2, 0xffff, v2
	s_wait_alu 0xfffe
	s_and_b32 s23, s25, exec_lo
	s_delay_alu instid0(VALU_DEP_1)
	v_lshrrev_b32_e32 v44, 8, v2
.LBB15_121:                             ;   in Loop: Header=BB15_32 Depth=1
	s_or_b32 exec_lo, exec_lo, s24
.LBB15_122:                             ;   in Loop: Header=BB15_32 Depth=1
	s_delay_alu instid0(SALU_CYCLE_1)
	s_and_b32 vcc_lo, exec_lo, s7
	s_wait_alu 0xfffe
	s_cbranch_vccz .LBB15_136
; %bb.123:                              ;   in Loop: Header=BB15_32 Depth=1
	s_add_nc_u64 s[6:7], s[12:13], s[58:59]
	s_mov_b32 s14, s53
	s_wait_alu 0xfffe
	s_mov_b32 s15, s7
	s_wait_alu 0xfffe
	s_cmp_lg_u64 s[14:15], 0
	s_cbranch_scc0 .LBB15_164
; %bb.124:                              ;   in Loop: Header=BB15_32 Depth=1
	s_add_nc_u64 s[14:15], s[50:51], 0
	s_wait_alu 0xfffe
	s_xor_b64 s[14:15], s[14:15], 0
	s_wait_alu 0xfffe
	s_cvt_f32_u32 s21, s14
	s_cvt_f32_u32 s22, s15
	s_sub_nc_u64 s[66:67], 0, s[14:15]
	s_wait_alu 0xfffe
	s_delay_alu instid0(SALU_CYCLE_1) | instskip(SKIP_1) | instid1(SALU_CYCLE_2)
	s_fmamk_f32 s21, s22, 0x4f800000, s21
	s_wait_alu 0xfffe
	v_s_rcp_f32 s21, s21
	s_delay_alu instid0(TRANS32_DEP_1) | instskip(SKIP_1) | instid1(SALU_CYCLE_2)
	s_mul_f32 s21, s21, 0x5f7ffffc
	s_wait_alu 0xfffe
	s_mul_f32 s22, s21, 0x2f800000
	s_delay_alu instid0(SALU_CYCLE_3) | instskip(NEXT) | instid1(SALU_CYCLE_3)
	s_trunc_f32 s22, s22
	s_fmamk_f32 s21, s22, 0xcf800000, s21
	s_cvt_u32_f32 s25, s22
	s_wait_alu 0xfffe
	s_delay_alu instid0(SALU_CYCLE_1) | instskip(SKIP_1) | instid1(SALU_CYCLE_2)
	s_cvt_u32_f32 s24, s21
	s_wait_alu 0xfffe
	s_mul_u64 s[68:69], s[66:67], s[24:25]
	s_wait_alu 0xfffe
	s_mul_hi_u32 s71, s24, s69
	s_mul_i32 s70, s24, s69
	s_mul_hi_u32 s52, s24, s68
	s_mul_i32 s22, s25, s68
	s_wait_alu 0xfffe
	s_add_nc_u64 s[70:71], s[52:53], s[70:71]
	s_mul_hi_u32 s21, s25, s68
	s_mul_hi_u32 s72, s25, s69
	s_wait_alu 0xfffe
	s_add_co_u32 s22, s70, s22
	s_add_co_ci_u32 s52, s71, s21
	s_mul_i32 s68, s25, s69
	s_add_co_ci_u32 s69, s72, 0
	s_wait_alu 0xfffe
	s_add_nc_u64 s[68:69], s[52:53], s[68:69]
	s_wait_alu 0xfffe
	s_add_co_u32 s24, s24, s68
	s_cselect_b32 s21, -1, 0
	s_wait_alu 0xfffe
	s_cmp_lg_u32 s21, 0
	s_add_co_ci_u32 s25, s25, s69
	s_wait_alu 0xfffe
	s_mul_u64 s[66:67], s[66:67], s[24:25]
	s_wait_alu 0xfffe
	s_mul_hi_u32 s69, s24, s67
	s_mul_i32 s68, s24, s67
	s_mul_hi_u32 s52, s24, s66
	s_mul_i32 s22, s25, s66
	s_wait_alu 0xfffe
	s_add_nc_u64 s[68:69], s[52:53], s[68:69]
	s_mul_hi_u32 s21, s25, s66
	s_mul_hi_u32 s70, s25, s67
	s_wait_alu 0xfffe
	s_add_co_u32 s22, s68, s22
	s_add_co_ci_u32 s52, s69, s21
	s_mul_i32 s66, s25, s67
	s_add_co_ci_u32 s67, s70, 0
	s_wait_alu 0xfffe
	s_add_nc_u64 s[66:67], s[52:53], s[66:67]
	s_wait_alu 0xfffe
	s_add_co_u32 s21, s24, s66
	s_cselect_b32 s22, -1, 0
	s_delay_alu instid0(SALU_CYCLE_1)
	s_cmp_lg_u32 s22, 0
	s_add_co_ci_u32 s22, s25, s67
	s_ashr_i32 s24, s7, 31
	s_wait_alu 0xfffe
	s_mov_b32 s25, s24
	s_wait_alu 0xfffe
	s_add_nc_u64 s[66:67], s[6:7], s[24:25]
	s_wait_alu 0xfffe
	s_xor_b64 s[66:67], s[66:67], s[24:25]
	s_wait_alu 0xfffe
	s_mul_hi_u32 s69, s66, s22
	s_mul_i32 s68, s66, s22
	s_mul_hi_u32 s52, s66, s21
	s_mul_hi_u32 s72, s67, s21
	s_mul_i32 s21, s67, s21
	s_wait_alu 0xfffe
	s_add_nc_u64 s[68:69], s[52:53], s[68:69]
	s_mul_hi_u32 s71, s67, s22
	s_wait_alu 0xfffe
	s_add_co_u32 s21, s68, s21
	s_add_co_ci_u32 s52, s69, s72
	s_mul_i32 s70, s67, s22
	s_add_co_ci_u32 s71, s71, 0
	s_wait_alu 0xfffe
	s_add_nc_u64 s[68:69], s[52:53], s[70:71]
	s_wait_alu 0xfffe
	s_mul_u64 s[68:69], s[14:15], s[68:69]
	s_wait_alu 0xfffe
	s_sub_co_u32 s21, s66, s68
	s_cselect_b32 s22, -1, 0
	s_sub_co_i32 s52, s67, s69
	s_cmp_lg_u32 s22, 0
	s_wait_alu 0xfffe
	s_sub_co_ci_u32 s52, s52, s15
	s_sub_co_u32 s66, s21, s14
	s_cselect_b32 s68, -1, 0
	s_wait_alu 0xfffe
	s_cmp_lg_u32 s68, 0
	s_sub_co_ci_u32 s70, s52, 0
	s_wait_alu 0xfffe
	s_cmp_ge_u32 s70, s15
	s_cselect_b32 s71, -1, 0
	s_cmp_ge_u32 s66, s14
	s_cselect_b32 s72, -1, 0
	s_cmp_eq_u32 s70, s15
	s_wait_alu 0xfffe
	s_cselect_b32 s71, s72, s71
	s_cmp_lg_u32 s68, 0
	s_sub_co_ci_u32 s52, s52, s15
	s_sub_co_u32 s68, s66, s14
	s_cselect_b32 s72, -1, 0
	s_wait_alu 0xfffe
	s_cmp_lg_u32 s72, 0
	s_sub_co_ci_u32 s52, s52, 0
	s_cmp_lg_u32 s71, 0
	s_cselect_b32 s66, s68, s66
	s_wait_alu 0xfffe
	s_cselect_b32 s52, s52, s70
	s_cmp_lg_u32 s22, 0
	s_sub_co_ci_u32 s22, s67, s69
	s_delay_alu instid0(SALU_CYCLE_1)
	s_cmp_ge_u32 s22, s15
	s_cselect_b32 s67, -1, 0
	s_cmp_ge_u32 s21, s14
	s_cselect_b32 s14, -1, 0
	s_cmp_eq_u32 s22, s15
	s_wait_alu 0xfffe
	s_cselect_b32 s14, s14, s67
	s_wait_alu 0xfffe
	s_cmp_lg_u32 s14, 0
	s_cselect_b32 s15, s52, s22
	s_cselect_b32 s14, s66, s21
	s_wait_alu 0xfffe
	s_xor_b64 s[14:15], s[14:15], s[24:25]
	s_wait_alu 0xfffe
	s_sub_nc_u64 s[14:15], s[14:15], s[24:25]
	s_cbranch_execnz .LBB15_126
.LBB15_125:                             ;   in Loop: Header=BB15_32 Depth=1
	v_cvt_f32_u32_e32 v2, s50
	s_sub_co_i32 s15, 0, s50
	s_delay_alu instid0(VALU_DEP_1) | instskip(NEXT) | instid1(TRANS32_DEP_1)
	v_rcp_iflag_f32_e32 v2, v2
	v_mul_f32_e32 v2, 0x4f7ffffe, v2
	s_delay_alu instid0(VALU_DEP_1) | instskip(NEXT) | instid1(VALU_DEP_1)
	v_cvt_u32_f32_e32 v2, v2
	v_readfirstlane_b32 s14, v2
	s_wait_alu 0xfffe
	s_mul_i32 s15, s15, s14
	s_wait_alu 0xfffe
	s_mul_hi_u32 s15, s14, s15
	s_wait_alu 0xfffe
	s_add_co_i32 s14, s14, s15
	s_wait_alu 0xfffe
	s_mul_hi_u32 s14, s6, s14
	s_wait_alu 0xfffe
	s_mul_i32 s14, s14, s50
	s_wait_alu 0xfffe
	s_sub_co_i32 s14, s6, s14
	s_wait_alu 0xfffe
	s_sub_co_i32 s15, s14, s50
	s_cmp_ge_u32 s14, s50
	s_wait_alu 0xfffe
	s_cselect_b32 s14, s15, s14
	s_wait_alu 0xfffe
	s_sub_co_i32 s15, s14, s50
	s_cmp_ge_u32 s14, s50
	s_wait_alu 0xfffe
	s_cselect_b32 s52, s15, s14
	s_wait_alu 0xfffe
	s_mov_b64 s[14:15], s[52:53]
.LBB15_126:                             ;   in Loop: Header=BB15_32 Depth=1
	s_wait_alu 0xfffe
	s_sub_nc_u64 s[6:7], s[6:7], s[14:15]
	s_mov_b32 s14, exec_lo
                                        ; implicit-def: $vgpr44
	s_wait_alu 0xfffe
	v_cmpx_gt_i64_e64 s[6:7], v[0:1]
	s_cbranch_execz .LBB15_135
; %bb.127:                              ;   in Loop: Header=BB15_32 Depth=1
	v_dual_mov_b32 v2, v0 :: v_dual_mov_b32 v9, v1
	v_mov_b32_e32 v8, v0
	s_mov_b32 s21, 0
                                        ; implicit-def: $sgpr15
	s_branch .LBB15_130
.LBB15_128:                             ;   in Loop: Header=BB15_130 Depth=2
	s_or_b32 exec_lo, exec_lo, s22
	s_wait_loadcnt_dscnt 0x0
	s_barrier_signal -1
	s_barrier_wait -1
	global_inv scope:SCOPE_SE
	ds_load_u16 v10, v3 offset:3072
	s_mov_b32 s22, -1
	s_mov_b32 s24, -1
	s_wait_loadcnt_dscnt 0x0
	s_barrier_signal -1
	s_barrier_wait -1
	global_inv scope:SCOPE_SE
	v_and_b32_e32 v11, 0xff, v10
	s_delay_alu instid0(VALU_DEP_1)
	v_cmp_ne_u32_e32 vcc_lo, 0, v11
	s_cbranch_vccz .LBB15_133
.LBB15_129:                             ;   in Loop: Header=BB15_130 Depth=2
	s_and_b32 s22, exec_lo, s22
	s_wait_alu 0xfffe
	s_or_b32 s21, s22, s21
	s_and_not1_b32 s15, s15, exec_lo
	s_and_b32 s22, s24, exec_lo
	s_wait_alu 0xfffe
	s_or_b32 s15, s15, s22
	s_and_not1_b32 exec_lo, exec_lo, s21
	s_cbranch_execz .LBB15_134
.LBB15_130:                             ;   Parent Loop BB15_32 Depth=1
                                        ; =>  This Inner Loop Header: Depth=2
	s_mov_b32 s22, exec_lo
	s_delay_alu instid0(VALU_DEP_1)
	v_cmpx_gt_u64_e64 s[12:13], v[8:9]
	s_cbranch_execz .LBB15_128
; %bb.131:                              ;   in Loop: Header=BB15_130 Depth=2
	ds_load_u8 v10, v2
	s_wait_dscnt 0x0
	v_bfe_i32 v11, v10, 0, 8
	s_delay_alu instid0(VALU_DEP_1) | instskip(NEXT) | instid1(VALU_DEP_1)
	v_add_nc_u32_e32 v11, 0x80, v11
	v_and_b32_e32 v11, v11, v43
	s_delay_alu instid0(VALU_DEP_1)
	v_cmp_eq_u32_e32 vcc_lo, v11, v22
	s_and_b32 exec_lo, exec_lo, vcc_lo
	s_cbranch_execz .LBB15_128
; %bb.132:                              ;   in Loop: Header=BB15_130 Depth=2
	v_lshlrev_b16 v10, 8, v10
	s_delay_alu instid0(VALU_DEP_1)
	v_or_b32_e32 v10, 1, v10
	ds_store_b16 v3, v10 offset:3072
	s_branch .LBB15_128
.LBB15_133:                             ;   in Loop: Header=BB15_130 Depth=2
	v_add_co_u32 v8, vcc_lo, v8, s50
	s_wait_alu 0xfffd
	v_add_co_ci_u32_e64 v9, null, 0, v9, vcc_lo
	v_add_nc_u32_e32 v2, s50, v2
	s_mov_b32 s24, 0
	s_delay_alu instid0(VALU_DEP_2)
	v_cmp_le_i64_e32 vcc_lo, s[6:7], v[8:9]
	s_or_not1_b32 s22, vcc_lo, exec_lo
	s_branch .LBB15_129
.LBB15_134:                             ;   in Loop: Header=BB15_32 Depth=1
	s_or_b32 exec_lo, exec_lo, s21
	v_and_b32_e32 v2, 0xffff, v10
	s_and_not1_b32 s6, s23, exec_lo
	s_wait_alu 0xfffe
	s_and_b32 s7, s15, exec_lo
	s_wait_alu 0xfffe
	s_or_b32 s23, s6, s7
	v_lshrrev_b32_e32 v44, 8, v2
.LBB15_135:                             ;   in Loop: Header=BB15_32 Depth=1
	s_or_b32 exec_lo, exec_lo, s14
	s_mov_b32 s21, 0
	s_mov_b32 s22, -1
.LBB15_136:                             ;   in Loop: Header=BB15_32 Depth=1
	s_or_not1_b32 s6, s23, exec_lo
.LBB15_137:                             ;   in Loop: Header=BB15_32 Depth=1
	s_wait_alu 0xfffe
	s_or_b32 exec_lo, exec_lo, s17
	s_delay_alu instid0(SALU_CYCLE_1)
	s_and_not1_b32 s7, s103, exec_lo
	s_and_b32 s12, s22, exec_lo
	s_and_not1_b32 s13, s101, exec_lo
	s_and_b32 s14, s21, exec_lo
	s_and_not1_b32 s100, s100, exec_lo
	s_wait_alu 0xfffe
	s_or_b32 s103, s7, s12
	s_or_b32 s101, s13, s14
                                        ; implicit-def: $vgpr8_vgpr9
	s_and_saveexec_b32 s17, s6
	s_cbranch_execz .LBB15_31
; %bb.138:                              ;   in Loop: Header=BB15_32 Depth=1
	v_mov_b32_e32 v8, 1
	v_dual_mov_b32 v9, 0 :: v_dual_mov_b32 v2, 1
	s_xor_b32 s12, s19, -1
	s_mov_b32 s7, 0
	s_wait_alu 0xfffe
	s_and_saveexec_b32 s6, s12
	s_cbranch_execz .LBB15_147
; %bb.139:                              ;   in Loop: Header=BB15_32 Depth=1
	s_mov_b32 s7, exec_lo
	v_cmpx_le_i64_e64 v[28:29], v[4:5]
	s_wait_alu 0xfffe
	s_xor_b32 s7, exec_lo, s7
	s_cbranch_execz .LBB15_144
; %bb.140:                              ;   in Loop: Header=BB15_32 Depth=1
	ds_load_b64 v[8:9], v3 offset:5120
	v_and_b32_e32 v22, s20, v22
	v_or_b32_e32 v43, s16, v43
	s_wait_dscnt 0x0
	v_cmp_ne_u64_e32 vcc_lo, 0, v[8:9]
	s_cbranch_vccnz .LBB15_144
; %bb.141:                              ;   in Loop: Header=BB15_32 Depth=1
	s_and_saveexec_b32 s12, s2
; %bb.142:                              ;   in Loop: Header=BB15_32 Depth=1
	ds_store_b64 v3, v[4:5] offset:5128
; %bb.143:                              ;   in Loop: Header=BB15_32 Depth=1
	s_wait_alu 0xfffe
	s_or_b32 exec_lo, exec_lo, s12
	s_wait_loadcnt_dscnt 0x0
	s_barrier_signal -1
	s_barrier_wait -1
	global_inv scope:SCOPE_SE
.LBB15_144:                             ;   in Loop: Header=BB15_32 Depth=1
	s_wait_alu 0xfffe
	s_or_saveexec_b32 s7, s7
	v_mov_b32_e32 v2, 8
	s_mov_b32 s12, 0
	s_wait_alu 0xfffe
	s_xor_b32 exec_lo, exec_lo, s7
; %bb.145:                              ;   in Loop: Header=BB15_32 Depth=1
	v_sub_co_u32 v28, vcc_lo, v28, v4
	s_wait_alu 0xfffd
	v_sub_co_ci_u32_e64 v29, null, v29, v5, vcc_lo
	v_mov_b32_e32 v2, 0
	s_mov_b32 s12, exec_lo
; %bb.146:                              ;   in Loop: Header=BB15_32 Depth=1
	s_or_b32 exec_lo, exec_lo, s7
	s_delay_alu instid0(VALU_DEP_2)
	v_dual_mov_b32 v8, v28 :: v_dual_mov_b32 v9, v29
	s_wait_alu 0xfffe
	s_and_b32 s7, s12, exec_lo
.LBB15_147:                             ;   in Loop: Header=BB15_32 Depth=1
	s_wait_alu 0xfffe
	s_or_b32 exec_lo, exec_lo, s6
	s_mov_b32 s18, -1
	s_mov_b32 s6, -1
                                        ; implicit-def: $sgpr21
                                        ; implicit-def: $sgpr22
	s_and_saveexec_b32 s12, s7
	s_wait_alu 0xfffe
	s_xor_b32 s19, exec_lo, s12
	s_cbranch_execz .LBB15_289
; %bb.148:                              ;   in Loop: Header=BB15_32 Depth=1
	v_cmp_eq_u64_e32 vcc_lo, 1, v[6:7]
	v_cmp_eq_u64_e64 s6, 1, v[8:9]
                                        ; implicit-def: $sgpr22
                                        ; implicit-def: $sgpr21
	s_and_b32 s24, vcc_lo, s6
	s_mov_b32 s6, -1
	s_wait_alu 0xfffe
	s_and_saveexec_b32 s23, s24
	s_cbranch_execz .LBB15_182
; %bb.149:                              ;   in Loop: Header=BB15_32 Depth=1
	ds_load_b64 v[4:5], v3 offset:5120
	s_wait_loadcnt_dscnt 0x0
	s_barrier_signal -1
	s_barrier_wait -1
	global_inv scope:SCOPE_SE
	v_readfirstlane_b32 s12, v4
	v_readfirstlane_b32 s13, v5
	s_and_saveexec_b32 s6, s3
; %bb.150:                              ;   in Loop: Header=BB15_32 Depth=1
	ds_store_b8 v0, v3 offset:3072
; %bb.151:                              ;   in Loop: Header=BB15_32 Depth=1
	s_wait_alu 0xfffe
	s_or_b32 exec_lo, exec_lo, s6
	s_lshl_b32 s6, 1, s95
	v_or_b32_e32 v43, s16, v43
	s_wait_alu 0xfffe
	v_and_or_b32 v22, v22, s20, s6
	v_cmp_gt_i64_e64 s6, s[12:13], 0
	s_mov_b32 s21, -1
	s_mov_b32 s22, 0
	s_mov_b32 s25, 0
	s_mov_b32 s7, -1
	s_wait_loadcnt_dscnt 0x0
	s_and_b32 vcc_lo, exec_lo, s6
	s_barrier_signal -1
	s_barrier_wait -1
	global_inv scope:SCOPE_SE
                                        ; implicit-def: $vgpr44
	s_wait_alu 0xfffe
	s_cbranch_vccnz .LBB15_167
; %bb.152:                              ;   in Loop: Header=BB15_32 Depth=1
	s_mov_b32 s6, s53
	s_mov_b32 s7, s61
	s_wait_alu 0xfffe
	s_cmp_lg_u64 s[6:7], 0
	s_cbranch_scc0 .LBB15_209
; %bb.153:                              ;   in Loop: Header=BB15_32 Depth=1
	s_add_nc_u64 s[6:7], s[50:51], 0
	s_wait_alu 0xfffe
	s_xor_b64 s[6:7], s[6:7], 0
	s_wait_alu 0xfffe
	s_cvt_f32_u32 s14, s6
	s_cvt_f32_u32 s15, s7
	s_sub_nc_u64 s[66:67], 0, s[6:7]
	s_wait_alu 0xfffe
	s_delay_alu instid0(SALU_CYCLE_1) | instskip(SKIP_1) | instid1(SALU_CYCLE_2)
	s_fmamk_f32 s14, s15, 0x4f800000, s14
	s_wait_alu 0xfffe
	v_s_rcp_f32 s14, s14
	s_delay_alu instid0(TRANS32_DEP_1) | instskip(SKIP_1) | instid1(SALU_CYCLE_2)
	s_mul_f32 s14, s14, 0x5f7ffffc
	s_wait_alu 0xfffe
	s_mul_f32 s15, s14, 0x2f800000
	s_wait_alu 0xfffe
	s_delay_alu instid0(SALU_CYCLE_2) | instskip(SKIP_1) | instid1(SALU_CYCLE_2)
	s_trunc_f32 s15, s15
	s_wait_alu 0xfffe
	s_fmamk_f32 s14, s15, 0xcf800000, s14
	s_cvt_u32_f32 s15, s15
	s_wait_alu 0xfffe
	s_delay_alu instid0(SALU_CYCLE_1) | instskip(SKIP_1) | instid1(SALU_CYCLE_2)
	s_cvt_u32_f32 s14, s14
	s_wait_alu 0xfffe
	s_mul_u64 s[68:69], s[66:67], s[14:15]
	s_wait_alu 0xfffe
	s_mul_hi_u32 s71, s14, s69
	s_mul_i32 s70, s14, s69
	s_mul_hi_u32 s52, s14, s68
	s_mul_i32 s72, s15, s68
	s_wait_alu 0xfffe
	s_add_nc_u64 s[70:71], s[52:53], s[70:71]
	s_mul_hi_u32 s25, s15, s68
	s_mul_hi_u32 s73, s15, s69
	s_wait_alu 0xfffe
	s_add_co_u32 s52, s70, s72
	s_add_co_ci_u32 s52, s71, s25
	s_mul_i32 s68, s15, s69
	s_add_co_ci_u32 s69, s73, 0
	s_wait_alu 0xfffe
	s_add_nc_u64 s[68:69], s[52:53], s[68:69]
	s_wait_alu 0xfffe
	s_add_co_u32 s14, s14, s68
	s_cselect_b32 s25, -1, 0
	s_wait_alu 0xfffe
	s_cmp_lg_u32 s25, 0
	s_add_co_ci_u32 s15, s15, s69
	s_wait_alu 0xfffe
	s_mul_u64 s[66:67], s[66:67], s[14:15]
	s_wait_alu 0xfffe
	s_mul_hi_u32 s69, s14, s67
	s_mul_i32 s68, s14, s67
	s_mul_hi_u32 s52, s14, s66
	s_mul_i32 s70, s15, s66
	s_wait_alu 0xfffe
	s_add_nc_u64 s[68:69], s[52:53], s[68:69]
	s_mul_hi_u32 s25, s15, s66
	s_mul_hi_u32 s71, s15, s67
	s_wait_alu 0xfffe
	s_add_co_u32 s52, s68, s70
	s_add_co_ci_u32 s52, s69, s25
	s_mul_i32 s66, s15, s67
	s_add_co_ci_u32 s67, s71, 0
	s_wait_alu 0xfffe
	s_add_nc_u64 s[66:67], s[52:53], s[66:67]
	s_wait_alu 0xfffe
	s_add_co_u32 s25, s14, s66
	s_cselect_b32 s14, -1, 0
	s_wait_alu 0xfffe
	s_cmp_lg_u32 s14, 0
	s_add_co_ci_u32 s70, s15, s67
	s_ashr_i32 s14, s61, 31
	s_wait_alu 0xfffe
	s_mov_b32 s15, s14
	s_wait_alu 0xfffe
	s_add_nc_u64 s[66:67], s[60:61], s[14:15]
	s_wait_alu 0xfffe
	s_xor_b64 s[66:67], s[66:67], s[14:15]
	s_wait_alu 0xfffe
	s_mul_hi_u32 s69, s66, s70
	s_mul_i32 s68, s66, s70
	s_mul_hi_u32 s52, s66, s25
	s_mul_hi_u32 s72, s67, s25
	s_mul_i32 s25, s67, s25
	s_wait_alu 0xfffe
	s_add_nc_u64 s[68:69], s[52:53], s[68:69]
	s_mul_hi_u32 s71, s67, s70
	s_wait_alu 0xfffe
	s_add_co_u32 s25, s68, s25
	s_add_co_ci_u32 s52, s69, s72
	s_mul_i32 s70, s67, s70
	s_add_co_ci_u32 s71, s71, 0
	s_wait_alu 0xfffe
	s_add_nc_u64 s[68:69], s[52:53], s[70:71]
	s_wait_alu 0xfffe
	s_mul_u64 s[68:69], s[6:7], s[68:69]
	s_wait_alu 0xfffe
	s_sub_co_u32 s25, s66, s68
	s_cselect_b32 s52, -1, 0
	s_sub_co_i32 s66, s67, s69
	s_wait_alu 0xfffe
	s_cmp_lg_u32 s52, 0
	s_sub_co_ci_u32 s66, s66, s7
	s_sub_co_u32 s68, s25, s6
	s_cselect_b32 s70, -1, 0
	s_wait_alu 0xfffe
	s_cmp_lg_u32 s70, 0
	s_sub_co_ci_u32 s71, s66, 0
	s_wait_alu 0xfffe
	s_cmp_ge_u32 s71, s7
	s_cselect_b32 s72, -1, 0
	s_cmp_ge_u32 s68, s6
	s_cselect_b32 s73, -1, 0
	s_cmp_eq_u32 s71, s7
	s_wait_alu 0xfffe
	s_cselect_b32 s72, s73, s72
	s_cmp_lg_u32 s70, 0
	s_sub_co_ci_u32 s66, s66, s7
	s_sub_co_u32 s70, s68, s6
	s_cselect_b32 s73, -1, 0
	s_wait_alu 0xfffe
	s_cmp_lg_u32 s73, 0
	s_sub_co_ci_u32 s66, s66, 0
	s_cmp_lg_u32 s72, 0
	s_cselect_b32 s68, s70, s68
	s_wait_alu 0xfffe
	s_cselect_b32 s66, s66, s71
	s_cmp_lg_u32 s52, 0
	s_sub_co_ci_u32 s52, s67, s69
	s_wait_alu 0xfffe
	s_cmp_ge_u32 s52, s7
	s_cselect_b32 s67, -1, 0
	s_cmp_ge_u32 s25, s6
	s_cselect_b32 s6, -1, 0
	s_cmp_eq_u32 s52, s7
	s_wait_alu 0xfffe
	s_cselect_b32 s6, s6, s67
	s_wait_alu 0xfffe
	s_cmp_lg_u32 s6, 0
	s_cselect_b32 s7, s66, s52
	s_cselect_b32 s6, s68, s25
	s_wait_alu 0xfffe
	s_xor_b64 s[6:7], s[6:7], s[14:15]
	s_wait_alu 0xfffe
	s_sub_nc_u64 s[6:7], s[6:7], s[14:15]
	s_cbranch_execnz .LBB15_155
.LBB15_154:                             ;   in Loop: Header=BB15_32 Depth=1
	v_cvt_f32_u32_e32 v4, s50
	s_sub_co_i32 s7, 0, s50
	s_delay_alu instid0(VALU_DEP_1) | instskip(NEXT) | instid1(TRANS32_DEP_1)
	v_rcp_iflag_f32_e32 v4, v4
	v_mul_f32_e32 v4, 0x4f7ffffe, v4
	s_delay_alu instid0(VALU_DEP_1) | instskip(NEXT) | instid1(VALU_DEP_1)
	v_cvt_u32_f32_e32 v4, v4
	v_readfirstlane_b32 s6, v4
	s_wait_alu 0xfffe
	s_mul_i32 s7, s7, s6
	s_wait_alu 0xfffe
	s_mul_hi_u32 s7, s6, s7
	s_wait_alu 0xfffe
	s_add_co_i32 s6, s6, s7
	s_wait_alu 0xfffe
	s_mul_hi_u32 s6, s60, s6
	s_wait_alu 0xfffe
	s_mul_i32 s6, s6, s50
	s_wait_alu 0xfffe
	s_sub_co_i32 s6, s60, s6
	s_wait_alu 0xfffe
	s_sub_co_i32 s7, s6, s50
	s_cmp_ge_u32 s6, s50
	s_wait_alu 0xfffe
	s_cselect_b32 s6, s7, s6
	s_wait_alu 0xfffe
	s_sub_co_i32 s7, s6, s50
	s_cmp_ge_u32 s6, s50
	s_wait_alu 0xfffe
	s_cselect_b32 s52, s7, s6
	s_wait_alu 0xfffe
	s_mov_b64 s[6:7], s[52:53]
.LBB15_155:                             ;   in Loop: Header=BB15_32 Depth=1
	s_wait_alu 0xfffe
	s_sub_nc_u64 s[14:15], s[60:61], s[6:7]
	s_mov_b32 s7, 0
	s_mov_b32 s25, 0
	s_mov_b32 s52, exec_lo
                                        ; implicit-def: $vgpr44
	s_wait_alu 0xfffe
	v_cmpx_gt_i64_e64 s[14:15], v[0:1]
	s_cbranch_execz .LBB15_166
; %bb.156:                              ;   in Loop: Header=BB15_32 Depth=1
	v_dual_mov_b32 v4, v12 :: v_dual_mov_b32 v5, v13
	v_dual_mov_b32 v11, v1 :: v_dual_mov_b32 v10, v0
                                        ; implicit-def: $sgpr66
	s_branch .LBB15_159
.LBB15_157:                             ;   in Loop: Header=BB15_159 Depth=2
	s_wait_alu 0xfffe
	s_or_b32 exec_lo, exec_lo, s6
	s_wait_loadcnt_dscnt 0x0
	s_barrier_signal -1
	s_barrier_wait -1
	global_inv scope:SCOPE_SE
	ds_load_u16 v28, v3 offset:3072
	s_mov_b32 s6, -1
	s_mov_b32 s67, -1
	s_wait_loadcnt_dscnt 0x0
	s_barrier_signal -1
	s_barrier_wait -1
	global_inv scope:SCOPE_SE
	v_and_b32_e32 v29, 0xff, v28
	s_delay_alu instid0(VALU_DEP_1)
	v_cmp_ne_u32_e32 vcc_lo, 0, v29
	s_cbranch_vccz .LBB15_162
.LBB15_158:                             ;   in Loop: Header=BB15_159 Depth=2
	s_wait_alu 0xfffe
	s_and_b32 s6, exec_lo, s6
	s_wait_alu 0xfffe
	s_or_b32 s25, s6, s25
	s_and_not1_b32 s6, s66, exec_lo
	s_and_b32 s66, s67, exec_lo
	s_wait_alu 0xfffe
	s_or_b32 s66, s6, s66
	s_and_not1_b32 exec_lo, exec_lo, s25
	s_cbranch_execz .LBB15_165
.LBB15_159:                             ;   Parent Loop BB15_32 Depth=1
                                        ; =>  This Inner Loop Header: Depth=2
	s_mov_b32 s6, exec_lo
	s_delay_alu instid0(VALU_DEP_1)
	v_cmpx_gt_i64_e64 s[36:37], v[10:11]
	s_cbranch_execz .LBB15_157
; %bb.160:                              ;   in Loop: Header=BB15_159 Depth=2
	global_load_u8 v28, v[4:5], off
	s_wait_loadcnt 0x0
	v_bfe_i32 v29, v28, 0, 8
	s_delay_alu instid0(VALU_DEP_1) | instskip(NEXT) | instid1(VALU_DEP_1)
	v_add_nc_u32_e32 v29, 0x80, v29
	v_and_b32_e32 v29, v29, v43
	s_delay_alu instid0(VALU_DEP_1)
	v_cmp_eq_u32_e32 vcc_lo, v29, v22
	s_and_b32 exec_lo, exec_lo, vcc_lo
	s_cbranch_execz .LBB15_157
; %bb.161:                              ;   in Loop: Header=BB15_159 Depth=2
	v_lshlrev_b16 v28, 8, v28
	s_delay_alu instid0(VALU_DEP_1)
	v_or_b32_e32 v28, 1, v28
	ds_store_b16 v3, v28 offset:3072
	s_branch .LBB15_157
.LBB15_162:                             ;   in Loop: Header=BB15_159 Depth=2
	v_add_co_u32 v10, vcc_lo, v10, s50
	s_wait_alu 0xfffd
	v_add_co_ci_u32_e64 v11, null, 0, v11, vcc_lo
	v_add_co_u32 v4, s6, v4, s54
	s_wait_alu 0xf1fe
	v_add_co_ci_u32_e64 v5, null, s55, v5, s6
	s_delay_alu instid0(VALU_DEP_3)
	v_cmp_le_i64_e32 vcc_lo, s[14:15], v[10:11]
	s_mov_b32 s67, 0
	s_or_not1_b32 s6, vcc_lo, exec_lo
	s_branch .LBB15_158
.LBB15_163:                             ;   in Loop: Header=BB15_32 Depth=1
                                        ; implicit-def: $sgpr6_sgpr7
	s_branch .LBB15_111
.LBB15_164:                             ;   in Loop: Header=BB15_32 Depth=1
                                        ; implicit-def: $sgpr14_sgpr15
	s_branch .LBB15_125
.LBB15_165:                             ;   in Loop: Header=BB15_32 Depth=1
	s_or_b32 exec_lo, exec_lo, s25
	v_and_b32_e32 v4, 0xffff, v28
	s_wait_alu 0xfffe
	s_and_b32 s25, s66, exec_lo
	s_delay_alu instid0(VALU_DEP_1)
	v_lshrrev_b32_e32 v44, 8, v4
.LBB15_166:                             ;   in Loop: Header=BB15_32 Depth=1
	s_or_b32 exec_lo, exec_lo, s52
.LBB15_167:                             ;   in Loop: Header=BB15_32 Depth=1
	s_delay_alu instid0(SALU_CYCLE_1)
	s_and_b32 vcc_lo, exec_lo, s7
	s_wait_alu 0xfffe
	s_cbranch_vccz .LBB15_181
; %bb.168:                              ;   in Loop: Header=BB15_32 Depth=1
	s_add_nc_u64 s[6:7], s[12:13], s[58:59]
	s_mov_b32 s14, s53
	s_wait_alu 0xfffe
	s_mov_b32 s15, s7
	s_wait_alu 0xfffe
	s_cmp_lg_u64 s[14:15], 0
	s_cbranch_scc0 .LBB15_210
; %bb.169:                              ;   in Loop: Header=BB15_32 Depth=1
	s_add_nc_u64 s[14:15], s[50:51], 0
	s_wait_alu 0xfffe
	s_xor_b64 s[14:15], s[14:15], 0
	s_wait_alu 0xfffe
	s_cvt_f32_u32 s21, s14
	s_cvt_f32_u32 s22, s15
	s_sub_nc_u64 s[68:69], 0, s[14:15]
	s_wait_alu 0xfffe
	s_delay_alu instid0(SALU_CYCLE_1) | instskip(SKIP_1) | instid1(SALU_CYCLE_2)
	s_fmamk_f32 s21, s22, 0x4f800000, s21
	s_wait_alu 0xfffe
	v_s_rcp_f32 s21, s21
	s_delay_alu instid0(TRANS32_DEP_1) | instskip(SKIP_1) | instid1(SALU_CYCLE_2)
	s_mul_f32 s21, s21, 0x5f7ffffc
	s_wait_alu 0xfffe
	s_mul_f32 s22, s21, 0x2f800000
	s_delay_alu instid0(SALU_CYCLE_3) | instskip(NEXT) | instid1(SALU_CYCLE_3)
	s_trunc_f32 s22, s22
	s_fmamk_f32 s21, s22, 0xcf800000, s21
	s_cvt_u32_f32 s67, s22
	s_wait_alu 0xfffe
	s_delay_alu instid0(SALU_CYCLE_1) | instskip(SKIP_1) | instid1(SALU_CYCLE_2)
	s_cvt_u32_f32 s66, s21
	s_wait_alu 0xfffe
	s_mul_u64 s[70:71], s[68:69], s[66:67]
	s_wait_alu 0xfffe
	s_mul_hi_u32 s73, s66, s71
	s_mul_i32 s72, s66, s71
	s_mul_hi_u32 s52, s66, s70
	s_mul_i32 s22, s67, s70
	s_wait_alu 0xfffe
	s_add_nc_u64 s[72:73], s[52:53], s[72:73]
	s_mul_hi_u32 s21, s67, s70
	s_mul_hi_u32 s74, s67, s71
	s_wait_alu 0xfffe
	s_add_co_u32 s22, s72, s22
	s_add_co_ci_u32 s52, s73, s21
	s_mul_i32 s70, s67, s71
	s_add_co_ci_u32 s71, s74, 0
	s_wait_alu 0xfffe
	s_add_nc_u64 s[70:71], s[52:53], s[70:71]
	s_wait_alu 0xfffe
	s_add_co_u32 s66, s66, s70
	s_cselect_b32 s21, -1, 0
	s_wait_alu 0xfffe
	s_cmp_lg_u32 s21, 0
	s_add_co_ci_u32 s67, s67, s71
	s_wait_alu 0xfffe
	s_mul_u64 s[68:69], s[68:69], s[66:67]
	s_wait_alu 0xfffe
	s_mul_hi_u32 s71, s66, s69
	s_mul_i32 s70, s66, s69
	s_mul_hi_u32 s52, s66, s68
	s_mul_i32 s22, s67, s68
	s_wait_alu 0xfffe
	s_add_nc_u64 s[70:71], s[52:53], s[70:71]
	s_mul_hi_u32 s21, s67, s68
	s_mul_hi_u32 s72, s67, s69
	s_wait_alu 0xfffe
	s_add_co_u32 s22, s70, s22
	s_add_co_ci_u32 s52, s71, s21
	s_mul_i32 s68, s67, s69
	s_add_co_ci_u32 s69, s72, 0
	s_wait_alu 0xfffe
	s_add_nc_u64 s[68:69], s[52:53], s[68:69]
	s_wait_alu 0xfffe
	s_add_co_u32 s21, s66, s68
	s_cselect_b32 s22, -1, 0
	s_delay_alu instid0(SALU_CYCLE_1)
	s_cmp_lg_u32 s22, 0
	s_add_co_ci_u32 s22, s67, s69
	s_ashr_i32 s66, s7, 31
	s_wait_alu 0xfffe
	s_mov_b32 s67, s66
	s_wait_alu 0xfffe
	s_add_nc_u64 s[68:69], s[6:7], s[66:67]
	s_wait_alu 0xfffe
	s_xor_b64 s[68:69], s[68:69], s[66:67]
	s_wait_alu 0xfffe
	s_mul_hi_u32 s71, s68, s22
	s_mul_i32 s70, s68, s22
	s_mul_hi_u32 s52, s68, s21
	s_mul_hi_u32 s74, s69, s21
	s_mul_i32 s21, s69, s21
	s_wait_alu 0xfffe
	s_add_nc_u64 s[70:71], s[52:53], s[70:71]
	s_mul_hi_u32 s73, s69, s22
	s_wait_alu 0xfffe
	s_add_co_u32 s21, s70, s21
	s_add_co_ci_u32 s52, s71, s74
	s_mul_i32 s72, s69, s22
	s_add_co_ci_u32 s73, s73, 0
	s_wait_alu 0xfffe
	s_add_nc_u64 s[70:71], s[52:53], s[72:73]
	s_wait_alu 0xfffe
	s_mul_u64 s[70:71], s[14:15], s[70:71]
	s_wait_alu 0xfffe
	s_sub_co_u32 s21, s68, s70
	s_cselect_b32 s22, -1, 0
	s_sub_co_i32 s52, s69, s71
	s_cmp_lg_u32 s22, 0
	s_wait_alu 0xfffe
	s_sub_co_ci_u32 s52, s52, s15
	s_sub_co_u32 s68, s21, s14
	s_cselect_b32 s70, -1, 0
	s_wait_alu 0xfffe
	s_cmp_lg_u32 s70, 0
	s_sub_co_ci_u32 s72, s52, 0
	s_wait_alu 0xfffe
	s_cmp_ge_u32 s72, s15
	s_cselect_b32 s73, -1, 0
	s_cmp_ge_u32 s68, s14
	s_cselect_b32 s74, -1, 0
	s_cmp_eq_u32 s72, s15
	s_wait_alu 0xfffe
	s_cselect_b32 s73, s74, s73
	s_cmp_lg_u32 s70, 0
	s_sub_co_ci_u32 s52, s52, s15
	s_sub_co_u32 s70, s68, s14
	s_cselect_b32 s74, -1, 0
	s_wait_alu 0xfffe
	s_cmp_lg_u32 s74, 0
	s_sub_co_ci_u32 s52, s52, 0
	s_cmp_lg_u32 s73, 0
	s_cselect_b32 s68, s70, s68
	s_wait_alu 0xfffe
	s_cselect_b32 s52, s52, s72
	s_cmp_lg_u32 s22, 0
	s_sub_co_ci_u32 s22, s69, s71
	s_delay_alu instid0(SALU_CYCLE_1)
	s_cmp_ge_u32 s22, s15
	s_cselect_b32 s69, -1, 0
	s_cmp_ge_u32 s21, s14
	s_cselect_b32 s14, -1, 0
	s_cmp_eq_u32 s22, s15
	s_wait_alu 0xfffe
	s_cselect_b32 s14, s14, s69
	s_wait_alu 0xfffe
	s_cmp_lg_u32 s14, 0
	s_cselect_b32 s15, s52, s22
	s_cselect_b32 s14, s68, s21
	s_wait_alu 0xfffe
	s_xor_b64 s[14:15], s[14:15], s[66:67]
	s_wait_alu 0xfffe
	s_sub_nc_u64 s[14:15], s[14:15], s[66:67]
	s_cbranch_execnz .LBB15_171
.LBB15_170:                             ;   in Loop: Header=BB15_32 Depth=1
	v_cvt_f32_u32_e32 v4, s50
	s_sub_co_i32 s15, 0, s50
	s_delay_alu instid0(VALU_DEP_1) | instskip(NEXT) | instid1(TRANS32_DEP_1)
	v_rcp_iflag_f32_e32 v4, v4
	v_mul_f32_e32 v4, 0x4f7ffffe, v4
	s_delay_alu instid0(VALU_DEP_1) | instskip(NEXT) | instid1(VALU_DEP_1)
	v_cvt_u32_f32_e32 v4, v4
	v_readfirstlane_b32 s14, v4
	s_wait_alu 0xfffe
	s_mul_i32 s15, s15, s14
	s_wait_alu 0xfffe
	s_mul_hi_u32 s15, s14, s15
	s_wait_alu 0xfffe
	s_add_co_i32 s14, s14, s15
	s_wait_alu 0xfffe
	s_mul_hi_u32 s14, s6, s14
	s_wait_alu 0xfffe
	s_mul_i32 s14, s14, s50
	s_wait_alu 0xfffe
	s_sub_co_i32 s14, s6, s14
	s_wait_alu 0xfffe
	s_sub_co_i32 s15, s14, s50
	s_cmp_ge_u32 s14, s50
	s_wait_alu 0xfffe
	s_cselect_b32 s14, s15, s14
	s_wait_alu 0xfffe
	s_sub_co_i32 s15, s14, s50
	s_cmp_ge_u32 s14, s50
	s_wait_alu 0xfffe
	s_cselect_b32 s52, s15, s14
	s_wait_alu 0xfffe
	s_mov_b64 s[14:15], s[52:53]
.LBB15_171:                             ;   in Loop: Header=BB15_32 Depth=1
	s_wait_alu 0xfffe
	s_sub_nc_u64 s[6:7], s[6:7], s[14:15]
	s_mov_b32 s14, exec_lo
                                        ; implicit-def: $vgpr44
	s_wait_alu 0xfffe
	v_cmpx_gt_i64_e64 s[6:7], v[0:1]
	s_cbranch_execz .LBB15_180
; %bb.172:                              ;   in Loop: Header=BB15_32 Depth=1
	v_dual_mov_b32 v10, v0 :: v_dual_mov_b32 v5, v1
	v_mov_b32_e32 v4, v0
	s_mov_b32 s15, 0
                                        ; implicit-def: $sgpr21
	s_branch .LBB15_175
.LBB15_173:                             ;   in Loop: Header=BB15_175 Depth=2
	s_or_b32 exec_lo, exec_lo, s22
	s_wait_loadcnt_dscnt 0x0
	s_barrier_signal -1
	s_barrier_wait -1
	global_inv scope:SCOPE_SE
	ds_load_u16 v11, v3 offset:3072
	s_mov_b32 s22, -1
	s_mov_b32 s52, -1
	s_wait_loadcnt_dscnt 0x0
	s_barrier_signal -1
	s_barrier_wait -1
	global_inv scope:SCOPE_SE
	v_and_b32_e32 v28, 0xff, v11
	s_delay_alu instid0(VALU_DEP_1)
	v_cmp_eq_u32_e32 vcc_lo, 0, v28
	s_cbranch_vccnz .LBB15_178
.LBB15_174:                             ;   in Loop: Header=BB15_175 Depth=2
	s_and_b32 s22, exec_lo, s22
	s_wait_alu 0xfffe
	s_or_b32 s15, s22, s15
	s_and_not1_b32 s21, s21, exec_lo
	s_and_b32 s22, s52, exec_lo
	s_wait_alu 0xfffe
	s_or_b32 s21, s21, s22
	s_and_not1_b32 exec_lo, exec_lo, s15
	s_cbranch_execz .LBB15_179
.LBB15_175:                             ;   Parent Loop BB15_32 Depth=1
                                        ; =>  This Inner Loop Header: Depth=2
	s_mov_b32 s22, exec_lo
	s_delay_alu instid0(VALU_DEP_1)
	v_cmpx_gt_u64_e64 s[12:13], v[4:5]
	s_cbranch_execz .LBB15_173
; %bb.176:                              ;   in Loop: Header=BB15_175 Depth=2
	ds_load_u8 v11, v10
	s_wait_dscnt 0x0
	v_bfe_i32 v28, v11, 0, 8
	s_delay_alu instid0(VALU_DEP_1) | instskip(NEXT) | instid1(VALU_DEP_1)
	v_add_nc_u32_e32 v28, 0x80, v28
	v_and_b32_e32 v28, v28, v43
	s_delay_alu instid0(VALU_DEP_1)
	v_cmp_eq_u32_e32 vcc_lo, v28, v22
	s_and_b32 exec_lo, exec_lo, vcc_lo
	s_cbranch_execz .LBB15_173
; %bb.177:                              ;   in Loop: Header=BB15_175 Depth=2
	v_lshlrev_b16 v11, 8, v11
	s_delay_alu instid0(VALU_DEP_1)
	v_or_b32_e32 v11, 1, v11
	ds_store_b16 v3, v11 offset:3072
	s_branch .LBB15_173
.LBB15_178:                             ;   in Loop: Header=BB15_175 Depth=2
	v_add_co_u32 v4, vcc_lo, v4, s50
	s_wait_alu 0xfffd
	v_add_co_ci_u32_e64 v5, null, 0, v5, vcc_lo
	v_add_nc_u32_e32 v10, s50, v10
	s_mov_b32 s52, 0
	s_delay_alu instid0(VALU_DEP_2)
	v_cmp_le_i64_e32 vcc_lo, s[6:7], v[4:5]
	s_or_not1_b32 s22, vcc_lo, exec_lo
	s_branch .LBB15_174
.LBB15_179:                             ;   in Loop: Header=BB15_32 Depth=1
	s_or_b32 exec_lo, exec_lo, s15
	v_and_b32_e32 v4, 0xffff, v11
	s_and_not1_b32 s6, s25, exec_lo
	s_wait_alu 0xfffe
	s_and_b32 s7, s21, exec_lo
	s_wait_alu 0xfffe
	s_or_b32 s25, s6, s7
	v_lshrrev_b32_e32 v44, 8, v4
.LBB15_180:                             ;   in Loop: Header=BB15_32 Depth=1
	s_or_b32 exec_lo, exec_lo, s14
	s_mov_b32 s21, 0
	s_mov_b32 s22, -1
.LBB15_181:                             ;   in Loop: Header=BB15_32 Depth=1
	s_wait_alu 0xfffe
	s_or_not1_b32 s6, s25, exec_lo
.LBB15_182:                             ;   in Loop: Header=BB15_32 Depth=1
	s_or_b32 exec_lo, exec_lo, s23
	s_mov_b32 s7, 0
	s_wait_alu 0xfffe
	s_and_saveexec_b32 s23, s6
	s_cbranch_execz .LBB15_288
; %bb.183:                              ;   in Loop: Header=BB15_32 Depth=1
	v_mov_b32_e32 v4, 1
	v_dual_mov_b32 v5, 0 :: v_dual_mov_b32 v2, 1
	s_xor_b32 s12, s24, -1
	s_wait_alu 0xfffe
	s_and_saveexec_b32 s6, s12
	s_cbranch_execz .LBB15_193
; %bb.184:                              ;   in Loop: Header=BB15_32 Depth=1
	s_mov_b32 s7, exec_lo
	v_cmpx_le_i64_e64 v[8:9], v[6:7]
	s_wait_alu 0xfffe
	s_xor_b32 s7, exec_lo, s7
	s_cbranch_execz .LBB15_190
; %bb.185:                              ;   in Loop: Header=BB15_32 Depth=1
	ds_load_b64 v[4:5], v3 offset:5120
	s_lshl_b32 s12, 1, s95
	v_or_b32_e32 v43, s16, v43
	s_wait_alu 0xfffe
	v_and_or_b32 v22, v22, s20, s12
	s_wait_dscnt 0x0
	v_cmp_ne_u64_e32 vcc_lo, 0, v[4:5]
	s_cbranch_vccnz .LBB15_189
; %bb.186:                              ;   in Loop: Header=BB15_32 Depth=1
	s_and_saveexec_b32 s12, s2
; %bb.187:                              ;   in Loop: Header=BB15_32 Depth=1
	ds_store_b64 v3, v[6:7] offset:5128
; %bb.188:                              ;   in Loop: Header=BB15_32 Depth=1
	s_wait_alu 0xfffe
	s_or_b32 exec_lo, exec_lo, s12
	s_wait_loadcnt_dscnt 0x0
	s_barrier_signal -1
	s_barrier_wait -1
	global_inv scope:SCOPE_SE
.LBB15_189:                             ;   in Loop: Header=BB15_32 Depth=1
                                        ; implicit-def: $vgpr4_vgpr5_vgpr6_vgpr7
.LBB15_190:                             ;   in Loop: Header=BB15_32 Depth=1
	s_wait_alu 0xfffe
	s_or_saveexec_b32 s7, s7
	v_mov_b32_e32 v2, 8
	s_mov_b32 s12, 0
	s_wait_alu 0xfffe
	s_xor_b32 exec_lo, exec_lo, s7
; %bb.191:                              ;   in Loop: Header=BB15_32 Depth=1
	v_sub_co_u32 v8, vcc_lo, v8, v6
	s_wait_alu 0xfffd
	v_sub_co_ci_u32_e64 v9, null, v9, v7, vcc_lo
	v_mov_b32_e32 v2, 0
	s_mov_b32 s12, exec_lo
; %bb.192:                              ;   in Loop: Header=BB15_32 Depth=1
	s_or_b32 exec_lo, exec_lo, s7
	s_delay_alu instid0(VALU_DEP_2)
	v_dual_mov_b32 v4, v8 :: v_dual_mov_b32 v5, v9
	s_wait_alu 0xfffe
	s_and_b32 s7, s12, exec_lo
.LBB15_193:                             ;   in Loop: Header=BB15_32 Depth=1
	s_wait_alu 0xfffe
	s_or_b32 exec_lo, exec_lo, s6
	s_mov_b32 s6, -1
                                        ; implicit-def: $sgpr25
                                        ; implicit-def: $sgpr66
	s_and_saveexec_b32 s24, s7
	s_cbranch_execz .LBB15_287
; %bb.194:                              ;   in Loop: Header=BB15_32 Depth=1
	v_cmp_eq_u64_e32 vcc_lo, 1, v[4:5]
	s_cmp_eq_u64 s[10:11], 1
                                        ; implicit-def: $sgpr66
                                        ; implicit-def: $sgpr25
	s_cselect_b32 s6, -1, 0
	s_wait_alu 0xfffe
	s_and_b32 s67, s6, vcc_lo
	s_mov_b32 s6, -1
	s_wait_alu 0xfffe
	s_and_saveexec_b32 s68, s67
	s_cbranch_execz .LBB15_228
; %bb.195:                              ;   in Loop: Header=BB15_32 Depth=1
	ds_load_b64 v[6:7], v3 offset:5120
	s_wait_loadcnt_dscnt 0x0
	s_barrier_signal -1
	s_barrier_wait -1
	global_inv scope:SCOPE_SE
	v_readfirstlane_b32 s12, v6
	v_readfirstlane_b32 s13, v7
	s_and_saveexec_b32 s6, s3
; %bb.196:                              ;   in Loop: Header=BB15_32 Depth=1
	ds_store_b8 v0, v3 offset:3072
; %bb.197:                              ;   in Loop: Header=BB15_32 Depth=1
	s_wait_alu 0xfffe
	s_or_b32 exec_lo, exec_lo, s6
	s_lshl_b32 s6, 2, s95
	v_or_b32_e32 v43, s16, v43
	s_wait_alu 0xfffe
	v_and_or_b32 v22, v22, s20, s6
	v_cmp_gt_i64_e64 s6, s[12:13], 0
	s_mov_b32 s25, -1
	s_mov_b32 s66, 0
	s_mov_b32 s69, 0
	s_mov_b32 s7, -1
	s_wait_loadcnt_dscnt 0x0
	s_and_b32 vcc_lo, exec_lo, s6
	s_barrier_signal -1
	s_barrier_wait -1
	global_inv scope:SCOPE_SE
                                        ; implicit-def: $vgpr44
	s_wait_alu 0xfffe
	s_cbranch_vccnz .LBB15_213
; %bb.198:                              ;   in Loop: Header=BB15_32 Depth=1
	s_mov_b32 s6, s53
	s_mov_b32 s7, s61
	s_wait_alu 0xfffe
	s_cmp_lg_u64 s[6:7], 0
	s_cbranch_scc0 .LBB15_254
; %bb.199:                              ;   in Loop: Header=BB15_32 Depth=1
	s_add_nc_u64 s[6:7], s[50:51], 0
	s_wait_alu 0xfffe
	s_xor_b64 s[6:7], s[6:7], 0
	s_wait_alu 0xfffe
	s_cvt_f32_u32 s14, s6
	s_cvt_f32_u32 s15, s7
	s_sub_nc_u64 s[70:71], 0, s[6:7]
	s_wait_alu 0xfffe
	s_delay_alu instid0(SALU_CYCLE_1) | instskip(SKIP_1) | instid1(SALU_CYCLE_2)
	s_fmamk_f32 s14, s15, 0x4f800000, s14
	s_wait_alu 0xfffe
	v_s_rcp_f32 s14, s14
	s_delay_alu instid0(TRANS32_DEP_1) | instskip(SKIP_1) | instid1(SALU_CYCLE_2)
	s_mul_f32 s14, s14, 0x5f7ffffc
	s_wait_alu 0xfffe
	s_mul_f32 s15, s14, 0x2f800000
	s_wait_alu 0xfffe
	s_delay_alu instid0(SALU_CYCLE_2) | instskip(SKIP_1) | instid1(SALU_CYCLE_2)
	s_trunc_f32 s15, s15
	s_wait_alu 0xfffe
	s_fmamk_f32 s14, s15, 0xcf800000, s14
	s_cvt_u32_f32 s15, s15
	s_wait_alu 0xfffe
	s_delay_alu instid0(SALU_CYCLE_1) | instskip(SKIP_1) | instid1(SALU_CYCLE_2)
	s_cvt_u32_f32 s14, s14
	s_wait_alu 0xfffe
	s_mul_u64 s[72:73], s[70:71], s[14:15]
	s_wait_alu 0xfffe
	s_mul_hi_u32 s75, s14, s73
	s_mul_i32 s74, s14, s73
	s_mul_hi_u32 s52, s14, s72
	s_mul_i32 s76, s15, s72
	s_wait_alu 0xfffe
	s_add_nc_u64 s[74:75], s[52:53], s[74:75]
	s_mul_hi_u32 s69, s15, s72
	s_mul_hi_u32 s77, s15, s73
	s_wait_alu 0xfffe
	s_add_co_u32 s52, s74, s76
	s_add_co_ci_u32 s52, s75, s69
	s_mul_i32 s72, s15, s73
	s_add_co_ci_u32 s73, s77, 0
	s_wait_alu 0xfffe
	s_add_nc_u64 s[72:73], s[52:53], s[72:73]
	s_wait_alu 0xfffe
	s_add_co_u32 s14, s14, s72
	s_cselect_b32 s52, -1, 0
	s_wait_alu 0xfffe
	s_cmp_lg_u32 s52, 0
	s_add_co_ci_u32 s15, s15, s73
	s_wait_alu 0xfffe
	s_mul_u64 s[70:71], s[70:71], s[14:15]
	s_wait_alu 0xfffe
	s_mul_hi_u32 s73, s14, s71
	s_mul_i32 s72, s14, s71
	s_mul_hi_u32 s52, s14, s70
	s_mul_i32 s74, s15, s70
	s_wait_alu 0xfffe
	s_add_nc_u64 s[72:73], s[52:53], s[72:73]
	s_mul_hi_u32 s69, s15, s70
	s_mul_hi_u32 s75, s15, s71
	s_wait_alu 0xfffe
	s_add_co_u32 s52, s72, s74
	s_add_co_ci_u32 s52, s73, s69
	s_mul_i32 s70, s15, s71
	s_add_co_ci_u32 s71, s75, 0
	s_wait_alu 0xfffe
	s_add_nc_u64 s[70:71], s[52:53], s[70:71]
	s_wait_alu 0xfffe
	s_add_co_u32 s69, s14, s70
	s_cselect_b32 s14, -1, 0
	s_wait_alu 0xfffe
	s_cmp_lg_u32 s14, 0
	s_add_co_ci_u32 s74, s15, s71
	s_ashr_i32 s14, s61, 31
	s_wait_alu 0xfffe
	s_mov_b32 s15, s14
	s_wait_alu 0xfffe
	s_add_nc_u64 s[70:71], s[60:61], s[14:15]
	s_wait_alu 0xfffe
	s_xor_b64 s[70:71], s[70:71], s[14:15]
	s_wait_alu 0xfffe
	s_mul_hi_u32 s73, s70, s74
	s_mul_i32 s72, s70, s74
	s_mul_hi_u32 s52, s70, s69
	s_mul_hi_u32 s76, s71, s69
	s_mul_i32 s69, s71, s69
	s_wait_alu 0xfffe
	s_add_nc_u64 s[72:73], s[52:53], s[72:73]
	s_mul_hi_u32 s75, s71, s74
	s_wait_alu 0xfffe
	s_add_co_u32 s52, s72, s69
	s_add_co_ci_u32 s52, s73, s76
	s_mul_i32 s74, s71, s74
	s_add_co_ci_u32 s75, s75, 0
	s_wait_alu 0xfffe
	s_add_nc_u64 s[72:73], s[52:53], s[74:75]
	s_wait_alu 0xfffe
	s_mul_u64 s[72:73], s[6:7], s[72:73]
	s_wait_alu 0xfffe
	s_sub_co_u32 s52, s70, s72
	s_cselect_b32 s69, -1, 0
	s_sub_co_i32 s70, s71, s73
	s_wait_alu 0xfffe
	s_cmp_lg_u32 s69, 0
	s_sub_co_ci_u32 s70, s70, s7
	s_sub_co_u32 s72, s52, s6
	s_cselect_b32 s74, -1, 0
	s_wait_alu 0xfffe
	s_cmp_lg_u32 s74, 0
	s_sub_co_ci_u32 s75, s70, 0
	s_wait_alu 0xfffe
	s_cmp_ge_u32 s75, s7
	s_cselect_b32 s76, -1, 0
	s_cmp_ge_u32 s72, s6
	s_cselect_b32 s77, -1, 0
	s_cmp_eq_u32 s75, s7
	s_wait_alu 0xfffe
	s_cselect_b32 s76, s77, s76
	s_cmp_lg_u32 s74, 0
	s_sub_co_ci_u32 s70, s70, s7
	s_sub_co_u32 s74, s72, s6
	s_cselect_b32 s77, -1, 0
	s_wait_alu 0xfffe
	s_cmp_lg_u32 s77, 0
	s_sub_co_ci_u32 s70, s70, 0
	s_cmp_lg_u32 s76, 0
	s_cselect_b32 s72, s74, s72
	s_wait_alu 0xfffe
	s_cselect_b32 s70, s70, s75
	s_cmp_lg_u32 s69, 0
	s_sub_co_ci_u32 s69, s71, s73
	s_wait_alu 0xfffe
	s_cmp_ge_u32 s69, s7
	s_cselect_b32 s71, -1, 0
	s_cmp_ge_u32 s52, s6
	s_cselect_b32 s6, -1, 0
	s_cmp_eq_u32 s69, s7
	s_wait_alu 0xfffe
	s_cselect_b32 s6, s6, s71
	s_wait_alu 0xfffe
	s_cmp_lg_u32 s6, 0
	s_cselect_b32 s7, s70, s69
	s_cselect_b32 s6, s72, s52
	s_wait_alu 0xfffe
	s_xor_b64 s[6:7], s[6:7], s[14:15]
	s_wait_alu 0xfffe
	s_sub_nc_u64 s[6:7], s[6:7], s[14:15]
	s_cbranch_execnz .LBB15_201
.LBB15_200:                             ;   in Loop: Header=BB15_32 Depth=1
	v_cvt_f32_u32_e32 v6, s50
	s_sub_co_i32 s7, 0, s50
	s_delay_alu instid0(VALU_DEP_1) | instskip(NEXT) | instid1(TRANS32_DEP_1)
	v_rcp_iflag_f32_e32 v6, v6
	v_mul_f32_e32 v6, 0x4f7ffffe, v6
	s_delay_alu instid0(VALU_DEP_1) | instskip(NEXT) | instid1(VALU_DEP_1)
	v_cvt_u32_f32_e32 v6, v6
	v_readfirstlane_b32 s6, v6
	s_wait_alu 0xfffe
	s_mul_i32 s7, s7, s6
	s_wait_alu 0xfffe
	s_mul_hi_u32 s7, s6, s7
	s_wait_alu 0xfffe
	s_add_co_i32 s6, s6, s7
	s_wait_alu 0xfffe
	s_mul_hi_u32 s6, s60, s6
	s_wait_alu 0xfffe
	s_mul_i32 s6, s6, s50
	s_wait_alu 0xfffe
	s_sub_co_i32 s6, s60, s6
	s_wait_alu 0xfffe
	s_sub_co_i32 s7, s6, s50
	s_cmp_ge_u32 s6, s50
	s_wait_alu 0xfffe
	s_cselect_b32 s6, s7, s6
	s_wait_alu 0xfffe
	s_sub_co_i32 s7, s6, s50
	s_cmp_ge_u32 s6, s50
	s_wait_alu 0xfffe
	s_cselect_b32 s52, s7, s6
	s_wait_alu 0xfffe
	s_mov_b64 s[6:7], s[52:53]
.LBB15_201:                             ;   in Loop: Header=BB15_32 Depth=1
	s_wait_alu 0xfffe
	s_sub_nc_u64 s[14:15], s[60:61], s[6:7]
	s_mov_b32 s7, 0
	s_mov_b32 s69, 0
	s_mov_b32 s52, exec_lo
                                        ; implicit-def: $vgpr44
	s_wait_alu 0xfffe
	v_cmpx_gt_i64_e64 s[14:15], v[0:1]
	s_cbranch_execz .LBB15_212
; %bb.202:                              ;   in Loop: Header=BB15_32 Depth=1
	v_dual_mov_b32 v6, v12 :: v_dual_mov_b32 v7, v13
	v_dual_mov_b32 v9, v1 :: v_dual_mov_b32 v8, v0
                                        ; implicit-def: $sgpr70
	s_branch .LBB15_205
.LBB15_203:                             ;   in Loop: Header=BB15_205 Depth=2
	s_wait_alu 0xfffe
	s_or_b32 exec_lo, exec_lo, s6
	s_wait_loadcnt_dscnt 0x0
	s_barrier_signal -1
	s_barrier_wait -1
	global_inv scope:SCOPE_SE
	ds_load_u16 v10, v3 offset:3072
	s_mov_b32 s6, -1
	s_mov_b32 s71, -1
	s_wait_loadcnt_dscnt 0x0
	s_barrier_signal -1
	s_barrier_wait -1
	global_inv scope:SCOPE_SE
	v_and_b32_e32 v11, 0xff, v10
	s_delay_alu instid0(VALU_DEP_1)
	v_cmp_ne_u32_e32 vcc_lo, 0, v11
	s_cbranch_vccz .LBB15_208
.LBB15_204:                             ;   in Loop: Header=BB15_205 Depth=2
	s_wait_alu 0xfffe
	s_and_b32 s6, exec_lo, s6
	s_wait_alu 0xfffe
	s_or_b32 s69, s6, s69
	s_and_not1_b32 s6, s70, exec_lo
	s_and_b32 s70, s71, exec_lo
	s_wait_alu 0xfffe
	s_or_b32 s70, s6, s70
	s_and_not1_b32 exec_lo, exec_lo, s69
	s_cbranch_execz .LBB15_211
.LBB15_205:                             ;   Parent Loop BB15_32 Depth=1
                                        ; =>  This Inner Loop Header: Depth=2
	s_mov_b32 s6, exec_lo
	s_delay_alu instid0(VALU_DEP_1)
	v_cmpx_gt_i64_e64 s[36:37], v[8:9]
	s_cbranch_execz .LBB15_203
; %bb.206:                              ;   in Loop: Header=BB15_205 Depth=2
	global_load_u8 v10, v[6:7], off
	s_wait_loadcnt 0x0
	v_bfe_i32 v11, v10, 0, 8
	s_delay_alu instid0(VALU_DEP_1) | instskip(NEXT) | instid1(VALU_DEP_1)
	v_add_nc_u32_e32 v11, 0x80, v11
	v_and_b32_e32 v11, v11, v43
	s_delay_alu instid0(VALU_DEP_1)
	v_cmp_eq_u32_e32 vcc_lo, v11, v22
	s_and_b32 exec_lo, exec_lo, vcc_lo
	s_cbranch_execz .LBB15_203
; %bb.207:                              ;   in Loop: Header=BB15_205 Depth=2
	v_lshlrev_b16 v10, 8, v10
	s_delay_alu instid0(VALU_DEP_1)
	v_or_b32_e32 v10, 1, v10
	ds_store_b16 v3, v10 offset:3072
	s_branch .LBB15_203
.LBB15_208:                             ;   in Loop: Header=BB15_205 Depth=2
	v_add_co_u32 v8, vcc_lo, v8, s50
	s_wait_alu 0xfffd
	v_add_co_ci_u32_e64 v9, null, 0, v9, vcc_lo
	v_add_co_u32 v6, s6, v6, s54
	s_wait_alu 0xf1fe
	v_add_co_ci_u32_e64 v7, null, s55, v7, s6
	s_delay_alu instid0(VALU_DEP_3)
	v_cmp_le_i64_e32 vcc_lo, s[14:15], v[8:9]
	s_mov_b32 s71, 0
	s_or_not1_b32 s6, vcc_lo, exec_lo
	s_branch .LBB15_204
.LBB15_209:                             ;   in Loop: Header=BB15_32 Depth=1
                                        ; implicit-def: $sgpr6_sgpr7
	s_branch .LBB15_154
.LBB15_210:                             ;   in Loop: Header=BB15_32 Depth=1
                                        ; implicit-def: $sgpr14_sgpr15
	s_branch .LBB15_170
.LBB15_211:                             ;   in Loop: Header=BB15_32 Depth=1
	s_or_b32 exec_lo, exec_lo, s69
	v_and_b32_e32 v6, 0xffff, v10
	s_wait_alu 0xfffe
	s_and_b32 s69, s70, exec_lo
	s_delay_alu instid0(VALU_DEP_1)
	v_lshrrev_b32_e32 v44, 8, v6
.LBB15_212:                             ;   in Loop: Header=BB15_32 Depth=1
	s_or_b32 exec_lo, exec_lo, s52
.LBB15_213:                             ;   in Loop: Header=BB15_32 Depth=1
	s_delay_alu instid0(SALU_CYCLE_1)
	s_and_b32 vcc_lo, exec_lo, s7
	s_wait_alu 0xfffe
	s_cbranch_vccz .LBB15_227
; %bb.214:                              ;   in Loop: Header=BB15_32 Depth=1
	s_add_nc_u64 s[6:7], s[12:13], s[58:59]
	s_mov_b32 s14, s53
	s_wait_alu 0xfffe
	s_mov_b32 s15, s7
	s_wait_alu 0xfffe
	s_cmp_lg_u64 s[14:15], 0
	s_cbranch_scc0 .LBB15_255
; %bb.215:                              ;   in Loop: Header=BB15_32 Depth=1
	s_add_nc_u64 s[14:15], s[50:51], 0
	s_wait_alu 0xfffe
	s_xor_b64 s[14:15], s[14:15], 0
	s_wait_alu 0xfffe
	s_cvt_f32_u32 s25, s14
	s_cvt_f32_u32 s52, s15
	s_sub_nc_u64 s[72:73], 0, s[14:15]
	s_wait_alu 0xfffe
	s_delay_alu instid0(SALU_CYCLE_1) | instskip(SKIP_1) | instid1(SALU_CYCLE_2)
	s_fmamk_f32 s25, s52, 0x4f800000, s25
	s_wait_alu 0xfffe
	v_s_rcp_f32 s25, s25
	s_delay_alu instid0(TRANS32_DEP_1) | instskip(SKIP_1) | instid1(SALU_CYCLE_2)
	s_mul_f32 s25, s25, 0x5f7ffffc
	s_wait_alu 0xfffe
	s_mul_f32 s52, s25, 0x2f800000
	s_wait_alu 0xfffe
	s_delay_alu instid0(SALU_CYCLE_2) | instskip(SKIP_1) | instid1(SALU_CYCLE_2)
	s_trunc_f32 s52, s52
	s_wait_alu 0xfffe
	s_fmamk_f32 s25, s52, 0xcf800000, s25
	s_cvt_u32_f32 s71, s52
	s_wait_alu 0xfffe
	s_delay_alu instid0(SALU_CYCLE_1) | instskip(SKIP_1) | instid1(SALU_CYCLE_2)
	s_cvt_u32_f32 s70, s25
	s_wait_alu 0xfffe
	s_mul_u64 s[74:75], s[72:73], s[70:71]
	s_wait_alu 0xfffe
	s_mul_hi_u32 s77, s70, s75
	s_mul_i32 s76, s70, s75
	s_mul_hi_u32 s52, s70, s74
	s_mul_i32 s66, s71, s74
	s_wait_alu 0xfffe
	s_add_nc_u64 s[76:77], s[52:53], s[76:77]
	s_mul_hi_u32 s25, s71, s74
	s_mul_hi_u32 s78, s71, s75
	s_wait_alu 0xfffe
	s_add_co_u32 s52, s76, s66
	s_add_co_ci_u32 s52, s77, s25
	s_mul_i32 s74, s71, s75
	s_add_co_ci_u32 s75, s78, 0
	s_wait_alu 0xfffe
	s_add_nc_u64 s[74:75], s[52:53], s[74:75]
	s_wait_alu 0xfffe
	s_add_co_u32 s70, s70, s74
	s_cselect_b32 s25, -1, 0
	s_wait_alu 0xfffe
	s_cmp_lg_u32 s25, 0
	s_add_co_ci_u32 s71, s71, s75
	s_wait_alu 0xfffe
	s_mul_u64 s[72:73], s[72:73], s[70:71]
	s_wait_alu 0xfffe
	s_mul_hi_u32 s75, s70, s73
	s_mul_i32 s74, s70, s73
	s_mul_hi_u32 s52, s70, s72
	s_mul_i32 s66, s71, s72
	s_wait_alu 0xfffe
	s_add_nc_u64 s[74:75], s[52:53], s[74:75]
	s_mul_hi_u32 s25, s71, s72
	s_mul_hi_u32 s76, s71, s73
	s_wait_alu 0xfffe
	s_add_co_u32 s52, s74, s66
	s_add_co_ci_u32 s52, s75, s25
	s_mul_i32 s72, s71, s73
	s_add_co_ci_u32 s73, s76, 0
	s_wait_alu 0xfffe
	s_add_nc_u64 s[72:73], s[52:53], s[72:73]
	s_wait_alu 0xfffe
	s_add_co_u32 s25, s70, s72
	s_cselect_b32 s52, -1, 0
	s_wait_alu 0xfffe
	s_cmp_lg_u32 s52, 0
	s_add_co_ci_u32 s66, s71, s73
	s_ashr_i32 s70, s7, 31
	s_wait_alu 0xfffe
	s_mov_b32 s71, s70
	s_wait_alu 0xfffe
	s_add_nc_u64 s[72:73], s[6:7], s[70:71]
	s_wait_alu 0xfffe
	s_xor_b64 s[72:73], s[72:73], s[70:71]
	s_wait_alu 0xfffe
	s_mul_hi_u32 s75, s72, s66
	s_mul_i32 s74, s72, s66
	s_mul_hi_u32 s52, s72, s25
	s_mul_hi_u32 s78, s73, s25
	s_mul_i32 s25, s73, s25
	s_wait_alu 0xfffe
	s_add_nc_u64 s[74:75], s[52:53], s[74:75]
	s_mul_hi_u32 s77, s73, s66
	s_wait_alu 0xfffe
	s_add_co_u32 s25, s74, s25
	s_add_co_ci_u32 s52, s75, s78
	s_mul_i32 s76, s73, s66
	s_add_co_ci_u32 s77, s77, 0
	s_wait_alu 0xfffe
	s_add_nc_u64 s[74:75], s[52:53], s[76:77]
	s_wait_alu 0xfffe
	s_mul_u64 s[74:75], s[14:15], s[74:75]
	s_wait_alu 0xfffe
	s_sub_co_u32 s25, s72, s74
	s_cselect_b32 s52, -1, 0
	s_sub_co_i32 s66, s73, s75
	s_wait_alu 0xfffe
	s_cmp_lg_u32 s52, 0
	s_sub_co_ci_u32 s66, s66, s15
	s_sub_co_u32 s72, s25, s14
	s_cselect_b32 s74, -1, 0
	s_wait_alu 0xfffe
	s_cmp_lg_u32 s74, 0
	s_sub_co_ci_u32 s76, s66, 0
	s_wait_alu 0xfffe
	s_cmp_ge_u32 s76, s15
	s_cselect_b32 s77, -1, 0
	s_cmp_ge_u32 s72, s14
	s_cselect_b32 s78, -1, 0
	s_cmp_eq_u32 s76, s15
	s_wait_alu 0xfffe
	s_cselect_b32 s77, s78, s77
	s_cmp_lg_u32 s74, 0
	s_sub_co_ci_u32 s66, s66, s15
	s_sub_co_u32 s74, s72, s14
	s_cselect_b32 s78, -1, 0
	s_wait_alu 0xfffe
	s_cmp_lg_u32 s78, 0
	s_sub_co_ci_u32 s66, s66, 0
	s_cmp_lg_u32 s77, 0
	s_cselect_b32 s72, s74, s72
	s_wait_alu 0xfffe
	s_cselect_b32 s66, s66, s76
	s_cmp_lg_u32 s52, 0
	s_sub_co_ci_u32 s52, s73, s75
	s_wait_alu 0xfffe
	s_cmp_ge_u32 s52, s15
	s_cselect_b32 s73, -1, 0
	s_cmp_ge_u32 s25, s14
	s_cselect_b32 s14, -1, 0
	s_cmp_eq_u32 s52, s15
	s_wait_alu 0xfffe
	s_cselect_b32 s14, s14, s73
	s_wait_alu 0xfffe
	s_cmp_lg_u32 s14, 0
	s_cselect_b32 s15, s66, s52
	s_cselect_b32 s14, s72, s25
	s_wait_alu 0xfffe
	s_xor_b64 s[14:15], s[14:15], s[70:71]
	s_wait_alu 0xfffe
	s_sub_nc_u64 s[14:15], s[14:15], s[70:71]
	s_cbranch_execnz .LBB15_217
.LBB15_216:                             ;   in Loop: Header=BB15_32 Depth=1
	v_cvt_f32_u32_e32 v6, s50
	s_sub_co_i32 s15, 0, s50
	s_delay_alu instid0(VALU_DEP_1) | instskip(NEXT) | instid1(TRANS32_DEP_1)
	v_rcp_iflag_f32_e32 v6, v6
	v_mul_f32_e32 v6, 0x4f7ffffe, v6
	s_delay_alu instid0(VALU_DEP_1) | instskip(NEXT) | instid1(VALU_DEP_1)
	v_cvt_u32_f32_e32 v6, v6
	v_readfirstlane_b32 s14, v6
	s_wait_alu 0xfffe
	s_mul_i32 s15, s15, s14
	s_wait_alu 0xfffe
	s_mul_hi_u32 s15, s14, s15
	s_wait_alu 0xfffe
	s_add_co_i32 s14, s14, s15
	s_wait_alu 0xfffe
	s_mul_hi_u32 s14, s6, s14
	s_wait_alu 0xfffe
	s_mul_i32 s14, s14, s50
	s_wait_alu 0xfffe
	s_sub_co_i32 s14, s6, s14
	s_wait_alu 0xfffe
	s_sub_co_i32 s15, s14, s50
	s_cmp_ge_u32 s14, s50
	s_wait_alu 0xfffe
	s_cselect_b32 s14, s15, s14
	s_wait_alu 0xfffe
	s_sub_co_i32 s15, s14, s50
	s_cmp_ge_u32 s14, s50
	s_wait_alu 0xfffe
	s_cselect_b32 s52, s15, s14
	s_wait_alu 0xfffe
	s_mov_b64 s[14:15], s[52:53]
.LBB15_217:                             ;   in Loop: Header=BB15_32 Depth=1
	s_wait_alu 0xfffe
	s_sub_nc_u64 s[6:7], s[6:7], s[14:15]
	s_mov_b32 s14, exec_lo
                                        ; implicit-def: $vgpr44
	s_wait_alu 0xfffe
	v_cmpx_gt_i64_e64 s[6:7], v[0:1]
	s_cbranch_execz .LBB15_226
; %bb.218:                              ;   in Loop: Header=BB15_32 Depth=1
	v_dual_mov_b32 v8, v0 :: v_dual_mov_b32 v7, v1
	v_mov_b32_e32 v6, v0
	s_mov_b32 s15, 0
                                        ; implicit-def: $sgpr25
	s_branch .LBB15_221
.LBB15_219:                             ;   in Loop: Header=BB15_221 Depth=2
	s_wait_alu 0xfffe
	s_or_b32 exec_lo, exec_lo, s52
	s_wait_loadcnt_dscnt 0x0
	s_barrier_signal -1
	s_barrier_wait -1
	global_inv scope:SCOPE_SE
	ds_load_u16 v9, v3 offset:3072
	s_mov_b32 s52, -1
	s_mov_b32 s66, -1
	s_wait_loadcnt_dscnt 0x0
	s_barrier_signal -1
	s_barrier_wait -1
	global_inv scope:SCOPE_SE
	v_and_b32_e32 v10, 0xff, v9
	s_delay_alu instid0(VALU_DEP_1)
	v_cmp_eq_u32_e32 vcc_lo, 0, v10
	s_cbranch_vccnz .LBB15_224
.LBB15_220:                             ;   in Loop: Header=BB15_221 Depth=2
	s_wait_alu 0xfffe
	s_and_b32 s52, exec_lo, s52
	s_wait_alu 0xfffe
	s_or_b32 s15, s52, s15
	s_and_not1_b32 s25, s25, exec_lo
	s_and_b32 s52, s66, exec_lo
	s_wait_alu 0xfffe
	s_or_b32 s25, s25, s52
	s_and_not1_b32 exec_lo, exec_lo, s15
	s_cbranch_execz .LBB15_225
.LBB15_221:                             ;   Parent Loop BB15_32 Depth=1
                                        ; =>  This Inner Loop Header: Depth=2
	s_mov_b32 s52, exec_lo
	s_delay_alu instid0(VALU_DEP_1)
	v_cmpx_gt_u64_e64 s[12:13], v[6:7]
	s_cbranch_execz .LBB15_219
; %bb.222:                              ;   in Loop: Header=BB15_221 Depth=2
	ds_load_u8 v9, v8
	s_wait_dscnt 0x0
	v_bfe_i32 v10, v9, 0, 8
	s_delay_alu instid0(VALU_DEP_1) | instskip(NEXT) | instid1(VALU_DEP_1)
	v_add_nc_u32_e32 v10, 0x80, v10
	v_and_b32_e32 v10, v10, v43
	s_delay_alu instid0(VALU_DEP_1)
	v_cmp_eq_u32_e32 vcc_lo, v10, v22
	s_and_b32 exec_lo, exec_lo, vcc_lo
	s_cbranch_execz .LBB15_219
; %bb.223:                              ;   in Loop: Header=BB15_221 Depth=2
	v_lshlrev_b16 v9, 8, v9
	s_delay_alu instid0(VALU_DEP_1)
	v_or_b32_e32 v9, 1, v9
	ds_store_b16 v3, v9 offset:3072
	s_branch .LBB15_219
.LBB15_224:                             ;   in Loop: Header=BB15_221 Depth=2
	v_add_co_u32 v6, vcc_lo, v6, s50
	s_wait_alu 0xfffd
	v_add_co_ci_u32_e64 v7, null, 0, v7, vcc_lo
	v_add_nc_u32_e32 v8, s50, v8
	s_mov_b32 s66, 0
	s_delay_alu instid0(VALU_DEP_2)
	v_cmp_le_i64_e32 vcc_lo, s[6:7], v[6:7]
	s_or_not1_b32 s52, vcc_lo, exec_lo
	s_branch .LBB15_220
.LBB15_225:                             ;   in Loop: Header=BB15_32 Depth=1
	s_or_b32 exec_lo, exec_lo, s15
	v_and_b32_e32 v6, 0xffff, v9
	s_and_not1_b32 s6, s69, exec_lo
	s_wait_alu 0xfffe
	s_and_b32 s7, s25, exec_lo
	s_wait_alu 0xfffe
	s_or_b32 s69, s6, s7
	v_lshrrev_b32_e32 v44, 8, v6
.LBB15_226:                             ;   in Loop: Header=BB15_32 Depth=1
	s_or_b32 exec_lo, exec_lo, s14
	s_mov_b32 s25, 0
	s_mov_b32 s66, -1
.LBB15_227:                             ;   in Loop: Header=BB15_32 Depth=1
	s_wait_alu 0xfffe
	s_or_not1_b32 s6, s69, exec_lo
.LBB15_228:                             ;   in Loop: Header=BB15_32 Depth=1
	s_wait_alu 0xfffe
	s_or_b32 exec_lo, exec_lo, s68
	s_mov_b32 s7, 0
	s_and_saveexec_b32 s14, s6
	s_cbranch_execz .LBB15_286
; %bb.229:                              ;   in Loop: Header=BB15_32 Depth=1
	v_mov_b32_e32 v6, 1
	v_dual_mov_b32 v7, 0 :: v_dual_mov_b32 v2, 1
	s_xor_b32 s12, s67, -1
	s_wait_alu 0xfffe
	s_and_saveexec_b32 s6, s12
	s_cbranch_execz .LBB15_238
; %bb.230:                              ;   in Loop: Header=BB15_32 Depth=1
	s_mov_b32 s7, exec_lo
	v_cmpx_ge_i64_e64 s[10:11], v[4:5]
	s_wait_alu 0xfffe
	s_xor_b32 s7, exec_lo, s7
	s_cbranch_execz .LBB15_235
; %bb.231:                              ;   in Loop: Header=BB15_32 Depth=1
	ds_load_b64 v[6:7], v3 offset:5120
	s_lshl_b32 s12, 2, s95
	v_or_b32_e32 v43, s16, v43
	s_wait_alu 0xfffe
	v_and_or_b32 v22, v22, s20, s12
	s_wait_dscnt 0x0
	v_cmp_ne_u64_e32 vcc_lo, 0, v[6:7]
	s_cbranch_vccnz .LBB15_235
; %bb.232:                              ;   in Loop: Header=BB15_32 Depth=1
	s_and_saveexec_b32 s12, s2
; %bb.233:                              ;   in Loop: Header=BB15_32 Depth=1
	v_dual_mov_b32 v6, s10 :: v_dual_mov_b32 v7, s11
	ds_store_b64 v3, v[6:7] offset:5128
; %bb.234:                              ;   in Loop: Header=BB15_32 Depth=1
	s_wait_alu 0xfffe
	s_or_b32 exec_lo, exec_lo, s12
	s_wait_loadcnt_dscnt 0x0
	s_barrier_signal -1
	s_barrier_wait -1
	global_inv scope:SCOPE_SE
.LBB15_235:                             ;   in Loop: Header=BB15_32 Depth=1
	s_wait_alu 0xfffe
	s_or_saveexec_b32 s7, s7
	v_mov_b32_e32 v2, 8
	s_mov_b32 s12, 0
	s_wait_alu 0xfffe
	s_xor_b32 exec_lo, exec_lo, s7
; %bb.236:                              ;   in Loop: Header=BB15_32 Depth=1
	v_sub_co_u32 v4, vcc_lo, v4, s10
	s_wait_alu 0xfffd
	v_subrev_co_ci_u32_e64 v5, null, s11, v5, vcc_lo
	v_mov_b32_e32 v2, 0
	s_mov_b32 s12, exec_lo
; %bb.237:                              ;   in Loop: Header=BB15_32 Depth=1
	s_or_b32 exec_lo, exec_lo, s7
	s_delay_alu instid0(VALU_DEP_2)
	v_dual_mov_b32 v7, v5 :: v_dual_mov_b32 v6, v4
	s_wait_alu 0xfffe
	s_and_b32 s7, s12, exec_lo
.LBB15_238:                             ;   in Loop: Header=BB15_32 Depth=1
	s_wait_alu 0xfffe
	s_or_b32 exec_lo, exec_lo, s6
	s_mov_b32 s6, -1
                                        ; implicit-def: $sgpr69
                                        ; implicit-def: $sgpr68
	s_and_saveexec_b32 s15, s7
	s_cbranch_execz .LBB15_285
; %bb.239:                              ;   in Loop: Header=BB15_32 Depth=1
	v_cmp_eq_u64_e32 vcc_lo, 1, v[6:7]
	s_cmp_eq_u64 s[8:9], 1
	s_mov_b32 s7, -1
	s_cselect_b32 s6, -1, 0
                                        ; implicit-def: $sgpr69
                                        ; implicit-def: $sgpr68
	s_wait_alu 0xfffe
	s_and_b32 s20, s6, vcc_lo
	s_wait_alu 0xfffe
	s_and_saveexec_b32 s67, s20
	s_cbranch_execz .LBB15_273
; %bb.240:                              ;   in Loop: Header=BB15_32 Depth=1
	ds_load_b64 v[4:5], v3 offset:5120
	s_wait_loadcnt_dscnt 0x0
	s_barrier_signal -1
	s_barrier_wait -1
	global_inv scope:SCOPE_SE
	v_readfirstlane_b32 s10, v4
	v_readfirstlane_b32 s11, v5
	s_and_saveexec_b32 s6, s3
; %bb.241:                              ;   in Loop: Header=BB15_32 Depth=1
	ds_store_b8 v0, v3 offset:3072
; %bb.242:                              ;   in Loop: Header=BB15_32 Depth=1
	s_wait_alu 0xfffe
	s_or_b32 exec_lo, exec_lo, s6
	v_cmp_gt_i64_e64 s6, s[10:11], 0
	v_or_b32_e32 v22, s16, v22
	v_or_b32_e32 v43, s16, v43
	s_mov_b32 s68, -1
	s_mov_b32 s69, 0
	s_mov_b32 s70, 0
	s_and_b32 vcc_lo, exec_lo, s6
	s_wait_loadcnt_dscnt 0x0
	s_barrier_signal -1
	s_barrier_wait -1
	global_inv scope:SCOPE_SE
                                        ; implicit-def: $vgpr44
	s_wait_alu 0xfffe
	s_cbranch_vccnz .LBB15_258
; %bb.243:                              ;   in Loop: Header=BB15_32 Depth=1
	s_mov_b32 s6, s53
	s_mov_b32 s7, s61
	s_wait_alu 0xfffe
	s_cmp_lg_u64 s[6:7], 0
	s_cbranch_scc0 .LBB15_292
; %bb.244:                              ;   in Loop: Header=BB15_32 Depth=1
	s_add_nc_u64 s[6:7], s[50:51], 0
	s_wait_alu 0xfffe
	s_xor_b64 s[6:7], s[6:7], 0
	s_wait_alu 0xfffe
	s_cvt_f32_u32 s12, s6
	s_cvt_f32_u32 s13, s7
	s_sub_nc_u64 s[70:71], 0, s[6:7]
	s_wait_alu 0xfffe
	s_delay_alu instid0(SALU_CYCLE_1) | instskip(SKIP_1) | instid1(SALU_CYCLE_2)
	s_fmamk_f32 s12, s13, 0x4f800000, s12
	s_wait_alu 0xfffe
	v_s_rcp_f32 s12, s12
	s_delay_alu instid0(TRANS32_DEP_1) | instskip(SKIP_1) | instid1(SALU_CYCLE_2)
	s_mul_f32 s12, s12, 0x5f7ffffc
	s_wait_alu 0xfffe
	s_mul_f32 s13, s12, 0x2f800000
	s_wait_alu 0xfffe
	s_delay_alu instid0(SALU_CYCLE_2) | instskip(SKIP_1) | instid1(SALU_CYCLE_2)
	s_trunc_f32 s13, s13
	s_wait_alu 0xfffe
	s_fmamk_f32 s12, s13, 0xcf800000, s12
	s_cvt_u32_f32 s13, s13
	s_wait_alu 0xfffe
	s_delay_alu instid0(SALU_CYCLE_1) | instskip(SKIP_1) | instid1(SALU_CYCLE_2)
	s_cvt_u32_f32 s12, s12
	s_wait_alu 0xfffe
	s_mul_u64 s[72:73], s[70:71], s[12:13]
	s_wait_alu 0xfffe
	s_mul_hi_u32 s75, s12, s73
	s_mul_i32 s74, s12, s73
	s_mul_hi_u32 s52, s12, s72
	s_mul_i32 s77, s13, s72
	s_wait_alu 0xfffe
	s_add_nc_u64 s[74:75], s[52:53], s[74:75]
	s_mul_hi_u32 s76, s13, s72
	s_mul_hi_u32 s78, s13, s73
	s_wait_alu 0xfffe
	s_add_co_u32 s52, s74, s77
	s_add_co_ci_u32 s52, s75, s76
	s_mul_i32 s72, s13, s73
	s_add_co_ci_u32 s73, s78, 0
	s_wait_alu 0xfffe
	s_add_nc_u64 s[72:73], s[52:53], s[72:73]
	s_wait_alu 0xfffe
	s_add_co_u32 s12, s12, s72
	s_cselect_b32 s52, -1, 0
	s_wait_alu 0xfffe
	s_cmp_lg_u32 s52, 0
	s_add_co_ci_u32 s13, s13, s73
	s_wait_alu 0xfffe
	s_mul_u64 s[70:71], s[70:71], s[12:13]
	s_wait_alu 0xfffe
	s_mul_hi_u32 s73, s12, s71
	s_mul_i32 s72, s12, s71
	s_mul_hi_u32 s52, s12, s70
	s_mul_i32 s75, s13, s70
	s_wait_alu 0xfffe
	s_add_nc_u64 s[72:73], s[52:53], s[72:73]
	s_mul_hi_u32 s74, s13, s70
	s_mul_hi_u32 s76, s13, s71
	s_wait_alu 0xfffe
	s_add_co_u32 s52, s72, s75
	s_add_co_ci_u32 s52, s73, s74
	s_mul_i32 s70, s13, s71
	s_add_co_ci_u32 s71, s76, 0
	s_wait_alu 0xfffe
	s_add_nc_u64 s[70:71], s[52:53], s[70:71]
	s_wait_alu 0xfffe
	s_add_co_u32 s74, s12, s70
	s_cselect_b32 s12, -1, 0
	s_wait_alu 0xfffe
	s_cmp_lg_u32 s12, 0
	s_add_co_ci_u32 s75, s13, s71
	s_ashr_i32 s12, s61, 31
	s_wait_alu 0xfffe
	s_mov_b32 s13, s12
	s_wait_alu 0xfffe
	s_add_nc_u64 s[70:71], s[60:61], s[12:13]
	s_wait_alu 0xfffe
	s_xor_b64 s[70:71], s[70:71], s[12:13]
	s_wait_alu 0xfffe
	s_mul_hi_u32 s73, s70, s75
	s_mul_i32 s72, s70, s75
	s_mul_hi_u32 s52, s70, s74
	s_mul_i32 s78, s71, s74
	s_wait_alu 0xfffe
	s_add_nc_u64 s[72:73], s[52:53], s[72:73]
	s_mul_hi_u32 s77, s71, s74
	s_mul_hi_u32 s76, s71, s75
	s_wait_alu 0xfffe
	s_add_co_u32 s52, s72, s78
	s_add_co_ci_u32 s52, s73, s77
	s_mul_i32 s74, s71, s75
	s_add_co_ci_u32 s75, s76, 0
	s_wait_alu 0xfffe
	s_add_nc_u64 s[72:73], s[52:53], s[74:75]
	s_wait_alu 0xfffe
	s_mul_u64 s[72:73], s[6:7], s[72:73]
	s_wait_alu 0xfffe
	s_sub_co_u32 s52, s70, s72
	s_cselect_b32 s70, -1, 0
	s_sub_co_i32 s72, s71, s73
	s_wait_alu 0xfffe
	s_cmp_lg_u32 s70, 0
	s_sub_co_ci_u32 s72, s72, s7
	s_sub_co_u32 s74, s52, s6
	s_cselect_b32 s75, -1, 0
	s_wait_alu 0xfffe
	s_cmp_lg_u32 s75, 0
	s_sub_co_ci_u32 s76, s72, 0
	s_wait_alu 0xfffe
	s_cmp_ge_u32 s76, s7
	s_cselect_b32 s77, -1, 0
	s_cmp_ge_u32 s74, s6
	s_cselect_b32 s78, -1, 0
	s_cmp_eq_u32 s76, s7
	s_wait_alu 0xfffe
	s_cselect_b32 s77, s78, s77
	s_cmp_lg_u32 s75, 0
	s_sub_co_ci_u32 s72, s72, s7
	s_sub_co_u32 s75, s74, s6
	s_cselect_b32 s78, -1, 0
	s_wait_alu 0xfffe
	s_cmp_lg_u32 s78, 0
	s_sub_co_ci_u32 s72, s72, 0
	s_cmp_lg_u32 s77, 0
	s_cselect_b32 s74, s75, s74
	s_wait_alu 0xfffe
	s_cselect_b32 s72, s72, s76
	s_cmp_lg_u32 s70, 0
	s_sub_co_ci_u32 s70, s71, s73
	s_wait_alu 0xfffe
	s_cmp_ge_u32 s70, s7
	s_cselect_b32 s71, -1, 0
	s_cmp_ge_u32 s52, s6
	s_cselect_b32 s6, -1, 0
	s_cmp_eq_u32 s70, s7
	s_wait_alu 0xfffe
	s_cselect_b32 s6, s6, s71
	s_wait_alu 0xfffe
	s_cmp_lg_u32 s6, 0
	s_cselect_b32 s7, s72, s70
	s_cselect_b32 s6, s74, s52
	s_wait_alu 0xfffe
	s_xor_b64 s[6:7], s[6:7], s[12:13]
	s_wait_alu 0xfffe
	s_sub_nc_u64 s[6:7], s[6:7], s[12:13]
	s_cbranch_execnz .LBB15_246
.LBB15_245:                             ;   in Loop: Header=BB15_32 Depth=1
	v_cvt_f32_u32_e32 v4, s50
	s_sub_co_i32 s7, 0, s50
	s_delay_alu instid0(VALU_DEP_1) | instskip(NEXT) | instid1(TRANS32_DEP_1)
	v_rcp_iflag_f32_e32 v4, v4
	v_mul_f32_e32 v4, 0x4f7ffffe, v4
	s_delay_alu instid0(VALU_DEP_1) | instskip(NEXT) | instid1(VALU_DEP_1)
	v_cvt_u32_f32_e32 v4, v4
	v_readfirstlane_b32 s6, v4
	s_wait_alu 0xfffe
	s_mul_i32 s7, s7, s6
	s_wait_alu 0xfffe
	s_mul_hi_u32 s7, s6, s7
	s_wait_alu 0xfffe
	s_add_co_i32 s6, s6, s7
	s_wait_alu 0xfffe
	s_mul_hi_u32 s6, s60, s6
	s_wait_alu 0xfffe
	s_mul_i32 s6, s6, s50
	s_wait_alu 0xfffe
	s_sub_co_i32 s6, s60, s6
	s_wait_alu 0xfffe
	s_sub_co_i32 s7, s6, s50
	s_cmp_ge_u32 s6, s50
	s_wait_alu 0xfffe
	s_cselect_b32 s6, s7, s6
	s_wait_alu 0xfffe
	s_sub_co_i32 s7, s6, s50
	s_cmp_ge_u32 s6, s50
	s_wait_alu 0xfffe
	s_cselect_b32 s52, s7, s6
	s_wait_alu 0xfffe
	s_mov_b64 s[6:7], s[52:53]
.LBB15_246:                             ;   in Loop: Header=BB15_32 Depth=1
	s_wait_alu 0xfffe
	s_sub_nc_u64 s[12:13], s[60:61], s[6:7]
	s_mov_b32 s7, 0
	s_mov_b32 s70, 0
	s_mov_b32 s52, exec_lo
                                        ; implicit-def: $vgpr44
	s_wait_alu 0xfffe
	v_cmpx_gt_i64_e64 s[12:13], v[0:1]
	s_cbranch_execz .LBB15_257
; %bb.247:                              ;   in Loop: Header=BB15_32 Depth=1
	v_dual_mov_b32 v4, v12 :: v_dual_mov_b32 v5, v13
	v_dual_mov_b32 v9, v1 :: v_dual_mov_b32 v8, v0
                                        ; implicit-def: $sgpr71
	s_branch .LBB15_250
.LBB15_248:                             ;   in Loop: Header=BB15_250 Depth=2
	s_wait_alu 0xfffe
	s_or_b32 exec_lo, exec_lo, s6
	s_wait_loadcnt_dscnt 0x0
	s_barrier_signal -1
	s_barrier_wait -1
	global_inv scope:SCOPE_SE
	ds_load_u16 v10, v3 offset:3072
	s_mov_b32 s6, -1
	s_mov_b32 s72, -1
	s_wait_loadcnt_dscnt 0x0
	s_barrier_signal -1
	s_barrier_wait -1
	global_inv scope:SCOPE_SE
	v_and_b32_e32 v11, 0xff, v10
	s_delay_alu instid0(VALU_DEP_1)
	v_cmp_ne_u32_e32 vcc_lo, 0, v11
	s_cbranch_vccz .LBB15_253
.LBB15_249:                             ;   in Loop: Header=BB15_250 Depth=2
	s_wait_alu 0xfffe
	s_and_b32 s6, exec_lo, s6
	s_wait_alu 0xfffe
	s_or_b32 s70, s6, s70
	s_and_not1_b32 s6, s71, exec_lo
	s_and_b32 s71, s72, exec_lo
	s_wait_alu 0xfffe
	s_or_b32 s71, s6, s71
	s_and_not1_b32 exec_lo, exec_lo, s70
	s_cbranch_execz .LBB15_256
.LBB15_250:                             ;   Parent Loop BB15_32 Depth=1
                                        ; =>  This Inner Loop Header: Depth=2
	s_mov_b32 s6, exec_lo
	s_delay_alu instid0(VALU_DEP_1)
	v_cmpx_gt_i64_e64 s[36:37], v[8:9]
	s_cbranch_execz .LBB15_248
; %bb.251:                              ;   in Loop: Header=BB15_250 Depth=2
	global_load_u8 v10, v[4:5], off
	s_wait_loadcnt 0x0
	v_bfe_i32 v11, v10, 0, 8
	s_delay_alu instid0(VALU_DEP_1) | instskip(NEXT) | instid1(VALU_DEP_1)
	v_add_nc_u32_e32 v11, 0x80, v11
	v_and_b32_e32 v11, v11, v43
	s_delay_alu instid0(VALU_DEP_1)
	v_cmp_eq_u32_e32 vcc_lo, v11, v22
	s_and_b32 exec_lo, exec_lo, vcc_lo
	s_cbranch_execz .LBB15_248
; %bb.252:                              ;   in Loop: Header=BB15_250 Depth=2
	v_lshlrev_b16 v10, 8, v10
	s_delay_alu instid0(VALU_DEP_1)
	v_or_b32_e32 v10, 1, v10
	ds_store_b16 v3, v10 offset:3072
	s_branch .LBB15_248
.LBB15_253:                             ;   in Loop: Header=BB15_250 Depth=2
	v_add_co_u32 v8, vcc_lo, v8, s50
	s_wait_alu 0xfffd
	v_add_co_ci_u32_e64 v9, null, 0, v9, vcc_lo
	v_add_co_u32 v4, s6, v4, s54
	s_wait_alu 0xf1fe
	v_add_co_ci_u32_e64 v5, null, s55, v5, s6
	s_delay_alu instid0(VALU_DEP_3)
	v_cmp_le_i64_e32 vcc_lo, s[12:13], v[8:9]
	s_mov_b32 s72, 0
	s_or_not1_b32 s6, vcc_lo, exec_lo
	s_branch .LBB15_249
.LBB15_254:                             ;   in Loop: Header=BB15_32 Depth=1
                                        ; implicit-def: $sgpr6_sgpr7
	s_branch .LBB15_200
.LBB15_255:                             ;   in Loop: Header=BB15_32 Depth=1
                                        ; implicit-def: $sgpr14_sgpr15
	s_branch .LBB15_216
.LBB15_256:                             ;   in Loop: Header=BB15_32 Depth=1
	s_or_b32 exec_lo, exec_lo, s70
	v_and_b32_e32 v4, 0xffff, v10
	s_wait_alu 0xfffe
	s_and_b32 s70, s71, exec_lo
	s_delay_alu instid0(VALU_DEP_1)
	v_lshrrev_b32_e32 v44, 8, v4
.LBB15_257:                             ;   in Loop: Header=BB15_32 Depth=1
	s_or_b32 exec_lo, exec_lo, s52
.LBB15_258:                             ;   in Loop: Header=BB15_32 Depth=1
	s_delay_alu instid0(SALU_CYCLE_1)
	s_and_b32 vcc_lo, exec_lo, s7
	s_wait_alu 0xfffe
	s_cbranch_vccz .LBB15_272
; %bb.259:                              ;   in Loop: Header=BB15_32 Depth=1
	s_add_nc_u64 s[6:7], s[10:11], s[58:59]
	s_mov_b32 s12, s53
	s_wait_alu 0xfffe
	s_mov_b32 s13, s7
	s_wait_alu 0xfffe
	s_cmp_lg_u64 s[12:13], 0
	s_cbranch_scc0 .LBB15_293
; %bb.260:                              ;   in Loop: Header=BB15_32 Depth=1
	s_add_nc_u64 s[12:13], s[50:51], 0
	s_wait_alu 0xfffe
	s_xor_b64 s[12:13], s[12:13], 0
	s_wait_alu 0xfffe
	s_cvt_f32_u32 s52, s12
	s_cvt_f32_u32 s68, s13
	s_sub_nc_u64 s[72:73], 0, s[12:13]
	s_wait_alu 0xfffe
	s_delay_alu instid0(SALU_CYCLE_1) | instskip(SKIP_1) | instid1(SALU_CYCLE_2)
	s_fmamk_f32 s52, s68, 0x4f800000, s52
	s_wait_alu 0xfffe
	v_s_rcp_f32 s52, s52
	s_delay_alu instid0(TRANS32_DEP_1) | instskip(SKIP_1) | instid1(SALU_CYCLE_2)
	s_mul_f32 s52, s52, 0x5f7ffffc
	s_wait_alu 0xfffe
	s_mul_f32 s68, s52, 0x2f800000
	s_wait_alu 0xfffe
	s_delay_alu instid0(SALU_CYCLE_2) | instskip(SKIP_1) | instid1(SALU_CYCLE_2)
	s_trunc_f32 s68, s68
	s_wait_alu 0xfffe
	s_fmamk_f32 s52, s68, 0xcf800000, s52
	s_cvt_u32_f32 s69, s68
	s_wait_alu 0xfffe
	s_delay_alu instid0(SALU_CYCLE_1) | instskip(SKIP_1) | instid1(SALU_CYCLE_2)
	s_cvt_u32_f32 s68, s52
	s_wait_alu 0xfffe
	s_mul_u64 s[74:75], s[72:73], s[68:69]
	s_wait_alu 0xfffe
	s_mul_hi_u32 s77, s68, s75
	s_mul_i32 s76, s68, s75
	s_mul_hi_u32 s52, s68, s74
	s_mul_i32 s78, s69, s74
	s_wait_alu 0xfffe
	s_add_nc_u64 s[76:77], s[52:53], s[76:77]
	s_mul_hi_u32 s71, s69, s74
	s_mul_hi_u32 s79, s69, s75
	s_wait_alu 0xfffe
	s_add_co_u32 s52, s76, s78
	s_add_co_ci_u32 s52, s77, s71
	s_mul_i32 s74, s69, s75
	s_add_co_ci_u32 s75, s79, 0
	s_wait_alu 0xfffe
	s_add_nc_u64 s[74:75], s[52:53], s[74:75]
	s_wait_alu 0xfffe
	s_add_co_u32 s68, s68, s74
	s_cselect_b32 s52, -1, 0
	s_wait_alu 0xfffe
	s_cmp_lg_u32 s52, 0
	s_add_co_ci_u32 s69, s69, s75
	s_wait_alu 0xfffe
	s_mul_u64 s[72:73], s[72:73], s[68:69]
	s_wait_alu 0xfffe
	s_mul_hi_u32 s75, s68, s73
	s_mul_i32 s74, s68, s73
	s_mul_hi_u32 s52, s68, s72
	s_mul_i32 s76, s69, s72
	s_wait_alu 0xfffe
	s_add_nc_u64 s[74:75], s[52:53], s[74:75]
	s_mul_hi_u32 s71, s69, s72
	s_mul_hi_u32 s77, s69, s73
	s_wait_alu 0xfffe
	s_add_co_u32 s52, s74, s76
	s_add_co_ci_u32 s52, s75, s71
	s_mul_i32 s72, s69, s73
	s_add_co_ci_u32 s73, s77, 0
	s_wait_alu 0xfffe
	s_add_nc_u64 s[72:73], s[52:53], s[72:73]
	s_wait_alu 0xfffe
	s_add_co_u32 s71, s68, s72
	s_cselect_b32 s52, -1, 0
	s_wait_alu 0xfffe
	s_cmp_lg_u32 s52, 0
	s_add_co_ci_u32 s76, s69, s73
	s_ashr_i32 s68, s7, 31
	s_wait_alu 0xfffe
	s_mov_b32 s69, s68
	s_wait_alu 0xfffe
	s_add_nc_u64 s[72:73], s[6:7], s[68:69]
	s_wait_alu 0xfffe
	s_xor_b64 s[72:73], s[72:73], s[68:69]
	s_wait_alu 0xfffe
	s_mul_hi_u32 s75, s72, s76
	s_mul_i32 s74, s72, s76
	s_mul_hi_u32 s52, s72, s71
	s_mul_hi_u32 s78, s73, s71
	s_mul_i32 s71, s73, s71
	s_wait_alu 0xfffe
	s_add_nc_u64 s[74:75], s[52:53], s[74:75]
	s_mul_hi_u32 s77, s73, s76
	s_wait_alu 0xfffe
	s_add_co_u32 s52, s74, s71
	s_add_co_ci_u32 s52, s75, s78
	s_mul_i32 s76, s73, s76
	s_add_co_ci_u32 s77, s77, 0
	s_wait_alu 0xfffe
	s_add_nc_u64 s[74:75], s[52:53], s[76:77]
	s_wait_alu 0xfffe
	s_mul_u64 s[74:75], s[12:13], s[74:75]
	s_wait_alu 0xfffe
	s_sub_co_u32 s52, s72, s74
	s_cselect_b32 s71, -1, 0
	s_sub_co_i32 s72, s73, s75
	s_wait_alu 0xfffe
	s_cmp_lg_u32 s71, 0
	s_sub_co_ci_u32 s72, s72, s13
	s_sub_co_u32 s74, s52, s12
	s_cselect_b32 s76, -1, 0
	s_wait_alu 0xfffe
	s_cmp_lg_u32 s76, 0
	s_sub_co_ci_u32 s77, s72, 0
	s_wait_alu 0xfffe
	s_cmp_ge_u32 s77, s13
	s_cselect_b32 s78, -1, 0
	s_cmp_ge_u32 s74, s12
	s_cselect_b32 s79, -1, 0
	s_cmp_eq_u32 s77, s13
	s_wait_alu 0xfffe
	s_cselect_b32 s78, s79, s78
	s_cmp_lg_u32 s76, 0
	s_sub_co_ci_u32 s72, s72, s13
	s_sub_co_u32 s76, s74, s12
	s_cselect_b32 s79, -1, 0
	s_wait_alu 0xfffe
	s_cmp_lg_u32 s79, 0
	s_sub_co_ci_u32 s72, s72, 0
	s_cmp_lg_u32 s78, 0
	s_cselect_b32 s74, s76, s74
	s_wait_alu 0xfffe
	s_cselect_b32 s72, s72, s77
	s_cmp_lg_u32 s71, 0
	s_sub_co_ci_u32 s71, s73, s75
	s_wait_alu 0xfffe
	s_cmp_ge_u32 s71, s13
	s_cselect_b32 s73, -1, 0
	s_cmp_ge_u32 s52, s12
	s_cselect_b32 s12, -1, 0
	s_cmp_eq_u32 s71, s13
	s_wait_alu 0xfffe
	s_cselect_b32 s12, s12, s73
	s_wait_alu 0xfffe
	s_cmp_lg_u32 s12, 0
	s_cselect_b32 s13, s72, s71
	s_cselect_b32 s12, s74, s52
	s_wait_alu 0xfffe
	s_xor_b64 s[12:13], s[12:13], s[68:69]
	s_wait_alu 0xfffe
	s_sub_nc_u64 s[12:13], s[12:13], s[68:69]
	s_cbranch_execnz .LBB15_262
.LBB15_261:                             ;   in Loop: Header=BB15_32 Depth=1
	v_cvt_f32_u32_e32 v4, s50
	s_sub_co_i32 s13, 0, s50
	s_delay_alu instid0(VALU_DEP_1) | instskip(NEXT) | instid1(TRANS32_DEP_1)
	v_rcp_iflag_f32_e32 v4, v4
	v_mul_f32_e32 v4, 0x4f7ffffe, v4
	s_delay_alu instid0(VALU_DEP_1) | instskip(NEXT) | instid1(VALU_DEP_1)
	v_cvt_u32_f32_e32 v4, v4
	v_readfirstlane_b32 s12, v4
	s_wait_alu 0xfffe
	s_mul_i32 s13, s13, s12
	s_wait_alu 0xfffe
	s_mul_hi_u32 s13, s12, s13
	s_wait_alu 0xfffe
	s_add_co_i32 s12, s12, s13
	s_wait_alu 0xfffe
	s_mul_hi_u32 s12, s6, s12
	s_wait_alu 0xfffe
	s_mul_i32 s12, s12, s50
	s_wait_alu 0xfffe
	s_sub_co_i32 s12, s6, s12
	s_wait_alu 0xfffe
	s_sub_co_i32 s13, s12, s50
	s_cmp_ge_u32 s12, s50
	s_wait_alu 0xfffe
	s_cselect_b32 s12, s13, s12
	s_wait_alu 0xfffe
	s_sub_co_i32 s13, s12, s50
	s_cmp_ge_u32 s12, s50
	s_wait_alu 0xfffe
	s_cselect_b32 s52, s13, s12
	s_wait_alu 0xfffe
	s_mov_b64 s[12:13], s[52:53]
.LBB15_262:                             ;   in Loop: Header=BB15_32 Depth=1
	s_wait_alu 0xfffe
	s_sub_nc_u64 s[6:7], s[6:7], s[12:13]
	s_mov_b32 s12, exec_lo
                                        ; implicit-def: $vgpr44
	s_wait_alu 0xfffe
	v_cmpx_gt_i64_e64 s[6:7], v[0:1]
	s_cbranch_execz .LBB15_271
; %bb.263:                              ;   in Loop: Header=BB15_32 Depth=1
	v_dual_mov_b32 v8, v0 :: v_dual_mov_b32 v5, v1
	v_mov_b32_e32 v4, v0
	s_mov_b32 s13, 0
                                        ; implicit-def: $sgpr52
	s_branch .LBB15_266
.LBB15_264:                             ;   in Loop: Header=BB15_266 Depth=2
	s_wait_alu 0xfffe
	s_or_b32 exec_lo, exec_lo, s68
	s_wait_loadcnt_dscnt 0x0
	s_barrier_signal -1
	s_barrier_wait -1
	global_inv scope:SCOPE_SE
	ds_load_u16 v9, v3 offset:3072
	s_mov_b32 s68, -1
	s_mov_b32 s69, -1
	s_wait_loadcnt_dscnt 0x0
	s_barrier_signal -1
	s_barrier_wait -1
	global_inv scope:SCOPE_SE
	v_and_b32_e32 v10, 0xff, v9
	s_delay_alu instid0(VALU_DEP_1)
	v_cmp_eq_u32_e32 vcc_lo, 0, v10
	s_cbranch_vccnz .LBB15_269
.LBB15_265:                             ;   in Loop: Header=BB15_266 Depth=2
	s_wait_alu 0xfffe
	s_and_b32 s68, exec_lo, s68
	s_wait_alu 0xfffe
	s_or_b32 s13, s68, s13
	s_and_not1_b32 s52, s52, exec_lo
	s_and_b32 s68, s69, exec_lo
	s_wait_alu 0xfffe
	s_or_b32 s52, s52, s68
	s_and_not1_b32 exec_lo, exec_lo, s13
	s_cbranch_execz .LBB15_270
.LBB15_266:                             ;   Parent Loop BB15_32 Depth=1
                                        ; =>  This Inner Loop Header: Depth=2
	s_mov_b32 s68, exec_lo
	s_delay_alu instid0(VALU_DEP_1)
	v_cmpx_gt_u64_e64 s[10:11], v[4:5]
	s_cbranch_execz .LBB15_264
; %bb.267:                              ;   in Loop: Header=BB15_266 Depth=2
	ds_load_u8 v9, v8
	s_wait_dscnt 0x0
	v_bfe_i32 v10, v9, 0, 8
	s_delay_alu instid0(VALU_DEP_1) | instskip(NEXT) | instid1(VALU_DEP_1)
	v_add_nc_u32_e32 v10, 0x80, v10
	v_and_b32_e32 v10, v10, v43
	s_delay_alu instid0(VALU_DEP_1)
	v_cmp_eq_u32_e32 vcc_lo, v10, v22
	s_and_b32 exec_lo, exec_lo, vcc_lo
	s_cbranch_execz .LBB15_264
; %bb.268:                              ;   in Loop: Header=BB15_266 Depth=2
	v_lshlrev_b16 v9, 8, v9
	s_delay_alu instid0(VALU_DEP_1)
	v_or_b32_e32 v9, 1, v9
	ds_store_b16 v3, v9 offset:3072
	s_branch .LBB15_264
.LBB15_269:                             ;   in Loop: Header=BB15_266 Depth=2
	v_add_co_u32 v4, vcc_lo, v4, s50
	s_wait_alu 0xfffd
	v_add_co_ci_u32_e64 v5, null, 0, v5, vcc_lo
	v_add_nc_u32_e32 v8, s50, v8
	s_mov_b32 s69, 0
	s_delay_alu instid0(VALU_DEP_2)
	v_cmp_le_i64_e32 vcc_lo, s[6:7], v[4:5]
	s_or_not1_b32 s68, vcc_lo, exec_lo
	s_branch .LBB15_265
.LBB15_270:                             ;   in Loop: Header=BB15_32 Depth=1
	s_or_b32 exec_lo, exec_lo, s13
	v_and_b32_e32 v4, 0xffff, v9
	s_and_not1_b32 s6, s70, exec_lo
	s_wait_alu 0xfffe
	s_and_b32 s7, s52, exec_lo
	s_wait_alu 0xfffe
	s_or_b32 s70, s6, s7
	v_lshrrev_b32_e32 v44, 8, v4
.LBB15_271:                             ;   in Loop: Header=BB15_32 Depth=1
	s_or_b32 exec_lo, exec_lo, s12
	s_mov_b32 s68, 0
	s_mov_b32 s69, -1
.LBB15_272:                             ;   in Loop: Header=BB15_32 Depth=1
	s_wait_alu 0xfffe
	s_or_not1_b32 s7, s70, exec_lo
.LBB15_273:                             ;   in Loop: Header=BB15_32 Depth=1
	s_wait_alu 0xfffe
	s_or_b32 exec_lo, exec_lo, s67
	s_mov_b32 s10, 0
	s_and_saveexec_b32 s6, s7
	s_cbranch_execz .LBB15_284
; %bb.274:                              ;   in Loop: Header=BB15_32 Depth=1
	v_mov_b32_e32 v4, 1
	v_dual_mov_b32 v5, 0 :: v_dual_mov_b32 v2, 1
	s_xor_b32 s10, s20, -1
	s_wait_alu 0xfffe
	s_and_saveexec_b32 s7, s10
	s_cbranch_execz .LBB15_283
; %bb.275:                              ;   in Loop: Header=BB15_32 Depth=1
	s_mov_b32 s10, exec_lo
	v_cmpx_ge_i64_e64 s[8:9], v[6:7]
	s_wait_alu 0xfffe
	s_xor_b32 s10, exec_lo, s10
	s_cbranch_execz .LBB15_280
; %bb.276:                              ;   in Loop: Header=BB15_32 Depth=1
	ds_load_b64 v[4:5], v3 offset:5120
	v_or_b32_e32 v22, s16, v22
	v_or_b32_e32 v43, s16, v43
	s_wait_dscnt 0x0
	v_cmp_ne_u64_e32 vcc_lo, 0, v[4:5]
	s_cbranch_vccnz .LBB15_280
; %bb.277:                              ;   in Loop: Header=BB15_32 Depth=1
	s_and_saveexec_b32 s11, s2
; %bb.278:                              ;   in Loop: Header=BB15_32 Depth=1
	v_dual_mov_b32 v4, s8 :: v_dual_mov_b32 v5, s9
	ds_store_b64 v3, v[4:5] offset:5128
; %bb.279:                              ;   in Loop: Header=BB15_32 Depth=1
	s_wait_alu 0xfffe
	s_or_b32 exec_lo, exec_lo, s11
	s_wait_loadcnt_dscnt 0x0
	s_barrier_signal -1
	s_barrier_wait -1
	global_inv scope:SCOPE_SE
.LBB15_280:                             ;   in Loop: Header=BB15_32 Depth=1
	s_wait_alu 0xfffe
	s_and_not1_saveexec_b32 s10, s10
; %bb.281:                              ;   in Loop: Header=BB15_32 Depth=1
	v_sub_co_u32 v6, vcc_lo, v6, s8
	s_wait_alu 0xfffd
	v_subrev_co_ci_u32_e64 v7, null, s9, v7, vcc_lo
; %bb.282:                              ;   in Loop: Header=BB15_32 Depth=1
	s_wait_alu 0xfffe
	s_or_b32 exec_lo, exec_lo, s10
	v_mov_b32_e32 v4, v6
	s_delay_alu instid0(VALU_DEP_2)
	v_dual_mov_b32 v2, 8 :: v_dual_mov_b32 v5, v7
.LBB15_283:                             ;   in Loop: Header=BB15_32 Depth=1
	s_wait_alu 0xfffe
	s_or_b32 exec_lo, exec_lo, s7
	s_delay_alu instid0(VALU_DEP_1)
	v_dual_mov_b32 v7, v5 :: v_dual_mov_b32 v6, v4
	s_mov_b32 s10, exec_lo
.LBB15_284:                             ;   in Loop: Header=BB15_32 Depth=1
	s_wait_alu 0xfffe
	s_or_b32 exec_lo, exec_lo, s6
	s_delay_alu instid0(SALU_CYCLE_1)
	s_or_not1_b32 s6, s10, exec_lo
.LBB15_285:                             ;   in Loop: Header=BB15_32 Depth=1
	s_wait_alu 0xfffe
	s_or_b32 exec_lo, exec_lo, s15
	v_dual_mov_b32 v4, v6 :: v_dual_mov_b32 v5, v7
	s_and_not1_b32 s7, s66, exec_lo
	s_and_b32 s8, s69, exec_lo
	s_and_not1_b32 s9, s25, exec_lo
	s_and_b32 s10, s68, exec_lo
	s_wait_alu 0xfffe
	s_or_b32 s66, s7, s8
	s_or_b32 s25, s9, s10
	s_and_b32 s7, s6, exec_lo
.LBB15_286:                             ;   in Loop: Header=BB15_32 Depth=1
	s_wait_alu 0xfffe
	s_or_b32 exec_lo, exec_lo, s14
	s_delay_alu instid0(SALU_CYCLE_1)
	s_or_not1_b32 s6, s7, exec_lo
.LBB15_287:                             ;   in Loop: Header=BB15_32 Depth=1
	s_wait_alu 0xfffe
	s_or_b32 exec_lo, exec_lo, s24
	v_dual_mov_b32 v9, v5 :: v_dual_mov_b32 v8, v4
	s_and_not1_b32 s7, s22, exec_lo
	s_and_b32 s8, s66, exec_lo
	s_and_not1_b32 s9, s21, exec_lo
	s_and_b32 s10, s25, exec_lo
	s_wait_alu 0xfffe
	s_or_b32 s22, s7, s8
	s_or_b32 s21, s9, s10
	s_and_b32 s7, s6, exec_lo
.LBB15_288:                             ;   in Loop: Header=BB15_32 Depth=1
	s_or_b32 exec_lo, exec_lo, s23
	s_wait_alu 0xfffe
	s_or_not1_b32 s6, s7, exec_lo
.LBB15_289:                             ;   in Loop: Header=BB15_32 Depth=1
	s_or_b32 exec_lo, exec_lo, s19
	s_mov_b32 s7, 0
	s_wait_alu 0xfffe
	s_and_saveexec_b32 s8, s6
	s_wait_alu 0xfffe
	s_xor_b32 s6, exec_lo, s8
	s_cbranch_execz .LBB15_30
; %bb.290:                              ;   in Loop: Header=BB15_32 Depth=1
	v_and_b32_e32 v2, 7, v2
	s_mov_b32 s8, -1
	s_mov_b32 s7, -1
	s_mov_b32 s9, exec_lo
	s_delay_alu instid0(VALU_DEP_1)
	v_cmpx_eq_u32_e32 0, v2
	s_cbranch_execz .LBB15_29
; %bb.291:                              ;   in Loop: Header=BB15_32 Depth=1
	s_xor_b32 s98, s98, 1
	s_add_co_i32 s10, s95, -2
	s_cmp_eq_u32 s95, 0
	s_wait_alu 0xfffe
	s_mov_b32 s95, s10
	s_cselect_b32 s8, -1, 0
	s_xor_b32 s7, exec_lo, -1
	s_wait_alu 0xfffe
	s_or_not1_b32 s8, s8, exec_lo
	s_branch .LBB15_29
.LBB15_292:                             ;   in Loop: Header=BB15_32 Depth=1
                                        ; implicit-def: $sgpr6_sgpr7
	s_branch .LBB15_245
.LBB15_293:                             ;   in Loop: Header=BB15_32 Depth=1
                                        ; implicit-def: $sgpr12_sgpr13
	s_branch .LBB15_261
.LBB15_294:
	s_or_b32 exec_lo, exec_lo, s97
	s_xor_b32 s5, s104, -1
	s_xor_b32 s1, s102, -1
	;; [unrolled: 1-line block ×3, first 2 shown]
	s_mov_b32 s3, 0
	s_and_saveexec_b32 s6, s1
	s_wait_alu 0xfffe
	s_xor_b32 s1, exec_lo, s6
	s_cbranch_execnz .LBB15_299
; %bb.295:
	s_and_not1_saveexec_b32 s0, s1
	s_cbranch_execnz .LBB15_321
.LBB15_296:
	s_wait_alu 0xfffe
	s_or_b32 exec_lo, exec_lo, s0
	s_and_saveexec_b32 s0, s3
.LBB15_297:
	; divergent unreachable
.LBB15_298:
	s_endpgm
.LBB15_299:
	s_and_saveexec_b32 s3, s5
	s_wait_alu 0xfffe
	s_xor_b32 s3, exec_lo, s3
	s_cbranch_execz .LBB15_319
; %bb.300:
	s_and_saveexec_b32 s5, s4
	s_wait_alu 0xfffe
	s_xor_b32 s4, exec_lo, s5
; %bb.301:
	v_xor_b32_e32 v44, 0xffffff80, v22
; %bb.302:
	s_wait_alu 0xfffe
	s_or_b32 exec_lo, exec_lo, s4
	s_and_saveexec_b32 s4, s2
; %bb.303:
	v_dual_mov_b32 v2, 0 :: v_dual_mov_b32 v3, s36
	ds_store_b32 v2, v3 offset:5140
; %bb.304:
	s_wait_alu 0xfffe
	s_or_b32 exec_lo, exec_lo, s4
	s_wait_loadcnt_dscnt 0x0
	s_barrier_signal -1
	s_barrier_wait -1
	global_inv scope:SCOPE_SE
	s_and_saveexec_b32 s4, s0
	s_cbranch_execz .LBB15_316
; %bb.305:
	v_mov_b32_e32 v2, 0
	v_and_b32_e32 v6, 0xff, v44
	s_mov_b32 s5, 0
                                        ; implicit-def: $sgpr6
                                        ; implicit-def: $sgpr7
                                        ; implicit-def: $sgpr8
	ds_load_b32 v4, v2 offset:5140
	s_wait_dscnt 0x0
	v_ashrrev_i32_e32 v5, 31, v4
	s_branch .LBB15_308
.LBB15_306:                             ;   in Loop: Header=BB15_308 Depth=1
	s_wait_alu 0xfffe
	s_or_b32 exec_lo, exec_lo, s11
	s_delay_alu instid0(SALU_CYCLE_1)
	s_and_not1_b32 s8, s8, exec_lo
	s_and_b32 s10, s10, exec_lo
	s_and_not1_b32 s7, s7, exec_lo
	s_and_b32 s0, s0, exec_lo
	s_wait_alu 0xfffe
	s_or_b32 s8, s8, s10
	s_or_b32 s7, s7, s0
.LBB15_307:                             ;   in Loop: Header=BB15_308 Depth=1
	s_wait_alu 0xfffe
	s_or_b32 exec_lo, exec_lo, s9
	s_delay_alu instid0(SALU_CYCLE_1)
	s_and_b32 s0, exec_lo, s7
	s_wait_alu 0xfffe
	s_or_b32 s5, s0, s5
	s_and_not1_b32 s0, s6, exec_lo
	s_and_b32 s6, s8, exec_lo
	s_wait_alu 0xfffe
	s_or_b32 s6, s0, s6
	s_and_not1_b32 exec_lo, exec_lo, s5
	s_cbranch_execz .LBB15_311
.LBB15_308:                             ; =>This Inner Loop Header: Depth=1
	v_dual_mov_b32 v3, v1 :: v_dual_mov_b32 v2, v0
	s_or_b32 s8, s8, exec_lo
	s_or_b32 s7, s7, exec_lo
	s_mov_b32 s9, exec_lo
                                        ; implicit-def: $vgpr0_vgpr1
	s_delay_alu instid0(VALU_DEP_1)
	v_cmpx_lt_i64_e64 v[2:3], v[4:5]
	s_cbranch_execz .LBB15_307
; %bb.309:                              ;   in Loop: Header=BB15_308 Depth=1
	global_load_u8 v0, v[12:13], off
	s_mov_b32 s0, -1
	s_mov_b32 s10, 0
	s_wait_loadcnt 0x0
	v_cmp_ne_u16_e32 vcc_lo, v0, v6
                                        ; implicit-def: $vgpr0_vgpr1
	s_and_saveexec_b32 s11, vcc_lo
	s_cbranch_execz .LBB15_306
; %bb.310:                              ;   in Loop: Header=BB15_308 Depth=1
	v_add_co_u32 v0, vcc_lo, v2, s50
	s_wait_alu 0xfffd
	v_add_co_ci_u32_e64 v1, null, 0, v3, vcc_lo
	v_add_co_u32 v12, s0, v12, s54
	s_wait_alu 0xf1fe
	v_add_co_ci_u32_e64 v13, null, s55, v13, s0
	s_delay_alu instid0(VALU_DEP_3)
	v_cmp_le_i64_e32 vcc_lo, s[36:37], v[0:1]
	s_mov_b32 s10, exec_lo
	s_or_not1_b32 s0, vcc_lo, exec_lo
	s_branch .LBB15_306
.LBB15_311:
	s_or_b32 exec_lo, exec_lo, s5
	s_wait_alu 0xfffe
	s_xor_b32 s0, s6, -1
	s_wait_alu 0xfffe
	s_and_saveexec_b32 s5, s0
	s_wait_alu 0xfffe
	s_xor_b32 s5, exec_lo, s5
	s_cbranch_execz .LBB15_316
; %bb.312:
	s_mov_b32 s5, exec_lo
	s_brev_b32 s0, -2
.LBB15_313:                             ; =>This Inner Loop Header: Depth=1
	s_wait_alu 0xfffe
	s_ctz_i32_b32 s6, s5
	s_wait_alu 0xfffe
	v_readlane_b32 s7, v2, s6
	s_lshl_b32 s6, 1, s6
	s_wait_alu 0xfffe
	s_and_not1_b32 s5, s5, s6
	s_min_i32 s0, s0, s7
	s_wait_alu 0xfffe
	s_cmp_lg_u32 s5, 0
	s_cbranch_scc1 .LBB15_313
; %bb.314:
	v_mbcnt_lo_u32_b32 v0, exec_lo, 0
	s_mov_b32 s5, exec_lo
	s_delay_alu instid0(VALU_DEP_1)
	v_cmpx_eq_u32_e32 0, v0
	s_wait_alu 0xfffe
	s_xor_b32 s5, exec_lo, s5
; %bb.315:
	v_dual_mov_b32 v0, 0 :: v_dual_mov_b32 v1, s0
	ds_min_i32 v0, v1 offset:5140
.LBB15_316:
	s_wait_alu 0xfffe
	s_or_b32 exec_lo, exec_lo, s4
	s_wait_loadcnt_dscnt 0x0
	s_barrier_signal -1
	s_barrier_wait -1
	global_inv scope:SCOPE_SE
	s_and_saveexec_b32 s0, s2
	s_cbranch_execz .LBB15_318
; %bb.317:
	v_mov_b32_e32 v2, 0
	s_mul_u64 s[6:7], s[48:49], s[34:35]
	s_mul_u64 s[4:5], s[40:41], s[28:29]
	s_wait_alu 0xfffe
	s_lshl_b64 s[6:7], s[6:7], 3
	s_lshl_b64 s[8:9], s[30:31], 3
	ds_load_b32 v0, v2 offset:5140
	s_wait_alu 0xfffe
	s_add_nc_u64 s[6:7], s[46:47], s[6:7]
	s_add_nc_u64 s[4:5], s[44:45], s[4:5]
	s_wait_alu 0xfffe
	s_add_nc_u64 s[6:7], s[6:7], s[8:9]
	s_add_nc_u64 s[4:5], s[4:5], s[26:27]
	s_wait_dscnt 0x0
	v_ashrrev_i32_e32 v1, 31, v0
	s_clause 0x1
	global_store_b64 v2, v[0:1], s[6:7]
	global_store_b8 v2, v44, s[4:5]
.LBB15_318:
	s_wait_alu 0xfffe
	s_or_b32 exec_lo, exec_lo, s0
.LBB15_319:
	s_wait_alu 0xfffe
	s_or_saveexec_b32 s0, s3
	s_mov_b32 s2, 0
	s_wait_alu 0xfffe
	s_xor_b32 exec_lo, exec_lo, s0
	s_cbranch_execnz .LBB15_322
.LBB15_320:
	s_or_b32 exec_lo, exec_lo, s0
	s_wait_alu 0xfffe
	s_and_b32 s3, s2, exec_lo
	s_and_not1_saveexec_b32 s0, s1
	s_cbranch_execz .LBB15_296
.LBB15_321:
	s_wait_alu 0xfffe
	s_or_b32 s3, s3, exec_lo
	s_trap 2
	s_or_b32 exec_lo, exec_lo, s0
	s_wait_alu 0xfffe
	s_and_saveexec_b32 s0, s3
	s_cbranch_execnz .LBB15_297
	s_branch .LBB15_298
.LBB15_322:
	s_mov_b32 s2, exec_lo
	s_trap 2
	s_branch .LBB15_320
	.section	.rodata,"a",@progbits
	.p2align	6, 0x0
	.amdhsa_kernel _ZN2at6native12_GLOBAL__N_114gatherKthValueIalLin1EEEvNS_4cuda6detail10TensorInfoIKT_T0_EES8_S8_S8_S8_NS5_IS6_S8_EENS5_IlS8_EE
		.amdhsa_group_segment_fixed_size 5144
		.amdhsa_private_segment_fixed_size 0
		.amdhsa_kernarg_size 1536
		.amdhsa_user_sgpr_count 2
		.amdhsa_user_sgpr_dispatch_ptr 0
		.amdhsa_user_sgpr_queue_ptr 0
		.amdhsa_user_sgpr_kernarg_segment_ptr 1
		.amdhsa_user_sgpr_dispatch_id 0
		.amdhsa_user_sgpr_private_segment_size 0
		.amdhsa_wavefront_size32 1
		.amdhsa_uses_dynamic_stack 0
		.amdhsa_enable_private_segment 0
		.amdhsa_system_sgpr_workgroup_id_x 1
		.amdhsa_system_sgpr_workgroup_id_y 1
		.amdhsa_system_sgpr_workgroup_id_z 1
		.amdhsa_system_sgpr_workgroup_info 0
		.amdhsa_system_vgpr_workitem_id 0
		.amdhsa_next_free_vgpr 61
		.amdhsa_next_free_sgpr 105
		.amdhsa_reserve_vcc 1
		.amdhsa_float_round_mode_32 0
		.amdhsa_float_round_mode_16_64 0
		.amdhsa_float_denorm_mode_32 3
		.amdhsa_float_denorm_mode_16_64 3
		.amdhsa_fp16_overflow 0
		.amdhsa_workgroup_processor_mode 1
		.amdhsa_memory_ordered 1
		.amdhsa_forward_progress 1
		.amdhsa_inst_pref_size 175
		.amdhsa_round_robin_scheduling 0
		.amdhsa_exception_fp_ieee_invalid_op 0
		.amdhsa_exception_fp_denorm_src 0
		.amdhsa_exception_fp_ieee_div_zero 0
		.amdhsa_exception_fp_ieee_overflow 0
		.amdhsa_exception_fp_ieee_underflow 0
		.amdhsa_exception_fp_ieee_inexact 0
		.amdhsa_exception_int_div_zero 0
	.end_amdhsa_kernel
	.section	.text._ZN2at6native12_GLOBAL__N_114gatherKthValueIalLin1EEEvNS_4cuda6detail10TensorInfoIKT_T0_EES8_S8_S8_S8_NS5_IS6_S8_EENS5_IlS8_EE,"axG",@progbits,_ZN2at6native12_GLOBAL__N_114gatherKthValueIalLin1EEEvNS_4cuda6detail10TensorInfoIKT_T0_EES8_S8_S8_S8_NS5_IS6_S8_EENS5_IlS8_EE,comdat
.Lfunc_end15:
	.size	_ZN2at6native12_GLOBAL__N_114gatherKthValueIalLin1EEEvNS_4cuda6detail10TensorInfoIKT_T0_EES8_S8_S8_S8_NS5_IS6_S8_EENS5_IlS8_EE, .Lfunc_end15-_ZN2at6native12_GLOBAL__N_114gatherKthValueIalLin1EEEvNS_4cuda6detail10TensorInfoIKT_T0_EES8_S8_S8_S8_NS5_IS6_S8_EENS5_IlS8_EE
                                        ; -- End function
	.set _ZN2at6native12_GLOBAL__N_114gatherKthValueIalLin1EEEvNS_4cuda6detail10TensorInfoIKT_T0_EES8_S8_S8_S8_NS5_IS6_S8_EENS5_IlS8_EE.num_vgpr, 61
	.set _ZN2at6native12_GLOBAL__N_114gatherKthValueIalLin1EEEvNS_4cuda6detail10TensorInfoIKT_T0_EES8_S8_S8_S8_NS5_IS6_S8_EENS5_IlS8_EE.num_agpr, 0
	.set _ZN2at6native12_GLOBAL__N_114gatherKthValueIalLin1EEEvNS_4cuda6detail10TensorInfoIKT_T0_EES8_S8_S8_S8_NS5_IS6_S8_EENS5_IlS8_EE.numbered_sgpr, 105
	.set _ZN2at6native12_GLOBAL__N_114gatherKthValueIalLin1EEEvNS_4cuda6detail10TensorInfoIKT_T0_EES8_S8_S8_S8_NS5_IS6_S8_EENS5_IlS8_EE.num_named_barrier, 0
	.set _ZN2at6native12_GLOBAL__N_114gatherKthValueIalLin1EEEvNS_4cuda6detail10TensorInfoIKT_T0_EES8_S8_S8_S8_NS5_IS6_S8_EENS5_IlS8_EE.private_seg_size, 0
	.set _ZN2at6native12_GLOBAL__N_114gatherKthValueIalLin1EEEvNS_4cuda6detail10TensorInfoIKT_T0_EES8_S8_S8_S8_NS5_IS6_S8_EENS5_IlS8_EE.uses_vcc, 1
	.set _ZN2at6native12_GLOBAL__N_114gatherKthValueIalLin1EEEvNS_4cuda6detail10TensorInfoIKT_T0_EES8_S8_S8_S8_NS5_IS6_S8_EENS5_IlS8_EE.uses_flat_scratch, 0
	.set _ZN2at6native12_GLOBAL__N_114gatherKthValueIalLin1EEEvNS_4cuda6detail10TensorInfoIKT_T0_EES8_S8_S8_S8_NS5_IS6_S8_EENS5_IlS8_EE.has_dyn_sized_stack, 0
	.set _ZN2at6native12_GLOBAL__N_114gatherKthValueIalLin1EEEvNS_4cuda6detail10TensorInfoIKT_T0_EES8_S8_S8_S8_NS5_IS6_S8_EENS5_IlS8_EE.has_recursion, 0
	.set _ZN2at6native12_GLOBAL__N_114gatherKthValueIalLin1EEEvNS_4cuda6detail10TensorInfoIKT_T0_EES8_S8_S8_S8_NS5_IS6_S8_EENS5_IlS8_EE.has_indirect_call, 0
	.section	.AMDGPU.csdata,"",@progbits
; Kernel info:
; codeLenInByte = 22280
; TotalNumSgprs: 107
; NumVgprs: 61
; ScratchSize: 0
; MemoryBound: 0
; FloatMode: 240
; IeeeMode: 1
; LDSByteSize: 5144 bytes/workgroup (compile time only)
; SGPRBlocks: 0
; VGPRBlocks: 7
; NumSGPRsForWavesPerEU: 107
; NumVGPRsForWavesPerEU: 61
; Occupancy: 16
; WaveLimiterHint : 1
; COMPUTE_PGM_RSRC2:SCRATCH_EN: 0
; COMPUTE_PGM_RSRC2:USER_SGPR: 2
; COMPUTE_PGM_RSRC2:TRAP_HANDLER: 0
; COMPUTE_PGM_RSRC2:TGID_X_EN: 1
; COMPUTE_PGM_RSRC2:TGID_Y_EN: 1
; COMPUTE_PGM_RSRC2:TGID_Z_EN: 1
; COMPUTE_PGM_RSRC2:TIDIG_COMP_CNT: 0
	.section	.text._ZN2at6native12_GLOBAL__N_114gatherKthValueIiiLi1EEEvNS_4cuda6detail10TensorInfoIKT_T0_EES8_S8_S8_S8_NS5_IS6_S8_EENS5_IlS8_EE,"axG",@progbits,_ZN2at6native12_GLOBAL__N_114gatherKthValueIiiLi1EEEvNS_4cuda6detail10TensorInfoIKT_T0_EES8_S8_S8_S8_NS5_IS6_S8_EENS5_IlS8_EE,comdat
	.globl	_ZN2at6native12_GLOBAL__N_114gatherKthValueIiiLi1EEEvNS_4cuda6detail10TensorInfoIKT_T0_EES8_S8_S8_S8_NS5_IS6_S8_EENS5_IlS8_EE ; -- Begin function _ZN2at6native12_GLOBAL__N_114gatherKthValueIiiLi1EEEvNS_4cuda6detail10TensorInfoIKT_T0_EES8_S8_S8_S8_NS5_IS6_S8_EENS5_IlS8_EE
	.p2align	8
	.type	_ZN2at6native12_GLOBAL__N_114gatherKthValueIiiLi1EEEvNS_4cuda6detail10TensorInfoIKT_T0_EES8_S8_S8_S8_NS5_IS6_S8_EENS5_IlS8_EE,@function
_ZN2at6native12_GLOBAL__N_114gatherKthValueIiiLi1EEEvNS_4cuda6detail10TensorInfoIKT_T0_EES8_S8_S8_S8_NS5_IS6_S8_EENS5_IlS8_EE: ; @_ZN2at6native12_GLOBAL__N_114gatherKthValueIiiLi1EEEvNS_4cuda6detail10TensorInfoIKT_T0_EES8_S8_S8_S8_NS5_IS6_S8_EENS5_IlS8_EE
; %bb.0:
	s_clause 0x1
	s_load_b64 s[4:5], s[0:1], 0x298
	s_load_b128 s[36:39], s[0:1], 0xd8
	s_lshr_b32 s2, ttmp7, 16
	s_and_b32 s3, ttmp7, 0xffff
	s_wait_kmcnt 0x0
	s_mul_i32 s2, s5, s2
	s_delay_alu instid0(SALU_CYCLE_1) | instskip(NEXT) | instid1(SALU_CYCLE_1)
	s_add_co_i32 s2, s2, s3
	s_mul_i32 s29, s2, s4
	s_delay_alu instid0(SALU_CYCLE_1) | instskip(NEXT) | instid1(SALU_CYCLE_1)
	s_add_co_i32 s29, s29, ttmp9
	s_cmp_ge_i32 s29, s38
	s_cbranch_scc1 .LBB16_234
; %bb.1:
	s_clause 0x1
	s_load_b32 s3, s[0:1], 0x6c
	s_load_b64 s[6:7], s[0:1], 0x0
	v_cmp_eq_u32_e64 s2, 0, v0
	s_add_nc_u64 s[10:11], s[0:1], 0x298
	s_mov_b32 s41, 0
	s_and_saveexec_b32 s5, s2
; %bb.2:
	v_dual_mov_b32 v1, 0 :: v_dual_mov_b32 v2, s36
	s_delay_alu instid0(VALU_DEP_1)
	v_mov_b32_e32 v3, v1
	ds_store_b96 v1, v[1:3] offset:4096
; %bb.3:
	s_or_b32 exec_lo, exec_lo, s5
	s_wait_dscnt 0x0
	s_barrier_signal -1
	s_barrier_wait -1
	global_inv scope:SCOPE_SE
	s_load_b32 s5, s[10:11], 0xc
	s_clause 0x3
	s_load_b32 s33, s[0:1], 0x22c
	s_load_b64 s[30:31], s[0:1], 0x1c0
	s_load_b32 s38, s[0:1], 0x154
	s_load_b64 s[34:35], s[0:1], 0xe8
	v_mbcnt_lo_u32_b32 v19, -1, 0
	s_wait_kmcnt 0x0
	s_mul_i32 s8, s3, s29
	v_cmp_gt_u32_e32 vcc_lo, 32, v0
	s_ashr_i32 s9, s8, 31
	v_lshrrev_b32_e32 v3, 1, v0
	v_cmp_gt_i32_e64 s3, 4, v19
	s_lshl_b64 s[8:9], s[8:9], 2
	s_movk_i32 s12, 0x1f0
	s_add_nc_u64 s[42:43], s[6:7], s[8:9]
	v_and_or_b32 v21, v3, s12, 0xc00
	s_and_b32 s51, vcc_lo, s3
	v_dual_mov_b32 v7, 0 :: v_dual_lshlrev_b32 v18, 2, v0
	v_mul_lo_u32 v5, s39, v0
	v_cmp_gt_u32_e64 s0, 2, v0
	s_and_b32 s50, s5, 0xffff
	s_bfe_u32 s5, s5, 0xb0005
	s_lshl_b32 s52, s50, 2
	s_add_co_i32 s53, s50, -1
	s_cvt_f32_u32 s3, s52
	s_add_co_i32 s62, s53, s36
	s_cmp_gt_i32 s36, 0x300
	s_cvt_f32_u32 s14, s50
	v_rcp_iflag_f32_e32 v1, s3
	s_cselect_b32 s55, -1, 0
	s_cmp_gt_u32 s50, 31
	v_rcp_iflag_f32_e32 v4, s14
	s_cselect_b32 s56, -1, 0
	s_cmp_lt_u32 ttmp9, s4
	v_dual_mov_b32 v6, v7 :: v_dual_lshlrev_b32 v27, 2, v5
	s_cselect_b32 s40, 12, 18
	s_add_co_i32 s4, s5, -1
	s_delay_alu instid0(TRANS32_DEP_2)
	v_readfirstlane_b32 s13, v1
	s_and_b32 s4, s4, 0xffff
	s_bfe_u32 s57, s50, 0x30005
	s_cmp_gt_u32 s4, 6
	v_lshlrev_b64_e64 v[1:2], v19, -1
	s_mul_f32 s4, s13, 0x4f7ffffe
	s_cselect_b32 s58, -1, 0
	s_and_b32 s59, s5, 0x7f8
	s_cmp_lg_u32 s57, 0
	s_cvt_u32_f32 s5, s4
	s_cselect_b32 s60, -1, 0
	s_sub_co_i32 s4, 0, s52
	v_lshlrev_b64_e32 v[2:3], 2, v[5:6]
	s_mul_i32 s13, s4, s5
	v_not_b32_e32 v23, v1
	s_wait_alu 0xfffe
	s_mul_hi_u32 s13, s5, s13
	v_cmp_gt_u32_e64 s1, s36, v0
	s_wait_alu 0xfffe
	s_add_co_i32 s44, s5, s13
	v_readfirstlane_b32 s13, v4
	s_mul_hi_u32 s5, s36, s44
	v_add_co_u32 v8, vcc_lo, s42, v2
	s_mul_i32 s5, s5, s52
	s_mul_f32 s13, s13, 0x4f7ffffe
	s_sub_co_i32 s5, s36, s5
	v_add_co_ci_u32_e64 v9, null, s43, v3, vcc_lo
	s_sub_co_i32 s12, s5, s52
	s_cmp_ge_u32 s5, s52
	s_wait_alu 0xfffe
	s_cvt_u32_f32 s7, s13
	s_cselect_b32 s5, s12, s5
	s_mov_b32 s12, s39
	s_sub_co_i32 s6, s5, s52
	s_cmp_ge_u32 s5, s52
	s_wait_alu 0xfffe
	v_mad_co_u64_u32 v[12:13], null, s39, v18, s[12:13]
	s_cselect_b32 s9, s6, s5
	v_mov_b32_e32 v13, 1
	s_sub_co_i32 s61, s36, s9
	s_sub_co_i32 s5, 0, s50
	v_add_nc_u32_e32 v22, s61, v0
	s_mul_i32 s5, s5, s7
	s_abs_i32 s6, s62
	s_mul_hi_u32 s5, s7, s5
	v_or_b32_e32 v3, 3, v18
	v_mul_lo_u32 v10, v22, s39
	s_add_co_i32 s46, s7, s5
	s_ashr_i32 s7, s62, 31
	s_mul_hi_u32 s5, s6, s46
	v_mul_lo_u32 v26, s39, v3
	s_mul_i32 s5, s5, s50
	v_cmp_gt_i32_e64 s3, s36, v0
	s_sub_co_i32 s5, s6, s5
	v_ashrrev_i32_e32 v11, 31, v10
	s_sub_co_i32 s6, s5, s50
	s_cmp_ge_u32 s5, s50
	v_cmp_eq_u32_e64 s4, 0, v19
	s_cselect_b32 s6, s6, s5
	v_lshlrev_b64_e32 v[1:2], 2, v[10:11]
	s_sub_co_i32 s8, s6, s50
	s_cmp_ge_u32 s6, s50
	v_dual_mov_b32 v33, s37 :: v_dual_add_nc_u32 v20, 0xc00, v18
	s_cselect_b32 s8, s8, s6
	s_delay_alu instid0(VALU_DEP_2)
	v_add_co_u32 v10, vcc_lo, s42, v1
	v_add3_u32 v1, s50, s36, v0
	s_wait_alu 0xfffd
	v_add_co_ci_u32_e64 v11, null, s43, v2, vcc_lo
	v_or_b32_e32 v2, 2, v18
	s_xor_b32 s8, s8, s7
	v_subrev_nc_u32_e32 v1, s9, v1
	s_sub_co_i32 s8, s7, s8
	v_cmp_gt_i32_e64 s5, s61, v18
	v_mul_lo_u32 v25, s39, v2
	s_wait_alu 0xfffe
	s_add_co_i32 s62, s62, s8
	v_mul_lo_u32 v28, s39, v1
	v_cmp_gt_u32_e64 s6, s36, v22
	v_cmp_gt_i32_e64 s7, s36, v22
	v_cmp_gt_i32_e64 s8, s62, v0
	v_dual_mov_b32 v24, 0 :: v_dual_lshlrev_b32 v29, 4, v0
	v_lshl_or_b32 v30, v19, 2, 0xc00
	v_dual_mov_b32 v15, 0 :: v_dual_mov_b32 v32, 0
	v_mov_b32_e32 v31, 0
	s_mul_i32 s54, s39, s50
	s_mov_b32 s45, s41
	s_mov_b32 s47, s41
	s_lshl_b32 s63, s54, 2
	s_lshl_b32 s64, s50, 4
	s_mov_b32 s71, 30
	s_add_nc_u64 s[48:49], s[10:11], s[40:41]
	s_mov_b32 s37, 0
                                        ; implicit-def: $sgpr68
                                        ; implicit-def: $sgpr70
                                        ; implicit-def: $sgpr65
                                        ; implicit-def: $sgpr67
                                        ; implicit-def: $sgpr69
                                        ; implicit-def: $sgpr66
	s_branch .LBB16_7
.LBB16_4:                               ;   in Loop: Header=BB16_7 Depth=1
	s_wait_alu 0xfffe
	s_or_b32 exec_lo, exec_lo, s13
	s_delay_alu instid0(SALU_CYCLE_1)
	s_and_b32 s10, s10, exec_lo
	s_and_not1_b32 s15, s15, exec_lo
	s_and_not1_b32 s14, s14, exec_lo
	s_or_not1_b32 s12, s12, exec_lo
.LBB16_5:                               ;   in Loop: Header=BB16_7 Depth=1
	s_wait_alu 0xfffe
	s_or_b32 exec_lo, exec_lo, s9
	s_delay_alu instid0(SALU_CYCLE_1)
	s_and_not1_b32 s9, s66, exec_lo
	s_and_b32 s10, s10, exec_lo
	s_and_not1_b32 s13, s67, exec_lo
	s_wait_alu 0xfffe
	s_or_b32 s66, s9, s10
	s_and_not1_b32 s9, s69, exec_lo
	s_and_b32 s10, s15, exec_lo
	s_and_b32 s14, s14, exec_lo
	s_wait_alu 0xfffe
	s_or_b32 s69, s9, s10
	s_or_b32 s67, s13, s14
	s_or_not1_b32 s13, s12, exec_lo
.LBB16_6:                               ;   in Loop: Header=BB16_7 Depth=1
	s_wait_alu 0xfffe
	s_or_b32 exec_lo, exec_lo, s11
	s_delay_alu instid0(SALU_CYCLE_1)
	s_and_b32 s9, exec_lo, s13
	v_mov_b32_e32 v33, v4
	s_wait_alu 0xfffe
	s_or_b32 s37, s9, s37
	s_and_not1_b32 s9, s65, exec_lo
	s_and_b32 s10, s66, exec_lo
	s_and_not1_b32 s11, s70, exec_lo
	s_wait_alu 0xfffe
	s_or_b32 s65, s9, s10
	s_and_b32 s9, s69, exec_lo
	s_and_not1_b32 s10, s68, exec_lo
	s_and_b32 s12, s67, exec_lo
	s_wait_alu 0xfffe
	s_or_b32 s70, s11, s9
	s_or_b32 s68, s10, s12
	s_mov_b32 s71, s21
	s_and_not1_b32 exec_lo, exec_lo, s37
	s_cbranch_execz .LBB16_230
.LBB16_7:                               ; =>This Loop Header: Depth=1
                                        ;     Child Loop BB16_13 Depth 2
                                        ;     Child Loop BB16_28 Depth 2
	;; [unrolled: 1-line block ×16, first 2 shown]
	ds_load_b64 v[1:2], v7 offset:4096
	s_wait_dscnt 0x0
	v_readfirstlane_b32 s40, v1
	s_cmp_gt_i32 s40, 0
	s_cbranch_scc1 .LBB16_35
; %bb.8:                                ;   in Loop: Header=BB16_7 Depth=1
	s_and_b32 vcc_lo, exec_lo, s55
	s_wait_alu 0xfffe
	s_cbranch_vccz .LBB16_21
; %bb.9:                                ;   in Loop: Header=BB16_7 Depth=1
	v_cmp_gt_i32_e32 vcc_lo, 0x301, v2
	s_mov_b32 s10, 0
	s_mov_b32 s9, 0
	s_cbranch_vccz .LBB16_22
; %bb.10:                               ;   in Loop: Header=BB16_7 Depth=1
	s_and_saveexec_b32 s11, s1
	s_cbranch_execz .LBB16_67
; %bb.11:                               ;   in Loop: Header=BB16_7 Depth=1
	global_load_b32 v1, v[8:9], off
	s_load_u16 s12, s[48:49], 0x0
	s_mov_b32 s14, 0
	s_wait_kmcnt 0x0
	v_add_nc_u32_e32 v2, s12, v0
	s_mul_i32 s13, s39, s12
	s_delay_alu instid0(VALU_DEP_1)
	v_mul_lo_u32 v6, s39, v2
	v_mov_b32_e32 v2, v0
	s_branch .LBB16_13
.LBB16_12:                              ;   in Loop: Header=BB16_13 Depth=2
	s_wait_alu 0xfffe
	s_or_b32 exec_lo, exec_lo, s9
	v_cmp_le_i32_e32 vcc_lo, s36, v2
	v_dual_mov_b32 v1, v3 :: v_dual_add_nc_u32 v6, s13, v6
	s_or_b32 s14, vcc_lo, s14
	s_wait_alu 0xfffe
	s_and_not1_b32 exec_lo, exec_lo, s14
	s_cbranch_execz .LBB16_67
.LBB16_13:                              ;   Parent Loop BB16_7 Depth=1
                                        ; =>  This Inner Loop Header: Depth=2
	s_delay_alu instid0(VALU_DEP_1) | instskip(SKIP_3) | instid1(VALU_DEP_2)
	v_dual_mov_b32 v3, 0 :: v_dual_add_nc_u32 v2, s12, v2
	s_wait_dscnt 0x0
	v_mov_b32_e32 v4, 0
	s_mov_b32 s9, exec_lo
	v_cmpx_gt_u32_e64 s36, v2
	s_cbranch_execz .LBB16_15
; %bb.14:                               ;   in Loop: Header=BB16_13 Depth=2
	v_lshlrev_b64_e32 v[16:17], 2, v[6:7]
	s_delay_alu instid0(VALU_DEP_1) | instskip(SKIP_1) | instid1(VALU_DEP_2)
	v_add_co_u32 v16, vcc_lo, s42, v16
	s_wait_alu 0xfffd
	v_add_co_ci_u32_e64 v17, null, s43, v17, vcc_lo
	global_load_b32 v3, v[16:17], off
.LBB16_15:                              ;   in Loop: Header=BB16_13 Depth=2
	s_wait_alu 0xfffe
	s_or_b32 exec_lo, exec_lo, s9
	s_wait_loadcnt 0x0
	v_xor_b32_e32 v14, 0x80000000, v1
	s_delay_alu instid0(VALU_DEP_1) | instskip(NEXT) | instid1(VALU_DEP_1)
	v_and_b32_e32 v14, v14, v32
	v_cmp_eq_u32_e32 vcc_lo, v14, v24
	s_cmp_lg_u32 vcc_lo, 0
	s_cselect_b32 s9, -1, 0
	s_wait_alu 0xfffe
	s_and_b32 s9, s4, s9
	s_wait_alu 0xfffe
	s_and_saveexec_b32 s15, s9
	s_cbranch_execz .LBB16_19
; %bb.16:                               ;   in Loop: Header=BB16_13 Depth=2
	s_mov_b32 s18, exec_lo
	s_bcnt1_i32_b32 s16, vcc_lo
	s_wait_alu 0xfffe
	v_mbcnt_lo_u32_b32 v4, s18, 0
	s_mov_b32 s17, exec_lo
                                        ; implicit-def: $vgpr14
	s_delay_alu instid0(VALU_DEP_1)
	v_cmpx_eq_u32_e32 0, v4
; %bb.17:                               ;   in Loop: Header=BB16_13 Depth=2
	s_bcnt1_i32_b32 s9, s18
	s_wait_alu 0xfffe
	s_mul_i32 s9, s16, s9
	s_wait_alu 0xfffe
	v_mov_b32_e32 v14, s9
	ds_add_rtn_u32 v14, v7, v14 offset:4104
; %bb.18:                               ;   in Loop: Header=BB16_13 Depth=2
	s_or_b32 exec_lo, exec_lo, s17
	s_wait_dscnt 0x0
	v_readfirstlane_b32 s9, v14
	s_wait_alu 0xf1ff
	s_delay_alu instid0(VALU_DEP_1)
	v_mad_u32_u24 v4, s16, v4, s9
.LBB16_19:                              ;   in Loop: Header=BB16_13 Depth=2
	s_wait_alu 0xfffe
	s_or_b32 exec_lo, exec_lo, s15
	ds_bpermute_b32 v4, v7, v4
	s_and_saveexec_b32 s9, vcc_lo
	s_cbranch_execz .LBB16_12
; %bb.20:                               ;   in Loop: Header=BB16_13 Depth=2
	v_and_b32_e32 v14, vcc_lo, v23
	s_delay_alu instid0(VALU_DEP_1) | instskip(NEXT) | instid1(VALU_DEP_1)
	v_bcnt_u32_b32 v14, v14, 0
	v_lshlrev_b32_e32 v14, 2, v14
	s_wait_dscnt 0x0
	s_delay_alu instid0(VALU_DEP_1)
	v_lshl_add_u32 v4, v4, 2, v14
	ds_store_b32 v4, v1
	s_branch .LBB16_12
.LBB16_21:                              ;   in Loop: Header=BB16_7 Depth=1
	s_mov_b32 s10, -1
	s_mov_b32 s9, 0
.LBB16_22:                              ;   in Loop: Header=BB16_7 Depth=1
	s_wait_alu 0xfffe
	s_and_b32 vcc_lo, exec_lo, s10
	s_wait_alu 0xfffe
	s_cbranch_vccz .LBB16_33
.LBB16_23:                              ;   in Loop: Header=BB16_7 Depth=1
	v_mov_b32_e32 v1, 0
	s_and_saveexec_b32 s9, s1
	s_cbranch_execz .LBB16_25
; %bb.24:                               ;   in Loop: Header=BB16_7 Depth=1
	global_load_b32 v1, v[8:9], off
.LBB16_25:                              ;   in Loop: Header=BB16_7 Depth=1
	s_wait_alu 0xfffe
	s_or_b32 exec_lo, exec_lo, s9
	s_and_saveexec_b32 s9, s3
	s_cbranch_execz .LBB16_30
; %bb.26:                               ;   in Loop: Header=BB16_7 Depth=1
	s_load_u16 s10, s[48:49], 0x0
	s_mov_b32 s13, 0
	s_wait_kmcnt 0x0
	v_dual_mov_b32 v3, v0 :: v_dual_add_nc_u32 v2, s10, v0
	s_lshl_b32 s11, s10, 2
	s_mul_i32 s12, s39, s10
	s_delay_alu instid0(VALU_DEP_1)
	v_mul_lo_u32 v6, s39, v2
	v_mov_b32_e32 v2, v18
	s_branch .LBB16_28
.LBB16_27:                              ;   in Loop: Header=BB16_28 Depth=2
	s_wait_alu 0xfffe
	s_or_b32 exec_lo, exec_lo, s14
	v_cmp_le_i32_e32 vcc_lo, s36, v3
	s_wait_loadcnt 0x0
	ds_store_b32 v2, v1
	v_dual_mov_b32 v1, v4 :: v_dual_add_nc_u32 v2, s11, v2
	v_add_nc_u32_e32 v6, s12, v6
	s_or_b32 s13, vcc_lo, s13
	s_wait_alu 0xfffe
	s_and_not1_b32 exec_lo, exec_lo, s13
	s_cbranch_execz .LBB16_30
.LBB16_28:                              ;   Parent Loop BB16_7 Depth=1
                                        ; =>  This Inner Loop Header: Depth=2
	v_dual_mov_b32 v4, 0 :: v_dual_add_nc_u32 v3, s10, v3
	s_mov_b32 s14, exec_lo
	s_delay_alu instid0(VALU_DEP_1)
	v_cmpx_gt_u32_e64 s36, v3
	s_cbranch_execz .LBB16_27
; %bb.29:                               ;   in Loop: Header=BB16_28 Depth=2
	s_delay_alu instid0(VALU_DEP_4) | instskip(NEXT) | instid1(VALU_DEP_1)
	v_lshlrev_b64_e32 v[16:17], 2, v[6:7]
	v_add_co_u32 v16, vcc_lo, s42, v16
	s_wait_alu 0xfffd
	s_delay_alu instid0(VALU_DEP_2)
	v_add_co_ci_u32_e64 v17, null, s43, v17, vcc_lo
	global_load_b32 v4, v[16:17], off
	s_branch .LBB16_27
.LBB16_30:                              ;   in Loop: Header=BB16_7 Depth=1
	s_wait_alu 0xfffe
	s_or_b32 exec_lo, exec_lo, s9
	s_wait_loadcnt_dscnt 0x0
	s_barrier_signal -1
	s_barrier_wait -1
	global_inv scope:SCOPE_SE
	s_and_saveexec_b32 s9, s2
; %bb.31:                               ;   in Loop: Header=BB16_7 Depth=1
	v_mov_b32_e32 v1, s36
	ds_store_b32 v7, v1 offset:4096
; %bb.32:                               ;   in Loop: Header=BB16_7 Depth=1
	s_wait_alu 0xfffe
	s_or_b32 exec_lo, exec_lo, s9
	s_mov_b32 s9, -1
	s_wait_loadcnt_dscnt 0x0
	s_barrier_signal -1
	s_barrier_wait -1
.LBB16_33:                              ;   in Loop: Header=BB16_7 Depth=1
	s_wait_alu 0xfffe
	s_and_b32 vcc_lo, exec_lo, s9
	s_wait_alu 0xfffe
	s_cbranch_vccz .LBB16_35
; %bb.34:                               ;   in Loop: Header=BB16_7 Depth=1
	s_wait_loadcnt 0x0
	global_inv scope:SCOPE_SE
	ds_load_b32 v1, v7 offset:4096
	s_wait_dscnt 0x0
	v_readfirstlane_b32 s40, v1
.LBB16_35:                              ;   in Loop: Header=BB16_7 Depth=1
	s_delay_alu instid0(VALU_DEP_1)
	s_cmp_lt_i32 s40, 1
	s_mov_b32 s9, -1
                                        ; implicit-def: $vgpr4
	s_cbranch_scc1 .LBB16_45
; %bb.36:                               ;   in Loop: Header=BB16_7 Depth=1
	s_wait_alu 0xfffe
	s_and_b32 vcc_lo, exec_lo, s9
	s_wait_alu 0xfffe
	s_cbranch_vccnz .LBB16_58
.LBB16_37:                              ;   in Loop: Header=BB16_7 Depth=1
	v_lshlrev_b32_e32 v6, 7, v31
	s_and_saveexec_b32 s9, s4
	s_cbranch_execz .LBB16_39
.LBB16_38:                              ;   in Loop: Header=BB16_7 Depth=1
	s_wait_loadcnt 0x0
	s_delay_alu instid0(VALU_DEP_1)
	v_lshl_add_u32 v14, v6, 2, v21
	ds_store_b128 v14, v[1:4]
.LBB16_39:                              ;   in Loop: Header=BB16_7 Depth=1
	s_wait_alu 0xfffe
	s_or_b32 exec_lo, exec_lo, s9
	s_wait_loadcnt_dscnt 0x0
	s_barrier_signal -1
	s_barrier_wait -1
	global_inv scope:SCOPE_SE
	s_and_saveexec_b32 s9, s51
	s_cbranch_execz .LBB16_74
; %bb.40:                               ;   in Loop: Header=BB16_7 Depth=1
	v_mov_b32_e32 v1, 0
	s_and_not1_b32 vcc_lo, exec_lo, s56
	s_wait_alu 0xfffe
	s_cbranch_vccnz .LBB16_73
; %bb.41:                               ;   in Loop: Header=BB16_7 Depth=1
	s_and_not1_b32 vcc_lo, exec_lo, s58
	s_wait_alu 0xfffe
	s_cbranch_vccnz .LBB16_70
; %bb.42:                               ;   in Loop: Header=BB16_7 Depth=1
	v_lshl_add_u32 v2, v31, 9, v30
	v_mov_b32_e32 v1, 0
	s_mov_b32 s10, 0
.LBB16_43:                              ;   Parent Loop BB16_7 Depth=1
                                        ; =>  This Inner Loop Header: Depth=2
	ds_load_2addr_b32 v[3:4], v2 offset1:4
	ds_load_2addr_b32 v[16:17], v2 offset0:8 offset1:12
	ds_load_2addr_b32 v[34:35], v2 offset0:16 offset1:20
	;; [unrolled: 1-line block ×3, first 2 shown]
	v_add_nc_u32_e32 v2, 0x80, v2
	s_wait_alu 0xfffe
	s_add_co_i32 s10, s10, 8
	s_wait_alu 0xfffe
	s_cmp_eq_u32 s59, s10
	s_wait_dscnt 0x3
	v_add3_u32 v1, v3, v1, v4
	s_wait_dscnt 0x2
	s_delay_alu instid0(VALU_DEP_1) | instskip(SKIP_1) | instid1(VALU_DEP_1)
	v_add3_u32 v1, v16, v1, v17
	s_wait_dscnt 0x1
	v_add3_u32 v1, v34, v1, v35
	s_wait_dscnt 0x0
	s_delay_alu instid0(VALU_DEP_1)
	v_add3_u32 v1, v36, v1, v37
	s_cbranch_scc0 .LBB16_43
; %bb.44:                               ;   in Loop: Header=BB16_7 Depth=1
	s_mov_b32 s10, s59
	s_and_not1_b32 vcc_lo, exec_lo, s60
	s_wait_alu 0xfffe
	s_cbranch_vccz .LBB16_71
	s_branch .LBB16_73
.LBB16_45:                              ;   in Loop: Header=BB16_7 Depth=1
	v_dual_mov_b32 v1, 0 :: v_dual_mov_b32 v2, 0
	v_dual_mov_b32 v3, 0 :: v_dual_mov_b32 v4, 0
	s_and_saveexec_b32 s72, s5
	s_cbranch_execnz .LBB16_48
; %bb.46:                               ;   in Loop: Header=BB16_7 Depth=1
	s_wait_alu 0xfffe
	s_or_b32 exec_lo, exec_lo, s72
	v_mov_b32_e32 v14, 0
	s_and_saveexec_b32 s9, s6
	s_cbranch_execnz .LBB16_51
.LBB16_47:                              ;   in Loop: Header=BB16_7 Depth=1
	s_wait_alu 0xfffe
	s_or_b32 exec_lo, exec_lo, s9
	s_and_saveexec_b32 s13, s7
	s_cbranch_execnz .LBB16_52
	s_branch .LBB16_57
.LBB16_48:                              ;   in Loop: Header=BB16_7 Depth=1
	v_mov_b32_e32 v6, v18
	s_mov_b32 s73, 0
	s_mov_b32 s74, 0
	;; [unrolled: 1-line block ×6, first 2 shown]
.LBB16_49:                              ;   Parent Loop BB16_7 Depth=1
                                        ; =>  This Inner Loop Header: Depth=2
	s_wait_alu 0xfffe
	v_add_nc_u32_e32 v1, s74, v27
	v_add_nc_u32_e32 v3, s74, v12
	;; [unrolled: 1-line block ×5, first 2 shown]
	v_ashrrev_i32_e32 v2, 31, v1
	v_ashrrev_i32_e32 v4, 31, v3
	;; [unrolled: 1-line block ×4, first 2 shown]
	s_add_co_i32 s74, s74, s63
	v_lshlrev_b64_e32 v[1:2], 2, v[1:2]
	v_lshlrev_b64_e32 v[3:4], 2, v[3:4]
	;; [unrolled: 1-line block ×4, first 2 shown]
	s_delay_alu instid0(VALU_DEP_4)
	v_add_co_u32 v1, vcc_lo, s42, v1
	s_wait_alu 0xfffd
	v_add_co_ci_u32_e64 v2, null, s43, v2, vcc_lo
	v_add_co_u32 v3, vcc_lo, s42, v3
	s_wait_alu 0xfffd
	v_add_co_ci_u32_e64 v4, null, s43, v4, vcc_lo
	;; [unrolled: 3-line block ×4, first 2 shown]
	s_clause 0x3
	global_load_b32 v1, v[1:2], off
	global_load_b32 v2, v[3:4], off
	;; [unrolled: 1-line block ×4, first 2 shown]
	v_cmp_le_i32_e32 vcc_lo, s61, v6
	s_wait_loadcnt 0x3
	v_xor_b32_e32 v1, 0x80000000, v1
	s_wait_loadcnt 0x2
	v_xor_b32_e32 v2, 0x80000000, v2
	;; [unrolled: 2-line block ×4, first 2 shown]
	v_and_b32_e32 v14, v1, v32
	v_bfe_u32 v1, v1, s71, 2
	v_and_b32_e32 v16, v2, v32
	v_bfe_u32 v2, v2, s71, 2
	;; [unrolled: 2-line block ×3, first 2 shown]
	v_cmp_eq_u32_e64 s9, v14, v24
	v_cmp_eq_u32_e64 s13, 0, v1
	v_and_b32_e32 v34, v4, v32
	v_bfe_u32 v4, v4, s71, 2
	v_cmp_eq_u32_e64 s10, v16, v24
	v_cmp_eq_u32_e64 s14, 0, v2
	;; [unrolled: 1-line block ×4, first 2 shown]
	s_and_b32 s13, s9, s13
	v_cmp_eq_u32_e64 s12, v34, v24
	v_cmp_eq_u32_e64 s16, 0, v4
	;; [unrolled: 1-line block ×5, first 2 shown]
	s_wait_alu 0xfffe
	v_cndmask_b32_e64 v1, 0, 1, s13
	s_and_b32 s13, s10, s14
	v_cmp_eq_u32_e64 s18, 1, v2
	v_cmp_eq_u32_e64 s22, 2, v2
	v_cmp_eq_u32_e64 s26, 3, v2
	s_wait_alu 0xfffe
	v_cndmask_b32_e64 v2, 0, 1, s13
	s_and_b32 s13, s11, s15
	v_cmp_eq_u32_e64 s19, 1, v3
	v_cmp_eq_u32_e64 s23, 2, v3
	v_cmp_eq_u32_e64 s27, 3, v3
	s_wait_alu 0xfffe
	v_cndmask_b32_e64 v3, 0, 1, s13
	s_and_b32 s13, s12, s16
	v_cmp_eq_u32_e64 s20, 1, v4
	v_cmp_eq_u32_e64 s24, 2, v4
	v_cmp_eq_u32_e64 s28, 3, v4
	s_wait_alu 0xfffe
	v_cndmask_b32_e64 v4, 0, 1, s13
	s_and_b32 s13, s9, s17
	s_wait_alu 0xfffe
	v_cndmask_b32_e64 v14, 0, 1, s13
	s_and_b32 s13, s10, s18
	;; [unrolled: 3-line block ×4, first 2 shown]
	v_cmp_ne_u32_e64 s14, 0, v16
	s_wait_alu 0xfffe
	v_cndmask_b32_e64 v34, 0, 1, s13
	s_and_b32 s13, s9, s21
	s_and_b32 s9, s9, s25
	s_wait_alu 0xfffe
	v_cndmask_b32_e64 v35, 0, 1, s13
	s_and_b32 s13, s10, s22
	v_cndmask_b32_e64 v39, 0, 1, s9
	s_and_b32 s9, s10, s26
	s_wait_alu 0xfffe
	v_cndmask_b32_e64 v36, 0, 1, s13
	s_and_b32 s13, s11, s23
	v_cndmask_b32_e64 v40, 0, 1, s9
	;; [unrolled: 5-line block ×3, first 2 shown]
	s_and_b32 s9, s12, s28
	s_wait_alu 0xfffe
	v_cndmask_b32_e64 v38, 0, 1, s13
	v_cndmask_b32_e64 v42, 0, 1, s9
	v_cmp_ne_u32_e64 s9, 0, v1
	v_cmp_ne_u32_e64 s13, 0, v14
	;; [unrolled: 1-line block ×11, first 2 shown]
	s_bcnt1_i32_b32 s9, s9
	s_bcnt1_i32_b32 s13, s13
	;; [unrolled: 1-line block ×4, first 2 shown]
	v_cmp_ne_u32_e64 s12, 0, v4
	v_cmp_ne_u32_e64 s16, 0, v34
	;; [unrolled: 1-line block ×4, first 2 shown]
	s_bcnt1_i32_b32 s10, s10
	s_bcnt1_i32_b32 s14, s14
	s_bcnt1_i32_b32 s18, s18
	s_bcnt1_i32_b32 s22, s22
	s_wait_alu 0xfffe
	s_add_co_i32 s9, s9, s78
	s_add_co_i32 s13, s13, s77
	s_add_co_i32 s17, s17, s76
	s_add_co_i32 s21, s21, s75
	s_bcnt1_i32_b32 s11, s11
	s_bcnt1_i32_b32 s15, s15
	s_bcnt1_i32_b32 s19, s19
	s_bcnt1_i32_b32 s23, s23
	s_wait_alu 0xfffe
	s_add_co_i32 s9, s9, s10
	s_add_co_i32 s10, s13, s14
	s_add_co_i32 s13, s17, s18
	s_add_co_i32 s14, s21, s22
	;; [unrolled: 9-line block ×3, first 2 shown]
	s_wait_alu 0xfffe
	s_add_co_i32 s78, s9, s12
	s_add_co_i32 s77, s10, s16
	;; [unrolled: 1-line block ×4, first 2 shown]
	s_wait_alu 0xfffe
	v_dual_mov_b32 v1, s78 :: v_dual_mov_b32 v2, s77
	v_dual_mov_b32 v3, s76 :: v_dual_mov_b32 v4, s75
	s_or_b32 s73, vcc_lo, s73
	s_wait_alu 0xfffe
	s_and_not1_b32 exec_lo, exec_lo, s73
	s_cbranch_execnz .LBB16_49
; %bb.50:                               ;   in Loop: Header=BB16_7 Depth=1
	s_or_b32 exec_lo, exec_lo, s73
	s_delay_alu instid0(SALU_CYCLE_1)
	s_or_b32 exec_lo, exec_lo, s72
	v_mov_b32_e32 v14, 0
	s_and_saveexec_b32 s9, s6
	s_cbranch_execz .LBB16_47
.LBB16_51:                              ;   in Loop: Header=BB16_7 Depth=1
	global_load_b32 v14, v[10:11], off
	s_wait_alu 0xfffe
	s_or_b32 exec_lo, exec_lo, s9
	s_and_saveexec_b32 s13, s7
	s_cbranch_execz .LBB16_57
.LBB16_52:                              ;   in Loop: Header=BB16_7 Depth=1
	v_mov_b32_e32 v16, v28
	v_mov_b32_e32 v6, v22
	s_mov_b32 s14, 0
	s_branch .LBB16_54
.LBB16_53:                              ;   in Loop: Header=BB16_54 Depth=2
	s_wait_alu 0xfffe
	s_or_b32 exec_lo, exec_lo, s9
	s_wait_loadcnt 0x0
	v_xor_b32_e32 v14, 0x80000000, v14
	v_add_nc_u32_e32 v16, s54, v16
	s_delay_alu instid0(VALU_DEP_2) | instskip(SKIP_1) | instid1(VALU_DEP_2)
	v_and_b32_e32 v34, v14, v32
	v_bfe_u32 v14, v14, s71, 2
	v_cmp_eq_u32_e32 vcc_lo, v34, v24
	s_delay_alu instid0(VALU_DEP_2)
	v_cmp_eq_u32_e64 s9, 0, v14
	v_cmp_eq_u32_e64 s10, 1, v14
	;; [unrolled: 1-line block ×4, first 2 shown]
	s_and_b32 s9, vcc_lo, s9
	s_wait_alu 0xfffe
	v_cndmask_b32_e64 v14, 0, 1, s9
	s_and_b32 s9, vcc_lo, s10
	s_wait_alu 0xfffe
	v_cndmask_b32_e64 v34, 0, 1, s9
	;; [unrolled: 3-line block ×3, first 2 shown]
	s_and_b32 s9, vcc_lo, s12
	v_cmp_ne_u32_e32 vcc_lo, 0, v14
	s_wait_alu 0xfffe
	v_cndmask_b32_e64 v36, 0, 1, s9
	v_cmp_ne_u32_e64 s9, 0, v34
	v_cmp_ne_u32_e64 s10, 0, v35
	v_cmp_le_i32_e64 s12, s36, v6
	s_bcnt1_i32_b32 s15, vcc_lo
	v_cmp_ne_u32_e64 s11, 0, v36
	s_bcnt1_i32_b32 s9, s9
	s_bcnt1_i32_b32 s10, s10
	s_wait_alu 0xfffe
	v_dual_mov_b32 v14, v17 :: v_dual_add_nc_u32 v1, s15, v1
	s_bcnt1_i32_b32 s11, s11
	v_add_nc_u32_e32 v2, s9, v2
	v_add_nc_u32_e32 v3, s10, v3
	s_wait_alu 0xfffe
	v_add_nc_u32_e32 v4, s11, v4
	s_or_b32 s14, s12, s14
	s_wait_alu 0xfffe
	s_and_not1_b32 exec_lo, exec_lo, s14
	s_cbranch_execz .LBB16_56
.LBB16_54:                              ;   Parent Loop BB16_7 Depth=1
                                        ; =>  This Inner Loop Header: Depth=2
	s_delay_alu instid0(VALU_DEP_1) | instskip(SKIP_1) | instid1(VALU_DEP_1)
	v_dual_mov_b32 v17, 0 :: v_dual_add_nc_u32 v6, s50, v6
	s_mov_b32 s9, exec_lo
	v_cmpx_gt_u32_e64 s36, v6
	s_cbranch_execz .LBB16_53
; %bb.55:                               ;   in Loop: Header=BB16_54 Depth=2
	v_ashrrev_i32_e32 v17, 31, v16
	s_delay_alu instid0(VALU_DEP_1) | instskip(NEXT) | instid1(VALU_DEP_1)
	v_lshlrev_b64_e32 v[34:35], 2, v[16:17]
	v_add_co_u32 v34, vcc_lo, s42, v34
	s_wait_alu 0xfffd
	s_delay_alu instid0(VALU_DEP_2)
	v_add_co_ci_u32_e64 v35, null, s43, v35, vcc_lo
	global_load_b32 v17, v[34:35], off
	s_branch .LBB16_53
.LBB16_56:                              ;   in Loop: Header=BB16_7 Depth=1
	s_or_b32 exec_lo, exec_lo, s14
.LBB16_57:                              ;   in Loop: Header=BB16_7 Depth=1
	s_wait_alu 0xfffe
	s_or_b32 exec_lo, exec_lo, s13
	s_branch .LBB16_37
.LBB16_58:                              ;   in Loop: Header=BB16_7 Depth=1
	s_mul_u64 s[10:11], s[40:41], s[44:45]
	v_dual_mov_b32 v1, 0 :: v_dual_mov_b32 v2, 0
	s_wait_alu 0xfffe
	s_mul_i32 s9, s11, s52
	v_dual_mov_b32 v3, 0 :: v_dual_mov_b32 v4, 0
	s_wait_alu 0xfffe
	s_sub_co_i32 s9, s40, s9
	s_mov_b32 s73, exec_lo
	s_wait_alu 0xfffe
	s_sub_co_i32 s10, s9, s52
	s_cmp_ge_u32 s9, s52
	s_wait_alu 0xfffe
	s_cselect_b32 s9, s10, s9
	s_wait_alu 0xfffe
	s_sub_co_i32 s10, s9, s52
	s_cmp_ge_u32 s9, s52
	s_wait_alu 0xfffe
	s_cselect_b32 s9, s10, s9
	s_wait_alu 0xfffe
	s_sub_co_i32 s72, s40, s9
	s_wait_alu 0xfffe
	v_cmpx_gt_u32_e64 s72, v18
	s_cbranch_execz .LBB16_62
; %bb.59:                               ;   in Loop: Header=BB16_7 Depth=1
	v_mov_b32_e32 v6, v29
	s_wait_loadcnt 0x0
	v_mov_b32_e32 v14, v18
	s_mov_b32 s74, 0
	s_mov_b32 s75, 0
	;; [unrolled: 1-line block ×5, first 2 shown]
.LBB16_60:                              ;   Parent Loop BB16_7 Depth=1
                                        ; =>  This Inner Loop Header: Depth=2
	ds_load_b128 v[1:4], v6
	s_wait_dscnt 0x0
	v_xor_b32_e32 v1, 0x80000000, v1
	v_xor_b32_e32 v2, 0x80000000, v2
	v_xor_b32_e32 v3, 0x80000000, v3
	v_xor_b32_e32 v4, 0x80000000, v4
	s_delay_alu instid0(VALU_DEP_4)
	v_and_b32_e32 v16, v1, v32
	v_bfe_u32 v1, v1, s71, 2
	v_and_b32_e32 v17, v2, v32
	v_bfe_u32 v2, v2, s71, 2
	;; [unrolled: 2-line block ×3, first 2 shown]
	v_cmp_eq_u32_e64 s9, v16, v24
	v_cmp_eq_u32_e64 s13, 0, v1
	v_and_b32_e32 v35, v4, v32
	v_bfe_u32 v4, v4, s71, 2
	v_cmp_eq_u32_e64 s10, v17, v24
	v_cmp_eq_u32_e64 s14, 0, v2
	;; [unrolled: 1-line block ×4, first 2 shown]
	s_and_b32 s13, s9, s13
	v_cmp_eq_u32_e64 s12, v35, v24
	v_cmp_eq_u32_e64 s16, 0, v4
	;; [unrolled: 1-line block ×5, first 2 shown]
	s_wait_alu 0xfffe
	v_cndmask_b32_e64 v1, 0, 1, s13
	s_and_b32 s13, s10, s14
	v_cmp_eq_u32_e64 s18, 1, v2
	v_cmp_eq_u32_e64 s22, 2, v2
	v_cmp_eq_u32_e64 s26, 3, v2
	s_wait_alu 0xfffe
	v_cndmask_b32_e64 v2, 0, 1, s13
	s_and_b32 s13, s11, s15
	v_cmp_eq_u32_e64 s19, 1, v3
	v_cmp_eq_u32_e64 s23, 2, v3
	v_cmp_eq_u32_e64 s27, 3, v3
	;; [unrolled: 6-line block ×3, first 2 shown]
	s_wait_alu 0xfffe
	v_cndmask_b32_e64 v4, 0, 1, s13
	s_and_b32 s13, s9, s17
	s_wait_alu 0xfffe
	v_cndmask_b32_e64 v16, 0, 1, s13
	s_and_b32 s13, s10, s18
	;; [unrolled: 3-line block ×4, first 2 shown]
	v_cmp_ne_u32_e64 s14, 0, v17
	s_wait_alu 0xfffe
	v_cndmask_b32_e64 v35, 0, 1, s13
	s_and_b32 s13, s9, s21
	s_and_b32 s9, s9, s25
	s_wait_alu 0xfffe
	v_cndmask_b32_e64 v36, 0, 1, s13
	v_cndmask_b32_e64 v40, 0, 1, s9
	s_and_b32 s9, s10, s26
	s_and_b32 s13, s10, s22
	s_wait_alu 0xfffe
	v_cndmask_b32_e64 v41, 0, 1, s9
	s_and_b32 s9, s11, s27
	v_cndmask_b32_e64 v37, 0, 1, s13
	s_wait_alu 0xfffe
	v_cndmask_b32_e64 v42, 0, 1, s9
	s_and_b32 s9, s12, s28
	s_and_b32 s13, s11, s23
	s_wait_alu 0xfffe
	v_cndmask_b32_e64 v43, 0, 1, s9
	v_cmp_ne_u32_e64 s9, 0, v1
	v_cmp_ne_u32_e64 s10, 0, v2
	v_cndmask_b32_e64 v38, 0, 1, s13
	s_and_b32 s13, s12, s24
	v_cmp_ne_u32_e64 s11, 0, v3
	s_wait_alu 0xfffe
	v_cndmask_b32_e64 v39, 0, 1, s13
	v_cmp_ne_u32_e64 s13, 0, v16
	v_cmp_ne_u32_e64 s17, 0, v36
	;; [unrolled: 1-line block ×3, first 2 shown]
	s_bcnt1_i32_b32 s9, s9
	v_cmp_ne_u32_e64 s12, 0, v4
	v_cmp_ne_u32_e64 s18, 0, v37
	;; [unrolled: 1-line block ×3, first 2 shown]
	s_bcnt1_i32_b32 s10, s10
	s_wait_alu 0xfffe
	s_add_co_i32 s9, s9, s78
	v_cmp_ne_u32_e64 s15, 0, v34
	v_cmp_ne_u32_e64 s19, 0, v38
	;; [unrolled: 1-line block ×3, first 2 shown]
	s_bcnt1_i32_b32 s11, s11
	s_wait_alu 0xfffe
	s_add_co_i32 s9, s9, s10
	s_bcnt1_i32_b32 s13, s13
	s_bcnt1_i32_b32 s17, s17
	;; [unrolled: 1-line block ×3, first 2 shown]
	v_cmp_ne_u32_e64 s16, 0, v35
	v_cmp_ne_u32_e64 s20, 0, v39
	;; [unrolled: 1-line block ×3, first 2 shown]
	s_bcnt1_i32_b32 s12, s12
	s_wait_alu 0xfffe
	s_add_co_i32 s9, s9, s11
	s_bcnt1_i32_b32 s14, s14
	s_bcnt1_i32_b32 s18, s18
	s_bcnt1_i32_b32 s22, s22
	s_add_co_i32 s13, s13, s77
	s_add_co_i32 s17, s17, s76
	;; [unrolled: 1-line block ×3, first 2 shown]
	s_wait_alu 0xfffe
	s_add_co_i32 s78, s9, s12
	s_wait_alu 0xfffe
	v_dual_mov_b32 v1, s78 :: v_dual_add_nc_u32 v14, s52, v14
	s_bcnt1_i32_b32 s15, s15
	s_bcnt1_i32_b32 s19, s19
	;; [unrolled: 1-line block ×3, first 2 shown]
	s_add_co_i32 s10, s13, s14
	s_add_co_i32 s13, s17, s18
	s_add_co_i32 s14, s21, s22
	s_bcnt1_i32_b32 s16, s16
	s_bcnt1_i32_b32 s20, s20
	;; [unrolled: 1-line block ×3, first 2 shown]
	s_wait_alu 0xfffe
	s_add_co_i32 s10, s10, s15
	s_add_co_i32 s11, s13, s19
	;; [unrolled: 1-line block ×3, first 2 shown]
	v_cmp_le_i32_e32 vcc_lo, s72, v14
	s_wait_alu 0xfffe
	s_add_co_i32 s77, s10, s16
	s_add_co_i32 s76, s11, s20
	;; [unrolled: 1-line block ×3, first 2 shown]
	s_wait_alu 0xfffe
	v_dual_mov_b32 v3, s76 :: v_dual_add_nc_u32 v6, s64, v6
	v_mov_b32_e32 v2, s77
	v_mov_b32_e32 v4, s75
	s_or_b32 s74, vcc_lo, s74
	s_wait_alu 0xfffe
	s_and_not1_b32 exec_lo, exec_lo, s74
	s_cbranch_execnz .LBB16_60
; %bb.61:                               ;   in Loop: Header=BB16_7 Depth=1
	s_or_b32 exec_lo, exec_lo, s74
.LBB16_62:                              ;   in Loop: Header=BB16_7 Depth=1
	s_delay_alu instid0(SALU_CYCLE_1) | instskip(SKIP_2) | instid1(VALU_DEP_1)
	s_or_b32 exec_lo, exec_lo, s73
	v_add_nc_u32_e32 v6, s72, v0
	s_mov_b32 s14, exec_lo
	v_cmpx_gt_i32_e64 s40, v6
	s_cbranch_execz .LBB16_66
; %bb.63:                               ;   in Loop: Header=BB16_7 Depth=1
	s_wait_loadcnt 0x0
	v_lshlrev_b32_e32 v14, 2, v6
	s_mov_b32 s15, 0
.LBB16_64:                              ;   Parent Loop BB16_7 Depth=1
                                        ; =>  This Inner Loop Header: Depth=2
	ds_load_b32 v16, v14
	v_add_nc_u32_e32 v6, s50, v6
	v_add_nc_u32_e32 v14, s52, v14
	s_delay_alu instid0(VALU_DEP_2) | instskip(SKIP_2) | instid1(VALU_DEP_1)
	v_cmp_le_i32_e32 vcc_lo, s40, v6
	s_wait_dscnt 0x0
	v_xor_b32_e32 v16, 0x80000000, v16
	v_and_b32_e32 v17, v16, v32
	v_bfe_u32 v16, v16, s71, 2
	s_delay_alu instid0(VALU_DEP_2) | instskip(NEXT) | instid1(VALU_DEP_2)
	v_cmp_eq_u32_e64 s9, v17, v24
	v_cmp_eq_u32_e64 s10, 0, v16
	;; [unrolled: 1-line block ×5, first 2 shown]
	s_and_b32 s10, s9, s10
	s_wait_alu 0xfffe
	v_cndmask_b32_e64 v16, 0, 1, s10
	s_and_b32 s10, s9, s11
	s_wait_alu 0xfffe
	v_cndmask_b32_e64 v17, 0, 1, s10
	s_and_b32 s10, s9, s12
	s_and_b32 s9, s9, s13
	s_wait_alu 0xfffe
	v_cndmask_b32_e64 v34, 0, 1, s10
	v_cndmask_b32_e64 v35, 0, 1, s9
	v_cmp_ne_u32_e64 s9, 0, v16
	v_cmp_ne_u32_e64 s10, 0, v17
	s_delay_alu instid0(VALU_DEP_4) | instskip(NEXT) | instid1(VALU_DEP_4)
	v_cmp_ne_u32_e64 s11, 0, v34
	v_cmp_ne_u32_e64 s12, 0, v35
	s_bcnt1_i32_b32 s9, s9
	s_bcnt1_i32_b32 s10, s10
	s_wait_alu 0xfffe
	v_add_nc_u32_e32 v1, s9, v1
	s_bcnt1_i32_b32 s11, s11
	s_bcnt1_i32_b32 s12, s12
	v_add_nc_u32_e32 v2, s10, v2
	s_wait_alu 0xfffe
	v_add_nc_u32_e32 v3, s11, v3
	v_add_nc_u32_e32 v4, s12, v4
	s_or_b32 s15, vcc_lo, s15
	s_wait_alu 0xfffe
	s_and_not1_b32 exec_lo, exec_lo, s15
	s_cbranch_execnz .LBB16_64
; %bb.65:                               ;   in Loop: Header=BB16_7 Depth=1
	s_or_b32 exec_lo, exec_lo, s15
.LBB16_66:                              ;   in Loop: Header=BB16_7 Depth=1
	s_wait_alu 0xfffe
	s_or_b32 exec_lo, exec_lo, s14
	v_lshlrev_b32_e32 v6, 7, v31
	s_and_saveexec_b32 s9, s4
	s_cbranch_execnz .LBB16_38
	s_branch .LBB16_39
.LBB16_67:                              ;   in Loop: Header=BB16_7 Depth=1
	s_wait_alu 0xfffe
	s_or_b32 exec_lo, exec_lo, s11
	s_wait_loadcnt_dscnt 0x0
	s_barrier_signal -1
	s_barrier_wait -1
	global_inv scope:SCOPE_SE
	s_and_saveexec_b32 s9, s2
	s_cbranch_execz .LBB16_69
; %bb.68:                               ;   in Loop: Header=BB16_7 Depth=1
	ds_load_b32 v1, v7 offset:4104
	s_wait_dscnt 0x0
	ds_store_b32 v7, v1 offset:4096
.LBB16_69:                              ;   in Loop: Header=BB16_7 Depth=1
	s_wait_alu 0xfffe
	s_or_b32 exec_lo, exec_lo, s9
	s_wait_loadcnt_dscnt 0x0
	s_barrier_signal -1
	s_mov_b32 s9, -1
	s_barrier_wait -1
	s_and_b32 vcc_lo, exec_lo, s10
	s_wait_alu 0xfffe
	s_cbranch_vccnz .LBB16_23
	s_branch .LBB16_33
.LBB16_70:                              ;   in Loop: Header=BB16_7 Depth=1
	v_mov_b32_e32 v1, 0
	s_mov_b32 s10, 0
	s_and_not1_b32 vcc_lo, exec_lo, s60
	s_wait_alu 0xfffe
	s_cbranch_vccnz .LBB16_73
.LBB16_71:                              ;   in Loop: Header=BB16_7 Depth=1
	v_lshlrev_b32_e32 v2, 9, v31
	s_lshl_b32 s10, s10, 4
	s_wait_alu 0xfffe
	s_delay_alu instid0(VALU_DEP_1)
	v_add3_u32 v2, v2, s10, v30
	s_mov_b32 s10, s57
.LBB16_72:                              ;   Parent Loop BB16_7 Depth=1
                                        ; =>  This Inner Loop Header: Depth=2
	ds_load_b32 v3, v2
	v_add_nc_u32_e32 v2, 16, v2
	s_wait_alu 0xfffe
	s_add_co_i32 s10, s10, -1
	s_wait_alu 0xfffe
	s_cmp_lg_u32 s10, 0
	s_wait_dscnt 0x0
	v_add_nc_u32_e32 v1, v3, v1
	s_cbranch_scc1 .LBB16_72
.LBB16_73:                              ;   in Loop: Header=BB16_7 Depth=1
	v_add_lshl_u32 v2, v6, v19, 2
	ds_store_b32 v2, v1 offset:3072
.LBB16_74:                              ;   in Loop: Header=BB16_7 Depth=1
	s_wait_alu 0xfffe
	s_or_b32 exec_lo, exec_lo, s9
	v_lshlrev_b32_e32 v1, 2, v6
	s_wait_loadcnt_dscnt 0x0
	s_barrier_signal -1
	s_barrier_wait -1
	global_inv scope:SCOPE_SE
	ds_load_b128 v[1:4], v1 offset:3072
	s_lshl_b32 s10, 3, s71
	v_cmp_eq_u32_e32 vcc_lo, 1, v33
	s_wait_alu 0xfffe
	s_not_b32 s17, s10
	s_mov_b32 s13, -1
	s_mov_b32 s15, -1
                                        ; implicit-def: $sgpr20
                                        ; implicit-def: $sgpr18
	s_wait_dscnt 0x0
	v_readfirstlane_b32 s12, v1
	v_readfirstlane_b32 s19, v2
	;; [unrolled: 1-line block ×4, first 2 shown]
	s_cmp_eq_u32 s12, 1
	s_cselect_b32 s11, -1, 0
	s_wait_alu 0xfffe
	s_and_b32 s14, s11, vcc_lo
	s_wait_alu 0xfffe
	s_and_saveexec_b32 s11, s14
	s_cbranch_execz .LBB16_100
; %bb.75:                               ;   in Loop: Header=BB16_7 Depth=1
	ds_load_b32 v1, v7 offset:4096
	s_wait_loadcnt_dscnt 0x0
	s_barrier_signal -1
	s_barrier_wait -1
	global_inv scope:SCOPE_SE
	v_readfirstlane_b32 s15, v1
	s_and_saveexec_b32 s18, s0
; %bb.76:                               ;   in Loop: Header=BB16_7 Depth=1
	ds_store_b32 v20, v7
; %bb.77:                               ;   in Loop: Header=BB16_7 Depth=1
	s_wait_alu 0xfffe
	s_or_b32 exec_lo, exec_lo, s18
	v_and_b32_e32 v24, s17, v24
	v_or_b32_e32 v32, s10, v32
	s_mov_b32 s18, -1
	s_mov_b32 s20, 0
	s_cmp_lt_i32 s15, 1
	s_mov_b32 s21, 0
	s_mov_b32 s22, -1
	s_wait_loadcnt_dscnt 0x0
	s_barrier_signal -1
	s_barrier_wait -1
	global_inv scope:SCOPE_SE
                                        ; implicit-def: $vgpr15
	s_cbranch_scc0 .LBB16_88
; %bb.78:                               ;   in Loop: Header=BB16_7 Depth=1
	s_mov_b32 s22, 0
                                        ; implicit-def: $vgpr15
	s_and_saveexec_b32 s23, s8
	s_cbranch_execz .LBB16_87
; %bb.79:                               ;   in Loop: Header=BB16_7 Depth=1
	v_mov_b32_e32 v1, v5
	v_mov_b32_e32 v3, v0
                                        ; implicit-def: $sgpr24
	s_branch .LBB16_82
.LBB16_80:                              ;   in Loop: Header=BB16_82 Depth=2
	s_wait_alu 0xfffe
	s_or_b32 exec_lo, exec_lo, s25
	s_wait_loadcnt_dscnt 0x0
	s_barrier_signal -1
	s_barrier_wait -1
	global_inv scope:SCOPE_SE
	ds_load_b64 v[14:15], v7 offset:3072
	s_mov_b32 s25, -1
	s_mov_b32 s26, -1
	s_wait_loadcnt_dscnt 0x0
	s_barrier_signal -1
	s_barrier_wait -1
	global_inv scope:SCOPE_SE
	v_cmp_ne_u32_e32 vcc_lo, 0, v14
	s_cbranch_vccz .LBB16_85
.LBB16_81:                              ;   in Loop: Header=BB16_82 Depth=2
	s_wait_alu 0xfffe
	s_and_b32 s25, exec_lo, s25
	s_wait_alu 0xfffe
	s_or_b32 s21, s25, s21
	s_and_not1_b32 s24, s24, exec_lo
	s_and_b32 s25, s26, exec_lo
	s_wait_alu 0xfffe
	s_or_b32 s24, s24, s25
	s_and_not1_b32 exec_lo, exec_lo, s21
	s_cbranch_execz .LBB16_86
.LBB16_82:                              ;   Parent Loop BB16_7 Depth=1
                                        ; =>  This Inner Loop Header: Depth=2
	s_mov_b32 s25, exec_lo
	s_delay_alu instid0(VALU_DEP_1)
	v_cmpx_gt_i32_e64 s36, v3
	s_cbranch_execz .LBB16_80
; %bb.83:                               ;   in Loop: Header=BB16_82 Depth=2
	v_ashrrev_i32_e32 v2, 31, v1
	s_delay_alu instid0(VALU_DEP_1) | instskip(NEXT) | instid1(VALU_DEP_1)
	v_lshlrev_b64_e32 v[14:15], 2, v[1:2]
	v_add_co_u32 v14, vcc_lo, s42, v14
	s_wait_alu 0xfffd
	s_delay_alu instid0(VALU_DEP_2) | instskip(SKIP_3) | instid1(VALU_DEP_1)
	v_add_co_ci_u32_e64 v15, null, s43, v15, vcc_lo
	global_load_b32 v14, v[14:15], off
	s_wait_loadcnt 0x0
	v_xor_b32_e32 v2, 0x80000000, v14
	v_and_b32_e32 v2, v2, v32
	s_delay_alu instid0(VALU_DEP_1)
	v_cmp_eq_u32_e32 vcc_lo, v2, v24
	s_and_b32 exec_lo, exec_lo, vcc_lo
	s_cbranch_execz .LBB16_80
; %bb.84:                               ;   in Loop: Header=BB16_82 Depth=2
	ds_store_b64 v7, v[13:14] offset:3072
	s_branch .LBB16_80
.LBB16_85:                              ;   in Loop: Header=BB16_82 Depth=2
	v_add_nc_u32_e32 v3, s50, v3
	v_add_nc_u32_e32 v1, s54, v1
	s_mov_b32 s26, 0
	s_delay_alu instid0(VALU_DEP_2)
	v_cmp_le_i32_e32 vcc_lo, s62, v3
	s_or_not1_b32 s25, vcc_lo, exec_lo
	s_branch .LBB16_81
.LBB16_86:                              ;   in Loop: Header=BB16_7 Depth=1
	s_or_b32 exec_lo, exec_lo, s21
	s_wait_alu 0xfffe
	s_and_b32 s21, s24, exec_lo
.LBB16_87:                              ;   in Loop: Header=BB16_7 Depth=1
	s_wait_alu 0xfffe
	s_or_b32 exec_lo, exec_lo, s23
.LBB16_88:                              ;   in Loop: Header=BB16_7 Depth=1
	s_wait_alu 0xfffe
	s_and_b32 vcc_lo, exec_lo, s22
	s_wait_alu 0xfffe
	s_cbranch_vccz .LBB16_99
; %bb.89:                               ;   in Loop: Header=BB16_7 Depth=1
	s_add_co_i32 s20, s15, s53
                                        ; implicit-def: $vgpr15
	s_wait_alu 0xfffe
	s_abs_i32 s40, s20
	s_wait_alu 0xfffe
	s_mul_u64 s[22:23], s[40:41], s[46:47]
	s_ashr_i32 s22, s20, 31
	s_wait_alu 0xfffe
	s_mul_i32 s18, s23, s50
	s_wait_alu 0xfffe
	s_sub_co_i32 s18, s40, s18
	s_wait_alu 0xfffe
	s_sub_co_i32 s23, s18, s50
	s_cmp_ge_u32 s18, s50
	s_wait_alu 0xfffe
	s_cselect_b32 s18, s23, s18
	s_wait_alu 0xfffe
	s_sub_co_i32 s23, s18, s50
	s_cmp_ge_u32 s18, s50
	s_wait_alu 0xfffe
	s_cselect_b32 s18, s23, s18
	s_wait_alu 0xfffe
	s_xor_b32 s18, s18, s22
	s_wait_alu 0xfffe
	s_sub_co_i32 s18, s22, s18
	s_wait_alu 0xfffe
	s_add_co_i32 s20, s20, s18
	s_mov_b32 s18, exec_lo
	s_wait_alu 0xfffe
	v_cmpx_gt_i32_e64 s20, v0
	s_cbranch_execz .LBB16_98
; %bb.90:                               ;   in Loop: Header=BB16_7 Depth=1
	v_dual_mov_b32 v1, v18 :: v_dual_mov_b32 v2, v0
	s_mov_b32 s22, 0
                                        ; implicit-def: $sgpr23
	s_branch .LBB16_93
.LBB16_91:                              ;   in Loop: Header=BB16_93 Depth=2
	s_wait_alu 0xfffe
	s_or_b32 exec_lo, exec_lo, s24
	s_wait_loadcnt_dscnt 0x0
	s_barrier_signal -1
	s_barrier_wait -1
	global_inv scope:SCOPE_SE
	ds_load_b64 v[14:15], v7 offset:3072
	s_mov_b32 s24, -1
	s_mov_b32 s25, -1
	s_wait_loadcnt_dscnt 0x0
	s_barrier_signal -1
	s_barrier_wait -1
	global_inv scope:SCOPE_SE
	v_cmp_ne_u32_e32 vcc_lo, 0, v14
	s_cbranch_vccz .LBB16_96
.LBB16_92:                              ;   in Loop: Header=BB16_93 Depth=2
	s_wait_alu 0xfffe
	s_and_b32 s24, exec_lo, s24
	s_wait_alu 0xfffe
	s_or_b32 s22, s24, s22
	s_and_not1_b32 s23, s23, exec_lo
	s_and_b32 s24, s25, exec_lo
	s_wait_alu 0xfffe
	s_or_b32 s23, s23, s24
	s_and_not1_b32 exec_lo, exec_lo, s22
	s_cbranch_execz .LBB16_97
.LBB16_93:                              ;   Parent Loop BB16_7 Depth=1
                                        ; =>  This Inner Loop Header: Depth=2
	s_mov_b32 s24, exec_lo
	s_delay_alu instid0(VALU_DEP_1)
	v_cmpx_gt_i32_e64 s15, v2
	s_cbranch_execz .LBB16_91
; %bb.94:                               ;   in Loop: Header=BB16_93 Depth=2
	ds_load_b32 v14, v1
	s_wait_dscnt 0x0
	v_xor_b32_e32 v3, 0x80000000, v14
	s_delay_alu instid0(VALU_DEP_1) | instskip(NEXT) | instid1(VALU_DEP_1)
	v_and_b32_e32 v3, v3, v32
	v_cmp_eq_u32_e32 vcc_lo, v3, v24
	s_and_b32 exec_lo, exec_lo, vcc_lo
	s_cbranch_execz .LBB16_91
; %bb.95:                               ;   in Loop: Header=BB16_93 Depth=2
	ds_store_b64 v7, v[13:14] offset:3072
	s_branch .LBB16_91
.LBB16_96:                              ;   in Loop: Header=BB16_93 Depth=2
	v_add_nc_u32_e32 v2, s50, v2
	v_add_nc_u32_e32 v1, s52, v1
	s_mov_b32 s25, 0
	s_delay_alu instid0(VALU_DEP_2)
	v_cmp_le_i32_e32 vcc_lo, s20, v2
	s_or_not1_b32 s24, vcc_lo, exec_lo
	s_branch .LBB16_92
.LBB16_97:                              ;   in Loop: Header=BB16_7 Depth=1
	s_or_b32 exec_lo, exec_lo, s22
	s_delay_alu instid0(SALU_CYCLE_1)
	s_and_not1_b32 s15, s21, exec_lo
	s_wait_alu 0xfffe
	s_and_b32 s20, s23, exec_lo
	s_wait_alu 0xfffe
	s_or_b32 s21, s15, s20
.LBB16_98:                              ;   in Loop: Header=BB16_7 Depth=1
	s_wait_alu 0xfffe
	s_or_b32 exec_lo, exec_lo, s18
	s_mov_b32 s18, 0
	s_mov_b32 s20, -1
.LBB16_99:                              ;   in Loop: Header=BB16_7 Depth=1
	s_or_not1_b32 s15, s21, exec_lo
.LBB16_100:                             ;   in Loop: Header=BB16_7 Depth=1
	s_wait_alu 0xfffe
	s_or_b32 exec_lo, exec_lo, s11
	v_readfirstlane_b32 s21, v0
	s_and_not1_b32 s11, s69, exec_lo
	s_and_b32 s20, s20, exec_lo
	s_and_not1_b32 s22, s67, exec_lo
	s_and_b32 s18, s18, exec_lo
	s_and_not1_b32 s66, s66, exec_lo
	s_wait_alu 0xfffe
	s_or_b32 s69, s11, s20
	s_or_b32 s67, s22, s18
                                        ; implicit-def: $vgpr4
	s_and_saveexec_b32 s11, s15
	s_cbranch_execz .LBB16_6
; %bb.101:                              ;   in Loop: Header=BB16_7 Depth=1
	v_dual_mov_b32 v4, 1 :: v_dual_mov_b32 v3, 1
	s_xor_b32 s14, s14, -1
	s_mov_b32 s20, 0
	s_wait_alu 0xfffe
	s_and_saveexec_b32 s13, s14
	s_cbranch_execz .LBB16_110
; %bb.102:                              ;   in Loop: Header=BB16_7 Depth=1
	s_mov_b32 s14, exec_lo
	v_cmpx_ge_i32_e64 s12, v33
	s_wait_alu 0xfffe
	s_xor_b32 s14, exec_lo, s14
	s_cbranch_execz .LBB16_107
; %bb.103:                              ;   in Loop: Header=BB16_7 Depth=1
	ds_load_b32 v1, v7 offset:4096
	v_and_b32_e32 v24, s17, v24
	v_or_b32_e32 v32, s10, v32
	s_wait_dscnt 0x0
	v_cmp_ne_u32_e32 vcc_lo, 0, v1
	s_cbranch_vccnz .LBB16_107
; %bb.104:                              ;   in Loop: Header=BB16_7 Depth=1
	s_and_saveexec_b32 s15, s2
; %bb.105:                              ;   in Loop: Header=BB16_7 Depth=1
	v_mov_b32_e32 v1, s12
	ds_store_b32 v7, v1 offset:4100
; %bb.106:                              ;   in Loop: Header=BB16_7 Depth=1
	s_wait_alu 0xfffe
	s_or_b32 exec_lo, exec_lo, s15
	s_wait_loadcnt_dscnt 0x0
	s_barrier_signal -1
	s_barrier_wait -1
	global_inv scope:SCOPE_SE
.LBB16_107:                             ;   in Loop: Header=BB16_7 Depth=1
	s_wait_alu 0xfffe
	s_or_saveexec_b32 s14, s14
	v_mov_b32_e32 v3, 8
	s_mov_b32 s15, 0
	s_wait_alu 0xfffe
	s_xor_b32 exec_lo, exec_lo, s14
; %bb.108:                              ;   in Loop: Header=BB16_7 Depth=1
	v_subrev_nc_u32_e32 v33, s12, v33
	v_mov_b32_e32 v3, 0
	s_mov_b32 s15, exec_lo
; %bb.109:                              ;   in Loop: Header=BB16_7 Depth=1
	s_or_b32 exec_lo, exec_lo, s14
	s_delay_alu instid0(VALU_DEP_2)
	v_mov_b32_e32 v4, v33
	s_wait_alu 0xfffe
	s_and_b32 s20, s15, exec_lo
.LBB16_110:                             ;   in Loop: Header=BB16_7 Depth=1
	s_wait_alu 0xfffe
	s_or_b32 exec_lo, exec_lo, s13
	s_mov_b32 s12, -1
	s_mov_b32 s18, -1
                                        ; implicit-def: $sgpr14
                                        ; implicit-def: $sgpr15
	s_and_saveexec_b32 s13, s20
	s_wait_alu 0xfffe
	s_xor_b32 s13, exec_lo, s13
	s_cbranch_execz .LBB16_227
; %bb.111:                              ;   in Loop: Header=BB16_7 Depth=1
	v_cmp_eq_u32_e32 vcc_lo, 1, v4
	s_cmp_eq_u32 s19, 1
	s_mov_b32 s21, -1
	s_cselect_b32 s14, -1, 0
                                        ; implicit-def: $sgpr15
	s_wait_alu 0xfffe
	s_and_b32 s20, s14, vcc_lo
                                        ; implicit-def: $sgpr14
	s_wait_alu 0xfffe
	s_and_saveexec_b32 s18, s20
	s_cbranch_execz .LBB16_137
; %bb.112:                              ;   in Loop: Header=BB16_7 Depth=1
	ds_load_b32 v1, v7 offset:4096
	s_wait_loadcnt_dscnt 0x0
	s_barrier_signal -1
	s_barrier_wait -1
	global_inv scope:SCOPE_SE
	v_readfirstlane_b32 s21, v1
	s_and_saveexec_b32 s14, s0
; %bb.113:                              ;   in Loop: Header=BB16_7 Depth=1
	ds_store_b32 v20, v7
; %bb.114:                              ;   in Loop: Header=BB16_7 Depth=1
	s_wait_alu 0xfffe
	s_or_b32 exec_lo, exec_lo, s14
	s_lshl_b32 s14, 1, s71
	v_or_b32_e32 v32, s10, v32
	s_wait_alu 0xfffe
	v_and_or_b32 v24, v24, s17, s14
	s_mov_b32 s14, -1
	s_mov_b32 s15, 0
	s_cmp_gt_i32 s21, 0
	s_mov_b32 s22, 0
	s_mov_b32 s23, -1
	s_wait_loadcnt_dscnt 0x0
	s_barrier_signal -1
	s_barrier_wait -1
	global_inv scope:SCOPE_SE
                                        ; implicit-def: $vgpr15
	s_cbranch_scc1 .LBB16_125
; %bb.115:                              ;   in Loop: Header=BB16_7 Depth=1
	s_mov_b32 s23, 0
                                        ; implicit-def: $vgpr15
	s_and_saveexec_b32 s24, s8
	s_cbranch_execz .LBB16_124
; %bb.116:                              ;   in Loop: Header=BB16_7 Depth=1
	v_dual_mov_b32 v1, v5 :: v_dual_mov_b32 v6, v0
                                        ; implicit-def: $sgpr25
	s_branch .LBB16_119
.LBB16_117:                             ;   in Loop: Header=BB16_119 Depth=2
	s_wait_alu 0xfffe
	s_or_b32 exec_lo, exec_lo, s26
	s_wait_loadcnt_dscnt 0x0
	s_barrier_signal -1
	s_barrier_wait -1
	global_inv scope:SCOPE_SE
	ds_load_b64 v[14:15], v7 offset:3072
	s_mov_b32 s26, -1
	s_mov_b32 s27, -1
	s_wait_loadcnt_dscnt 0x0
	s_barrier_signal -1
	s_barrier_wait -1
	global_inv scope:SCOPE_SE
	v_cmp_ne_u32_e32 vcc_lo, 0, v14
	s_cbranch_vccz .LBB16_122
.LBB16_118:                             ;   in Loop: Header=BB16_119 Depth=2
	s_wait_alu 0xfffe
	s_and_b32 s26, exec_lo, s26
	s_wait_alu 0xfffe
	s_or_b32 s22, s26, s22
	s_and_not1_b32 s25, s25, exec_lo
	s_and_b32 s26, s27, exec_lo
	s_wait_alu 0xfffe
	s_or_b32 s25, s25, s26
	s_and_not1_b32 exec_lo, exec_lo, s22
	s_cbranch_execz .LBB16_123
.LBB16_119:                             ;   Parent Loop BB16_7 Depth=1
                                        ; =>  This Inner Loop Header: Depth=2
	s_mov_b32 s26, exec_lo
	s_delay_alu instid0(VALU_DEP_1)
	v_cmpx_gt_i32_e64 s36, v6
	s_cbranch_execz .LBB16_117
; %bb.120:                              ;   in Loop: Header=BB16_119 Depth=2
	v_ashrrev_i32_e32 v2, 31, v1
	s_delay_alu instid0(VALU_DEP_1) | instskip(NEXT) | instid1(VALU_DEP_1)
	v_lshlrev_b64_e32 v[14:15], 2, v[1:2]
	v_add_co_u32 v14, vcc_lo, s42, v14
	s_wait_alu 0xfffd
	s_delay_alu instid0(VALU_DEP_2) | instskip(SKIP_3) | instid1(VALU_DEP_1)
	v_add_co_ci_u32_e64 v15, null, s43, v15, vcc_lo
	global_load_b32 v14, v[14:15], off
	s_wait_loadcnt 0x0
	v_xor_b32_e32 v2, 0x80000000, v14
	v_and_b32_e32 v2, v2, v32
	s_delay_alu instid0(VALU_DEP_1)
	v_cmp_eq_u32_e32 vcc_lo, v2, v24
	s_and_b32 exec_lo, exec_lo, vcc_lo
	s_cbranch_execz .LBB16_117
; %bb.121:                              ;   in Loop: Header=BB16_119 Depth=2
	ds_store_b64 v7, v[13:14] offset:3072
	s_branch .LBB16_117
.LBB16_122:                             ;   in Loop: Header=BB16_119 Depth=2
	v_add_nc_u32_e32 v6, s50, v6
	v_add_nc_u32_e32 v1, s54, v1
	s_mov_b32 s27, 0
	s_delay_alu instid0(VALU_DEP_2)
	v_cmp_le_i32_e32 vcc_lo, s62, v6
	s_or_not1_b32 s26, vcc_lo, exec_lo
	s_branch .LBB16_118
.LBB16_123:                             ;   in Loop: Header=BB16_7 Depth=1
	s_or_b32 exec_lo, exec_lo, s22
	s_wait_alu 0xfffe
	s_and_b32 s22, s25, exec_lo
.LBB16_124:                             ;   in Loop: Header=BB16_7 Depth=1
	s_wait_alu 0xfffe
	s_or_b32 exec_lo, exec_lo, s24
.LBB16_125:                             ;   in Loop: Header=BB16_7 Depth=1
	s_wait_alu 0xfffe
	s_and_b32 vcc_lo, exec_lo, s23
	s_wait_alu 0xfffe
	s_cbranch_vccz .LBB16_136
; %bb.126:                              ;   in Loop: Header=BB16_7 Depth=1
	s_add_co_i32 s23, s21, s53
                                        ; implicit-def: $vgpr15
	s_wait_alu 0xfffe
	s_abs_i32 s40, s23
	s_wait_alu 0xfffe
	s_mul_u64 s[14:15], s[40:41], s[46:47]
	s_wait_alu 0xfffe
	s_mul_i32 s14, s15, s50
	s_ashr_i32 s15, s23, 31
	s_wait_alu 0xfffe
	s_sub_co_i32 s14, s40, s14
	s_wait_alu 0xfffe
	s_sub_co_i32 s24, s14, s50
	s_cmp_ge_u32 s14, s50
	s_wait_alu 0xfffe
	s_cselect_b32 s14, s24, s14
	s_wait_alu 0xfffe
	s_sub_co_i32 s24, s14, s50
	s_cmp_ge_u32 s14, s50
	s_wait_alu 0xfffe
	s_cselect_b32 s14, s24, s14
	s_wait_alu 0xfffe
	s_xor_b32 s14, s14, s15
	s_wait_alu 0xfffe
	s_sub_co_i32 s14, s15, s14
	s_wait_alu 0xfffe
	s_add_co_i32 s15, s23, s14
	s_mov_b32 s14, exec_lo
	s_wait_alu 0xfffe
	v_cmpx_gt_i32_e64 s15, v0
	s_cbranch_execz .LBB16_135
; %bb.127:                              ;   in Loop: Header=BB16_7 Depth=1
	v_dual_mov_b32 v1, v18 :: v_dual_mov_b32 v2, v0
	s_mov_b32 s23, 0
                                        ; implicit-def: $sgpr24
	s_branch .LBB16_130
.LBB16_128:                             ;   in Loop: Header=BB16_130 Depth=2
	s_wait_alu 0xfffe
	s_or_b32 exec_lo, exec_lo, s25
	s_wait_loadcnt_dscnt 0x0
	s_barrier_signal -1
	s_barrier_wait -1
	global_inv scope:SCOPE_SE
	ds_load_b64 v[14:15], v7 offset:3072
	s_mov_b32 s25, -1
	s_mov_b32 s26, -1
	s_wait_loadcnt_dscnt 0x0
	s_barrier_signal -1
	s_barrier_wait -1
	global_inv scope:SCOPE_SE
	v_cmp_eq_u32_e32 vcc_lo, 0, v14
	s_cbranch_vccnz .LBB16_133
.LBB16_129:                             ;   in Loop: Header=BB16_130 Depth=2
	s_wait_alu 0xfffe
	s_and_b32 s25, exec_lo, s25
	s_wait_alu 0xfffe
	s_or_b32 s23, s25, s23
	s_and_not1_b32 s24, s24, exec_lo
	s_and_b32 s25, s26, exec_lo
	s_wait_alu 0xfffe
	s_or_b32 s24, s24, s25
	s_and_not1_b32 exec_lo, exec_lo, s23
	s_cbranch_execz .LBB16_134
.LBB16_130:                             ;   Parent Loop BB16_7 Depth=1
                                        ; =>  This Inner Loop Header: Depth=2
	s_mov_b32 s25, exec_lo
	s_delay_alu instid0(VALU_DEP_1)
	v_cmpx_gt_i32_e64 s21, v2
	s_cbranch_execz .LBB16_128
; %bb.131:                              ;   in Loop: Header=BB16_130 Depth=2
	ds_load_b32 v14, v1
	s_wait_dscnt 0x0
	v_xor_b32_e32 v6, 0x80000000, v14
	s_delay_alu instid0(VALU_DEP_1) | instskip(NEXT) | instid1(VALU_DEP_1)
	v_and_b32_e32 v6, v6, v32
	v_cmp_eq_u32_e32 vcc_lo, v6, v24
	s_and_b32 exec_lo, exec_lo, vcc_lo
	s_cbranch_execz .LBB16_128
; %bb.132:                              ;   in Loop: Header=BB16_130 Depth=2
	ds_store_b64 v7, v[13:14] offset:3072
	s_branch .LBB16_128
.LBB16_133:                             ;   in Loop: Header=BB16_130 Depth=2
	v_add_nc_u32_e32 v2, s50, v2
	v_add_nc_u32_e32 v1, s52, v1
	s_mov_b32 s26, 0
	s_delay_alu instid0(VALU_DEP_2)
	v_cmp_le_i32_e32 vcc_lo, s15, v2
	s_or_not1_b32 s25, vcc_lo, exec_lo
	s_branch .LBB16_129
.LBB16_134:                             ;   in Loop: Header=BB16_7 Depth=1
	s_or_b32 exec_lo, exec_lo, s23
	s_delay_alu instid0(SALU_CYCLE_1)
	s_and_not1_b32 s15, s22, exec_lo
	s_wait_alu 0xfffe
	s_and_b32 s21, s24, exec_lo
	s_wait_alu 0xfffe
	s_or_b32 s22, s15, s21
.LBB16_135:                             ;   in Loop: Header=BB16_7 Depth=1
	s_or_b32 exec_lo, exec_lo, s14
	s_mov_b32 s14, 0
	s_mov_b32 s15, -1
.LBB16_136:                             ;   in Loop: Header=BB16_7 Depth=1
	s_wait_alu 0xfffe
	s_or_not1_b32 s21, s22, exec_lo
.LBB16_137:                             ;   in Loop: Header=BB16_7 Depth=1
	s_wait_alu 0xfffe
	s_or_b32 exec_lo, exec_lo, s18
	s_mov_b32 s22, 0
	s_and_saveexec_b32 s18, s21
	s_cbranch_execz .LBB16_226
; %bb.138:                              ;   in Loop: Header=BB16_7 Depth=1
	v_dual_mov_b32 v6, 1 :: v_dual_mov_b32 v3, 1
	s_xor_b32 s21, s20, -1
	s_mov_b32 s23, 0
	s_wait_alu 0xfffe
	s_and_saveexec_b32 s20, s21
	s_cbranch_execz .LBB16_147
; %bb.139:                              ;   in Loop: Header=BB16_7 Depth=1
	s_mov_b32 s21, exec_lo
	v_cmpx_ge_i32_e64 s19, v4
	s_wait_alu 0xfffe
	s_xor_b32 s21, exec_lo, s21
	s_cbranch_execz .LBB16_144
; %bb.140:                              ;   in Loop: Header=BB16_7 Depth=1
	ds_load_b32 v1, v7 offset:4096
	s_lshl_b32 s22, 1, s71
	v_or_b32_e32 v32, s10, v32
	s_wait_alu 0xfffe
	v_and_or_b32 v24, v24, s17, s22
	s_wait_dscnt 0x0
	v_cmp_ne_u32_e32 vcc_lo, 0, v1
	s_cbranch_vccnz .LBB16_144
; %bb.141:                              ;   in Loop: Header=BB16_7 Depth=1
	s_and_saveexec_b32 s22, s2
; %bb.142:                              ;   in Loop: Header=BB16_7 Depth=1
	v_mov_b32_e32 v1, s19
	ds_store_b32 v7, v1 offset:4100
; %bb.143:                              ;   in Loop: Header=BB16_7 Depth=1
	s_wait_alu 0xfffe
	s_or_b32 exec_lo, exec_lo, s22
	s_wait_loadcnt_dscnt 0x0
	s_barrier_signal -1
	s_barrier_wait -1
	global_inv scope:SCOPE_SE
.LBB16_144:                             ;   in Loop: Header=BB16_7 Depth=1
	s_wait_alu 0xfffe
	s_or_saveexec_b32 s21, s21
	v_mov_b32_e32 v3, 8
	s_mov_b32 s22, 0
	s_wait_alu 0xfffe
	s_xor_b32 exec_lo, exec_lo, s21
; %bb.145:                              ;   in Loop: Header=BB16_7 Depth=1
	v_subrev_nc_u32_e32 v4, s19, v4
	v_mov_b32_e32 v3, 0
	s_mov_b32 s22, exec_lo
; %bb.146:                              ;   in Loop: Header=BB16_7 Depth=1
	s_or_b32 exec_lo, exec_lo, s21
	s_delay_alu instid0(VALU_DEP_2)
	v_mov_b32_e32 v6, v4
	s_wait_alu 0xfffe
	s_and_b32 s23, s22, exec_lo
.LBB16_147:                             ;   in Loop: Header=BB16_7 Depth=1
	s_wait_alu 0xfffe
	s_or_b32 exec_lo, exec_lo, s20
	s_mov_b32 s22, -1
                                        ; implicit-def: $sgpr20
                                        ; implicit-def: $sgpr21
	s_and_saveexec_b32 s19, s23
	s_cbranch_execz .LBB16_225
; %bb.148:                              ;   in Loop: Header=BB16_7 Depth=1
	v_cmp_eq_u32_e32 vcc_lo, 1, v6
	s_cmp_eq_u32 s16, 1
	s_mov_b32 s24, -1
	s_cselect_b32 s20, -1, 0
                                        ; implicit-def: $sgpr21
	s_wait_alu 0xfffe
	s_and_b32 s23, s20, vcc_lo
                                        ; implicit-def: $sgpr20
	s_wait_alu 0xfffe
	s_and_saveexec_b32 s22, s23
	s_cbranch_execz .LBB16_174
; %bb.149:                              ;   in Loop: Header=BB16_7 Depth=1
	ds_load_b32 v1, v7 offset:4096
	s_wait_loadcnt_dscnt 0x0
	s_barrier_signal -1
	s_barrier_wait -1
	global_inv scope:SCOPE_SE
	v_readfirstlane_b32 s24, v1
	s_and_saveexec_b32 s20, s0
; %bb.150:                              ;   in Loop: Header=BB16_7 Depth=1
	ds_store_b32 v20, v7
; %bb.151:                              ;   in Loop: Header=BB16_7 Depth=1
	s_wait_alu 0xfffe
	s_or_b32 exec_lo, exec_lo, s20
	s_lshl_b32 s20, 2, s71
	v_or_b32_e32 v32, s10, v32
	s_wait_alu 0xfffe
	v_and_or_b32 v24, v24, s17, s20
	s_mov_b32 s20, -1
	s_mov_b32 s21, 0
	s_cmp_gt_i32 s24, 0
	s_mov_b32 s25, 0
	s_mov_b32 s26, -1
	s_wait_loadcnt_dscnt 0x0
	s_barrier_signal -1
	s_barrier_wait -1
	global_inv scope:SCOPE_SE
                                        ; implicit-def: $vgpr15
	s_cbranch_scc1 .LBB16_162
; %bb.152:                              ;   in Loop: Header=BB16_7 Depth=1
	s_mov_b32 s26, 0
                                        ; implicit-def: $vgpr15
	s_and_saveexec_b32 s27, s8
	s_cbranch_execz .LBB16_161
; %bb.153:                              ;   in Loop: Header=BB16_7 Depth=1
	v_dual_mov_b32 v1, v5 :: v_dual_mov_b32 v4, v0
                                        ; implicit-def: $sgpr28
	s_branch .LBB16_156
.LBB16_154:                             ;   in Loop: Header=BB16_156 Depth=2
	s_wait_alu 0xfffe
	s_or_b32 exec_lo, exec_lo, s40
	s_wait_loadcnt_dscnt 0x0
	s_barrier_signal -1
	s_barrier_wait -1
	global_inv scope:SCOPE_SE
	ds_load_b64 v[14:15], v7 offset:3072
	s_mov_b32 s40, -1
	s_mov_b32 s72, -1
	s_wait_loadcnt_dscnt 0x0
	s_barrier_signal -1
	s_barrier_wait -1
	global_inv scope:SCOPE_SE
	v_cmp_ne_u32_e32 vcc_lo, 0, v14
	s_cbranch_vccz .LBB16_159
.LBB16_155:                             ;   in Loop: Header=BB16_156 Depth=2
	s_wait_alu 0xfffe
	s_and_b32 s40, exec_lo, s40
	s_wait_alu 0xfffe
	s_or_b32 s25, s40, s25
	s_and_not1_b32 s28, s28, exec_lo
	s_and_b32 s40, s72, exec_lo
	s_wait_alu 0xfffe
	s_or_b32 s28, s28, s40
	s_and_not1_b32 exec_lo, exec_lo, s25
	s_cbranch_execz .LBB16_160
.LBB16_156:                             ;   Parent Loop BB16_7 Depth=1
                                        ; =>  This Inner Loop Header: Depth=2
	s_mov_b32 s40, exec_lo
	s_delay_alu instid0(VALU_DEP_1)
	v_cmpx_gt_i32_e64 s36, v4
	s_cbranch_execz .LBB16_154
; %bb.157:                              ;   in Loop: Header=BB16_156 Depth=2
	v_ashrrev_i32_e32 v2, 31, v1
	s_delay_alu instid0(VALU_DEP_1) | instskip(NEXT) | instid1(VALU_DEP_1)
	v_lshlrev_b64_e32 v[14:15], 2, v[1:2]
	v_add_co_u32 v14, vcc_lo, s42, v14
	s_wait_alu 0xfffd
	s_delay_alu instid0(VALU_DEP_2) | instskip(SKIP_3) | instid1(VALU_DEP_1)
	v_add_co_ci_u32_e64 v15, null, s43, v15, vcc_lo
	global_load_b32 v14, v[14:15], off
	s_wait_loadcnt 0x0
	v_xor_b32_e32 v2, 0x80000000, v14
	v_and_b32_e32 v2, v2, v32
	s_delay_alu instid0(VALU_DEP_1)
	v_cmp_eq_u32_e32 vcc_lo, v2, v24
	s_and_b32 exec_lo, exec_lo, vcc_lo
	s_cbranch_execz .LBB16_154
; %bb.158:                              ;   in Loop: Header=BB16_156 Depth=2
	ds_store_b64 v7, v[13:14] offset:3072
	s_branch .LBB16_154
.LBB16_159:                             ;   in Loop: Header=BB16_156 Depth=2
	v_add_nc_u32_e32 v4, s50, v4
	v_add_nc_u32_e32 v1, s54, v1
	s_mov_b32 s72, 0
	s_delay_alu instid0(VALU_DEP_2)
	v_cmp_le_i32_e32 vcc_lo, s62, v4
	s_or_not1_b32 s40, vcc_lo, exec_lo
	s_branch .LBB16_155
.LBB16_160:                             ;   in Loop: Header=BB16_7 Depth=1
	s_or_b32 exec_lo, exec_lo, s25
	s_delay_alu instid0(SALU_CYCLE_1)
	s_and_b32 s25, s28, exec_lo
.LBB16_161:                             ;   in Loop: Header=BB16_7 Depth=1
	s_wait_alu 0xfffe
	s_or_b32 exec_lo, exec_lo, s27
.LBB16_162:                             ;   in Loop: Header=BB16_7 Depth=1
	s_wait_alu 0xfffe
	s_and_b32 vcc_lo, exec_lo, s26
	s_wait_alu 0xfffe
	s_cbranch_vccz .LBB16_173
; %bb.163:                              ;   in Loop: Header=BB16_7 Depth=1
	s_add_co_i32 s26, s24, s53
                                        ; implicit-def: $vgpr15
	s_wait_alu 0xfffe
	s_abs_i32 s40, s26
	s_wait_alu 0xfffe
	s_mul_u64 s[20:21], s[40:41], s[46:47]
	s_wait_alu 0xfffe
	s_mul_i32 s20, s21, s50
	s_ashr_i32 s21, s26, 31
	s_wait_alu 0xfffe
	s_sub_co_i32 s20, s40, s20
	s_wait_alu 0xfffe
	s_sub_co_i32 s27, s20, s50
	s_cmp_ge_u32 s20, s50
	s_wait_alu 0xfffe
	s_cselect_b32 s20, s27, s20
	s_wait_alu 0xfffe
	s_sub_co_i32 s27, s20, s50
	s_cmp_ge_u32 s20, s50
	s_wait_alu 0xfffe
	s_cselect_b32 s20, s27, s20
	s_wait_alu 0xfffe
	s_xor_b32 s20, s20, s21
	s_wait_alu 0xfffe
	s_sub_co_i32 s20, s21, s20
	s_wait_alu 0xfffe
	s_add_co_i32 s21, s26, s20
	s_mov_b32 s20, exec_lo
	s_wait_alu 0xfffe
	v_cmpx_gt_i32_e64 s21, v0
	s_cbranch_execz .LBB16_172
; %bb.164:                              ;   in Loop: Header=BB16_7 Depth=1
	v_dual_mov_b32 v1, v18 :: v_dual_mov_b32 v2, v0
	s_mov_b32 s26, 0
                                        ; implicit-def: $sgpr27
	s_branch .LBB16_167
.LBB16_165:                             ;   in Loop: Header=BB16_167 Depth=2
	s_or_b32 exec_lo, exec_lo, s28
	s_wait_loadcnt_dscnt 0x0
	s_barrier_signal -1
	s_barrier_wait -1
	global_inv scope:SCOPE_SE
	ds_load_b64 v[14:15], v7 offset:3072
	s_mov_b32 s28, -1
	s_mov_b32 s40, -1
	s_wait_loadcnt_dscnt 0x0
	s_barrier_signal -1
	s_barrier_wait -1
	global_inv scope:SCOPE_SE
	v_cmp_eq_u32_e32 vcc_lo, 0, v14
	s_cbranch_vccnz .LBB16_170
.LBB16_166:                             ;   in Loop: Header=BB16_167 Depth=2
	s_and_b32 s28, exec_lo, s28
	s_wait_alu 0xfffe
	s_or_b32 s26, s28, s26
	s_and_not1_b32 s27, s27, exec_lo
	s_and_b32 s28, s40, exec_lo
	s_wait_alu 0xfffe
	s_or_b32 s27, s27, s28
	s_and_not1_b32 exec_lo, exec_lo, s26
	s_cbranch_execz .LBB16_171
.LBB16_167:                             ;   Parent Loop BB16_7 Depth=1
                                        ; =>  This Inner Loop Header: Depth=2
	s_mov_b32 s28, exec_lo
	s_delay_alu instid0(VALU_DEP_1)
	v_cmpx_gt_i32_e64 s24, v2
	s_cbranch_execz .LBB16_165
; %bb.168:                              ;   in Loop: Header=BB16_167 Depth=2
	ds_load_b32 v14, v1
	s_wait_dscnt 0x0
	v_xor_b32_e32 v4, 0x80000000, v14
	s_delay_alu instid0(VALU_DEP_1) | instskip(NEXT) | instid1(VALU_DEP_1)
	v_and_b32_e32 v4, v4, v32
	v_cmp_eq_u32_e32 vcc_lo, v4, v24
	s_and_b32 exec_lo, exec_lo, vcc_lo
	s_cbranch_execz .LBB16_165
; %bb.169:                              ;   in Loop: Header=BB16_167 Depth=2
	ds_store_b64 v7, v[13:14] offset:3072
	s_branch .LBB16_165
.LBB16_170:                             ;   in Loop: Header=BB16_167 Depth=2
	v_add_nc_u32_e32 v2, s50, v2
	v_add_nc_u32_e32 v1, s52, v1
	s_mov_b32 s40, 0
	s_delay_alu instid0(VALU_DEP_2)
	v_cmp_le_i32_e32 vcc_lo, s21, v2
	s_or_not1_b32 s28, vcc_lo, exec_lo
	s_branch .LBB16_166
.LBB16_171:                             ;   in Loop: Header=BB16_7 Depth=1
	s_or_b32 exec_lo, exec_lo, s26
	s_delay_alu instid0(SALU_CYCLE_1)
	s_and_not1_b32 s21, s25, exec_lo
	s_wait_alu 0xfffe
	s_and_b32 s24, s27, exec_lo
	s_wait_alu 0xfffe
	s_or_b32 s25, s21, s24
.LBB16_172:                             ;   in Loop: Header=BB16_7 Depth=1
	s_or_b32 exec_lo, exec_lo, s20
	s_mov_b32 s20, 0
	s_mov_b32 s21, -1
.LBB16_173:                             ;   in Loop: Header=BB16_7 Depth=1
	s_wait_alu 0xfffe
	s_or_not1_b32 s24, s25, exec_lo
.LBB16_174:                             ;   in Loop: Header=BB16_7 Depth=1
	s_wait_alu 0xfffe
	s_or_b32 exec_lo, exec_lo, s22
	s_mov_b32 s25, 0
	s_and_saveexec_b32 s22, s24
	s_cbranch_execz .LBB16_224
; %bb.175:                              ;   in Loop: Header=BB16_7 Depth=1
	v_dual_mov_b32 v4, 1 :: v_dual_mov_b32 v3, 1
	s_xor_b32 s24, s23, -1
	s_wait_alu 0xfffe
	s_and_saveexec_b32 s23, s24
	s_cbranch_execz .LBB16_184
; %bb.176:                              ;   in Loop: Header=BB16_7 Depth=1
	s_mov_b32 s24, exec_lo
	v_cmpx_ge_i32_e64 s16, v6
	s_wait_alu 0xfffe
	s_xor_b32 s24, exec_lo, s24
	s_cbranch_execz .LBB16_181
; %bb.177:                              ;   in Loop: Header=BB16_7 Depth=1
	ds_load_b32 v1, v7 offset:4096
	s_lshl_b32 s25, 2, s71
	v_or_b32_e32 v32, s10, v32
	s_wait_alu 0xfffe
	v_and_or_b32 v24, v24, s17, s25
	s_wait_dscnt 0x0
	v_cmp_ne_u32_e32 vcc_lo, 0, v1
	s_cbranch_vccnz .LBB16_181
; %bb.178:                              ;   in Loop: Header=BB16_7 Depth=1
	s_and_saveexec_b32 s17, s2
; %bb.179:                              ;   in Loop: Header=BB16_7 Depth=1
	v_mov_b32_e32 v1, s16
	ds_store_b32 v7, v1 offset:4100
; %bb.180:                              ;   in Loop: Header=BB16_7 Depth=1
	s_wait_alu 0xfffe
	s_or_b32 exec_lo, exec_lo, s17
	s_wait_loadcnt_dscnt 0x0
	s_barrier_signal -1
	s_barrier_wait -1
	global_inv scope:SCOPE_SE
.LBB16_181:                             ;   in Loop: Header=BB16_7 Depth=1
	s_wait_alu 0xfffe
	s_or_saveexec_b32 s17, s24
	v_mov_b32_e32 v3, 8
	s_mov_b32 s24, 0
	s_wait_alu 0xfffe
	s_xor_b32 exec_lo, exec_lo, s17
; %bb.182:                              ;   in Loop: Header=BB16_7 Depth=1
	v_subrev_nc_u32_e32 v6, s16, v6
	v_mov_b32_e32 v3, 0
	s_mov_b32 s24, exec_lo
; %bb.183:                              ;   in Loop: Header=BB16_7 Depth=1
	s_or_b32 exec_lo, exec_lo, s17
	s_delay_alu instid0(VALU_DEP_2)
	v_mov_b32_e32 v4, v6
	s_wait_alu 0xfffe
	s_and_b32 s25, s24, exec_lo
.LBB16_184:                             ;   in Loop: Header=BB16_7 Depth=1
	s_wait_alu 0xfffe
	s_or_b32 exec_lo, exec_lo, s23
	s_mov_b32 s17, -1
                                        ; implicit-def: $sgpr24
                                        ; implicit-def: $sgpr23
	s_and_saveexec_b32 s16, s25
	s_cbranch_execz .LBB16_223
; %bb.185:                              ;   in Loop: Header=BB16_7 Depth=1
	v_cmp_eq_u32_e32 vcc_lo, 1, v4
	s_cmp_eq_u32 s9, 1
	s_mov_b32 s26, -1
	s_cselect_b32 s17, -1, 0
                                        ; implicit-def: $sgpr24
                                        ; implicit-def: $sgpr23
	s_wait_alu 0xfffe
	s_and_b32 s17, s17, vcc_lo
	s_wait_alu 0xfffe
	s_and_saveexec_b32 s25, s17
	s_cbranch_execz .LBB16_211
; %bb.186:                              ;   in Loop: Header=BB16_7 Depth=1
	ds_load_b32 v1, v7 offset:4096
	s_wait_loadcnt_dscnt 0x0
	s_barrier_signal -1
	s_barrier_wait -1
	global_inv scope:SCOPE_SE
	v_readfirstlane_b32 s26, v1
	s_and_saveexec_b32 s23, s0
; %bb.187:                              ;   in Loop: Header=BB16_7 Depth=1
	ds_store_b32 v20, v7
; %bb.188:                              ;   in Loop: Header=BB16_7 Depth=1
	s_wait_alu 0xfffe
	s_or_b32 exec_lo, exec_lo, s23
	v_or_b32_e32 v24, s10, v24
	v_or_b32_e32 v32, s10, v32
	s_mov_b32 s23, -1
	s_mov_b32 s24, 0
	s_cmp_gt_i32 s26, 0
	s_mov_b32 s27, 0
	s_mov_b32 s28, -1
	s_wait_loadcnt_dscnt 0x0
	s_barrier_signal -1
	s_barrier_wait -1
	global_inv scope:SCOPE_SE
                                        ; implicit-def: $vgpr15
	s_cbranch_scc1 .LBB16_199
; %bb.189:                              ;   in Loop: Header=BB16_7 Depth=1
	s_mov_b32 s28, 0
                                        ; implicit-def: $vgpr15
	s_and_saveexec_b32 s40, s8
	s_cbranch_execz .LBB16_198
; %bb.190:                              ;   in Loop: Header=BB16_7 Depth=1
	v_dual_mov_b32 v1, v5 :: v_dual_mov_b32 v6, v0
                                        ; implicit-def: $sgpr72
	s_branch .LBB16_193
.LBB16_191:                             ;   in Loop: Header=BB16_193 Depth=2
	s_wait_alu 0xfffe
	s_or_b32 exec_lo, exec_lo, s73
	s_wait_loadcnt_dscnt 0x0
	s_barrier_signal -1
	s_barrier_wait -1
	global_inv scope:SCOPE_SE
	ds_load_b64 v[14:15], v7 offset:3072
	s_mov_b32 s73, -1
	s_mov_b32 s74, -1
	s_wait_loadcnt_dscnt 0x0
	s_barrier_signal -1
	s_barrier_wait -1
	global_inv scope:SCOPE_SE
	v_cmp_ne_u32_e32 vcc_lo, 0, v14
	s_cbranch_vccz .LBB16_196
.LBB16_192:                             ;   in Loop: Header=BB16_193 Depth=2
	s_wait_alu 0xfffe
	s_and_b32 s73, exec_lo, s73
	s_wait_alu 0xfffe
	s_or_b32 s27, s73, s27
	s_and_not1_b32 s72, s72, exec_lo
	s_and_b32 s73, s74, exec_lo
	s_wait_alu 0xfffe
	s_or_b32 s72, s72, s73
	s_and_not1_b32 exec_lo, exec_lo, s27
	s_cbranch_execz .LBB16_197
.LBB16_193:                             ;   Parent Loop BB16_7 Depth=1
                                        ; =>  This Inner Loop Header: Depth=2
	s_mov_b32 s73, exec_lo
	s_delay_alu instid0(VALU_DEP_1)
	v_cmpx_gt_i32_e64 s36, v6
	s_cbranch_execz .LBB16_191
; %bb.194:                              ;   in Loop: Header=BB16_193 Depth=2
	v_ashrrev_i32_e32 v2, 31, v1
	s_delay_alu instid0(VALU_DEP_1) | instskip(NEXT) | instid1(VALU_DEP_1)
	v_lshlrev_b64_e32 v[14:15], 2, v[1:2]
	v_add_co_u32 v14, vcc_lo, s42, v14
	s_wait_alu 0xfffd
	s_delay_alu instid0(VALU_DEP_2) | instskip(SKIP_3) | instid1(VALU_DEP_1)
	v_add_co_ci_u32_e64 v15, null, s43, v15, vcc_lo
	global_load_b32 v14, v[14:15], off
	s_wait_loadcnt 0x0
	v_xor_b32_e32 v2, 0x80000000, v14
	v_and_b32_e32 v2, v2, v32
	s_delay_alu instid0(VALU_DEP_1)
	v_cmp_eq_u32_e32 vcc_lo, v2, v24
	s_and_b32 exec_lo, exec_lo, vcc_lo
	s_cbranch_execz .LBB16_191
; %bb.195:                              ;   in Loop: Header=BB16_193 Depth=2
	ds_store_b64 v7, v[13:14] offset:3072
	s_branch .LBB16_191
.LBB16_196:                             ;   in Loop: Header=BB16_193 Depth=2
	v_add_nc_u32_e32 v6, s50, v6
	v_add_nc_u32_e32 v1, s54, v1
	s_mov_b32 s74, 0
	s_delay_alu instid0(VALU_DEP_2)
	v_cmp_le_i32_e32 vcc_lo, s62, v6
	s_or_not1_b32 s73, vcc_lo, exec_lo
	s_branch .LBB16_192
.LBB16_197:                             ;   in Loop: Header=BB16_7 Depth=1
	s_or_b32 exec_lo, exec_lo, s27
	s_wait_alu 0xfffe
	s_and_b32 s27, s72, exec_lo
.LBB16_198:                             ;   in Loop: Header=BB16_7 Depth=1
	s_wait_alu 0xfffe
	s_or_b32 exec_lo, exec_lo, s40
.LBB16_199:                             ;   in Loop: Header=BB16_7 Depth=1
	s_delay_alu instid0(SALU_CYCLE_1)
	s_and_b32 vcc_lo, exec_lo, s28
	s_wait_alu 0xfffe
	s_cbranch_vccz .LBB16_210
; %bb.200:                              ;   in Loop: Header=BB16_7 Depth=1
	s_add_co_i32 s24, s26, s53
                                        ; implicit-def: $vgpr15
	s_wait_alu 0xfffe
	s_abs_i32 s40, s24
	s_ashr_i32 s28, s24, 31
	s_wait_alu 0xfffe
	s_mul_u64 s[72:73], s[40:41], s[46:47]
	s_wait_alu 0xfffe
	s_mul_i32 s23, s73, s50
	s_wait_alu 0xfffe
	s_sub_co_i32 s23, s40, s23
	s_wait_alu 0xfffe
	s_sub_co_i32 s40, s23, s50
	s_cmp_ge_u32 s23, s50
	s_wait_alu 0xfffe
	s_cselect_b32 s23, s40, s23
	s_wait_alu 0xfffe
	s_sub_co_i32 s40, s23, s50
	s_cmp_ge_u32 s23, s50
	s_wait_alu 0xfffe
	s_cselect_b32 s23, s40, s23
	s_wait_alu 0xfffe
	s_xor_b32 s23, s23, s28
	s_wait_alu 0xfffe
	s_sub_co_i32 s23, s28, s23
	s_wait_alu 0xfffe
	s_add_co_i32 s24, s24, s23
	s_mov_b32 s23, exec_lo
	s_wait_alu 0xfffe
	v_cmpx_gt_i32_e64 s24, v0
	s_cbranch_execz .LBB16_209
; %bb.201:                              ;   in Loop: Header=BB16_7 Depth=1
	v_dual_mov_b32 v1, v18 :: v_dual_mov_b32 v2, v0
	s_mov_b32 s28, 0
                                        ; implicit-def: $sgpr40
	s_branch .LBB16_204
.LBB16_202:                             ;   in Loop: Header=BB16_204 Depth=2
	s_wait_alu 0xfffe
	s_or_b32 exec_lo, exec_lo, s72
	s_wait_loadcnt_dscnt 0x0
	s_barrier_signal -1
	s_barrier_wait -1
	global_inv scope:SCOPE_SE
	ds_load_b64 v[14:15], v7 offset:3072
	s_mov_b32 s72, -1
	s_mov_b32 s73, -1
	s_wait_loadcnt_dscnt 0x0
	s_barrier_signal -1
	s_barrier_wait -1
	global_inv scope:SCOPE_SE
	v_cmp_eq_u32_e32 vcc_lo, 0, v14
	s_cbranch_vccnz .LBB16_207
.LBB16_203:                             ;   in Loop: Header=BB16_204 Depth=2
	s_wait_alu 0xfffe
	s_and_b32 s72, exec_lo, s72
	s_wait_alu 0xfffe
	s_or_b32 s28, s72, s28
	s_and_not1_b32 s40, s40, exec_lo
	s_and_b32 s72, s73, exec_lo
	s_wait_alu 0xfffe
	s_or_b32 s40, s40, s72
	s_and_not1_b32 exec_lo, exec_lo, s28
	s_cbranch_execz .LBB16_208
.LBB16_204:                             ;   Parent Loop BB16_7 Depth=1
                                        ; =>  This Inner Loop Header: Depth=2
	s_mov_b32 s72, exec_lo
	s_delay_alu instid0(VALU_DEP_1)
	v_cmpx_gt_i32_e64 s26, v2
	s_cbranch_execz .LBB16_202
; %bb.205:                              ;   in Loop: Header=BB16_204 Depth=2
	ds_load_b32 v14, v1
	s_wait_dscnt 0x0
	v_xor_b32_e32 v6, 0x80000000, v14
	s_delay_alu instid0(VALU_DEP_1) | instskip(NEXT) | instid1(VALU_DEP_1)
	v_and_b32_e32 v6, v6, v32
	v_cmp_eq_u32_e32 vcc_lo, v6, v24
	s_and_b32 exec_lo, exec_lo, vcc_lo
	s_cbranch_execz .LBB16_202
; %bb.206:                              ;   in Loop: Header=BB16_204 Depth=2
	ds_store_b64 v7, v[13:14] offset:3072
	s_branch .LBB16_202
.LBB16_207:                             ;   in Loop: Header=BB16_204 Depth=2
	v_add_nc_u32_e32 v2, s50, v2
	v_add_nc_u32_e32 v1, s52, v1
	s_mov_b32 s73, 0
	s_delay_alu instid0(VALU_DEP_2)
	v_cmp_le_i32_e32 vcc_lo, s24, v2
	s_or_not1_b32 s72, vcc_lo, exec_lo
	s_branch .LBB16_203
.LBB16_208:                             ;   in Loop: Header=BB16_7 Depth=1
	s_or_b32 exec_lo, exec_lo, s28
	s_delay_alu instid0(SALU_CYCLE_1)
	s_and_not1_b32 s24, s27, exec_lo
	s_wait_alu 0xfffe
	s_and_b32 s26, s40, exec_lo
	s_wait_alu 0xfffe
	s_or_b32 s27, s24, s26
.LBB16_209:                             ;   in Loop: Header=BB16_7 Depth=1
	s_or_b32 exec_lo, exec_lo, s23
	s_mov_b32 s23, 0
	s_mov_b32 s24, -1
.LBB16_210:                             ;   in Loop: Header=BB16_7 Depth=1
	s_wait_alu 0xfffe
	s_or_not1_b32 s26, s27, exec_lo
.LBB16_211:                             ;   in Loop: Header=BB16_7 Depth=1
	s_wait_alu 0xfffe
	s_or_b32 exec_lo, exec_lo, s25
	s_mov_b32 s27, 0
	s_and_saveexec_b32 s25, s26
	s_cbranch_execz .LBB16_222
; %bb.212:                              ;   in Loop: Header=BB16_7 Depth=1
	v_mov_b32_e32 v3, 1
	v_mov_b32_e32 v1, 1
	s_xor_b32 s26, s17, -1
	s_wait_alu 0xfffe
	s_and_saveexec_b32 s17, s26
	s_cbranch_execz .LBB16_221
; %bb.213:                              ;   in Loop: Header=BB16_7 Depth=1
	s_mov_b32 s26, exec_lo
	v_cmpx_ge_i32_e64 s9, v4
	s_wait_alu 0xfffe
	s_xor_b32 s26, exec_lo, s26
	s_cbranch_execz .LBB16_218
; %bb.214:                              ;   in Loop: Header=BB16_7 Depth=1
	ds_load_b32 v1, v7 offset:4096
	v_or_b32_e32 v24, s10, v24
	v_or_b32_e32 v32, s10, v32
	s_wait_dscnt 0x0
	v_cmp_ne_u32_e32 vcc_lo, 0, v1
	s_cbranch_vccnz .LBB16_218
; %bb.215:                              ;   in Loop: Header=BB16_7 Depth=1
	s_and_saveexec_b32 s10, s2
; %bb.216:                              ;   in Loop: Header=BB16_7 Depth=1
	v_mov_b32_e32 v1, s9
	ds_store_b32 v7, v1 offset:4100
; %bb.217:                              ;   in Loop: Header=BB16_7 Depth=1
	s_wait_alu 0xfffe
	s_or_b32 exec_lo, exec_lo, s10
	s_wait_loadcnt_dscnt 0x0
	s_barrier_signal -1
	s_barrier_wait -1
	global_inv scope:SCOPE_SE
.LBB16_218:                             ;   in Loop: Header=BB16_7 Depth=1
	s_wait_alu 0xfffe
	s_and_not1_saveexec_b32 s10, s26
; %bb.219:                              ;   in Loop: Header=BB16_7 Depth=1
	v_subrev_nc_u32_e32 v4, s9, v4
; %bb.220:                              ;   in Loop: Header=BB16_7 Depth=1
	s_wait_alu 0xfffe
	s_or_b32 exec_lo, exec_lo, s10
	v_mov_b32_e32 v3, 8
	s_delay_alu instid0(VALU_DEP_2)
	v_mov_b32_e32 v1, v4
.LBB16_221:                             ;   in Loop: Header=BB16_7 Depth=1
	s_wait_alu 0xfffe
	s_or_b32 exec_lo, exec_lo, s17
	s_delay_alu instid0(VALU_DEP_1)
	v_mov_b32_e32 v4, v1
	s_mov_b32 s27, exec_lo
.LBB16_222:                             ;   in Loop: Header=BB16_7 Depth=1
	s_wait_alu 0xfffe
	s_or_b32 exec_lo, exec_lo, s25
	s_delay_alu instid0(SALU_CYCLE_1)
	s_or_not1_b32 s17, s27, exec_lo
.LBB16_223:                             ;   in Loop: Header=BB16_7 Depth=1
	s_wait_alu 0xfffe
	s_or_b32 exec_lo, exec_lo, s16
	v_mov_b32_e32 v6, v4
	s_and_not1_b32 s9, s21, exec_lo
	s_and_b32 s10, s24, exec_lo
	s_and_not1_b32 s16, s20, exec_lo
	s_and_b32 s20, s23, exec_lo
	s_wait_alu 0xfffe
	s_or_b32 s21, s9, s10
	s_or_b32 s20, s16, s20
	s_and_b32 s25, s17, exec_lo
.LBB16_224:                             ;   in Loop: Header=BB16_7 Depth=1
	s_wait_alu 0xfffe
	s_or_b32 exec_lo, exec_lo, s22
	s_delay_alu instid0(SALU_CYCLE_1)
	s_or_not1_b32 s22, s25, exec_lo
.LBB16_225:                             ;   in Loop: Header=BB16_7 Depth=1
	s_wait_alu 0xfffe
	s_or_b32 exec_lo, exec_lo, s19
	v_mov_b32_e32 v4, v6
	s_and_not1_b32 s9, s15, exec_lo
	s_and_b32 s10, s21, exec_lo
	s_and_not1_b32 s14, s14, exec_lo
	s_and_b32 s16, s20, exec_lo
	s_wait_alu 0xfffe
	s_or_b32 s15, s9, s10
	s_or_b32 s14, s14, s16
	s_and_b32 s22, s22, exec_lo
.LBB16_226:                             ;   in Loop: Header=BB16_7 Depth=1
	s_wait_alu 0xfffe
	s_or_b32 exec_lo, exec_lo, s18
	s_delay_alu instid0(SALU_CYCLE_1)
	s_or_not1_b32 s18, s22, exec_lo
.LBB16_227:                             ;   in Loop: Header=BB16_7 Depth=1
	s_wait_alu 0xfffe
	s_or_b32 exec_lo, exec_lo, s13
	s_mov_b32 s10, 0
                                        ; implicit-def: $sgpr21
	s_and_saveexec_b32 s9, s18
	s_wait_alu 0xfffe
	s_xor_b32 s9, exec_lo, s9
	s_cbranch_execz .LBB16_5
; %bb.228:                              ;   in Loop: Header=BB16_7 Depth=1
	v_and_b32_e32 v1, 7, v3
	s_mov_b32 s12, -1
	s_mov_b32 s10, -1
	s_mov_b32 s13, exec_lo
                                        ; implicit-def: $sgpr21
	s_delay_alu instid0(VALU_DEP_1)
	v_cmpx_eq_u32_e32 0, v1
	s_cbranch_execz .LBB16_4
; %bb.229:                              ;   in Loop: Header=BB16_7 Depth=1
	s_add_co_i32 s21, s71, -2
	s_cmp_eq_u32 s71, 0
	v_xor_b32_e32 v31, 1, v31
	s_cselect_b32 s12, -1, 0
	s_xor_b32 s10, exec_lo, -1
	s_wait_alu 0xfffe
	s_or_not1_b32 s12, s12, exec_lo
	s_branch .LBB16_4
.LBB16_230:
	s_or_b32 exec_lo, exec_lo, s37
	s_wait_alu 0xfffe
	s_xor_b32 s4, s70, -1
	s_xor_b32 s0, s68, -1
	;; [unrolled: 1-line block ×3, first 2 shown]
	s_mov_b32 s1, 0
	s_and_saveexec_b32 s5, s0
	s_delay_alu instid0(SALU_CYCLE_1)
	s_xor_b32 s0, exec_lo, s5
	s_cbranch_execnz .LBB16_235
; %bb.231:
	s_and_not1_saveexec_b32 s0, s0
	s_cbranch_execnz .LBB16_255
.LBB16_232:
	s_or_b32 exec_lo, exec_lo, s0
	s_and_saveexec_b32 s0, s1
.LBB16_233:
	; divergent unreachable
.LBB16_234:
	s_endpgm
.LBB16_235:
	s_and_saveexec_b32 s1, s4
	s_delay_alu instid0(SALU_CYCLE_1)
	s_xor_b32 s1, exec_lo, s1
	s_cbranch_execz .LBB16_253
; %bb.236:
	s_wait_alu 0xfffe
	s_and_saveexec_b32 s4, s3
	s_delay_alu instid0(SALU_CYCLE_1)
	s_xor_b32 s3, exec_lo, s4
; %bb.237:
	v_xor_b32_e32 v15, 0x80000000, v24
; %bb.238:
	s_wait_alu 0xfffe
	s_or_b32 exec_lo, exec_lo, s3
	s_and_saveexec_b32 s3, s2
; %bb.239:
	v_dual_mov_b32 v1, 0 :: v_dual_mov_b32 v2, s36
	ds_store_b32 v1, v2 offset:4108
; %bb.240:
	s_wait_alu 0xfffe
	s_or_b32 exec_lo, exec_lo, s3
	v_mov_b32_e32 v1, 0
	s_wait_loadcnt_dscnt 0x0
	s_barrier_signal -1
	s_barrier_wait -1
	global_inv scope:SCOPE_SE
	ds_load_b32 v1, v1 offset:4108
	s_mov_b32 s3, exec_lo
	s_wait_dscnt 0x0
	v_min_i32_e32 v1, s36, v1
	s_delay_alu instid0(VALU_DEP_1)
	v_cmpx_lt_i32_e64 v0, v1
	s_cbranch_execz .LBB16_250
; %bb.241:
	s_mov_b32 s4, 0
                                        ; implicit-def: $sgpr5
                                        ; implicit-def: $sgpr7
                                        ; implicit-def: $sgpr6
	s_branch .LBB16_243
.LBB16_242:                             ;   in Loop: Header=BB16_243 Depth=1
	s_wait_alu 0xfffe
	s_or_b32 exec_lo, exec_lo, s8
	s_delay_alu instid0(SALU_CYCLE_1)
	s_and_b32 s8, exec_lo, s7
	s_wait_alu 0xfffe
	s_or_b32 s4, s8, s4
	s_and_not1_b32 s5, s5, exec_lo
	s_and_b32 s8, s6, exec_lo
	s_wait_alu 0xfffe
	s_or_b32 s5, s5, s8
	s_and_not1_b32 exec_lo, exec_lo, s4
	s_cbranch_execz .LBB16_245
.LBB16_243:                             ; =>This Inner Loop Header: Depth=1
	v_ashrrev_i32_e32 v6, 31, v5
	s_or_b32 s6, s6, exec_lo
	s_or_b32 s7, s7, exec_lo
	s_mov_b32 s8, exec_lo
	s_delay_alu instid0(VALU_DEP_1) | instskip(NEXT) | instid1(VALU_DEP_1)
	v_lshlrev_b64_e32 v[2:3], 2, v[5:6]
	v_add_co_u32 v2, vcc_lo, s42, v2
	s_wait_alu 0xfffd
	s_delay_alu instid0(VALU_DEP_2)
	v_add_co_ci_u32_e64 v3, null, s43, v3, vcc_lo
	global_load_b32 v3, v[2:3], off
	v_mov_b32_e32 v2, v0
                                        ; implicit-def: $vgpr0
	s_wait_loadcnt 0x0
	v_cmpx_ne_u32_e64 v3, v15
	s_cbranch_execz .LBB16_242
; %bb.244:                              ;   in Loop: Header=BB16_243 Depth=1
	s_delay_alu instid0(VALU_DEP_2) | instskip(SKIP_3) | instid1(VALU_DEP_2)
	v_add_nc_u32_e32 v0, s50, v2
	v_add_nc_u32_e32 v5, s54, v5
	s_and_not1_b32 s7, s7, exec_lo
	s_and_not1_b32 s6, s6, exec_lo
	v_cmp_ge_i32_e32 vcc_lo, v0, v1
	s_and_b32 s9, vcc_lo, exec_lo
	s_wait_alu 0xfffe
	s_or_b32 s7, s7, s9
	s_branch .LBB16_242
.LBB16_245:
	s_or_b32 exec_lo, exec_lo, s4
	s_and_saveexec_b32 s4, s5
	s_delay_alu instid0(SALU_CYCLE_1)
	s_xor_b32 s4, exec_lo, s4
	s_cbranch_execz .LBB16_250
; %bb.246:
	s_mov_b32 s5, exec_lo
	s_brev_b32 s4, -2
.LBB16_247:                             ; =>This Inner Loop Header: Depth=1
	s_ctz_i32_b32 s6, s5
	s_wait_alu 0xfffe
	v_readlane_b32 s7, v2, s6
	s_lshl_b32 s6, 1, s6
	s_wait_alu 0xfffe
	s_and_not1_b32 s5, s5, s6
	s_min_i32 s4, s4, s7
	s_cmp_lg_u32 s5, 0
	s_cbranch_scc1 .LBB16_247
; %bb.248:
	v_mbcnt_lo_u32_b32 v0, exec_lo, 0
	s_mov_b32 s5, exec_lo
	s_delay_alu instid0(VALU_DEP_1)
	v_cmpx_eq_u32_e32 0, v0
	s_xor_b32 s5, exec_lo, s5
; %bb.249:
	v_dual_mov_b32 v0, 0 :: v_dual_mov_b32 v1, s4
	ds_min_i32 v0, v1 offset:4108
.LBB16_250:
	s_wait_alu 0xfffe
	s_or_b32 exec_lo, exec_lo, s3
	s_wait_loadcnt_dscnt 0x0
	s_barrier_signal -1
	s_barrier_wait -1
	global_inv scope:SCOPE_SE
	s_and_saveexec_b32 s3, s2
	s_cbranch_execz .LBB16_252
; %bb.251:
	v_mov_b32_e32 v2, 0
	s_mul_i32 s6, s33, s29
	s_mul_i32 s4, s38, s29
	s_wait_alu 0xfffe
	s_ashr_i32 s7, s6, 31
	s_ashr_i32 s5, s4, 31
	ds_load_b32 v0, v2 offset:4108
	s_wait_alu 0xfffe
	s_lshl_b64 s[6:7], s[6:7], 3
	s_lshl_b64 s[4:5], s[4:5], 2
	s_wait_alu 0xfffe
	s_add_nc_u64 s[6:7], s[30:31], s[6:7]
	s_add_nc_u64 s[4:5], s[34:35], s[4:5]
	s_wait_dscnt 0x0
	v_ashrrev_i32_e32 v1, 31, v0
	s_clause 0x1
	global_store_b64 v2, v[0:1], s[6:7]
	global_store_b32 v2, v15, s[4:5]
.LBB16_252:
	s_wait_alu 0xfffe
	s_or_b32 exec_lo, exec_lo, s3
.LBB16_253:
	s_or_saveexec_b32 s1, s1
	s_mov_b32 s2, 0
	s_xor_b32 exec_lo, exec_lo, s1
	s_cbranch_execnz .LBB16_256
.LBB16_254:
	s_or_b32 exec_lo, exec_lo, s1
	s_wait_alu 0xfffe
	s_and_b32 s1, s2, exec_lo
	s_and_not1_saveexec_b32 s0, s0
	s_cbranch_execz .LBB16_232
.LBB16_255:
	s_or_b32 s1, s1, exec_lo
	s_trap 2
	s_or_b32 exec_lo, exec_lo, s0
	s_and_saveexec_b32 s0, s1
	s_cbranch_execnz .LBB16_233
	s_branch .LBB16_234
.LBB16_256:
	s_mov_b32 s2, exec_lo
	s_trap 2
	s_branch .LBB16_254
	.section	.rodata,"a",@progbits
	.p2align	6, 0x0
	.amdhsa_kernel _ZN2at6native12_GLOBAL__N_114gatherKthValueIiiLi1EEEvNS_4cuda6detail10TensorInfoIKT_T0_EES8_S8_S8_S8_NS5_IS6_S8_EENS5_IlS8_EE
		.amdhsa_group_segment_fixed_size 4112
		.amdhsa_private_segment_fixed_size 0
		.amdhsa_kernarg_size 920
		.amdhsa_user_sgpr_count 2
		.amdhsa_user_sgpr_dispatch_ptr 0
		.amdhsa_user_sgpr_queue_ptr 0
		.amdhsa_user_sgpr_kernarg_segment_ptr 1
		.amdhsa_user_sgpr_dispatch_id 0
		.amdhsa_user_sgpr_private_segment_size 0
		.amdhsa_wavefront_size32 1
		.amdhsa_uses_dynamic_stack 0
		.amdhsa_enable_private_segment 0
		.amdhsa_system_sgpr_workgroup_id_x 1
		.amdhsa_system_sgpr_workgroup_id_y 1
		.amdhsa_system_sgpr_workgroup_id_z 1
		.amdhsa_system_sgpr_workgroup_info 0
		.amdhsa_system_vgpr_workitem_id 0
		.amdhsa_next_free_vgpr 44
		.amdhsa_next_free_sgpr 79
		.amdhsa_reserve_vcc 1
		.amdhsa_float_round_mode_32 0
		.amdhsa_float_round_mode_16_64 0
		.amdhsa_float_denorm_mode_32 3
		.amdhsa_float_denorm_mode_16_64 3
		.amdhsa_fp16_overflow 0
		.amdhsa_workgroup_processor_mode 1
		.amdhsa_memory_ordered 1
		.amdhsa_forward_progress 1
		.amdhsa_inst_pref_size 83
		.amdhsa_round_robin_scheduling 0
		.amdhsa_exception_fp_ieee_invalid_op 0
		.amdhsa_exception_fp_denorm_src 0
		.amdhsa_exception_fp_ieee_div_zero 0
		.amdhsa_exception_fp_ieee_overflow 0
		.amdhsa_exception_fp_ieee_underflow 0
		.amdhsa_exception_fp_ieee_inexact 0
		.amdhsa_exception_int_div_zero 0
	.end_amdhsa_kernel
	.section	.text._ZN2at6native12_GLOBAL__N_114gatherKthValueIiiLi1EEEvNS_4cuda6detail10TensorInfoIKT_T0_EES8_S8_S8_S8_NS5_IS6_S8_EENS5_IlS8_EE,"axG",@progbits,_ZN2at6native12_GLOBAL__N_114gatherKthValueIiiLi1EEEvNS_4cuda6detail10TensorInfoIKT_T0_EES8_S8_S8_S8_NS5_IS6_S8_EENS5_IlS8_EE,comdat
.Lfunc_end16:
	.size	_ZN2at6native12_GLOBAL__N_114gatherKthValueIiiLi1EEEvNS_4cuda6detail10TensorInfoIKT_T0_EES8_S8_S8_S8_NS5_IS6_S8_EENS5_IlS8_EE, .Lfunc_end16-_ZN2at6native12_GLOBAL__N_114gatherKthValueIiiLi1EEEvNS_4cuda6detail10TensorInfoIKT_T0_EES8_S8_S8_S8_NS5_IS6_S8_EENS5_IlS8_EE
                                        ; -- End function
	.set _ZN2at6native12_GLOBAL__N_114gatherKthValueIiiLi1EEEvNS_4cuda6detail10TensorInfoIKT_T0_EES8_S8_S8_S8_NS5_IS6_S8_EENS5_IlS8_EE.num_vgpr, 44
	.set _ZN2at6native12_GLOBAL__N_114gatherKthValueIiiLi1EEEvNS_4cuda6detail10TensorInfoIKT_T0_EES8_S8_S8_S8_NS5_IS6_S8_EENS5_IlS8_EE.num_agpr, 0
	.set _ZN2at6native12_GLOBAL__N_114gatherKthValueIiiLi1EEEvNS_4cuda6detail10TensorInfoIKT_T0_EES8_S8_S8_S8_NS5_IS6_S8_EENS5_IlS8_EE.numbered_sgpr, 79
	.set _ZN2at6native12_GLOBAL__N_114gatherKthValueIiiLi1EEEvNS_4cuda6detail10TensorInfoIKT_T0_EES8_S8_S8_S8_NS5_IS6_S8_EENS5_IlS8_EE.num_named_barrier, 0
	.set _ZN2at6native12_GLOBAL__N_114gatherKthValueIiiLi1EEEvNS_4cuda6detail10TensorInfoIKT_T0_EES8_S8_S8_S8_NS5_IS6_S8_EENS5_IlS8_EE.private_seg_size, 0
	.set _ZN2at6native12_GLOBAL__N_114gatherKthValueIiiLi1EEEvNS_4cuda6detail10TensorInfoIKT_T0_EES8_S8_S8_S8_NS5_IS6_S8_EENS5_IlS8_EE.uses_vcc, 1
	.set _ZN2at6native12_GLOBAL__N_114gatherKthValueIiiLi1EEEvNS_4cuda6detail10TensorInfoIKT_T0_EES8_S8_S8_S8_NS5_IS6_S8_EENS5_IlS8_EE.uses_flat_scratch, 0
	.set _ZN2at6native12_GLOBAL__N_114gatherKthValueIiiLi1EEEvNS_4cuda6detail10TensorInfoIKT_T0_EES8_S8_S8_S8_NS5_IS6_S8_EENS5_IlS8_EE.has_dyn_sized_stack, 0
	.set _ZN2at6native12_GLOBAL__N_114gatherKthValueIiiLi1EEEvNS_4cuda6detail10TensorInfoIKT_T0_EES8_S8_S8_S8_NS5_IS6_S8_EENS5_IlS8_EE.has_recursion, 0
	.set _ZN2at6native12_GLOBAL__N_114gatherKthValueIiiLi1EEEvNS_4cuda6detail10TensorInfoIKT_T0_EES8_S8_S8_S8_NS5_IS6_S8_EENS5_IlS8_EE.has_indirect_call, 0
	.section	.AMDGPU.csdata,"",@progbits
; Kernel info:
; codeLenInByte = 10592
; TotalNumSgprs: 81
; NumVgprs: 44
; ScratchSize: 0
; MemoryBound: 0
; FloatMode: 240
; IeeeMode: 1
; LDSByteSize: 4112 bytes/workgroup (compile time only)
; SGPRBlocks: 0
; VGPRBlocks: 5
; NumSGPRsForWavesPerEU: 81
; NumVGPRsForWavesPerEU: 44
; Occupancy: 16
; WaveLimiterHint : 1
; COMPUTE_PGM_RSRC2:SCRATCH_EN: 0
; COMPUTE_PGM_RSRC2:USER_SGPR: 2
; COMPUTE_PGM_RSRC2:TRAP_HANDLER: 0
; COMPUTE_PGM_RSRC2:TGID_X_EN: 1
; COMPUTE_PGM_RSRC2:TGID_Y_EN: 1
; COMPUTE_PGM_RSRC2:TGID_Z_EN: 1
; COMPUTE_PGM_RSRC2:TIDIG_COMP_CNT: 0
	.section	.text._ZN2at6native12_GLOBAL__N_114gatherKthValueIiiLi2EEEvNS_4cuda6detail10TensorInfoIKT_T0_EES8_S8_S8_S8_NS5_IS6_S8_EENS5_IlS8_EE,"axG",@progbits,_ZN2at6native12_GLOBAL__N_114gatherKthValueIiiLi2EEEvNS_4cuda6detail10TensorInfoIKT_T0_EES8_S8_S8_S8_NS5_IS6_S8_EENS5_IlS8_EE,comdat
	.globl	_ZN2at6native12_GLOBAL__N_114gatherKthValueIiiLi2EEEvNS_4cuda6detail10TensorInfoIKT_T0_EES8_S8_S8_S8_NS5_IS6_S8_EENS5_IlS8_EE ; -- Begin function _ZN2at6native12_GLOBAL__N_114gatherKthValueIiiLi2EEEvNS_4cuda6detail10TensorInfoIKT_T0_EES8_S8_S8_S8_NS5_IS6_S8_EENS5_IlS8_EE
	.p2align	8
	.type	_ZN2at6native12_GLOBAL__N_114gatherKthValueIiiLi2EEEvNS_4cuda6detail10TensorInfoIKT_T0_EES8_S8_S8_S8_NS5_IS6_S8_EENS5_IlS8_EE,@function
_ZN2at6native12_GLOBAL__N_114gatherKthValueIiiLi2EEEvNS_4cuda6detail10TensorInfoIKT_T0_EES8_S8_S8_S8_NS5_IS6_S8_EENS5_IlS8_EE: ; @_ZN2at6native12_GLOBAL__N_114gatherKthValueIiiLi2EEEvNS_4cuda6detail10TensorInfoIKT_T0_EES8_S8_S8_S8_NS5_IS6_S8_EENS5_IlS8_EE
; %bb.0:
	s_clause 0x1
	s_load_b64 s[4:5], s[0:1], 0x298
	s_load_b128 s[36:39], s[0:1], 0xd8
	s_lshr_b32 s2, ttmp7, 16
	s_and_b32 s3, ttmp7, 0xffff
	s_wait_kmcnt 0x0
	s_mul_i32 s2, s5, s2
	s_delay_alu instid0(SALU_CYCLE_1) | instskip(NEXT) | instid1(SALU_CYCLE_1)
	s_add_co_i32 s2, s2, s3
	s_mul_i32 s33, s2, s4
	s_delay_alu instid0(SALU_CYCLE_1) | instskip(NEXT) | instid1(SALU_CYCLE_1)
	s_add_co_i32 s33, s33, ttmp9
	s_cmp_ge_i32 s33, s38
	s_cbranch_scc1 .LBB17_234
; %bb.1:
	s_clause 0x4
	s_load_b32 s5, s[0:1], 0xc
	s_load_b32 s58, s[0:1], 0xf4
	;; [unrolled: 1-line block ×3, first 2 shown]
	s_load_b64 s[6:7], s[0:1], 0x6c
	s_load_b64 s[30:31], s[0:1], 0x154
	s_mov_b32 s51, 0
	s_abs_i32 s40, s33
	s_mov_b32 s41, s51
	s_add_nc_u64 s[10:11], s[0:1], 0x298
	s_ashr_i32 s61, s33, 31
	s_wait_kmcnt 0x0
	s_abs_i32 s14, s5
	s_abs_i32 s60, s58
	s_cvt_f32_u32 s2, s14
	s_abs_i32 s59, s38
	s_cvt_f32_u32 s3, s60
	s_cvt_f32_u32 s8, s59
	v_rcp_iflag_f32_e32 v1, s2
	s_sub_co_i32 s13, 0, s14
	v_rcp_iflag_f32_e32 v2, s3
	v_rcp_iflag_f32_e32 v3, s8
	s_clause 0x1
	s_load_b64 s[8:9], s[0:1], 0x0
	s_load_b64 s[34:35], s[0:1], 0x22c
	s_sub_co_i32 s16, 0, s60
	s_ashr_i32 s15, s5, 31
	s_delay_alu instid0(TRANS32_DEP_3) | instskip(NEXT) | instid1(TRANS32_DEP_2)
	v_readfirstlane_b32 s2, v1
	v_readfirstlane_b32 s3, v2
	s_delay_alu instid0(TRANS32_DEP_1)
	v_readfirstlane_b32 s12, v3
	s_mul_f32 s2, s2, 0x4f7ffffe
	s_mul_f32 s3, s3, 0x4f7ffffe
	;; [unrolled: 1-line block ×3, first 2 shown]
	s_wait_alu 0xfffe
	s_cvt_u32_f32 s2, s2
	s_cvt_u32_f32 s17, s3
	;; [unrolled: 1-line block ×3, first 2 shown]
	s_wait_alu 0xfffe
	s_mul_i32 s13, s13, s2
	s_sub_co_i32 s3, 0, s59
	s_mul_hi_u32 s13, s2, s13
	s_wait_alu 0xfffe
	s_mul_i32 s3, s3, s12
	s_add_co_i32 s50, s2, s13
	s_mul_i32 s16, s16, s17
	s_wait_alu 0xfffe
	s_mul_hi_u32 s13, s12, s3
	s_mul_u64 s[2:3], s[40:41], s[50:51]
	v_cmp_eq_u32_e64 s2, 0, v0
	s_mul_hi_u32 s16, s17, s16
	s_add_co_i32 s12, s12, s13
	s_add_co_i32 s50, s17, s16
	s_mov_b32 s13, s51
	s_wait_alu 0xfffe
	s_and_saveexec_b32 s16, s2
; %bb.2:
	v_dual_mov_b32 v1, 0 :: v_dual_mov_b32 v2, s36
	s_delay_alu instid0(VALU_DEP_1)
	v_mov_b32_e32 v3, v1
	ds_store_b96 v1, v[1:3] offset:4096
; %bb.3:
	s_or_b32 exec_lo, exec_lo, s16
	s_mul_i32 s16, s3, s14
	s_ashr_i32 s63, s58, 31
	s_sub_co_i32 s16, s40, s16
	s_ashr_i32 s62, s38, 31
	s_xor_b32 s15, s61, s15
	s_add_co_i32 s17, s3, 1
	s_sub_co_i32 s18, s16, s14
	s_cmp_ge_u32 s16, s14
	s_wait_dscnt 0x0
	s_cselect_b32 s3, s17, s3
	s_cselect_b32 s16, s18, s16
	s_wait_alu 0xfffe
	s_add_co_i32 s17, s3, 1
	s_cmp_ge_u32 s16, s14
	s_barrier_signal -1
	s_barrier_wait -1
	global_inv scope:SCOPE_SE
	s_load_b32 s14, s[10:11], 0xc
	s_cselect_b32 s3, s17, s3
	s_mul_u64 s[46:47], s[40:41], s[50:51]
	s_wait_alu 0xfffe
	s_xor_b32 s3, s3, s15
	s_mul_u64 s[28:29], s[40:41], s[12:13]
	s_wait_alu 0xfffe
	s_sub_co_i32 s3, s3, s15
	s_clause 0x1
	s_load_b64 s[42:43], s[0:1], 0x1c0
	s_load_b64 s[44:45], s[0:1], 0xe8
	s_mul_i32 s5, s3, s5
	s_mul_i32 s3, s3, s6
	s_sub_co_i32 s5, s33, s5
	v_mbcnt_lo_u32_b32 v18, -1, 0
	s_mul_i32 s5, s5, s7
	v_cmp_gt_u32_e32 vcc_lo, 32, v0
	s_wait_alu 0xfffe
	s_add_co_i32 s6, s3, s5
	v_mov_b32_e32 v7, 0
	s_ashr_i32 s7, s6, 31
	v_mul_lo_u32 v5, s39, v0
	s_lshl_b64 s[0:1], s[6:7], 2
	s_delay_alu instid0(VALU_DEP_2)
	v_dual_mov_b32 v6, v7 :: v_dual_lshlrev_b32 v19, 2, v0
	s_wait_kmcnt 0x0
	s_and_b32 s41, s14, 0xffff
	s_add_nc_u64 s[48:49], s[8:9], s[0:1]
	s_lshl_b32 s46, s41, 2
	v_cmp_gt_i32_e64 s0, 4, v18
	s_cvt_f32_u32 s1, s46
	s_add_co_i32 s64, s41, -1
	s_bfe_u32 s3, s14, 0xb0005
	s_add_co_i32 s74, s64, s36
	v_rcp_iflag_f32_e32 v1, s1
	s_and_b32 s66, vcc_lo, s0
	s_cmp_gt_i32 s36, 0x300
	s_mov_b32 s12, s39
	s_cselect_b32 s67, -1, 0
	s_cmp_gt_u32 s41, 31
	v_mad_co_u64_u32 v[12:13], null, s39, v19, s[12:13]
	s_cselect_b32 s68, -1, 0
	s_cmp_lt_u32 ttmp9, s4
	s_delay_alu instid0(TRANS32_DEP_1)
	v_readfirstlane_b32 s5, v1
	s_cselect_b32 s50, 12, 18
	s_wait_alu 0xfffe
	s_add_co_i32 s4, s3, -1
	s_bfe_u32 s69, s41, 0x30005
	s_and_b32 s4, s4, 0xffff
	v_lshlrev_b64_e32 v[1:2], 2, v[5:6]
	s_cmp_gt_u32 s4, 6
	s_mul_f32 s4, s5, 0x4f7ffffe
	s_cselect_b32 s70, -1, 0
	s_and_b32 s71, s3, 0x7f8
	s_cmp_lg_u32 s69, 0
	s_cvt_u32_f32 s3, s4
	s_cselect_b32 s72, -1, 0
	s_sub_co_i32 s4, 0, s46
	v_add_co_u32 v8, vcc_lo, s48, v1
	s_wait_alu 0xfffe
	s_mul_i32 s4, s4, s3
	v_add_co_ci_u32_e64 v9, null, s49, v2, vcc_lo
	s_mul_hi_u32 s4, s3, s4
	v_lshlrev_b64_e64 v[1:2], v18, -1
	s_add_co_i32 s52, s3, s4
	s_cvt_f32_u32 s3, s41
	s_mul_hi_u32 s4, s36, s52
	v_lshrrev_b32_e32 v2, 1, v0
	s_mul_i32 s4, s4, s46
	s_wait_alu 0xfffe
	v_rcp_iflag_f32_e32 v3, s3
	s_sub_co_i32 s4, s36, s4
	v_not_b32_e32 v22, v1
	s_sub_co_i32 s5, s4, s46
	s_cmp_ge_u32 s4, s46
	v_mov_b32_e32 v24, 0
	s_cselect_b32 s4, s5, s4
	v_cmp_eq_u32_e64 s0, 0, v18
	s_sub_co_i32 s6, s4, s46
	s_cmp_ge_u32 s4, s46
	v_readfirstlane_b32 s5, v3
	s_cselect_b32 s9, s6, s4
	s_sub_co_i32 s6, 0, s41
	s_wait_alu 0xfffe
	s_sub_co_i32 s73, s36, s9
	s_abs_i32 s7, s74
	s_mul_f32 s5, s5, 0x4f7ffffe
	v_add_nc_u32_e32 v21, s73, v0
	v_or_b32_e32 v3, 3, v19
	v_cmp_gt_u32_e64 s1, 2, v0
	s_cvt_u32_f32 s5, s5
	v_add_nc_u32_e32 v20, 0xc00, v19
	v_mul_lo_u32 v1, v21, s39
	v_mul_lo_u32 v26, s39, v3
	s_mul_i32 s6, s6, s5
	v_cmp_gt_u32_e64 s3, s36, v0
	s_mul_hi_u32 s6, s5, s6
	v_cmp_gt_i32_e64 s4, s36, v0
	s_add_co_i32 s54, s5, s6
	s_movk_i32 s5, 0x1f0
	s_mul_hi_u32 s6, s7, s54
	v_and_or_b32 v23, v2, s5, 0xc00
	v_ashrrev_i32_e32 v2, 31, v1
	s_mul_i32 s6, s6, s41
	v_dual_mov_b32 v32, 0 :: v_dual_lshlrev_b32 v27, 2, v5
	s_sub_co_i32 s5, s7, s6
	s_delay_alu instid0(VALU_DEP_2)
	v_lshlrev_b64_e32 v[1:2], 2, v[1:2]
	s_ashr_i32 s7, s74, 31
	s_wait_alu 0xfffe
	s_sub_co_i32 s6, s5, s41
	s_cmp_ge_u32 s5, s41
	v_lshlrev_b32_e32 v29, 4, v0
	s_cselect_b32 s6, s6, s5
	v_add_co_u32 v10, vcc_lo, s48, v1
	v_add3_u32 v1, s41, s36, v0
	s_sub_co_i32 s8, s6, s41
	s_cmp_ge_u32 s6, s41
	s_wait_alu 0xfffd
	v_add_co_ci_u32_e64 v11, null, s49, v2, vcc_lo
	s_wait_alu 0xfffe
	s_cselect_b32 s8, s8, s6
	v_or_b32_e32 v2, 2, v19
	v_subrev_nc_u32_e32 v1, s9, v1
	s_wait_alu 0xfffe
	s_xor_b32 s8, s8, s7
	v_cmp_gt_i32_e64 s5, s73, v19
	s_wait_alu 0xfffe
	s_sub_co_i32 s8, s7, s8
	v_mul_lo_u32 v25, s39, v2
	v_mul_lo_u32 v28, s39, v1
	s_wait_alu 0xfffe
	s_add_co_i32 s74, s74, s8
	v_cmp_gt_u32_e64 s6, s36, v21
	v_cmp_gt_i32_e64 s7, s36, v21
	v_cmp_gt_i32_e64 s8, s74, v0
	v_lshl_or_b32 v30, v18, 2, 0xc00
	v_mov_b32_e32 v33, s37
	v_mov_b32_e32 v13, 1
	;; [unrolled: 1-line block ×4, first 2 shown]
	s_mul_i32 s65, s39, s41
	s_mov_b32 s53, s51
	s_mov_b32 s55, s51
	s_lshl_b32 s75, s65, 2
	s_lshl_b32 s76, s41, 4
	s_mov_b32 s83, 30
	s_add_nc_u64 s[56:57], s[10:11], s[50:51]
	s_mov_b32 s37, s51
                                        ; implicit-def: $sgpr80
                                        ; implicit-def: $sgpr82
                                        ; implicit-def: $sgpr77
                                        ; implicit-def: $sgpr79
                                        ; implicit-def: $sgpr81
                                        ; implicit-def: $sgpr78
	s_branch .LBB17_7
.LBB17_4:                               ;   in Loop: Header=BB17_7 Depth=1
	s_wait_alu 0xfffe
	s_or_b32 exec_lo, exec_lo, s13
	s_delay_alu instid0(SALU_CYCLE_1)
	s_and_b32 s10, s10, exec_lo
	s_and_not1_b32 s15, s15, exec_lo
	s_and_not1_b32 s14, s14, exec_lo
	s_or_not1_b32 s12, s12, exec_lo
.LBB17_5:                               ;   in Loop: Header=BB17_7 Depth=1
	s_wait_alu 0xfffe
	s_or_b32 exec_lo, exec_lo, s9
	s_delay_alu instid0(SALU_CYCLE_1)
	s_and_not1_b32 s9, s78, exec_lo
	s_and_b32 s10, s10, exec_lo
	s_and_not1_b32 s13, s79, exec_lo
	s_wait_alu 0xfffe
	s_or_b32 s78, s9, s10
	s_and_not1_b32 s9, s81, exec_lo
	s_and_b32 s10, s15, exec_lo
	s_and_b32 s14, s14, exec_lo
	s_wait_alu 0xfffe
	s_or_b32 s81, s9, s10
	s_or_b32 s79, s13, s14
	s_or_not1_b32 s13, s12, exec_lo
.LBB17_6:                               ;   in Loop: Header=BB17_7 Depth=1
	s_wait_alu 0xfffe
	s_or_b32 exec_lo, exec_lo, s11
	s_delay_alu instid0(SALU_CYCLE_1)
	s_and_b32 s9, exec_lo, s13
	v_mov_b32_e32 v33, v4
	s_wait_alu 0xfffe
	s_or_b32 s37, s9, s37
	s_and_not1_b32 s9, s77, exec_lo
	s_and_b32 s10, s78, exec_lo
	s_and_not1_b32 s11, s82, exec_lo
	s_wait_alu 0xfffe
	s_or_b32 s77, s9, s10
	s_and_b32 s9, s81, exec_lo
	s_and_not1_b32 s10, s80, exec_lo
	s_and_b32 s12, s79, exec_lo
	s_wait_alu 0xfffe
	s_or_b32 s82, s11, s9
	s_or_b32 s80, s10, s12
	s_mov_b32 s83, s21
	s_and_not1_b32 exec_lo, exec_lo, s37
	s_cbranch_execz .LBB17_230
.LBB17_7:                               ; =>This Loop Header: Depth=1
                                        ;     Child Loop BB17_13 Depth 2
                                        ;     Child Loop BB17_28 Depth 2
	;; [unrolled: 1-line block ×16, first 2 shown]
	ds_load_b64 v[1:2], v7 offset:4096
	s_wait_dscnt 0x0
	v_readfirstlane_b32 s50, v1
	s_cmp_gt_i32 s50, 0
	s_cbranch_scc1 .LBB17_35
; %bb.8:                                ;   in Loop: Header=BB17_7 Depth=1
	s_and_b32 vcc_lo, exec_lo, s67
	s_wait_alu 0xfffe
	s_cbranch_vccz .LBB17_21
; %bb.9:                                ;   in Loop: Header=BB17_7 Depth=1
	v_cmp_gt_i32_e32 vcc_lo, 0x301, v2
	s_mov_b32 s10, 0
	s_mov_b32 s9, 0
	s_cbranch_vccz .LBB17_22
; %bb.10:                               ;   in Loop: Header=BB17_7 Depth=1
	s_and_saveexec_b32 s11, s3
	s_cbranch_execz .LBB17_67
; %bb.11:                               ;   in Loop: Header=BB17_7 Depth=1
	global_load_b32 v1, v[8:9], off
	s_load_u16 s12, s[56:57], 0x0
	s_mov_b32 s14, 0
	s_wait_kmcnt 0x0
	v_add_nc_u32_e32 v2, s12, v0
	s_mul_i32 s13, s39, s12
	s_delay_alu instid0(VALU_DEP_1)
	v_mul_lo_u32 v6, s39, v2
	v_mov_b32_e32 v2, v0
	s_branch .LBB17_13
.LBB17_12:                              ;   in Loop: Header=BB17_13 Depth=2
	s_wait_alu 0xfffe
	s_or_b32 exec_lo, exec_lo, s9
	v_cmp_le_i32_e32 vcc_lo, s36, v2
	v_dual_mov_b32 v1, v3 :: v_dual_add_nc_u32 v6, s13, v6
	s_or_b32 s14, vcc_lo, s14
	s_wait_alu 0xfffe
	s_and_not1_b32 exec_lo, exec_lo, s14
	s_cbranch_execz .LBB17_67
.LBB17_13:                              ;   Parent Loop BB17_7 Depth=1
                                        ; =>  This Inner Loop Header: Depth=2
	s_delay_alu instid0(VALU_DEP_1) | instskip(SKIP_3) | instid1(VALU_DEP_2)
	v_dual_mov_b32 v3, 0 :: v_dual_add_nc_u32 v2, s12, v2
	s_wait_dscnt 0x0
	v_mov_b32_e32 v4, 0
	s_mov_b32 s9, exec_lo
	v_cmpx_gt_u32_e64 s36, v2
	s_cbranch_execz .LBB17_15
; %bb.14:                               ;   in Loop: Header=BB17_13 Depth=2
	v_lshlrev_b64_e32 v[16:17], 2, v[6:7]
	s_delay_alu instid0(VALU_DEP_1) | instskip(SKIP_1) | instid1(VALU_DEP_2)
	v_add_co_u32 v16, vcc_lo, s48, v16
	s_wait_alu 0xfffd
	v_add_co_ci_u32_e64 v17, null, s49, v17, vcc_lo
	global_load_b32 v3, v[16:17], off
.LBB17_15:                              ;   in Loop: Header=BB17_13 Depth=2
	s_wait_alu 0xfffe
	s_or_b32 exec_lo, exec_lo, s9
	s_wait_loadcnt 0x0
	v_xor_b32_e32 v14, 0x80000000, v1
	s_delay_alu instid0(VALU_DEP_1) | instskip(NEXT) | instid1(VALU_DEP_1)
	v_and_b32_e32 v14, v14, v32
	v_cmp_eq_u32_e32 vcc_lo, v14, v24
	s_cmp_lg_u32 vcc_lo, 0
	s_cselect_b32 s9, -1, 0
	s_wait_alu 0xfffe
	s_and_b32 s9, s0, s9
	s_wait_alu 0xfffe
	s_and_saveexec_b32 s15, s9
	s_cbranch_execz .LBB17_19
; %bb.16:                               ;   in Loop: Header=BB17_13 Depth=2
	s_mov_b32 s18, exec_lo
	s_bcnt1_i32_b32 s16, vcc_lo
	s_wait_alu 0xfffe
	v_mbcnt_lo_u32_b32 v4, s18, 0
	s_mov_b32 s17, exec_lo
                                        ; implicit-def: $vgpr14
	s_delay_alu instid0(VALU_DEP_1)
	v_cmpx_eq_u32_e32 0, v4
; %bb.17:                               ;   in Loop: Header=BB17_13 Depth=2
	s_bcnt1_i32_b32 s9, s18
	s_wait_alu 0xfffe
	s_mul_i32 s9, s16, s9
	s_wait_alu 0xfffe
	v_mov_b32_e32 v14, s9
	ds_add_rtn_u32 v14, v7, v14 offset:4104
; %bb.18:                               ;   in Loop: Header=BB17_13 Depth=2
	s_or_b32 exec_lo, exec_lo, s17
	s_wait_dscnt 0x0
	v_readfirstlane_b32 s9, v14
	s_wait_alu 0xf1ff
	s_delay_alu instid0(VALU_DEP_1)
	v_mad_u32_u24 v4, s16, v4, s9
.LBB17_19:                              ;   in Loop: Header=BB17_13 Depth=2
	s_wait_alu 0xfffe
	s_or_b32 exec_lo, exec_lo, s15
	ds_bpermute_b32 v4, v7, v4
	s_and_saveexec_b32 s9, vcc_lo
	s_cbranch_execz .LBB17_12
; %bb.20:                               ;   in Loop: Header=BB17_13 Depth=2
	v_and_b32_e32 v14, vcc_lo, v22
	s_delay_alu instid0(VALU_DEP_1) | instskip(NEXT) | instid1(VALU_DEP_1)
	v_bcnt_u32_b32 v14, v14, 0
	v_lshlrev_b32_e32 v14, 2, v14
	s_wait_dscnt 0x0
	s_delay_alu instid0(VALU_DEP_1)
	v_lshl_add_u32 v4, v4, 2, v14
	ds_store_b32 v4, v1
	s_branch .LBB17_12
.LBB17_21:                              ;   in Loop: Header=BB17_7 Depth=1
	s_mov_b32 s10, -1
	s_mov_b32 s9, 0
.LBB17_22:                              ;   in Loop: Header=BB17_7 Depth=1
	s_wait_alu 0xfffe
	s_and_b32 vcc_lo, exec_lo, s10
	s_wait_alu 0xfffe
	s_cbranch_vccz .LBB17_33
.LBB17_23:                              ;   in Loop: Header=BB17_7 Depth=1
	v_mov_b32_e32 v1, 0
	s_and_saveexec_b32 s9, s3
	s_cbranch_execz .LBB17_25
; %bb.24:                               ;   in Loop: Header=BB17_7 Depth=1
	global_load_b32 v1, v[8:9], off
.LBB17_25:                              ;   in Loop: Header=BB17_7 Depth=1
	s_wait_alu 0xfffe
	s_or_b32 exec_lo, exec_lo, s9
	s_and_saveexec_b32 s9, s4
	s_cbranch_execz .LBB17_30
; %bb.26:                               ;   in Loop: Header=BB17_7 Depth=1
	s_load_u16 s10, s[56:57], 0x0
	s_mov_b32 s13, 0
	s_wait_kmcnt 0x0
	v_dual_mov_b32 v3, v0 :: v_dual_add_nc_u32 v2, s10, v0
	s_lshl_b32 s11, s10, 2
	s_mul_i32 s12, s39, s10
	s_delay_alu instid0(VALU_DEP_1)
	v_mul_lo_u32 v6, s39, v2
	v_mov_b32_e32 v2, v19
	s_branch .LBB17_28
.LBB17_27:                              ;   in Loop: Header=BB17_28 Depth=2
	s_wait_alu 0xfffe
	s_or_b32 exec_lo, exec_lo, s14
	v_cmp_le_i32_e32 vcc_lo, s36, v3
	s_wait_loadcnt 0x0
	ds_store_b32 v2, v1
	v_dual_mov_b32 v1, v4 :: v_dual_add_nc_u32 v2, s11, v2
	v_add_nc_u32_e32 v6, s12, v6
	s_or_b32 s13, vcc_lo, s13
	s_wait_alu 0xfffe
	s_and_not1_b32 exec_lo, exec_lo, s13
	s_cbranch_execz .LBB17_30
.LBB17_28:                              ;   Parent Loop BB17_7 Depth=1
                                        ; =>  This Inner Loop Header: Depth=2
	v_dual_mov_b32 v4, 0 :: v_dual_add_nc_u32 v3, s10, v3
	s_mov_b32 s14, exec_lo
	s_delay_alu instid0(VALU_DEP_1)
	v_cmpx_gt_u32_e64 s36, v3
	s_cbranch_execz .LBB17_27
; %bb.29:                               ;   in Loop: Header=BB17_28 Depth=2
	s_delay_alu instid0(VALU_DEP_4) | instskip(NEXT) | instid1(VALU_DEP_1)
	v_lshlrev_b64_e32 v[16:17], 2, v[6:7]
	v_add_co_u32 v16, vcc_lo, s48, v16
	s_wait_alu 0xfffd
	s_delay_alu instid0(VALU_DEP_2)
	v_add_co_ci_u32_e64 v17, null, s49, v17, vcc_lo
	global_load_b32 v4, v[16:17], off
	s_branch .LBB17_27
.LBB17_30:                              ;   in Loop: Header=BB17_7 Depth=1
	s_wait_alu 0xfffe
	s_or_b32 exec_lo, exec_lo, s9
	s_wait_loadcnt_dscnt 0x0
	s_barrier_signal -1
	s_barrier_wait -1
	global_inv scope:SCOPE_SE
	s_and_saveexec_b32 s9, s2
; %bb.31:                               ;   in Loop: Header=BB17_7 Depth=1
	v_mov_b32_e32 v1, s36
	ds_store_b32 v7, v1 offset:4096
; %bb.32:                               ;   in Loop: Header=BB17_7 Depth=1
	s_wait_alu 0xfffe
	s_or_b32 exec_lo, exec_lo, s9
	s_mov_b32 s9, -1
	s_wait_loadcnt_dscnt 0x0
	s_barrier_signal -1
	s_barrier_wait -1
.LBB17_33:                              ;   in Loop: Header=BB17_7 Depth=1
	s_wait_alu 0xfffe
	s_and_b32 vcc_lo, exec_lo, s9
	s_wait_alu 0xfffe
	s_cbranch_vccz .LBB17_35
; %bb.34:                               ;   in Loop: Header=BB17_7 Depth=1
	s_wait_loadcnt 0x0
	global_inv scope:SCOPE_SE
	ds_load_b32 v1, v7 offset:4096
	s_wait_dscnt 0x0
	v_readfirstlane_b32 s50, v1
.LBB17_35:                              ;   in Loop: Header=BB17_7 Depth=1
	s_delay_alu instid0(VALU_DEP_1)
	s_cmp_lt_i32 s50, 1
	s_mov_b32 s9, -1
                                        ; implicit-def: $vgpr4
	s_cbranch_scc1 .LBB17_45
; %bb.36:                               ;   in Loop: Header=BB17_7 Depth=1
	s_wait_alu 0xfffe
	s_and_b32 vcc_lo, exec_lo, s9
	s_wait_alu 0xfffe
	s_cbranch_vccnz .LBB17_58
.LBB17_37:                              ;   in Loop: Header=BB17_7 Depth=1
	v_lshlrev_b32_e32 v6, 7, v31
	s_and_saveexec_b32 s9, s0
	s_cbranch_execz .LBB17_39
.LBB17_38:                              ;   in Loop: Header=BB17_7 Depth=1
	s_wait_loadcnt 0x0
	s_delay_alu instid0(VALU_DEP_1)
	v_lshl_add_u32 v14, v6, 2, v23
	ds_store_b128 v14, v[1:4]
.LBB17_39:                              ;   in Loop: Header=BB17_7 Depth=1
	s_wait_alu 0xfffe
	s_or_b32 exec_lo, exec_lo, s9
	s_wait_loadcnt_dscnt 0x0
	s_barrier_signal -1
	s_barrier_wait -1
	global_inv scope:SCOPE_SE
	s_and_saveexec_b32 s9, s66
	s_cbranch_execz .LBB17_74
; %bb.40:                               ;   in Loop: Header=BB17_7 Depth=1
	v_mov_b32_e32 v1, 0
	s_and_not1_b32 vcc_lo, exec_lo, s68
	s_wait_alu 0xfffe
	s_cbranch_vccnz .LBB17_73
; %bb.41:                               ;   in Loop: Header=BB17_7 Depth=1
	s_and_not1_b32 vcc_lo, exec_lo, s70
	s_wait_alu 0xfffe
	s_cbranch_vccnz .LBB17_70
; %bb.42:                               ;   in Loop: Header=BB17_7 Depth=1
	v_lshl_add_u32 v2, v31, 9, v30
	v_mov_b32_e32 v1, 0
	s_mov_b32 s10, 0
.LBB17_43:                              ;   Parent Loop BB17_7 Depth=1
                                        ; =>  This Inner Loop Header: Depth=2
	ds_load_2addr_b32 v[3:4], v2 offset1:4
	ds_load_2addr_b32 v[16:17], v2 offset0:8 offset1:12
	ds_load_2addr_b32 v[34:35], v2 offset0:16 offset1:20
	;; [unrolled: 1-line block ×3, first 2 shown]
	v_add_nc_u32_e32 v2, 0x80, v2
	s_wait_alu 0xfffe
	s_add_co_i32 s10, s10, 8
	s_wait_alu 0xfffe
	s_cmp_eq_u32 s71, s10
	s_wait_dscnt 0x3
	v_add3_u32 v1, v3, v1, v4
	s_wait_dscnt 0x2
	s_delay_alu instid0(VALU_DEP_1) | instskip(SKIP_1) | instid1(VALU_DEP_1)
	v_add3_u32 v1, v16, v1, v17
	s_wait_dscnt 0x1
	v_add3_u32 v1, v34, v1, v35
	s_wait_dscnt 0x0
	s_delay_alu instid0(VALU_DEP_1)
	v_add3_u32 v1, v36, v1, v37
	s_cbranch_scc0 .LBB17_43
; %bb.44:                               ;   in Loop: Header=BB17_7 Depth=1
	s_mov_b32 s10, s71
	s_and_not1_b32 vcc_lo, exec_lo, s72
	s_wait_alu 0xfffe
	s_cbranch_vccz .LBB17_71
	s_branch .LBB17_73
.LBB17_45:                              ;   in Loop: Header=BB17_7 Depth=1
	v_dual_mov_b32 v1, 0 :: v_dual_mov_b32 v2, 0
	v_dual_mov_b32 v3, 0 :: v_dual_mov_b32 v4, 0
	s_and_saveexec_b32 s84, s5
	s_cbranch_execnz .LBB17_48
; %bb.46:                               ;   in Loop: Header=BB17_7 Depth=1
	s_wait_alu 0xfffe
	s_or_b32 exec_lo, exec_lo, s84
	v_mov_b32_e32 v14, 0
	s_and_saveexec_b32 s9, s6
	s_cbranch_execnz .LBB17_51
.LBB17_47:                              ;   in Loop: Header=BB17_7 Depth=1
	s_wait_alu 0xfffe
	s_or_b32 exec_lo, exec_lo, s9
	s_and_saveexec_b32 s13, s7
	s_cbranch_execnz .LBB17_52
	s_branch .LBB17_57
.LBB17_48:                              ;   in Loop: Header=BB17_7 Depth=1
	v_mov_b32_e32 v6, v19
	s_mov_b32 s85, 0
	s_mov_b32 s86, 0
	;; [unrolled: 1-line block ×6, first 2 shown]
.LBB17_49:                              ;   Parent Loop BB17_7 Depth=1
                                        ; =>  This Inner Loop Header: Depth=2
	s_wait_alu 0xfffe
	v_add_nc_u32_e32 v1, s86, v27
	v_add_nc_u32_e32 v3, s86, v12
	;; [unrolled: 1-line block ×5, first 2 shown]
	v_ashrrev_i32_e32 v2, 31, v1
	v_ashrrev_i32_e32 v4, 31, v3
	;; [unrolled: 1-line block ×4, first 2 shown]
	s_add_co_i32 s86, s86, s75
	v_lshlrev_b64_e32 v[1:2], 2, v[1:2]
	v_lshlrev_b64_e32 v[3:4], 2, v[3:4]
	;; [unrolled: 1-line block ×4, first 2 shown]
	s_delay_alu instid0(VALU_DEP_4)
	v_add_co_u32 v1, vcc_lo, s48, v1
	s_wait_alu 0xfffd
	v_add_co_ci_u32_e64 v2, null, s49, v2, vcc_lo
	v_add_co_u32 v3, vcc_lo, s48, v3
	s_wait_alu 0xfffd
	v_add_co_ci_u32_e64 v4, null, s49, v4, vcc_lo
	;; [unrolled: 3-line block ×4, first 2 shown]
	s_clause 0x3
	global_load_b32 v1, v[1:2], off
	global_load_b32 v2, v[3:4], off
	;; [unrolled: 1-line block ×4, first 2 shown]
	v_cmp_le_i32_e32 vcc_lo, s73, v6
	s_wait_loadcnt 0x3
	v_xor_b32_e32 v1, 0x80000000, v1
	s_wait_loadcnt 0x2
	v_xor_b32_e32 v2, 0x80000000, v2
	;; [unrolled: 2-line block ×4, first 2 shown]
	v_and_b32_e32 v14, v1, v32
	v_bfe_u32 v1, v1, s83, 2
	v_and_b32_e32 v16, v2, v32
	v_bfe_u32 v2, v2, s83, 2
	;; [unrolled: 2-line block ×3, first 2 shown]
	v_cmp_eq_u32_e64 s9, v14, v24
	v_cmp_eq_u32_e64 s13, 0, v1
	v_and_b32_e32 v34, v4, v32
	v_bfe_u32 v4, v4, s83, 2
	v_cmp_eq_u32_e64 s10, v16, v24
	v_cmp_eq_u32_e64 s14, 0, v2
	;; [unrolled: 1-line block ×4, first 2 shown]
	s_and_b32 s13, s9, s13
	v_cmp_eq_u32_e64 s12, v34, v24
	v_cmp_eq_u32_e64 s16, 0, v4
	;; [unrolled: 1-line block ×5, first 2 shown]
	s_wait_alu 0xfffe
	v_cndmask_b32_e64 v1, 0, 1, s13
	s_and_b32 s13, s10, s14
	v_cmp_eq_u32_e64 s18, 1, v2
	v_cmp_eq_u32_e64 s22, 2, v2
	v_cmp_eq_u32_e64 s26, 3, v2
	s_wait_alu 0xfffe
	v_cndmask_b32_e64 v2, 0, 1, s13
	s_and_b32 s13, s11, s15
	v_cmp_eq_u32_e64 s19, 1, v3
	v_cmp_eq_u32_e64 s23, 2, v3
	v_cmp_eq_u32_e64 s27, 3, v3
	;; [unrolled: 6-line block ×3, first 2 shown]
	s_wait_alu 0xfffe
	v_cndmask_b32_e64 v4, 0, 1, s13
	s_and_b32 s13, s9, s17
	s_wait_alu 0xfffe
	v_cndmask_b32_e64 v14, 0, 1, s13
	s_and_b32 s13, s10, s18
	;; [unrolled: 3-line block ×4, first 2 shown]
	v_cmp_ne_u32_e64 s14, 0, v16
	s_wait_alu 0xfffe
	v_cndmask_b32_e64 v34, 0, 1, s13
	s_and_b32 s13, s9, s21
	s_and_b32 s9, s9, s25
	s_wait_alu 0xfffe
	v_cndmask_b32_e64 v35, 0, 1, s13
	s_and_b32 s13, s10, s22
	v_cndmask_b32_e64 v39, 0, 1, s9
	s_and_b32 s9, s10, s26
	s_wait_alu 0xfffe
	v_cndmask_b32_e64 v36, 0, 1, s13
	s_and_b32 s13, s11, s23
	v_cndmask_b32_e64 v40, 0, 1, s9
	;; [unrolled: 5-line block ×3, first 2 shown]
	s_and_b32 s9, s12, s28
	s_wait_alu 0xfffe
	v_cndmask_b32_e64 v38, 0, 1, s13
	v_cndmask_b32_e64 v42, 0, 1, s9
	v_cmp_ne_u32_e64 s9, 0, v1
	v_cmp_ne_u32_e64 s13, 0, v14
	;; [unrolled: 1-line block ×11, first 2 shown]
	s_bcnt1_i32_b32 s9, s9
	s_bcnt1_i32_b32 s13, s13
	;; [unrolled: 1-line block ×4, first 2 shown]
	v_cmp_ne_u32_e64 s12, 0, v4
	v_cmp_ne_u32_e64 s16, 0, v34
	;; [unrolled: 1-line block ×4, first 2 shown]
	s_bcnt1_i32_b32 s10, s10
	s_bcnt1_i32_b32 s14, s14
	s_bcnt1_i32_b32 s18, s18
	s_bcnt1_i32_b32 s22, s22
	s_wait_alu 0xfffe
	s_add_co_i32 s9, s9, s90
	s_add_co_i32 s13, s13, s89
	s_add_co_i32 s17, s17, s88
	s_add_co_i32 s21, s21, s87
	s_bcnt1_i32_b32 s11, s11
	s_bcnt1_i32_b32 s15, s15
	s_bcnt1_i32_b32 s19, s19
	s_bcnt1_i32_b32 s23, s23
	s_wait_alu 0xfffe
	s_add_co_i32 s9, s9, s10
	s_add_co_i32 s10, s13, s14
	s_add_co_i32 s13, s17, s18
	s_add_co_i32 s14, s21, s22
	;; [unrolled: 9-line block ×3, first 2 shown]
	s_wait_alu 0xfffe
	s_add_co_i32 s90, s9, s12
	s_add_co_i32 s89, s10, s16
	;; [unrolled: 1-line block ×4, first 2 shown]
	s_wait_alu 0xfffe
	v_dual_mov_b32 v1, s90 :: v_dual_mov_b32 v2, s89
	v_dual_mov_b32 v3, s88 :: v_dual_mov_b32 v4, s87
	s_or_b32 s85, vcc_lo, s85
	s_wait_alu 0xfffe
	s_and_not1_b32 exec_lo, exec_lo, s85
	s_cbranch_execnz .LBB17_49
; %bb.50:                               ;   in Loop: Header=BB17_7 Depth=1
	s_or_b32 exec_lo, exec_lo, s85
	s_delay_alu instid0(SALU_CYCLE_1)
	s_or_b32 exec_lo, exec_lo, s84
	v_mov_b32_e32 v14, 0
	s_and_saveexec_b32 s9, s6
	s_cbranch_execz .LBB17_47
.LBB17_51:                              ;   in Loop: Header=BB17_7 Depth=1
	global_load_b32 v14, v[10:11], off
	s_wait_alu 0xfffe
	s_or_b32 exec_lo, exec_lo, s9
	s_and_saveexec_b32 s13, s7
	s_cbranch_execz .LBB17_57
.LBB17_52:                              ;   in Loop: Header=BB17_7 Depth=1
	v_mov_b32_e32 v16, v28
	v_mov_b32_e32 v6, v21
	s_mov_b32 s14, 0
	s_branch .LBB17_54
.LBB17_53:                              ;   in Loop: Header=BB17_54 Depth=2
	s_wait_alu 0xfffe
	s_or_b32 exec_lo, exec_lo, s9
	s_wait_loadcnt 0x0
	v_xor_b32_e32 v14, 0x80000000, v14
	v_add_nc_u32_e32 v16, s65, v16
	s_delay_alu instid0(VALU_DEP_2) | instskip(SKIP_1) | instid1(VALU_DEP_2)
	v_and_b32_e32 v34, v14, v32
	v_bfe_u32 v14, v14, s83, 2
	v_cmp_eq_u32_e32 vcc_lo, v34, v24
	s_delay_alu instid0(VALU_DEP_2)
	v_cmp_eq_u32_e64 s9, 0, v14
	v_cmp_eq_u32_e64 s10, 1, v14
	;; [unrolled: 1-line block ×4, first 2 shown]
	s_and_b32 s9, vcc_lo, s9
	s_wait_alu 0xfffe
	v_cndmask_b32_e64 v14, 0, 1, s9
	s_and_b32 s9, vcc_lo, s10
	s_wait_alu 0xfffe
	v_cndmask_b32_e64 v34, 0, 1, s9
	;; [unrolled: 3-line block ×3, first 2 shown]
	s_and_b32 s9, vcc_lo, s12
	v_cmp_ne_u32_e32 vcc_lo, 0, v14
	s_wait_alu 0xfffe
	v_cndmask_b32_e64 v36, 0, 1, s9
	v_cmp_ne_u32_e64 s9, 0, v34
	v_cmp_ne_u32_e64 s10, 0, v35
	v_cmp_le_i32_e64 s12, s36, v6
	s_bcnt1_i32_b32 s15, vcc_lo
	v_cmp_ne_u32_e64 s11, 0, v36
	s_bcnt1_i32_b32 s9, s9
	s_bcnt1_i32_b32 s10, s10
	s_wait_alu 0xfffe
	v_dual_mov_b32 v14, v17 :: v_dual_add_nc_u32 v1, s15, v1
	s_bcnt1_i32_b32 s11, s11
	v_add_nc_u32_e32 v2, s9, v2
	v_add_nc_u32_e32 v3, s10, v3
	s_wait_alu 0xfffe
	v_add_nc_u32_e32 v4, s11, v4
	s_or_b32 s14, s12, s14
	s_wait_alu 0xfffe
	s_and_not1_b32 exec_lo, exec_lo, s14
	s_cbranch_execz .LBB17_56
.LBB17_54:                              ;   Parent Loop BB17_7 Depth=1
                                        ; =>  This Inner Loop Header: Depth=2
	s_delay_alu instid0(VALU_DEP_1) | instskip(SKIP_1) | instid1(VALU_DEP_1)
	v_dual_mov_b32 v17, 0 :: v_dual_add_nc_u32 v6, s41, v6
	s_mov_b32 s9, exec_lo
	v_cmpx_gt_u32_e64 s36, v6
	s_cbranch_execz .LBB17_53
; %bb.55:                               ;   in Loop: Header=BB17_54 Depth=2
	v_ashrrev_i32_e32 v17, 31, v16
	s_delay_alu instid0(VALU_DEP_1) | instskip(NEXT) | instid1(VALU_DEP_1)
	v_lshlrev_b64_e32 v[34:35], 2, v[16:17]
	v_add_co_u32 v34, vcc_lo, s48, v34
	s_wait_alu 0xfffd
	s_delay_alu instid0(VALU_DEP_2)
	v_add_co_ci_u32_e64 v35, null, s49, v35, vcc_lo
	global_load_b32 v17, v[34:35], off
	s_branch .LBB17_53
.LBB17_56:                              ;   in Loop: Header=BB17_7 Depth=1
	s_or_b32 exec_lo, exec_lo, s14
.LBB17_57:                              ;   in Loop: Header=BB17_7 Depth=1
	s_wait_alu 0xfffe
	s_or_b32 exec_lo, exec_lo, s13
	s_branch .LBB17_37
.LBB17_58:                              ;   in Loop: Header=BB17_7 Depth=1
	s_mul_u64 s[10:11], s[50:51], s[52:53]
	v_dual_mov_b32 v1, 0 :: v_dual_mov_b32 v2, 0
	s_wait_alu 0xfffe
	s_mul_i32 s9, s11, s46
	v_dual_mov_b32 v3, 0 :: v_dual_mov_b32 v4, 0
	s_wait_alu 0xfffe
	s_sub_co_i32 s9, s50, s9
	s_mov_b32 s85, exec_lo
	s_wait_alu 0xfffe
	s_sub_co_i32 s10, s9, s46
	s_cmp_ge_u32 s9, s46
	s_wait_alu 0xfffe
	s_cselect_b32 s9, s10, s9
	s_wait_alu 0xfffe
	s_sub_co_i32 s10, s9, s46
	s_cmp_ge_u32 s9, s46
	s_wait_alu 0xfffe
	s_cselect_b32 s9, s10, s9
	s_wait_alu 0xfffe
	s_sub_co_i32 s84, s50, s9
	s_wait_alu 0xfffe
	v_cmpx_gt_u32_e64 s84, v19
	s_cbranch_execz .LBB17_62
; %bb.59:                               ;   in Loop: Header=BB17_7 Depth=1
	v_mov_b32_e32 v6, v29
	s_wait_loadcnt 0x0
	v_mov_b32_e32 v14, v19
	s_mov_b32 s86, 0
	s_mov_b32 s87, 0
	;; [unrolled: 1-line block ×5, first 2 shown]
.LBB17_60:                              ;   Parent Loop BB17_7 Depth=1
                                        ; =>  This Inner Loop Header: Depth=2
	ds_load_b128 v[1:4], v6
	s_wait_dscnt 0x0
	v_xor_b32_e32 v1, 0x80000000, v1
	v_xor_b32_e32 v2, 0x80000000, v2
	;; [unrolled: 1-line block ×4, first 2 shown]
	s_delay_alu instid0(VALU_DEP_4)
	v_and_b32_e32 v16, v1, v32
	v_bfe_u32 v1, v1, s83, 2
	v_and_b32_e32 v17, v2, v32
	v_bfe_u32 v2, v2, s83, 2
	;; [unrolled: 2-line block ×3, first 2 shown]
	v_cmp_eq_u32_e64 s9, v16, v24
	v_cmp_eq_u32_e64 s13, 0, v1
	v_and_b32_e32 v35, v4, v32
	v_bfe_u32 v4, v4, s83, 2
	v_cmp_eq_u32_e64 s10, v17, v24
	v_cmp_eq_u32_e64 s14, 0, v2
	v_cmp_eq_u32_e64 s11, v34, v24
	v_cmp_eq_u32_e64 s15, 0, v3
	s_and_b32 s13, s9, s13
	v_cmp_eq_u32_e64 s12, v35, v24
	v_cmp_eq_u32_e64 s16, 0, v4
	;; [unrolled: 1-line block ×5, first 2 shown]
	s_wait_alu 0xfffe
	v_cndmask_b32_e64 v1, 0, 1, s13
	s_and_b32 s13, s10, s14
	v_cmp_eq_u32_e64 s18, 1, v2
	v_cmp_eq_u32_e64 s22, 2, v2
	v_cmp_eq_u32_e64 s26, 3, v2
	s_wait_alu 0xfffe
	v_cndmask_b32_e64 v2, 0, 1, s13
	s_and_b32 s13, s11, s15
	v_cmp_eq_u32_e64 s19, 1, v3
	v_cmp_eq_u32_e64 s23, 2, v3
	v_cmp_eq_u32_e64 s27, 3, v3
	;; [unrolled: 6-line block ×3, first 2 shown]
	s_wait_alu 0xfffe
	v_cndmask_b32_e64 v4, 0, 1, s13
	s_and_b32 s13, s9, s17
	s_wait_alu 0xfffe
	v_cndmask_b32_e64 v16, 0, 1, s13
	s_and_b32 s13, s10, s18
	;; [unrolled: 3-line block ×4, first 2 shown]
	v_cmp_ne_u32_e64 s14, 0, v17
	s_wait_alu 0xfffe
	v_cndmask_b32_e64 v35, 0, 1, s13
	s_and_b32 s13, s9, s21
	s_and_b32 s9, s9, s25
	s_wait_alu 0xfffe
	v_cndmask_b32_e64 v36, 0, 1, s13
	v_cndmask_b32_e64 v40, 0, 1, s9
	s_and_b32 s9, s10, s26
	s_and_b32 s13, s10, s22
	s_wait_alu 0xfffe
	v_cndmask_b32_e64 v41, 0, 1, s9
	s_and_b32 s9, s11, s27
	v_cndmask_b32_e64 v37, 0, 1, s13
	s_wait_alu 0xfffe
	v_cndmask_b32_e64 v42, 0, 1, s9
	s_and_b32 s9, s12, s28
	s_and_b32 s13, s11, s23
	s_wait_alu 0xfffe
	v_cndmask_b32_e64 v43, 0, 1, s9
	v_cmp_ne_u32_e64 s9, 0, v1
	v_cmp_ne_u32_e64 s10, 0, v2
	v_cndmask_b32_e64 v38, 0, 1, s13
	s_and_b32 s13, s12, s24
	v_cmp_ne_u32_e64 s11, 0, v3
	s_wait_alu 0xfffe
	v_cndmask_b32_e64 v39, 0, 1, s13
	v_cmp_ne_u32_e64 s13, 0, v16
	v_cmp_ne_u32_e64 s17, 0, v36
	;; [unrolled: 1-line block ×3, first 2 shown]
	s_bcnt1_i32_b32 s9, s9
	v_cmp_ne_u32_e64 s12, 0, v4
	v_cmp_ne_u32_e64 s18, 0, v37
	v_cmp_ne_u32_e64 s22, 0, v41
	s_bcnt1_i32_b32 s10, s10
	s_wait_alu 0xfffe
	s_add_co_i32 s9, s9, s90
	v_cmp_ne_u32_e64 s15, 0, v34
	v_cmp_ne_u32_e64 s19, 0, v38
	;; [unrolled: 1-line block ×3, first 2 shown]
	s_bcnt1_i32_b32 s11, s11
	s_wait_alu 0xfffe
	s_add_co_i32 s9, s9, s10
	s_bcnt1_i32_b32 s13, s13
	s_bcnt1_i32_b32 s17, s17
	;; [unrolled: 1-line block ×3, first 2 shown]
	v_cmp_ne_u32_e64 s16, 0, v35
	v_cmp_ne_u32_e64 s20, 0, v39
	;; [unrolled: 1-line block ×3, first 2 shown]
	s_bcnt1_i32_b32 s12, s12
	s_wait_alu 0xfffe
	s_add_co_i32 s9, s9, s11
	s_bcnt1_i32_b32 s14, s14
	s_bcnt1_i32_b32 s18, s18
	;; [unrolled: 1-line block ×3, first 2 shown]
	s_add_co_i32 s13, s13, s89
	s_add_co_i32 s17, s17, s88
	;; [unrolled: 1-line block ×3, first 2 shown]
	s_wait_alu 0xfffe
	s_add_co_i32 s90, s9, s12
	s_wait_alu 0xfffe
	v_dual_mov_b32 v1, s90 :: v_dual_add_nc_u32 v14, s46, v14
	s_bcnt1_i32_b32 s15, s15
	s_bcnt1_i32_b32 s19, s19
	;; [unrolled: 1-line block ×3, first 2 shown]
	s_add_co_i32 s10, s13, s14
	s_add_co_i32 s13, s17, s18
	s_add_co_i32 s14, s21, s22
	s_bcnt1_i32_b32 s16, s16
	s_bcnt1_i32_b32 s20, s20
	;; [unrolled: 1-line block ×3, first 2 shown]
	s_wait_alu 0xfffe
	s_add_co_i32 s10, s10, s15
	s_add_co_i32 s11, s13, s19
	;; [unrolled: 1-line block ×3, first 2 shown]
	v_cmp_le_i32_e32 vcc_lo, s84, v14
	s_wait_alu 0xfffe
	s_add_co_i32 s89, s10, s16
	s_add_co_i32 s88, s11, s20
	;; [unrolled: 1-line block ×3, first 2 shown]
	s_wait_alu 0xfffe
	v_dual_mov_b32 v3, s88 :: v_dual_add_nc_u32 v6, s76, v6
	v_mov_b32_e32 v2, s89
	v_mov_b32_e32 v4, s87
	s_or_b32 s86, vcc_lo, s86
	s_wait_alu 0xfffe
	s_and_not1_b32 exec_lo, exec_lo, s86
	s_cbranch_execnz .LBB17_60
; %bb.61:                               ;   in Loop: Header=BB17_7 Depth=1
	s_or_b32 exec_lo, exec_lo, s86
.LBB17_62:                              ;   in Loop: Header=BB17_7 Depth=1
	s_delay_alu instid0(SALU_CYCLE_1) | instskip(SKIP_2) | instid1(VALU_DEP_1)
	s_or_b32 exec_lo, exec_lo, s85
	v_add_nc_u32_e32 v6, s84, v0
	s_mov_b32 s14, exec_lo
	v_cmpx_gt_i32_e64 s50, v6
	s_cbranch_execz .LBB17_66
; %bb.63:                               ;   in Loop: Header=BB17_7 Depth=1
	s_wait_loadcnt 0x0
	v_lshlrev_b32_e32 v14, 2, v6
	s_mov_b32 s15, 0
.LBB17_64:                              ;   Parent Loop BB17_7 Depth=1
                                        ; =>  This Inner Loop Header: Depth=2
	ds_load_b32 v16, v14
	v_add_nc_u32_e32 v6, s41, v6
	v_add_nc_u32_e32 v14, s46, v14
	s_delay_alu instid0(VALU_DEP_2) | instskip(SKIP_2) | instid1(VALU_DEP_1)
	v_cmp_le_i32_e32 vcc_lo, s50, v6
	s_wait_dscnt 0x0
	v_xor_b32_e32 v16, 0x80000000, v16
	v_and_b32_e32 v17, v16, v32
	v_bfe_u32 v16, v16, s83, 2
	s_delay_alu instid0(VALU_DEP_2) | instskip(NEXT) | instid1(VALU_DEP_2)
	v_cmp_eq_u32_e64 s9, v17, v24
	v_cmp_eq_u32_e64 s10, 0, v16
	;; [unrolled: 1-line block ×5, first 2 shown]
	s_and_b32 s10, s9, s10
	s_wait_alu 0xfffe
	v_cndmask_b32_e64 v16, 0, 1, s10
	s_and_b32 s10, s9, s11
	s_wait_alu 0xfffe
	v_cndmask_b32_e64 v17, 0, 1, s10
	s_and_b32 s10, s9, s12
	s_and_b32 s9, s9, s13
	s_wait_alu 0xfffe
	v_cndmask_b32_e64 v34, 0, 1, s10
	v_cndmask_b32_e64 v35, 0, 1, s9
	v_cmp_ne_u32_e64 s9, 0, v16
	v_cmp_ne_u32_e64 s10, 0, v17
	s_delay_alu instid0(VALU_DEP_4) | instskip(NEXT) | instid1(VALU_DEP_4)
	v_cmp_ne_u32_e64 s11, 0, v34
	v_cmp_ne_u32_e64 s12, 0, v35
	s_bcnt1_i32_b32 s9, s9
	s_bcnt1_i32_b32 s10, s10
	s_wait_alu 0xfffe
	v_add_nc_u32_e32 v1, s9, v1
	s_bcnt1_i32_b32 s11, s11
	s_bcnt1_i32_b32 s12, s12
	v_add_nc_u32_e32 v2, s10, v2
	s_wait_alu 0xfffe
	v_add_nc_u32_e32 v3, s11, v3
	v_add_nc_u32_e32 v4, s12, v4
	s_or_b32 s15, vcc_lo, s15
	s_wait_alu 0xfffe
	s_and_not1_b32 exec_lo, exec_lo, s15
	s_cbranch_execnz .LBB17_64
; %bb.65:                               ;   in Loop: Header=BB17_7 Depth=1
	s_or_b32 exec_lo, exec_lo, s15
.LBB17_66:                              ;   in Loop: Header=BB17_7 Depth=1
	s_wait_alu 0xfffe
	s_or_b32 exec_lo, exec_lo, s14
	v_lshlrev_b32_e32 v6, 7, v31
	s_and_saveexec_b32 s9, s0
	s_cbranch_execnz .LBB17_38
	s_branch .LBB17_39
.LBB17_67:                              ;   in Loop: Header=BB17_7 Depth=1
	s_wait_alu 0xfffe
	s_or_b32 exec_lo, exec_lo, s11
	s_wait_loadcnt_dscnt 0x0
	s_barrier_signal -1
	s_barrier_wait -1
	global_inv scope:SCOPE_SE
	s_and_saveexec_b32 s9, s2
	s_cbranch_execz .LBB17_69
; %bb.68:                               ;   in Loop: Header=BB17_7 Depth=1
	ds_load_b32 v1, v7 offset:4104
	s_wait_dscnt 0x0
	ds_store_b32 v7, v1 offset:4096
.LBB17_69:                              ;   in Loop: Header=BB17_7 Depth=1
	s_wait_alu 0xfffe
	s_or_b32 exec_lo, exec_lo, s9
	s_wait_loadcnt_dscnt 0x0
	s_barrier_signal -1
	s_mov_b32 s9, -1
	s_barrier_wait -1
	s_and_b32 vcc_lo, exec_lo, s10
	s_wait_alu 0xfffe
	s_cbranch_vccnz .LBB17_23
	s_branch .LBB17_33
.LBB17_70:                              ;   in Loop: Header=BB17_7 Depth=1
	v_mov_b32_e32 v1, 0
	s_mov_b32 s10, 0
	s_and_not1_b32 vcc_lo, exec_lo, s72
	s_wait_alu 0xfffe
	s_cbranch_vccnz .LBB17_73
.LBB17_71:                              ;   in Loop: Header=BB17_7 Depth=1
	v_lshlrev_b32_e32 v2, 9, v31
	s_lshl_b32 s10, s10, 4
	s_wait_alu 0xfffe
	s_delay_alu instid0(VALU_DEP_1)
	v_add3_u32 v2, v2, s10, v30
	s_mov_b32 s10, s69
.LBB17_72:                              ;   Parent Loop BB17_7 Depth=1
                                        ; =>  This Inner Loop Header: Depth=2
	ds_load_b32 v3, v2
	v_add_nc_u32_e32 v2, 16, v2
	s_wait_alu 0xfffe
	s_add_co_i32 s10, s10, -1
	s_wait_alu 0xfffe
	s_cmp_lg_u32 s10, 0
	s_wait_dscnt 0x0
	v_add_nc_u32_e32 v1, v3, v1
	s_cbranch_scc1 .LBB17_72
.LBB17_73:                              ;   in Loop: Header=BB17_7 Depth=1
	v_add_lshl_u32 v2, v6, v18, 2
	ds_store_b32 v2, v1 offset:3072
.LBB17_74:                              ;   in Loop: Header=BB17_7 Depth=1
	s_wait_alu 0xfffe
	s_or_b32 exec_lo, exec_lo, s9
	v_lshlrev_b32_e32 v1, 2, v6
	s_wait_loadcnt_dscnt 0x0
	s_barrier_signal -1
	s_barrier_wait -1
	global_inv scope:SCOPE_SE
	ds_load_b128 v[1:4], v1 offset:3072
	s_lshl_b32 s10, 3, s83
	v_cmp_eq_u32_e32 vcc_lo, 1, v33
	s_wait_alu 0xfffe
	s_not_b32 s17, s10
	s_mov_b32 s13, -1
	s_mov_b32 s15, -1
                                        ; implicit-def: $sgpr20
                                        ; implicit-def: $sgpr18
	s_wait_dscnt 0x0
	v_readfirstlane_b32 s12, v1
	v_readfirstlane_b32 s19, v2
	;; [unrolled: 1-line block ×4, first 2 shown]
	s_cmp_eq_u32 s12, 1
	s_cselect_b32 s11, -1, 0
	s_wait_alu 0xfffe
	s_and_b32 s14, s11, vcc_lo
	s_wait_alu 0xfffe
	s_and_saveexec_b32 s11, s14
	s_cbranch_execz .LBB17_100
; %bb.75:                               ;   in Loop: Header=BB17_7 Depth=1
	ds_load_b32 v1, v7 offset:4096
	s_wait_loadcnt_dscnt 0x0
	s_barrier_signal -1
	s_barrier_wait -1
	global_inv scope:SCOPE_SE
	v_readfirstlane_b32 s15, v1
	s_and_saveexec_b32 s18, s1
; %bb.76:                               ;   in Loop: Header=BB17_7 Depth=1
	ds_store_b32 v20, v7
; %bb.77:                               ;   in Loop: Header=BB17_7 Depth=1
	s_wait_alu 0xfffe
	s_or_b32 exec_lo, exec_lo, s18
	v_and_b32_e32 v24, s17, v24
	v_or_b32_e32 v32, s10, v32
	s_mov_b32 s18, -1
	s_mov_b32 s20, 0
	s_cmp_lt_i32 s15, 1
	s_mov_b32 s21, 0
	s_mov_b32 s22, -1
	s_wait_loadcnt_dscnt 0x0
	s_barrier_signal -1
	s_barrier_wait -1
	global_inv scope:SCOPE_SE
                                        ; implicit-def: $vgpr15
	s_cbranch_scc0 .LBB17_88
; %bb.78:                               ;   in Loop: Header=BB17_7 Depth=1
	s_mov_b32 s22, 0
                                        ; implicit-def: $vgpr15
	s_and_saveexec_b32 s23, s8
	s_cbranch_execz .LBB17_87
; %bb.79:                               ;   in Loop: Header=BB17_7 Depth=1
	v_mov_b32_e32 v1, v5
	v_mov_b32_e32 v3, v0
                                        ; implicit-def: $sgpr24
	s_branch .LBB17_82
.LBB17_80:                              ;   in Loop: Header=BB17_82 Depth=2
	s_wait_alu 0xfffe
	s_or_b32 exec_lo, exec_lo, s25
	s_wait_loadcnt_dscnt 0x0
	s_barrier_signal -1
	s_barrier_wait -1
	global_inv scope:SCOPE_SE
	ds_load_b64 v[14:15], v7 offset:3072
	s_mov_b32 s25, -1
	s_mov_b32 s26, -1
	s_wait_loadcnt_dscnt 0x0
	s_barrier_signal -1
	s_barrier_wait -1
	global_inv scope:SCOPE_SE
	v_cmp_ne_u32_e32 vcc_lo, 0, v14
	s_cbranch_vccz .LBB17_85
.LBB17_81:                              ;   in Loop: Header=BB17_82 Depth=2
	s_wait_alu 0xfffe
	s_and_b32 s25, exec_lo, s25
	s_wait_alu 0xfffe
	s_or_b32 s21, s25, s21
	s_and_not1_b32 s24, s24, exec_lo
	s_and_b32 s25, s26, exec_lo
	s_wait_alu 0xfffe
	s_or_b32 s24, s24, s25
	s_and_not1_b32 exec_lo, exec_lo, s21
	s_cbranch_execz .LBB17_86
.LBB17_82:                              ;   Parent Loop BB17_7 Depth=1
                                        ; =>  This Inner Loop Header: Depth=2
	s_mov_b32 s25, exec_lo
	s_delay_alu instid0(VALU_DEP_1)
	v_cmpx_gt_i32_e64 s36, v3
	s_cbranch_execz .LBB17_80
; %bb.83:                               ;   in Loop: Header=BB17_82 Depth=2
	v_ashrrev_i32_e32 v2, 31, v1
	s_delay_alu instid0(VALU_DEP_1) | instskip(NEXT) | instid1(VALU_DEP_1)
	v_lshlrev_b64_e32 v[14:15], 2, v[1:2]
	v_add_co_u32 v14, vcc_lo, s48, v14
	s_wait_alu 0xfffd
	s_delay_alu instid0(VALU_DEP_2) | instskip(SKIP_3) | instid1(VALU_DEP_1)
	v_add_co_ci_u32_e64 v15, null, s49, v15, vcc_lo
	global_load_b32 v14, v[14:15], off
	s_wait_loadcnt 0x0
	v_xor_b32_e32 v2, 0x80000000, v14
	v_and_b32_e32 v2, v2, v32
	s_delay_alu instid0(VALU_DEP_1)
	v_cmp_eq_u32_e32 vcc_lo, v2, v24
	s_and_b32 exec_lo, exec_lo, vcc_lo
	s_cbranch_execz .LBB17_80
; %bb.84:                               ;   in Loop: Header=BB17_82 Depth=2
	ds_store_b64 v7, v[13:14] offset:3072
	s_branch .LBB17_80
.LBB17_85:                              ;   in Loop: Header=BB17_82 Depth=2
	v_add_nc_u32_e32 v3, s41, v3
	v_add_nc_u32_e32 v1, s65, v1
	s_mov_b32 s26, 0
	s_delay_alu instid0(VALU_DEP_2)
	v_cmp_le_i32_e32 vcc_lo, s74, v3
	s_or_not1_b32 s25, vcc_lo, exec_lo
	s_branch .LBB17_81
.LBB17_86:                              ;   in Loop: Header=BB17_7 Depth=1
	s_or_b32 exec_lo, exec_lo, s21
	s_wait_alu 0xfffe
	s_and_b32 s21, s24, exec_lo
.LBB17_87:                              ;   in Loop: Header=BB17_7 Depth=1
	s_wait_alu 0xfffe
	s_or_b32 exec_lo, exec_lo, s23
.LBB17_88:                              ;   in Loop: Header=BB17_7 Depth=1
	s_wait_alu 0xfffe
	s_and_b32 vcc_lo, exec_lo, s22
	s_wait_alu 0xfffe
	s_cbranch_vccz .LBB17_99
; %bb.89:                               ;   in Loop: Header=BB17_7 Depth=1
	s_add_co_i32 s20, s15, s64
                                        ; implicit-def: $vgpr15
	s_wait_alu 0xfffe
	s_abs_i32 s50, s20
	s_wait_alu 0xfffe
	s_mul_u64 s[22:23], s[50:51], s[54:55]
	s_ashr_i32 s22, s20, 31
	s_wait_alu 0xfffe
	s_mul_i32 s18, s23, s41
	s_wait_alu 0xfffe
	s_sub_co_i32 s18, s50, s18
	s_wait_alu 0xfffe
	s_sub_co_i32 s23, s18, s41
	s_cmp_ge_u32 s18, s41
	s_wait_alu 0xfffe
	s_cselect_b32 s18, s23, s18
	s_wait_alu 0xfffe
	s_sub_co_i32 s23, s18, s41
	s_cmp_ge_u32 s18, s41
	s_wait_alu 0xfffe
	s_cselect_b32 s18, s23, s18
	s_wait_alu 0xfffe
	s_xor_b32 s18, s18, s22
	s_wait_alu 0xfffe
	s_sub_co_i32 s18, s22, s18
	s_wait_alu 0xfffe
	s_add_co_i32 s20, s20, s18
	s_mov_b32 s18, exec_lo
	s_wait_alu 0xfffe
	v_cmpx_gt_i32_e64 s20, v0
	s_cbranch_execz .LBB17_98
; %bb.90:                               ;   in Loop: Header=BB17_7 Depth=1
	v_dual_mov_b32 v1, v19 :: v_dual_mov_b32 v2, v0
	s_mov_b32 s22, 0
                                        ; implicit-def: $sgpr23
	s_branch .LBB17_93
.LBB17_91:                              ;   in Loop: Header=BB17_93 Depth=2
	s_wait_alu 0xfffe
	s_or_b32 exec_lo, exec_lo, s24
	s_wait_loadcnt_dscnt 0x0
	s_barrier_signal -1
	s_barrier_wait -1
	global_inv scope:SCOPE_SE
	ds_load_b64 v[14:15], v7 offset:3072
	s_mov_b32 s24, -1
	s_mov_b32 s25, -1
	s_wait_loadcnt_dscnt 0x0
	s_barrier_signal -1
	s_barrier_wait -1
	global_inv scope:SCOPE_SE
	v_cmp_ne_u32_e32 vcc_lo, 0, v14
	s_cbranch_vccz .LBB17_96
.LBB17_92:                              ;   in Loop: Header=BB17_93 Depth=2
	s_wait_alu 0xfffe
	s_and_b32 s24, exec_lo, s24
	s_wait_alu 0xfffe
	s_or_b32 s22, s24, s22
	s_and_not1_b32 s23, s23, exec_lo
	s_and_b32 s24, s25, exec_lo
	s_wait_alu 0xfffe
	s_or_b32 s23, s23, s24
	s_and_not1_b32 exec_lo, exec_lo, s22
	s_cbranch_execz .LBB17_97
.LBB17_93:                              ;   Parent Loop BB17_7 Depth=1
                                        ; =>  This Inner Loop Header: Depth=2
	s_mov_b32 s24, exec_lo
	s_delay_alu instid0(VALU_DEP_1)
	v_cmpx_gt_i32_e64 s15, v2
	s_cbranch_execz .LBB17_91
; %bb.94:                               ;   in Loop: Header=BB17_93 Depth=2
	ds_load_b32 v14, v1
	s_wait_dscnt 0x0
	v_xor_b32_e32 v3, 0x80000000, v14
	s_delay_alu instid0(VALU_DEP_1) | instskip(NEXT) | instid1(VALU_DEP_1)
	v_and_b32_e32 v3, v3, v32
	v_cmp_eq_u32_e32 vcc_lo, v3, v24
	s_and_b32 exec_lo, exec_lo, vcc_lo
	s_cbranch_execz .LBB17_91
; %bb.95:                               ;   in Loop: Header=BB17_93 Depth=2
	ds_store_b64 v7, v[13:14] offset:3072
	s_branch .LBB17_91
.LBB17_96:                              ;   in Loop: Header=BB17_93 Depth=2
	v_add_nc_u32_e32 v2, s41, v2
	v_add_nc_u32_e32 v1, s46, v1
	s_mov_b32 s25, 0
	s_delay_alu instid0(VALU_DEP_2)
	v_cmp_le_i32_e32 vcc_lo, s20, v2
	s_or_not1_b32 s24, vcc_lo, exec_lo
	s_branch .LBB17_92
.LBB17_97:                              ;   in Loop: Header=BB17_7 Depth=1
	s_or_b32 exec_lo, exec_lo, s22
	s_delay_alu instid0(SALU_CYCLE_1)
	s_and_not1_b32 s15, s21, exec_lo
	s_wait_alu 0xfffe
	s_and_b32 s20, s23, exec_lo
	s_wait_alu 0xfffe
	s_or_b32 s21, s15, s20
.LBB17_98:                              ;   in Loop: Header=BB17_7 Depth=1
	s_wait_alu 0xfffe
	s_or_b32 exec_lo, exec_lo, s18
	s_mov_b32 s18, 0
	s_mov_b32 s20, -1
.LBB17_99:                              ;   in Loop: Header=BB17_7 Depth=1
	s_or_not1_b32 s15, s21, exec_lo
.LBB17_100:                             ;   in Loop: Header=BB17_7 Depth=1
	s_wait_alu 0xfffe
	s_or_b32 exec_lo, exec_lo, s11
	v_readfirstlane_b32 s21, v0
	s_and_not1_b32 s11, s81, exec_lo
	s_and_b32 s20, s20, exec_lo
	s_and_not1_b32 s22, s79, exec_lo
	s_and_b32 s18, s18, exec_lo
	s_and_not1_b32 s78, s78, exec_lo
	s_wait_alu 0xfffe
	s_or_b32 s81, s11, s20
	s_or_b32 s79, s22, s18
                                        ; implicit-def: $vgpr4
	s_and_saveexec_b32 s11, s15
	s_cbranch_execz .LBB17_6
; %bb.101:                              ;   in Loop: Header=BB17_7 Depth=1
	v_dual_mov_b32 v4, 1 :: v_dual_mov_b32 v3, 1
	s_xor_b32 s14, s14, -1
	s_mov_b32 s20, 0
	s_wait_alu 0xfffe
	s_and_saveexec_b32 s13, s14
	s_cbranch_execz .LBB17_110
; %bb.102:                              ;   in Loop: Header=BB17_7 Depth=1
	s_mov_b32 s14, exec_lo
	v_cmpx_ge_i32_e64 s12, v33
	s_wait_alu 0xfffe
	s_xor_b32 s14, exec_lo, s14
	s_cbranch_execz .LBB17_107
; %bb.103:                              ;   in Loop: Header=BB17_7 Depth=1
	ds_load_b32 v1, v7 offset:4096
	v_and_b32_e32 v24, s17, v24
	v_or_b32_e32 v32, s10, v32
	s_wait_dscnt 0x0
	v_cmp_ne_u32_e32 vcc_lo, 0, v1
	s_cbranch_vccnz .LBB17_107
; %bb.104:                              ;   in Loop: Header=BB17_7 Depth=1
	s_and_saveexec_b32 s15, s2
; %bb.105:                              ;   in Loop: Header=BB17_7 Depth=1
	v_mov_b32_e32 v1, s12
	ds_store_b32 v7, v1 offset:4100
; %bb.106:                              ;   in Loop: Header=BB17_7 Depth=1
	s_wait_alu 0xfffe
	s_or_b32 exec_lo, exec_lo, s15
	s_wait_loadcnt_dscnt 0x0
	s_barrier_signal -1
	s_barrier_wait -1
	global_inv scope:SCOPE_SE
.LBB17_107:                             ;   in Loop: Header=BB17_7 Depth=1
	s_wait_alu 0xfffe
	s_or_saveexec_b32 s14, s14
	v_mov_b32_e32 v3, 8
	s_mov_b32 s15, 0
	s_wait_alu 0xfffe
	s_xor_b32 exec_lo, exec_lo, s14
; %bb.108:                              ;   in Loop: Header=BB17_7 Depth=1
	v_subrev_nc_u32_e32 v33, s12, v33
	v_mov_b32_e32 v3, 0
	s_mov_b32 s15, exec_lo
; %bb.109:                              ;   in Loop: Header=BB17_7 Depth=1
	s_or_b32 exec_lo, exec_lo, s14
	s_delay_alu instid0(VALU_DEP_2)
	v_mov_b32_e32 v4, v33
	s_wait_alu 0xfffe
	s_and_b32 s20, s15, exec_lo
.LBB17_110:                             ;   in Loop: Header=BB17_7 Depth=1
	s_wait_alu 0xfffe
	s_or_b32 exec_lo, exec_lo, s13
	s_mov_b32 s12, -1
	s_mov_b32 s18, -1
                                        ; implicit-def: $sgpr14
                                        ; implicit-def: $sgpr15
	s_and_saveexec_b32 s13, s20
	s_wait_alu 0xfffe
	s_xor_b32 s13, exec_lo, s13
	s_cbranch_execz .LBB17_227
; %bb.111:                              ;   in Loop: Header=BB17_7 Depth=1
	v_cmp_eq_u32_e32 vcc_lo, 1, v4
	s_cmp_eq_u32 s19, 1
	s_mov_b32 s21, -1
	s_cselect_b32 s14, -1, 0
                                        ; implicit-def: $sgpr15
	s_wait_alu 0xfffe
	s_and_b32 s20, s14, vcc_lo
                                        ; implicit-def: $sgpr14
	s_wait_alu 0xfffe
	s_and_saveexec_b32 s18, s20
	s_cbranch_execz .LBB17_137
; %bb.112:                              ;   in Loop: Header=BB17_7 Depth=1
	ds_load_b32 v1, v7 offset:4096
	s_wait_loadcnt_dscnt 0x0
	s_barrier_signal -1
	s_barrier_wait -1
	global_inv scope:SCOPE_SE
	v_readfirstlane_b32 s21, v1
	s_and_saveexec_b32 s14, s1
; %bb.113:                              ;   in Loop: Header=BB17_7 Depth=1
	ds_store_b32 v20, v7
; %bb.114:                              ;   in Loop: Header=BB17_7 Depth=1
	s_wait_alu 0xfffe
	s_or_b32 exec_lo, exec_lo, s14
	s_lshl_b32 s14, 1, s83
	v_or_b32_e32 v32, s10, v32
	s_wait_alu 0xfffe
	v_and_or_b32 v24, v24, s17, s14
	s_mov_b32 s14, -1
	s_mov_b32 s15, 0
	s_cmp_gt_i32 s21, 0
	s_mov_b32 s22, 0
	s_mov_b32 s23, -1
	s_wait_loadcnt_dscnt 0x0
	s_barrier_signal -1
	s_barrier_wait -1
	global_inv scope:SCOPE_SE
                                        ; implicit-def: $vgpr15
	s_cbranch_scc1 .LBB17_125
; %bb.115:                              ;   in Loop: Header=BB17_7 Depth=1
	s_mov_b32 s23, 0
                                        ; implicit-def: $vgpr15
	s_and_saveexec_b32 s24, s8
	s_cbranch_execz .LBB17_124
; %bb.116:                              ;   in Loop: Header=BB17_7 Depth=1
	v_dual_mov_b32 v1, v5 :: v_dual_mov_b32 v6, v0
                                        ; implicit-def: $sgpr25
	s_branch .LBB17_119
.LBB17_117:                             ;   in Loop: Header=BB17_119 Depth=2
	s_wait_alu 0xfffe
	s_or_b32 exec_lo, exec_lo, s26
	s_wait_loadcnt_dscnt 0x0
	s_barrier_signal -1
	s_barrier_wait -1
	global_inv scope:SCOPE_SE
	ds_load_b64 v[14:15], v7 offset:3072
	s_mov_b32 s26, -1
	s_mov_b32 s27, -1
	s_wait_loadcnt_dscnt 0x0
	s_barrier_signal -1
	s_barrier_wait -1
	global_inv scope:SCOPE_SE
	v_cmp_ne_u32_e32 vcc_lo, 0, v14
	s_cbranch_vccz .LBB17_122
.LBB17_118:                             ;   in Loop: Header=BB17_119 Depth=2
	s_wait_alu 0xfffe
	s_and_b32 s26, exec_lo, s26
	s_wait_alu 0xfffe
	s_or_b32 s22, s26, s22
	s_and_not1_b32 s25, s25, exec_lo
	s_and_b32 s26, s27, exec_lo
	s_wait_alu 0xfffe
	s_or_b32 s25, s25, s26
	s_and_not1_b32 exec_lo, exec_lo, s22
	s_cbranch_execz .LBB17_123
.LBB17_119:                             ;   Parent Loop BB17_7 Depth=1
                                        ; =>  This Inner Loop Header: Depth=2
	s_mov_b32 s26, exec_lo
	s_delay_alu instid0(VALU_DEP_1)
	v_cmpx_gt_i32_e64 s36, v6
	s_cbranch_execz .LBB17_117
; %bb.120:                              ;   in Loop: Header=BB17_119 Depth=2
	v_ashrrev_i32_e32 v2, 31, v1
	s_delay_alu instid0(VALU_DEP_1) | instskip(NEXT) | instid1(VALU_DEP_1)
	v_lshlrev_b64_e32 v[14:15], 2, v[1:2]
	v_add_co_u32 v14, vcc_lo, s48, v14
	s_wait_alu 0xfffd
	s_delay_alu instid0(VALU_DEP_2) | instskip(SKIP_3) | instid1(VALU_DEP_1)
	v_add_co_ci_u32_e64 v15, null, s49, v15, vcc_lo
	global_load_b32 v14, v[14:15], off
	s_wait_loadcnt 0x0
	v_xor_b32_e32 v2, 0x80000000, v14
	v_and_b32_e32 v2, v2, v32
	s_delay_alu instid0(VALU_DEP_1)
	v_cmp_eq_u32_e32 vcc_lo, v2, v24
	s_and_b32 exec_lo, exec_lo, vcc_lo
	s_cbranch_execz .LBB17_117
; %bb.121:                              ;   in Loop: Header=BB17_119 Depth=2
	ds_store_b64 v7, v[13:14] offset:3072
	s_branch .LBB17_117
.LBB17_122:                             ;   in Loop: Header=BB17_119 Depth=2
	v_add_nc_u32_e32 v6, s41, v6
	v_add_nc_u32_e32 v1, s65, v1
	s_mov_b32 s27, 0
	s_delay_alu instid0(VALU_DEP_2)
	v_cmp_le_i32_e32 vcc_lo, s74, v6
	s_or_not1_b32 s26, vcc_lo, exec_lo
	s_branch .LBB17_118
.LBB17_123:                             ;   in Loop: Header=BB17_7 Depth=1
	s_or_b32 exec_lo, exec_lo, s22
	s_wait_alu 0xfffe
	s_and_b32 s22, s25, exec_lo
.LBB17_124:                             ;   in Loop: Header=BB17_7 Depth=1
	s_wait_alu 0xfffe
	s_or_b32 exec_lo, exec_lo, s24
.LBB17_125:                             ;   in Loop: Header=BB17_7 Depth=1
	s_wait_alu 0xfffe
	s_and_b32 vcc_lo, exec_lo, s23
	s_wait_alu 0xfffe
	s_cbranch_vccz .LBB17_136
; %bb.126:                              ;   in Loop: Header=BB17_7 Depth=1
	s_add_co_i32 s23, s21, s64
                                        ; implicit-def: $vgpr15
	s_wait_alu 0xfffe
	s_abs_i32 s50, s23
	s_wait_alu 0xfffe
	s_mul_u64 s[14:15], s[50:51], s[54:55]
	s_wait_alu 0xfffe
	s_mul_i32 s14, s15, s41
	s_ashr_i32 s15, s23, 31
	s_wait_alu 0xfffe
	s_sub_co_i32 s14, s50, s14
	s_wait_alu 0xfffe
	s_sub_co_i32 s24, s14, s41
	s_cmp_ge_u32 s14, s41
	s_wait_alu 0xfffe
	s_cselect_b32 s14, s24, s14
	s_wait_alu 0xfffe
	s_sub_co_i32 s24, s14, s41
	s_cmp_ge_u32 s14, s41
	s_wait_alu 0xfffe
	s_cselect_b32 s14, s24, s14
	s_wait_alu 0xfffe
	s_xor_b32 s14, s14, s15
	s_wait_alu 0xfffe
	s_sub_co_i32 s14, s15, s14
	s_wait_alu 0xfffe
	s_add_co_i32 s15, s23, s14
	s_mov_b32 s14, exec_lo
	s_wait_alu 0xfffe
	v_cmpx_gt_i32_e64 s15, v0
	s_cbranch_execz .LBB17_135
; %bb.127:                              ;   in Loop: Header=BB17_7 Depth=1
	v_dual_mov_b32 v1, v19 :: v_dual_mov_b32 v2, v0
	s_mov_b32 s23, 0
                                        ; implicit-def: $sgpr24
	s_branch .LBB17_130
.LBB17_128:                             ;   in Loop: Header=BB17_130 Depth=2
	s_wait_alu 0xfffe
	s_or_b32 exec_lo, exec_lo, s25
	s_wait_loadcnt_dscnt 0x0
	s_barrier_signal -1
	s_barrier_wait -1
	global_inv scope:SCOPE_SE
	ds_load_b64 v[14:15], v7 offset:3072
	s_mov_b32 s25, -1
	s_mov_b32 s26, -1
	s_wait_loadcnt_dscnt 0x0
	s_barrier_signal -1
	s_barrier_wait -1
	global_inv scope:SCOPE_SE
	v_cmp_eq_u32_e32 vcc_lo, 0, v14
	s_cbranch_vccnz .LBB17_133
.LBB17_129:                             ;   in Loop: Header=BB17_130 Depth=2
	s_wait_alu 0xfffe
	s_and_b32 s25, exec_lo, s25
	s_wait_alu 0xfffe
	s_or_b32 s23, s25, s23
	s_and_not1_b32 s24, s24, exec_lo
	s_and_b32 s25, s26, exec_lo
	s_wait_alu 0xfffe
	s_or_b32 s24, s24, s25
	s_and_not1_b32 exec_lo, exec_lo, s23
	s_cbranch_execz .LBB17_134
.LBB17_130:                             ;   Parent Loop BB17_7 Depth=1
                                        ; =>  This Inner Loop Header: Depth=2
	s_mov_b32 s25, exec_lo
	s_delay_alu instid0(VALU_DEP_1)
	v_cmpx_gt_i32_e64 s21, v2
	s_cbranch_execz .LBB17_128
; %bb.131:                              ;   in Loop: Header=BB17_130 Depth=2
	ds_load_b32 v14, v1
	s_wait_dscnt 0x0
	v_xor_b32_e32 v6, 0x80000000, v14
	s_delay_alu instid0(VALU_DEP_1) | instskip(NEXT) | instid1(VALU_DEP_1)
	v_and_b32_e32 v6, v6, v32
	v_cmp_eq_u32_e32 vcc_lo, v6, v24
	s_and_b32 exec_lo, exec_lo, vcc_lo
	s_cbranch_execz .LBB17_128
; %bb.132:                              ;   in Loop: Header=BB17_130 Depth=2
	ds_store_b64 v7, v[13:14] offset:3072
	s_branch .LBB17_128
.LBB17_133:                             ;   in Loop: Header=BB17_130 Depth=2
	v_add_nc_u32_e32 v2, s41, v2
	v_add_nc_u32_e32 v1, s46, v1
	s_mov_b32 s26, 0
	s_delay_alu instid0(VALU_DEP_2)
	v_cmp_le_i32_e32 vcc_lo, s15, v2
	s_or_not1_b32 s25, vcc_lo, exec_lo
	s_branch .LBB17_129
.LBB17_134:                             ;   in Loop: Header=BB17_7 Depth=1
	s_or_b32 exec_lo, exec_lo, s23
	s_delay_alu instid0(SALU_CYCLE_1)
	s_and_not1_b32 s15, s22, exec_lo
	s_wait_alu 0xfffe
	s_and_b32 s21, s24, exec_lo
	s_wait_alu 0xfffe
	s_or_b32 s22, s15, s21
.LBB17_135:                             ;   in Loop: Header=BB17_7 Depth=1
	s_or_b32 exec_lo, exec_lo, s14
	s_mov_b32 s14, 0
	s_mov_b32 s15, -1
.LBB17_136:                             ;   in Loop: Header=BB17_7 Depth=1
	s_wait_alu 0xfffe
	s_or_not1_b32 s21, s22, exec_lo
.LBB17_137:                             ;   in Loop: Header=BB17_7 Depth=1
	s_wait_alu 0xfffe
	s_or_b32 exec_lo, exec_lo, s18
	s_mov_b32 s22, 0
	s_and_saveexec_b32 s18, s21
	s_cbranch_execz .LBB17_226
; %bb.138:                              ;   in Loop: Header=BB17_7 Depth=1
	v_dual_mov_b32 v6, 1 :: v_dual_mov_b32 v3, 1
	s_xor_b32 s21, s20, -1
	s_mov_b32 s23, 0
	s_wait_alu 0xfffe
	s_and_saveexec_b32 s20, s21
	s_cbranch_execz .LBB17_147
; %bb.139:                              ;   in Loop: Header=BB17_7 Depth=1
	s_mov_b32 s21, exec_lo
	v_cmpx_ge_i32_e64 s19, v4
	s_wait_alu 0xfffe
	s_xor_b32 s21, exec_lo, s21
	s_cbranch_execz .LBB17_144
; %bb.140:                              ;   in Loop: Header=BB17_7 Depth=1
	ds_load_b32 v1, v7 offset:4096
	s_lshl_b32 s22, 1, s83
	v_or_b32_e32 v32, s10, v32
	s_wait_alu 0xfffe
	v_and_or_b32 v24, v24, s17, s22
	s_wait_dscnt 0x0
	v_cmp_ne_u32_e32 vcc_lo, 0, v1
	s_cbranch_vccnz .LBB17_144
; %bb.141:                              ;   in Loop: Header=BB17_7 Depth=1
	s_and_saveexec_b32 s22, s2
; %bb.142:                              ;   in Loop: Header=BB17_7 Depth=1
	v_mov_b32_e32 v1, s19
	ds_store_b32 v7, v1 offset:4100
; %bb.143:                              ;   in Loop: Header=BB17_7 Depth=1
	s_wait_alu 0xfffe
	s_or_b32 exec_lo, exec_lo, s22
	s_wait_loadcnt_dscnt 0x0
	s_barrier_signal -1
	s_barrier_wait -1
	global_inv scope:SCOPE_SE
.LBB17_144:                             ;   in Loop: Header=BB17_7 Depth=1
	s_wait_alu 0xfffe
	s_or_saveexec_b32 s21, s21
	v_mov_b32_e32 v3, 8
	s_mov_b32 s22, 0
	s_wait_alu 0xfffe
	s_xor_b32 exec_lo, exec_lo, s21
; %bb.145:                              ;   in Loop: Header=BB17_7 Depth=1
	v_subrev_nc_u32_e32 v4, s19, v4
	v_mov_b32_e32 v3, 0
	s_mov_b32 s22, exec_lo
; %bb.146:                              ;   in Loop: Header=BB17_7 Depth=1
	s_or_b32 exec_lo, exec_lo, s21
	s_delay_alu instid0(VALU_DEP_2)
	v_mov_b32_e32 v6, v4
	s_wait_alu 0xfffe
	s_and_b32 s23, s22, exec_lo
.LBB17_147:                             ;   in Loop: Header=BB17_7 Depth=1
	s_wait_alu 0xfffe
	s_or_b32 exec_lo, exec_lo, s20
	s_mov_b32 s22, -1
                                        ; implicit-def: $sgpr20
                                        ; implicit-def: $sgpr21
	s_and_saveexec_b32 s19, s23
	s_cbranch_execz .LBB17_225
; %bb.148:                              ;   in Loop: Header=BB17_7 Depth=1
	v_cmp_eq_u32_e32 vcc_lo, 1, v6
	s_cmp_eq_u32 s16, 1
	s_mov_b32 s24, -1
	s_cselect_b32 s20, -1, 0
                                        ; implicit-def: $sgpr21
	s_wait_alu 0xfffe
	s_and_b32 s23, s20, vcc_lo
                                        ; implicit-def: $sgpr20
	s_wait_alu 0xfffe
	s_and_saveexec_b32 s22, s23
	s_cbranch_execz .LBB17_174
; %bb.149:                              ;   in Loop: Header=BB17_7 Depth=1
	ds_load_b32 v1, v7 offset:4096
	s_wait_loadcnt_dscnt 0x0
	s_barrier_signal -1
	s_barrier_wait -1
	global_inv scope:SCOPE_SE
	v_readfirstlane_b32 s24, v1
	s_and_saveexec_b32 s20, s1
; %bb.150:                              ;   in Loop: Header=BB17_7 Depth=1
	ds_store_b32 v20, v7
; %bb.151:                              ;   in Loop: Header=BB17_7 Depth=1
	s_wait_alu 0xfffe
	s_or_b32 exec_lo, exec_lo, s20
	s_lshl_b32 s20, 2, s83
	v_or_b32_e32 v32, s10, v32
	s_wait_alu 0xfffe
	v_and_or_b32 v24, v24, s17, s20
	s_mov_b32 s20, -1
	s_mov_b32 s21, 0
	s_cmp_gt_i32 s24, 0
	s_mov_b32 s25, 0
	s_mov_b32 s26, -1
	s_wait_loadcnt_dscnt 0x0
	s_barrier_signal -1
	s_barrier_wait -1
	global_inv scope:SCOPE_SE
                                        ; implicit-def: $vgpr15
	s_cbranch_scc1 .LBB17_162
; %bb.152:                              ;   in Loop: Header=BB17_7 Depth=1
	s_mov_b32 s26, 0
                                        ; implicit-def: $vgpr15
	s_and_saveexec_b32 s27, s8
	s_cbranch_execz .LBB17_161
; %bb.153:                              ;   in Loop: Header=BB17_7 Depth=1
	v_dual_mov_b32 v1, v5 :: v_dual_mov_b32 v4, v0
                                        ; implicit-def: $sgpr28
	s_branch .LBB17_156
.LBB17_154:                             ;   in Loop: Header=BB17_156 Depth=2
	s_wait_alu 0xfffe
	s_or_b32 exec_lo, exec_lo, s50
	s_wait_loadcnt_dscnt 0x0
	s_barrier_signal -1
	s_barrier_wait -1
	global_inv scope:SCOPE_SE
	ds_load_b64 v[14:15], v7 offset:3072
	s_mov_b32 s50, -1
	s_mov_b32 s84, -1
	s_wait_loadcnt_dscnt 0x0
	s_barrier_signal -1
	s_barrier_wait -1
	global_inv scope:SCOPE_SE
	v_cmp_ne_u32_e32 vcc_lo, 0, v14
	s_cbranch_vccz .LBB17_159
.LBB17_155:                             ;   in Loop: Header=BB17_156 Depth=2
	s_wait_alu 0xfffe
	s_and_b32 s50, exec_lo, s50
	s_wait_alu 0xfffe
	s_or_b32 s25, s50, s25
	s_and_not1_b32 s28, s28, exec_lo
	s_and_b32 s50, s84, exec_lo
	s_wait_alu 0xfffe
	s_or_b32 s28, s28, s50
	s_and_not1_b32 exec_lo, exec_lo, s25
	s_cbranch_execz .LBB17_160
.LBB17_156:                             ;   Parent Loop BB17_7 Depth=1
                                        ; =>  This Inner Loop Header: Depth=2
	s_mov_b32 s50, exec_lo
	s_delay_alu instid0(VALU_DEP_1)
	v_cmpx_gt_i32_e64 s36, v4
	s_cbranch_execz .LBB17_154
; %bb.157:                              ;   in Loop: Header=BB17_156 Depth=2
	v_ashrrev_i32_e32 v2, 31, v1
	s_delay_alu instid0(VALU_DEP_1) | instskip(NEXT) | instid1(VALU_DEP_1)
	v_lshlrev_b64_e32 v[14:15], 2, v[1:2]
	v_add_co_u32 v14, vcc_lo, s48, v14
	s_wait_alu 0xfffd
	s_delay_alu instid0(VALU_DEP_2) | instskip(SKIP_3) | instid1(VALU_DEP_1)
	v_add_co_ci_u32_e64 v15, null, s49, v15, vcc_lo
	global_load_b32 v14, v[14:15], off
	s_wait_loadcnt 0x0
	v_xor_b32_e32 v2, 0x80000000, v14
	v_and_b32_e32 v2, v2, v32
	s_delay_alu instid0(VALU_DEP_1)
	v_cmp_eq_u32_e32 vcc_lo, v2, v24
	s_and_b32 exec_lo, exec_lo, vcc_lo
	s_cbranch_execz .LBB17_154
; %bb.158:                              ;   in Loop: Header=BB17_156 Depth=2
	ds_store_b64 v7, v[13:14] offset:3072
	s_branch .LBB17_154
.LBB17_159:                             ;   in Loop: Header=BB17_156 Depth=2
	v_add_nc_u32_e32 v4, s41, v4
	v_add_nc_u32_e32 v1, s65, v1
	s_mov_b32 s84, 0
	s_delay_alu instid0(VALU_DEP_2)
	v_cmp_le_i32_e32 vcc_lo, s74, v4
	s_or_not1_b32 s50, vcc_lo, exec_lo
	s_branch .LBB17_155
.LBB17_160:                             ;   in Loop: Header=BB17_7 Depth=1
	s_or_b32 exec_lo, exec_lo, s25
	s_delay_alu instid0(SALU_CYCLE_1)
	s_and_b32 s25, s28, exec_lo
.LBB17_161:                             ;   in Loop: Header=BB17_7 Depth=1
	s_wait_alu 0xfffe
	s_or_b32 exec_lo, exec_lo, s27
.LBB17_162:                             ;   in Loop: Header=BB17_7 Depth=1
	s_wait_alu 0xfffe
	s_and_b32 vcc_lo, exec_lo, s26
	s_wait_alu 0xfffe
	s_cbranch_vccz .LBB17_173
; %bb.163:                              ;   in Loop: Header=BB17_7 Depth=1
	s_add_co_i32 s26, s24, s64
                                        ; implicit-def: $vgpr15
	s_wait_alu 0xfffe
	s_abs_i32 s50, s26
	s_wait_alu 0xfffe
	s_mul_u64 s[20:21], s[50:51], s[54:55]
	s_wait_alu 0xfffe
	s_mul_i32 s20, s21, s41
	s_ashr_i32 s21, s26, 31
	s_wait_alu 0xfffe
	s_sub_co_i32 s20, s50, s20
	s_wait_alu 0xfffe
	s_sub_co_i32 s27, s20, s41
	s_cmp_ge_u32 s20, s41
	s_wait_alu 0xfffe
	s_cselect_b32 s20, s27, s20
	s_wait_alu 0xfffe
	s_sub_co_i32 s27, s20, s41
	s_cmp_ge_u32 s20, s41
	s_wait_alu 0xfffe
	s_cselect_b32 s20, s27, s20
	s_wait_alu 0xfffe
	s_xor_b32 s20, s20, s21
	s_wait_alu 0xfffe
	s_sub_co_i32 s20, s21, s20
	s_wait_alu 0xfffe
	s_add_co_i32 s21, s26, s20
	s_mov_b32 s20, exec_lo
	s_wait_alu 0xfffe
	v_cmpx_gt_i32_e64 s21, v0
	s_cbranch_execz .LBB17_172
; %bb.164:                              ;   in Loop: Header=BB17_7 Depth=1
	v_dual_mov_b32 v1, v19 :: v_dual_mov_b32 v2, v0
	s_mov_b32 s26, 0
                                        ; implicit-def: $sgpr27
	s_branch .LBB17_167
.LBB17_165:                             ;   in Loop: Header=BB17_167 Depth=2
	s_or_b32 exec_lo, exec_lo, s28
	s_wait_loadcnt_dscnt 0x0
	s_barrier_signal -1
	s_barrier_wait -1
	global_inv scope:SCOPE_SE
	ds_load_b64 v[14:15], v7 offset:3072
	s_mov_b32 s28, -1
	s_mov_b32 s50, -1
	s_wait_loadcnt_dscnt 0x0
	s_barrier_signal -1
	s_barrier_wait -1
	global_inv scope:SCOPE_SE
	v_cmp_eq_u32_e32 vcc_lo, 0, v14
	s_cbranch_vccnz .LBB17_170
.LBB17_166:                             ;   in Loop: Header=BB17_167 Depth=2
	s_and_b32 s28, exec_lo, s28
	s_wait_alu 0xfffe
	s_or_b32 s26, s28, s26
	s_and_not1_b32 s27, s27, exec_lo
	s_and_b32 s28, s50, exec_lo
	s_wait_alu 0xfffe
	s_or_b32 s27, s27, s28
	s_and_not1_b32 exec_lo, exec_lo, s26
	s_cbranch_execz .LBB17_171
.LBB17_167:                             ;   Parent Loop BB17_7 Depth=1
                                        ; =>  This Inner Loop Header: Depth=2
	s_mov_b32 s28, exec_lo
	s_delay_alu instid0(VALU_DEP_1)
	v_cmpx_gt_i32_e64 s24, v2
	s_cbranch_execz .LBB17_165
; %bb.168:                              ;   in Loop: Header=BB17_167 Depth=2
	ds_load_b32 v14, v1
	s_wait_dscnt 0x0
	v_xor_b32_e32 v4, 0x80000000, v14
	s_delay_alu instid0(VALU_DEP_1) | instskip(NEXT) | instid1(VALU_DEP_1)
	v_and_b32_e32 v4, v4, v32
	v_cmp_eq_u32_e32 vcc_lo, v4, v24
	s_and_b32 exec_lo, exec_lo, vcc_lo
	s_cbranch_execz .LBB17_165
; %bb.169:                              ;   in Loop: Header=BB17_167 Depth=2
	ds_store_b64 v7, v[13:14] offset:3072
	s_branch .LBB17_165
.LBB17_170:                             ;   in Loop: Header=BB17_167 Depth=2
	v_add_nc_u32_e32 v2, s41, v2
	v_add_nc_u32_e32 v1, s46, v1
	s_mov_b32 s50, 0
	s_delay_alu instid0(VALU_DEP_2)
	v_cmp_le_i32_e32 vcc_lo, s21, v2
	s_or_not1_b32 s28, vcc_lo, exec_lo
	s_branch .LBB17_166
.LBB17_171:                             ;   in Loop: Header=BB17_7 Depth=1
	s_or_b32 exec_lo, exec_lo, s26
	s_delay_alu instid0(SALU_CYCLE_1)
	s_and_not1_b32 s21, s25, exec_lo
	s_wait_alu 0xfffe
	s_and_b32 s24, s27, exec_lo
	s_wait_alu 0xfffe
	s_or_b32 s25, s21, s24
.LBB17_172:                             ;   in Loop: Header=BB17_7 Depth=1
	s_or_b32 exec_lo, exec_lo, s20
	s_mov_b32 s20, 0
	s_mov_b32 s21, -1
.LBB17_173:                             ;   in Loop: Header=BB17_7 Depth=1
	s_wait_alu 0xfffe
	s_or_not1_b32 s24, s25, exec_lo
.LBB17_174:                             ;   in Loop: Header=BB17_7 Depth=1
	s_wait_alu 0xfffe
	s_or_b32 exec_lo, exec_lo, s22
	s_mov_b32 s25, 0
	s_and_saveexec_b32 s22, s24
	s_cbranch_execz .LBB17_224
; %bb.175:                              ;   in Loop: Header=BB17_7 Depth=1
	v_dual_mov_b32 v4, 1 :: v_dual_mov_b32 v3, 1
	s_xor_b32 s24, s23, -1
	s_wait_alu 0xfffe
	s_and_saveexec_b32 s23, s24
	s_cbranch_execz .LBB17_184
; %bb.176:                              ;   in Loop: Header=BB17_7 Depth=1
	s_mov_b32 s24, exec_lo
	v_cmpx_ge_i32_e64 s16, v6
	s_wait_alu 0xfffe
	s_xor_b32 s24, exec_lo, s24
	s_cbranch_execz .LBB17_181
; %bb.177:                              ;   in Loop: Header=BB17_7 Depth=1
	ds_load_b32 v1, v7 offset:4096
	s_lshl_b32 s25, 2, s83
	v_or_b32_e32 v32, s10, v32
	s_wait_alu 0xfffe
	v_and_or_b32 v24, v24, s17, s25
	s_wait_dscnt 0x0
	v_cmp_ne_u32_e32 vcc_lo, 0, v1
	s_cbranch_vccnz .LBB17_181
; %bb.178:                              ;   in Loop: Header=BB17_7 Depth=1
	s_and_saveexec_b32 s17, s2
; %bb.179:                              ;   in Loop: Header=BB17_7 Depth=1
	v_mov_b32_e32 v1, s16
	ds_store_b32 v7, v1 offset:4100
; %bb.180:                              ;   in Loop: Header=BB17_7 Depth=1
	s_wait_alu 0xfffe
	s_or_b32 exec_lo, exec_lo, s17
	s_wait_loadcnt_dscnt 0x0
	s_barrier_signal -1
	s_barrier_wait -1
	global_inv scope:SCOPE_SE
.LBB17_181:                             ;   in Loop: Header=BB17_7 Depth=1
	s_wait_alu 0xfffe
	s_or_saveexec_b32 s17, s24
	v_mov_b32_e32 v3, 8
	s_mov_b32 s24, 0
	s_wait_alu 0xfffe
	s_xor_b32 exec_lo, exec_lo, s17
; %bb.182:                              ;   in Loop: Header=BB17_7 Depth=1
	v_subrev_nc_u32_e32 v6, s16, v6
	v_mov_b32_e32 v3, 0
	s_mov_b32 s24, exec_lo
; %bb.183:                              ;   in Loop: Header=BB17_7 Depth=1
	s_or_b32 exec_lo, exec_lo, s17
	s_delay_alu instid0(VALU_DEP_2)
	v_mov_b32_e32 v4, v6
	s_wait_alu 0xfffe
	s_and_b32 s25, s24, exec_lo
.LBB17_184:                             ;   in Loop: Header=BB17_7 Depth=1
	s_wait_alu 0xfffe
	s_or_b32 exec_lo, exec_lo, s23
	s_mov_b32 s17, -1
                                        ; implicit-def: $sgpr24
                                        ; implicit-def: $sgpr23
	s_and_saveexec_b32 s16, s25
	s_cbranch_execz .LBB17_223
; %bb.185:                              ;   in Loop: Header=BB17_7 Depth=1
	v_cmp_eq_u32_e32 vcc_lo, 1, v4
	s_cmp_eq_u32 s9, 1
	s_mov_b32 s26, -1
	s_cselect_b32 s17, -1, 0
                                        ; implicit-def: $sgpr24
                                        ; implicit-def: $sgpr23
	s_wait_alu 0xfffe
	s_and_b32 s17, s17, vcc_lo
	s_wait_alu 0xfffe
	s_and_saveexec_b32 s25, s17
	s_cbranch_execz .LBB17_211
; %bb.186:                              ;   in Loop: Header=BB17_7 Depth=1
	ds_load_b32 v1, v7 offset:4096
	s_wait_loadcnt_dscnt 0x0
	s_barrier_signal -1
	s_barrier_wait -1
	global_inv scope:SCOPE_SE
	v_readfirstlane_b32 s26, v1
	s_and_saveexec_b32 s23, s1
; %bb.187:                              ;   in Loop: Header=BB17_7 Depth=1
	ds_store_b32 v20, v7
; %bb.188:                              ;   in Loop: Header=BB17_7 Depth=1
	s_wait_alu 0xfffe
	s_or_b32 exec_lo, exec_lo, s23
	v_or_b32_e32 v24, s10, v24
	v_or_b32_e32 v32, s10, v32
	s_mov_b32 s23, -1
	s_mov_b32 s24, 0
	s_cmp_gt_i32 s26, 0
	s_mov_b32 s27, 0
	s_mov_b32 s28, -1
	s_wait_loadcnt_dscnt 0x0
	s_barrier_signal -1
	s_barrier_wait -1
	global_inv scope:SCOPE_SE
                                        ; implicit-def: $vgpr15
	s_cbranch_scc1 .LBB17_199
; %bb.189:                              ;   in Loop: Header=BB17_7 Depth=1
	s_mov_b32 s28, 0
                                        ; implicit-def: $vgpr15
	s_and_saveexec_b32 s50, s8
	s_cbranch_execz .LBB17_198
; %bb.190:                              ;   in Loop: Header=BB17_7 Depth=1
	v_dual_mov_b32 v1, v5 :: v_dual_mov_b32 v6, v0
                                        ; implicit-def: $sgpr84
	s_branch .LBB17_193
.LBB17_191:                             ;   in Loop: Header=BB17_193 Depth=2
	s_wait_alu 0xfffe
	s_or_b32 exec_lo, exec_lo, s85
	s_wait_loadcnt_dscnt 0x0
	s_barrier_signal -1
	s_barrier_wait -1
	global_inv scope:SCOPE_SE
	ds_load_b64 v[14:15], v7 offset:3072
	s_mov_b32 s85, -1
	s_mov_b32 s86, -1
	s_wait_loadcnt_dscnt 0x0
	s_barrier_signal -1
	s_barrier_wait -1
	global_inv scope:SCOPE_SE
	v_cmp_ne_u32_e32 vcc_lo, 0, v14
	s_cbranch_vccz .LBB17_196
.LBB17_192:                             ;   in Loop: Header=BB17_193 Depth=2
	s_wait_alu 0xfffe
	s_and_b32 s85, exec_lo, s85
	s_wait_alu 0xfffe
	s_or_b32 s27, s85, s27
	s_and_not1_b32 s84, s84, exec_lo
	s_and_b32 s85, s86, exec_lo
	s_wait_alu 0xfffe
	s_or_b32 s84, s84, s85
	s_and_not1_b32 exec_lo, exec_lo, s27
	s_cbranch_execz .LBB17_197
.LBB17_193:                             ;   Parent Loop BB17_7 Depth=1
                                        ; =>  This Inner Loop Header: Depth=2
	s_mov_b32 s85, exec_lo
	s_delay_alu instid0(VALU_DEP_1)
	v_cmpx_gt_i32_e64 s36, v6
	s_cbranch_execz .LBB17_191
; %bb.194:                              ;   in Loop: Header=BB17_193 Depth=2
	v_ashrrev_i32_e32 v2, 31, v1
	s_delay_alu instid0(VALU_DEP_1) | instskip(NEXT) | instid1(VALU_DEP_1)
	v_lshlrev_b64_e32 v[14:15], 2, v[1:2]
	v_add_co_u32 v14, vcc_lo, s48, v14
	s_wait_alu 0xfffd
	s_delay_alu instid0(VALU_DEP_2) | instskip(SKIP_3) | instid1(VALU_DEP_1)
	v_add_co_ci_u32_e64 v15, null, s49, v15, vcc_lo
	global_load_b32 v14, v[14:15], off
	s_wait_loadcnt 0x0
	v_xor_b32_e32 v2, 0x80000000, v14
	v_and_b32_e32 v2, v2, v32
	s_delay_alu instid0(VALU_DEP_1)
	v_cmp_eq_u32_e32 vcc_lo, v2, v24
	s_and_b32 exec_lo, exec_lo, vcc_lo
	s_cbranch_execz .LBB17_191
; %bb.195:                              ;   in Loop: Header=BB17_193 Depth=2
	ds_store_b64 v7, v[13:14] offset:3072
	s_branch .LBB17_191
.LBB17_196:                             ;   in Loop: Header=BB17_193 Depth=2
	v_add_nc_u32_e32 v6, s41, v6
	v_add_nc_u32_e32 v1, s65, v1
	s_mov_b32 s86, 0
	s_delay_alu instid0(VALU_DEP_2)
	v_cmp_le_i32_e32 vcc_lo, s74, v6
	s_or_not1_b32 s85, vcc_lo, exec_lo
	s_branch .LBB17_192
.LBB17_197:                             ;   in Loop: Header=BB17_7 Depth=1
	s_or_b32 exec_lo, exec_lo, s27
	s_wait_alu 0xfffe
	s_and_b32 s27, s84, exec_lo
.LBB17_198:                             ;   in Loop: Header=BB17_7 Depth=1
	s_wait_alu 0xfffe
	s_or_b32 exec_lo, exec_lo, s50
.LBB17_199:                             ;   in Loop: Header=BB17_7 Depth=1
	s_delay_alu instid0(SALU_CYCLE_1)
	s_and_b32 vcc_lo, exec_lo, s28
	s_wait_alu 0xfffe
	s_cbranch_vccz .LBB17_210
; %bb.200:                              ;   in Loop: Header=BB17_7 Depth=1
	s_add_co_i32 s24, s26, s64
                                        ; implicit-def: $vgpr15
	s_wait_alu 0xfffe
	s_abs_i32 s50, s24
	s_ashr_i32 s28, s24, 31
	s_wait_alu 0xfffe
	s_mul_u64 s[84:85], s[50:51], s[54:55]
	s_wait_alu 0xfffe
	s_mul_i32 s23, s85, s41
	s_wait_alu 0xfffe
	s_sub_co_i32 s23, s50, s23
	s_wait_alu 0xfffe
	s_sub_co_i32 s50, s23, s41
	s_cmp_ge_u32 s23, s41
	s_wait_alu 0xfffe
	s_cselect_b32 s23, s50, s23
	s_wait_alu 0xfffe
	s_sub_co_i32 s50, s23, s41
	s_cmp_ge_u32 s23, s41
	s_wait_alu 0xfffe
	s_cselect_b32 s23, s50, s23
	s_wait_alu 0xfffe
	s_xor_b32 s23, s23, s28
	s_wait_alu 0xfffe
	s_sub_co_i32 s23, s28, s23
	s_wait_alu 0xfffe
	s_add_co_i32 s24, s24, s23
	s_mov_b32 s23, exec_lo
	s_wait_alu 0xfffe
	v_cmpx_gt_i32_e64 s24, v0
	s_cbranch_execz .LBB17_209
; %bb.201:                              ;   in Loop: Header=BB17_7 Depth=1
	v_dual_mov_b32 v1, v19 :: v_dual_mov_b32 v2, v0
	s_mov_b32 s28, 0
                                        ; implicit-def: $sgpr50
	s_branch .LBB17_204
.LBB17_202:                             ;   in Loop: Header=BB17_204 Depth=2
	s_wait_alu 0xfffe
	s_or_b32 exec_lo, exec_lo, s84
	s_wait_loadcnt_dscnt 0x0
	s_barrier_signal -1
	s_barrier_wait -1
	global_inv scope:SCOPE_SE
	ds_load_b64 v[14:15], v7 offset:3072
	s_mov_b32 s84, -1
	s_mov_b32 s85, -1
	s_wait_loadcnt_dscnt 0x0
	s_barrier_signal -1
	s_barrier_wait -1
	global_inv scope:SCOPE_SE
	v_cmp_eq_u32_e32 vcc_lo, 0, v14
	s_cbranch_vccnz .LBB17_207
.LBB17_203:                             ;   in Loop: Header=BB17_204 Depth=2
	s_wait_alu 0xfffe
	s_and_b32 s84, exec_lo, s84
	s_wait_alu 0xfffe
	s_or_b32 s28, s84, s28
	s_and_not1_b32 s50, s50, exec_lo
	s_and_b32 s84, s85, exec_lo
	s_wait_alu 0xfffe
	s_or_b32 s50, s50, s84
	s_and_not1_b32 exec_lo, exec_lo, s28
	s_cbranch_execz .LBB17_208
.LBB17_204:                             ;   Parent Loop BB17_7 Depth=1
                                        ; =>  This Inner Loop Header: Depth=2
	s_mov_b32 s84, exec_lo
	s_delay_alu instid0(VALU_DEP_1)
	v_cmpx_gt_i32_e64 s26, v2
	s_cbranch_execz .LBB17_202
; %bb.205:                              ;   in Loop: Header=BB17_204 Depth=2
	ds_load_b32 v14, v1
	s_wait_dscnt 0x0
	v_xor_b32_e32 v6, 0x80000000, v14
	s_delay_alu instid0(VALU_DEP_1) | instskip(NEXT) | instid1(VALU_DEP_1)
	v_and_b32_e32 v6, v6, v32
	v_cmp_eq_u32_e32 vcc_lo, v6, v24
	s_and_b32 exec_lo, exec_lo, vcc_lo
	s_cbranch_execz .LBB17_202
; %bb.206:                              ;   in Loop: Header=BB17_204 Depth=2
	ds_store_b64 v7, v[13:14] offset:3072
	s_branch .LBB17_202
.LBB17_207:                             ;   in Loop: Header=BB17_204 Depth=2
	v_add_nc_u32_e32 v2, s41, v2
	v_add_nc_u32_e32 v1, s46, v1
	s_mov_b32 s85, 0
	s_delay_alu instid0(VALU_DEP_2)
	v_cmp_le_i32_e32 vcc_lo, s24, v2
	s_or_not1_b32 s84, vcc_lo, exec_lo
	s_branch .LBB17_203
.LBB17_208:                             ;   in Loop: Header=BB17_7 Depth=1
	s_or_b32 exec_lo, exec_lo, s28
	s_delay_alu instid0(SALU_CYCLE_1)
	s_and_not1_b32 s24, s27, exec_lo
	s_wait_alu 0xfffe
	s_and_b32 s26, s50, exec_lo
	s_wait_alu 0xfffe
	s_or_b32 s27, s24, s26
.LBB17_209:                             ;   in Loop: Header=BB17_7 Depth=1
	s_or_b32 exec_lo, exec_lo, s23
	s_mov_b32 s23, 0
	s_mov_b32 s24, -1
.LBB17_210:                             ;   in Loop: Header=BB17_7 Depth=1
	s_wait_alu 0xfffe
	s_or_not1_b32 s26, s27, exec_lo
.LBB17_211:                             ;   in Loop: Header=BB17_7 Depth=1
	s_wait_alu 0xfffe
	s_or_b32 exec_lo, exec_lo, s25
	s_mov_b32 s27, 0
	s_and_saveexec_b32 s25, s26
	s_cbranch_execz .LBB17_222
; %bb.212:                              ;   in Loop: Header=BB17_7 Depth=1
	v_mov_b32_e32 v3, 1
	v_mov_b32_e32 v1, 1
	s_xor_b32 s26, s17, -1
	s_wait_alu 0xfffe
	s_and_saveexec_b32 s17, s26
	s_cbranch_execz .LBB17_221
; %bb.213:                              ;   in Loop: Header=BB17_7 Depth=1
	s_mov_b32 s26, exec_lo
	v_cmpx_ge_i32_e64 s9, v4
	s_wait_alu 0xfffe
	s_xor_b32 s26, exec_lo, s26
	s_cbranch_execz .LBB17_218
; %bb.214:                              ;   in Loop: Header=BB17_7 Depth=1
	ds_load_b32 v1, v7 offset:4096
	v_or_b32_e32 v24, s10, v24
	v_or_b32_e32 v32, s10, v32
	s_wait_dscnt 0x0
	v_cmp_ne_u32_e32 vcc_lo, 0, v1
	s_cbranch_vccnz .LBB17_218
; %bb.215:                              ;   in Loop: Header=BB17_7 Depth=1
	s_and_saveexec_b32 s10, s2
; %bb.216:                              ;   in Loop: Header=BB17_7 Depth=1
	v_mov_b32_e32 v1, s9
	ds_store_b32 v7, v1 offset:4100
; %bb.217:                              ;   in Loop: Header=BB17_7 Depth=1
	s_wait_alu 0xfffe
	s_or_b32 exec_lo, exec_lo, s10
	s_wait_loadcnt_dscnt 0x0
	s_barrier_signal -1
	s_barrier_wait -1
	global_inv scope:SCOPE_SE
.LBB17_218:                             ;   in Loop: Header=BB17_7 Depth=1
	s_wait_alu 0xfffe
	s_and_not1_saveexec_b32 s10, s26
; %bb.219:                              ;   in Loop: Header=BB17_7 Depth=1
	v_subrev_nc_u32_e32 v4, s9, v4
; %bb.220:                              ;   in Loop: Header=BB17_7 Depth=1
	s_wait_alu 0xfffe
	s_or_b32 exec_lo, exec_lo, s10
	v_mov_b32_e32 v3, 8
	s_delay_alu instid0(VALU_DEP_2)
	v_mov_b32_e32 v1, v4
.LBB17_221:                             ;   in Loop: Header=BB17_7 Depth=1
	s_wait_alu 0xfffe
	s_or_b32 exec_lo, exec_lo, s17
	s_delay_alu instid0(VALU_DEP_1)
	v_mov_b32_e32 v4, v1
	s_mov_b32 s27, exec_lo
.LBB17_222:                             ;   in Loop: Header=BB17_7 Depth=1
	s_wait_alu 0xfffe
	s_or_b32 exec_lo, exec_lo, s25
	s_delay_alu instid0(SALU_CYCLE_1)
	s_or_not1_b32 s17, s27, exec_lo
.LBB17_223:                             ;   in Loop: Header=BB17_7 Depth=1
	s_wait_alu 0xfffe
	s_or_b32 exec_lo, exec_lo, s16
	v_mov_b32_e32 v6, v4
	s_and_not1_b32 s9, s21, exec_lo
	s_and_b32 s10, s24, exec_lo
	s_and_not1_b32 s16, s20, exec_lo
	s_and_b32 s20, s23, exec_lo
	s_wait_alu 0xfffe
	s_or_b32 s21, s9, s10
	s_or_b32 s20, s16, s20
	s_and_b32 s25, s17, exec_lo
.LBB17_224:                             ;   in Loop: Header=BB17_7 Depth=1
	s_wait_alu 0xfffe
	s_or_b32 exec_lo, exec_lo, s22
	s_delay_alu instid0(SALU_CYCLE_1)
	s_or_not1_b32 s22, s25, exec_lo
.LBB17_225:                             ;   in Loop: Header=BB17_7 Depth=1
	s_wait_alu 0xfffe
	s_or_b32 exec_lo, exec_lo, s19
	v_mov_b32_e32 v4, v6
	s_and_not1_b32 s9, s15, exec_lo
	s_and_b32 s10, s21, exec_lo
	s_and_not1_b32 s14, s14, exec_lo
	s_and_b32 s16, s20, exec_lo
	s_wait_alu 0xfffe
	s_or_b32 s15, s9, s10
	s_or_b32 s14, s14, s16
	s_and_b32 s22, s22, exec_lo
.LBB17_226:                             ;   in Loop: Header=BB17_7 Depth=1
	s_wait_alu 0xfffe
	s_or_b32 exec_lo, exec_lo, s18
	s_delay_alu instid0(SALU_CYCLE_1)
	s_or_not1_b32 s18, s22, exec_lo
.LBB17_227:                             ;   in Loop: Header=BB17_7 Depth=1
	s_wait_alu 0xfffe
	s_or_b32 exec_lo, exec_lo, s13
	s_mov_b32 s10, 0
                                        ; implicit-def: $sgpr21
	s_and_saveexec_b32 s9, s18
	s_wait_alu 0xfffe
	s_xor_b32 s9, exec_lo, s9
	s_cbranch_execz .LBB17_5
; %bb.228:                              ;   in Loop: Header=BB17_7 Depth=1
	v_and_b32_e32 v1, 7, v3
	s_mov_b32 s12, -1
	s_mov_b32 s10, -1
	s_mov_b32 s13, exec_lo
                                        ; implicit-def: $sgpr21
	s_delay_alu instid0(VALU_DEP_1)
	v_cmpx_eq_u32_e32 0, v1
	s_cbranch_execz .LBB17_4
; %bb.229:                              ;   in Loop: Header=BB17_7 Depth=1
	s_add_co_i32 s21, s83, -2
	s_cmp_eq_u32 s83, 0
	v_xor_b32_e32 v31, 1, v31
	s_cselect_b32 s12, -1, 0
	s_xor_b32 s10, exec_lo, -1
	s_wait_alu 0xfffe
	s_or_not1_b32 s12, s12, exec_lo
	s_branch .LBB17_4
.LBB17_230:
	s_or_b32 exec_lo, exec_lo, s37
	s_wait_alu 0xfffe
	s_xor_b32 s4, s82, -1
	s_xor_b32 s0, s80, -1
	;; [unrolled: 1-line block ×3, first 2 shown]
	s_mov_b32 s1, 0
	s_wait_alu 0xfffe
	s_and_saveexec_b32 s5, s0
	s_wait_alu 0xfffe
	s_xor_b32 s0, exec_lo, s5
	s_cbranch_execnz .LBB17_235
; %bb.231:
	s_wait_alu 0xfffe
	s_and_not1_saveexec_b32 s0, s0
	s_cbranch_execnz .LBB17_255
.LBB17_232:
	s_wait_alu 0xfffe
	s_or_b32 exec_lo, exec_lo, s0
	s_and_saveexec_b32 s0, s1
.LBB17_233:
	; divergent unreachable
.LBB17_234:
	s_endpgm
.LBB17_235:
	s_and_saveexec_b32 s1, s4
	s_wait_alu 0xfffe
	s_xor_b32 s1, exec_lo, s1
	s_cbranch_execz .LBB17_253
; %bb.236:
	s_and_saveexec_b32 s4, s3
	s_wait_alu 0xfffe
	s_xor_b32 s3, exec_lo, s4
; %bb.237:
	v_xor_b32_e32 v15, 0x80000000, v24
; %bb.238:
	s_wait_alu 0xfffe
	s_or_b32 exec_lo, exec_lo, s3
	s_and_saveexec_b32 s3, s2
; %bb.239:
	v_dual_mov_b32 v1, 0 :: v_dual_mov_b32 v2, s36
	ds_store_b32 v1, v2 offset:4108
; %bb.240:
	s_wait_alu 0xfffe
	s_or_b32 exec_lo, exec_lo, s3
	v_mov_b32_e32 v1, 0
	s_wait_loadcnt_dscnt 0x0
	s_barrier_signal -1
	s_barrier_wait -1
	global_inv scope:SCOPE_SE
	ds_load_b32 v1, v1 offset:4108
	s_mov_b32 s3, exec_lo
	s_wait_dscnt 0x0
	v_min_i32_e32 v1, s36, v1
	s_delay_alu instid0(VALU_DEP_1)
	v_cmpx_lt_i32_e64 v0, v1
	s_cbranch_execz .LBB17_250
; %bb.241:
	s_mov_b32 s4, 0
                                        ; implicit-def: $sgpr5
                                        ; implicit-def: $sgpr7
                                        ; implicit-def: $sgpr6
	s_branch .LBB17_243
.LBB17_242:                             ;   in Loop: Header=BB17_243 Depth=1
	s_wait_alu 0xfffe
	s_or_b32 exec_lo, exec_lo, s8
	s_delay_alu instid0(SALU_CYCLE_1)
	s_and_b32 s8, exec_lo, s7
	s_wait_alu 0xfffe
	s_or_b32 s4, s8, s4
	s_and_not1_b32 s5, s5, exec_lo
	s_and_b32 s8, s6, exec_lo
	s_wait_alu 0xfffe
	s_or_b32 s5, s5, s8
	s_and_not1_b32 exec_lo, exec_lo, s4
	s_cbranch_execz .LBB17_245
.LBB17_243:                             ; =>This Inner Loop Header: Depth=1
	v_ashrrev_i32_e32 v6, 31, v5
	s_or_b32 s6, s6, exec_lo
	s_or_b32 s7, s7, exec_lo
	s_mov_b32 s8, exec_lo
	s_delay_alu instid0(VALU_DEP_1) | instskip(NEXT) | instid1(VALU_DEP_1)
	v_lshlrev_b64_e32 v[2:3], 2, v[5:6]
	v_add_co_u32 v2, vcc_lo, s48, v2
	s_wait_alu 0xfffd
	s_delay_alu instid0(VALU_DEP_2)
	v_add_co_ci_u32_e64 v3, null, s49, v3, vcc_lo
	global_load_b32 v3, v[2:3], off
	v_mov_b32_e32 v2, v0
                                        ; implicit-def: $vgpr0
	s_wait_loadcnt 0x0
	v_cmpx_ne_u32_e64 v3, v15
	s_cbranch_execz .LBB17_242
; %bb.244:                              ;   in Loop: Header=BB17_243 Depth=1
	s_delay_alu instid0(VALU_DEP_2) | instskip(SKIP_3) | instid1(VALU_DEP_2)
	v_add_nc_u32_e32 v0, s41, v2
	v_add_nc_u32_e32 v5, s65, v5
	s_and_not1_b32 s7, s7, exec_lo
	s_and_not1_b32 s6, s6, exec_lo
	v_cmp_ge_i32_e32 vcc_lo, v0, v1
	s_and_b32 s9, vcc_lo, exec_lo
	s_wait_alu 0xfffe
	s_or_b32 s7, s7, s9
	s_branch .LBB17_242
.LBB17_245:
	s_or_b32 exec_lo, exec_lo, s4
	s_wait_alu 0xfffe
	s_and_saveexec_b32 s4, s5
	s_wait_alu 0xfffe
	s_xor_b32 s4, exec_lo, s4
	s_cbranch_execz .LBB17_250
; %bb.246:
	s_mov_b32 s5, exec_lo
	s_brev_b32 s4, -2
.LBB17_247:                             ; =>This Inner Loop Header: Depth=1
	s_wait_alu 0xfffe
	s_ctz_i32_b32 s6, s5
	s_wait_alu 0xfffe
	v_readlane_b32 s7, v2, s6
	s_lshl_b32 s6, 1, s6
	s_wait_alu 0xfffe
	s_and_not1_b32 s5, s5, s6
	s_min_i32 s4, s4, s7
	s_wait_alu 0xfffe
	s_cmp_lg_u32 s5, 0
	s_cbranch_scc1 .LBB17_247
; %bb.248:
	v_mbcnt_lo_u32_b32 v0, exec_lo, 0
	s_mov_b32 s5, exec_lo
	s_delay_alu instid0(VALU_DEP_1)
	v_cmpx_eq_u32_e32 0, v0
	s_wait_alu 0xfffe
	s_xor_b32 s5, exec_lo, s5
; %bb.249:
	v_dual_mov_b32 v0, 0 :: v_dual_mov_b32 v1, s4
	ds_min_i32 v0, v1 offset:4108
.LBB17_250:
	s_wait_alu 0xfffe
	s_or_b32 exec_lo, exec_lo, s3
	s_wait_loadcnt_dscnt 0x0
	s_barrier_signal -1
	s_barrier_wait -1
	global_inv scope:SCOPE_SE
	s_and_saveexec_b32 s3, s2
	s_cbranch_execz .LBB17_252
; %bb.251:
	s_mul_i32 s2, s47, s60
	s_xor_b32 s4, s61, s63
	s_wait_alu 0xfffe
	s_sub_co_i32 s2, s40, s2
	s_add_co_i32 s5, s47, 1
	s_wait_alu 0xfffe
	s_sub_co_i32 s6, s2, s60
	s_cmp_ge_u32 s2, s60
	v_mov_b32_e32 v2, 0
	s_cselect_b32 s5, s5, s47
	s_wait_alu 0xfffe
	s_cselect_b32 s2, s6, s2
	s_add_co_i32 s6, s5, 1
	s_wait_alu 0xfffe
	s_cmp_ge_u32 s2, s60
	s_mul_i32 s2, s29, s59
	s_cselect_b32 s5, s6, s5
	s_wait_alu 0xfffe
	s_sub_co_i32 s2, s40, s2
	s_xor_b32 s5, s5, s4
	s_xor_b32 s6, s61, s62
	s_wait_alu 0xfffe
	s_sub_co_i32 s4, s5, s4
	s_add_co_i32 s7, s29, 1
	s_wait_alu 0xfffe
	s_mul_i32 s5, s4, s58
	s_mul_i32 s4, s4, s30
	s_wait_alu 0xfffe
	s_sub_co_i32 s5, s33, s5
	s_sub_co_i32 s8, s2, s59
	s_wait_alu 0xfffe
	s_mul_i32 s5, s5, s31
	ds_load_b32 v0, v2 offset:4108
	s_wait_alu 0xfffe
	s_add_co_i32 s4, s4, s5
	s_cmp_ge_u32 s2, s59
	s_cselect_b32 s5, s7, s29
	s_cselect_b32 s2, s8, s2
	s_wait_alu 0xfffe
	s_add_co_i32 s7, s5, 1
	s_cmp_ge_u32 s2, s59
	s_wait_alu 0xfffe
	s_cselect_b32 s2, s7, s5
	s_wait_alu 0xfffe
	s_xor_b32 s2, s2, s6
	s_wait_alu 0xfffe
	s_sub_co_i32 s2, s2, s6
	s_wait_alu 0xfffe
	s_mul_i32 s5, s2, s38
	s_mul_i32 s2, s2, s34
	s_wait_alu 0xfffe
	s_sub_co_i32 s5, s33, s5
	s_wait_alu 0xfffe
	s_mul_i32 s5, s5, s35
	s_wait_dscnt 0x0
	v_ashrrev_i32_e32 v1, 31, v0
	s_wait_alu 0xfffe
	s_add_co_i32 s6, s2, s5
	s_ashr_i32 s5, s4, 31
	s_wait_alu 0xfffe
	s_ashr_i32 s7, s6, 31
	s_lshl_b64 s[4:5], s[4:5], 2
	s_wait_alu 0xfffe
	s_lshl_b64 s[6:7], s[6:7], 3
	s_add_nc_u64 s[4:5], s[44:45], s[4:5]
	s_wait_alu 0xfffe
	s_add_nc_u64 s[6:7], s[42:43], s[6:7]
	s_clause 0x1
	global_store_b64 v2, v[0:1], s[6:7]
	global_store_b32 v2, v15, s[4:5]
.LBB17_252:
	s_wait_alu 0xfffe
	s_or_b32 exec_lo, exec_lo, s3
.LBB17_253:
	s_wait_alu 0xfffe
	s_or_saveexec_b32 s1, s1
	s_mov_b32 s2, 0
	s_wait_alu 0xfffe
	s_xor_b32 exec_lo, exec_lo, s1
	s_cbranch_execnz .LBB17_256
.LBB17_254:
	s_or_b32 exec_lo, exec_lo, s1
	s_wait_alu 0xfffe
	s_and_b32 s1, s2, exec_lo
	s_and_not1_saveexec_b32 s0, s0
	s_cbranch_execz .LBB17_232
.LBB17_255:
	s_wait_alu 0xfffe
	s_or_b32 s1, s1, exec_lo
	s_trap 2
	s_or_b32 exec_lo, exec_lo, s0
	s_wait_alu 0xfffe
	s_and_saveexec_b32 s0, s1
	s_cbranch_execnz .LBB17_233
	s_branch .LBB17_234
.LBB17_256:
	s_mov_b32 s2, exec_lo
	s_trap 2
	s_branch .LBB17_254
	.section	.rodata,"a",@progbits
	.p2align	6, 0x0
	.amdhsa_kernel _ZN2at6native12_GLOBAL__N_114gatherKthValueIiiLi2EEEvNS_4cuda6detail10TensorInfoIKT_T0_EES8_S8_S8_S8_NS5_IS6_S8_EENS5_IlS8_EE
		.amdhsa_group_segment_fixed_size 4112
		.amdhsa_private_segment_fixed_size 0
		.amdhsa_kernarg_size 920
		.amdhsa_user_sgpr_count 2
		.amdhsa_user_sgpr_dispatch_ptr 0
		.amdhsa_user_sgpr_queue_ptr 0
		.amdhsa_user_sgpr_kernarg_segment_ptr 1
		.amdhsa_user_sgpr_dispatch_id 0
		.amdhsa_user_sgpr_private_segment_size 0
		.amdhsa_wavefront_size32 1
		.amdhsa_uses_dynamic_stack 0
		.amdhsa_enable_private_segment 0
		.amdhsa_system_sgpr_workgroup_id_x 1
		.amdhsa_system_sgpr_workgroup_id_y 1
		.amdhsa_system_sgpr_workgroup_id_z 1
		.amdhsa_system_sgpr_workgroup_info 0
		.amdhsa_system_vgpr_workitem_id 0
		.amdhsa_next_free_vgpr 44
		.amdhsa_next_free_sgpr 91
		.amdhsa_reserve_vcc 1
		.amdhsa_float_round_mode_32 0
		.amdhsa_float_round_mode_16_64 0
		.amdhsa_float_denorm_mode_32 3
		.amdhsa_float_denorm_mode_16_64 3
		.amdhsa_fp16_overflow 0
		.amdhsa_workgroup_processor_mode 1
		.amdhsa_memory_ordered 1
		.amdhsa_forward_progress 1
		.amdhsa_inst_pref_size 88
		.amdhsa_round_robin_scheduling 0
		.amdhsa_exception_fp_ieee_invalid_op 0
		.amdhsa_exception_fp_denorm_src 0
		.amdhsa_exception_fp_ieee_div_zero 0
		.amdhsa_exception_fp_ieee_overflow 0
		.amdhsa_exception_fp_ieee_underflow 0
		.amdhsa_exception_fp_ieee_inexact 0
		.amdhsa_exception_int_div_zero 0
	.end_amdhsa_kernel
	.section	.text._ZN2at6native12_GLOBAL__N_114gatherKthValueIiiLi2EEEvNS_4cuda6detail10TensorInfoIKT_T0_EES8_S8_S8_S8_NS5_IS6_S8_EENS5_IlS8_EE,"axG",@progbits,_ZN2at6native12_GLOBAL__N_114gatherKthValueIiiLi2EEEvNS_4cuda6detail10TensorInfoIKT_T0_EES8_S8_S8_S8_NS5_IS6_S8_EENS5_IlS8_EE,comdat
.Lfunc_end17:
	.size	_ZN2at6native12_GLOBAL__N_114gatherKthValueIiiLi2EEEvNS_4cuda6detail10TensorInfoIKT_T0_EES8_S8_S8_S8_NS5_IS6_S8_EENS5_IlS8_EE, .Lfunc_end17-_ZN2at6native12_GLOBAL__N_114gatherKthValueIiiLi2EEEvNS_4cuda6detail10TensorInfoIKT_T0_EES8_S8_S8_S8_NS5_IS6_S8_EENS5_IlS8_EE
                                        ; -- End function
	.set _ZN2at6native12_GLOBAL__N_114gatherKthValueIiiLi2EEEvNS_4cuda6detail10TensorInfoIKT_T0_EES8_S8_S8_S8_NS5_IS6_S8_EENS5_IlS8_EE.num_vgpr, 44
	.set _ZN2at6native12_GLOBAL__N_114gatherKthValueIiiLi2EEEvNS_4cuda6detail10TensorInfoIKT_T0_EES8_S8_S8_S8_NS5_IS6_S8_EENS5_IlS8_EE.num_agpr, 0
	.set _ZN2at6native12_GLOBAL__N_114gatherKthValueIiiLi2EEEvNS_4cuda6detail10TensorInfoIKT_T0_EES8_S8_S8_S8_NS5_IS6_S8_EENS5_IlS8_EE.numbered_sgpr, 91
	.set _ZN2at6native12_GLOBAL__N_114gatherKthValueIiiLi2EEEvNS_4cuda6detail10TensorInfoIKT_T0_EES8_S8_S8_S8_NS5_IS6_S8_EENS5_IlS8_EE.num_named_barrier, 0
	.set _ZN2at6native12_GLOBAL__N_114gatherKthValueIiiLi2EEEvNS_4cuda6detail10TensorInfoIKT_T0_EES8_S8_S8_S8_NS5_IS6_S8_EENS5_IlS8_EE.private_seg_size, 0
	.set _ZN2at6native12_GLOBAL__N_114gatherKthValueIiiLi2EEEvNS_4cuda6detail10TensorInfoIKT_T0_EES8_S8_S8_S8_NS5_IS6_S8_EENS5_IlS8_EE.uses_vcc, 1
	.set _ZN2at6native12_GLOBAL__N_114gatherKthValueIiiLi2EEEvNS_4cuda6detail10TensorInfoIKT_T0_EES8_S8_S8_S8_NS5_IS6_S8_EENS5_IlS8_EE.uses_flat_scratch, 0
	.set _ZN2at6native12_GLOBAL__N_114gatherKthValueIiiLi2EEEvNS_4cuda6detail10TensorInfoIKT_T0_EES8_S8_S8_S8_NS5_IS6_S8_EENS5_IlS8_EE.has_dyn_sized_stack, 0
	.set _ZN2at6native12_GLOBAL__N_114gatherKthValueIiiLi2EEEvNS_4cuda6detail10TensorInfoIKT_T0_EES8_S8_S8_S8_NS5_IS6_S8_EENS5_IlS8_EE.has_recursion, 0
	.set _ZN2at6native12_GLOBAL__N_114gatherKthValueIiiLi2EEEvNS_4cuda6detail10TensorInfoIKT_T0_EES8_S8_S8_S8_NS5_IS6_S8_EENS5_IlS8_EE.has_indirect_call, 0
	.section	.AMDGPU.csdata,"",@progbits
; Kernel info:
; codeLenInByte = 11176
; TotalNumSgprs: 93
; NumVgprs: 44
; ScratchSize: 0
; MemoryBound: 0
; FloatMode: 240
; IeeeMode: 1
; LDSByteSize: 4112 bytes/workgroup (compile time only)
; SGPRBlocks: 0
; VGPRBlocks: 5
; NumSGPRsForWavesPerEU: 93
; NumVGPRsForWavesPerEU: 44
; Occupancy: 16
; WaveLimiterHint : 1
; COMPUTE_PGM_RSRC2:SCRATCH_EN: 0
; COMPUTE_PGM_RSRC2:USER_SGPR: 2
; COMPUTE_PGM_RSRC2:TRAP_HANDLER: 0
; COMPUTE_PGM_RSRC2:TGID_X_EN: 1
; COMPUTE_PGM_RSRC2:TGID_Y_EN: 1
; COMPUTE_PGM_RSRC2:TGID_Z_EN: 1
; COMPUTE_PGM_RSRC2:TIDIG_COMP_CNT: 0
	.section	.text._ZN2at6native12_GLOBAL__N_114gatherKthValueIiiLi3EEEvNS_4cuda6detail10TensorInfoIKT_T0_EES8_S8_S8_S8_NS5_IS6_S8_EENS5_IlS8_EE,"axG",@progbits,_ZN2at6native12_GLOBAL__N_114gatherKthValueIiiLi3EEEvNS_4cuda6detail10TensorInfoIKT_T0_EES8_S8_S8_S8_NS5_IS6_S8_EENS5_IlS8_EE,comdat
	.globl	_ZN2at6native12_GLOBAL__N_114gatherKthValueIiiLi3EEEvNS_4cuda6detail10TensorInfoIKT_T0_EES8_S8_S8_S8_NS5_IS6_S8_EENS5_IlS8_EE ; -- Begin function _ZN2at6native12_GLOBAL__N_114gatherKthValueIiiLi3EEEvNS_4cuda6detail10TensorInfoIKT_T0_EES8_S8_S8_S8_NS5_IS6_S8_EENS5_IlS8_EE
	.p2align	8
	.type	_ZN2at6native12_GLOBAL__N_114gatherKthValueIiiLi3EEEvNS_4cuda6detail10TensorInfoIKT_T0_EES8_S8_S8_S8_NS5_IS6_S8_EENS5_IlS8_EE,@function
_ZN2at6native12_GLOBAL__N_114gatherKthValueIiiLi3EEEvNS_4cuda6detail10TensorInfoIKT_T0_EES8_S8_S8_S8_NS5_IS6_S8_EENS5_IlS8_EE: ; @_ZN2at6native12_GLOBAL__N_114gatherKthValueIiiLi3EEEvNS_4cuda6detail10TensorInfoIKT_T0_EES8_S8_S8_S8_NS5_IS6_S8_EENS5_IlS8_EE
; %bb.0:
	s_clause 0x1
	s_load_b64 s[8:9], s[0:1], 0x298
	s_load_b128 s[36:39], s[0:1], 0xd8
	s_lshr_b32 s2, ttmp7, 16
	s_and_b32 s3, ttmp7, 0xffff
	s_wait_kmcnt 0x0
	s_mul_i32 s2, s9, s2
	s_delay_alu instid0(SALU_CYCLE_1) | instskip(NEXT) | instid1(SALU_CYCLE_1)
	s_add_co_i32 s2, s2, s3
	s_mul_i32 s33, s2, s8
	s_delay_alu instid0(SALU_CYCLE_1) | instskip(NEXT) | instid1(SALU_CYCLE_1)
	s_add_co_i32 s33, s33, ttmp9
	s_cmp_ge_i32 s33, s38
	s_cbranch_scc1 .LBB18_234
; %bb.1:
	s_clause 0x2
	s_load_b64 s[12:13], s[0:1], 0xc
	s_load_b64 s[30:31], s[0:1], 0xf4
	;; [unrolled: 1-line block ×3, first 2 shown]
	s_abs_i32 s10, s33
	s_ashr_i32 s11, s33, 31
	s_mov_b32 s59, 0
	s_delay_alu instid0(SALU_CYCLE_1) | instskip(SKIP_3) | instid1(SALU_CYCLE_1)
	s_mov_b32 s49, s59
	s_mov_b32 s51, s59
	s_wait_kmcnt 0x0
	s_abs_i32 s2, s13
	s_cvt_f32_u32 s3, s2
	s_sub_co_i32 s4, 0, s2
	s_delay_alu instid0(SALU_CYCLE_2) | instskip(NEXT) | instid1(TRANS32_DEP_1)
	v_rcp_iflag_f32_e32 v1, s3
	v_readfirstlane_b32 s3, v1
	s_mul_f32 s3, s3, 0x4f7ffffe
	s_wait_alu 0xfffe
	s_delay_alu instid0(SALU_CYCLE_2) | instskip(SKIP_1) | instid1(SALU_CYCLE_2)
	s_cvt_u32_f32 s3, s3
	s_wait_alu 0xfffe
	s_mul_i32 s4, s4, s3
	s_delay_alu instid0(SALU_CYCLE_1) | instskip(NEXT) | instid1(SALU_CYCLE_1)
	s_mul_hi_u32 s4, s3, s4
	s_add_co_i32 s3, s3, s4
	s_ashr_i32 s4, s13, 31
	s_wait_alu 0xfffe
	s_mul_hi_u32 s3, s10, s3
	s_xor_b32 s7, s11, s4
	s_wait_alu 0xfffe
	s_mul_i32 s5, s3, s2
	s_delay_alu instid0(SALU_CYCLE_1)
	s_sub_co_i32 s4, s10, s5
	s_add_co_i32 s5, s3, 1
	s_sub_co_i32 s6, s4, s2
	s_cmp_ge_u32 s4, s2
	s_cselect_b32 s3, s5, s3
	s_cselect_b32 s4, s6, s4
	s_wait_alu 0xfffe
	s_add_co_i32 s9, s3, 1
	s_cmp_ge_u32 s4, s2
	s_load_b96 s[4:6], s[0:1], 0x6c
	s_cselect_b32 s2, s9, s3
	s_abs_i32 s3, s31
	s_abs_i32 s9, s12
	s_wait_alu 0xfffe
	s_cvt_f32_u32 s14, s3
	s_cvt_f32_u32 s15, s9
	s_xor_b32 s2, s2, s7
	s_sub_co_i32 s17, 0, s9
	v_rcp_iflag_f32_e32 v1, s14
	v_rcp_iflag_f32_e32 v2, s15
	s_ashr_i32 s15, s31, 31
	s_wait_alu 0xfffe
	s_sub_co_i32 s7, s2, s7
	s_xor_b32 s18, s11, s15
	s_sub_co_i32 s15, 0, s3
	s_ashr_i32 s20, s12, 31
	s_ashr_i32 s21, s7, 31
	s_delay_alu instid0(TRANS32_DEP_2) | instskip(NEXT) | instid1(TRANS32_DEP_1)
	v_readfirstlane_b32 s14, v1
	v_readfirstlane_b32 s16, v2
	s_mul_f32 s14, s14, 0x4f7ffffe
	s_wait_alu 0xfffe
	s_delay_alu instid0(SALU_CYCLE_2) | instskip(SKIP_2) | instid1(SALU_CYCLE_1)
	s_cvt_u32_f32 s2, s14
	s_mul_f32 s14, s16, 0x4f7ffffe
	s_wait_alu 0xfffe
	s_mul_i32 s15, s15, s2
	s_delay_alu instid0(SALU_CYCLE_1)
	s_cvt_u32_f32 s16, s14
	s_wait_alu 0xfffe
	s_mul_hi_u32 s15, s2, s15
	s_abs_i32 s14, s7
	s_wait_alu 0xfffe
	s_add_co_i32 s2, s2, s15
	s_mul_i32 s17, s17, s16
	s_wait_alu 0xfffe
	s_mul_hi_u32 s2, s10, s2
	s_mul_hi_u32 s15, s16, s17
	s_wait_alu 0xfffe
	s_mul_i32 s17, s2, s3
	s_add_co_i32 s58, s16, s15
	s_sub_co_i32 s15, s10, s17
	s_add_co_i32 s16, s2, 1
	s_wait_alu 0xfffe
	s_sub_co_i32 s17, s15, s3
	s_cmp_ge_u32 s15, s3
	s_cselect_b32 s2, s16, s2
	s_cselect_b32 s15, s17, s15
	s_wait_alu 0xfffe
	s_add_co_i32 s16, s2, 1
	s_cmp_ge_u32 s15, s3
	s_mov_b32 s15, s59
	s_cselect_b32 s16, s16, s2
	s_abs_i32 s17, s35
	s_abs_i32 s68, s30
	s_cvt_f32_u32 s2, s17
	s_cvt_f32_u32 s3, s68
	s_xor_b32 s16, s16, s18
	s_sub_co_i32 s22, 0, s68
	s_wait_alu 0xfffe
	v_rcp_iflag_f32_e32 v1, s2
	v_rcp_iflag_f32_e32 v2, s3
	s_mul_u64 s[2:3], s[14:15], s[58:59]
	s_ashr_i32 s2, s35, 31
	s_sub_co_i32 s43, s16, s18
	s_wait_alu 0xfffe
	s_xor_b32 s23, s11, s2
	s_abs_i32 s48, s43
	s_delay_alu instid0(TRANS32_DEP_2) | instskip(NEXT) | instid1(TRANS32_DEP_1)
	v_readfirstlane_b32 s19, v1
	v_readfirstlane_b32 s15, v2
	s_mul_f32 s19, s19, 0x4f7ffffe
	s_mul_f32 s11, s15, 0x4f7ffffe
	s_sub_co_i32 s15, 0, s17
	s_delay_alu instid0(SALU_CYCLE_1) | instskip(NEXT) | instid1(SALU_CYCLE_1)
	s_cvt_u32_f32 s2, s19
	s_cvt_u32_f32 s11, s11
	s_wait_alu 0xfffe
	s_delay_alu instid0(SALU_CYCLE_1) | instskip(NEXT) | instid1(SALU_CYCLE_1)
	s_mul_i32 s15, s15, s2
	s_mul_i32 s22, s22, s11
	s_wait_alu 0xfffe
	s_mul_hi_u32 s15, s2, s15
	s_wait_alu 0xfffe
	s_add_co_i32 s2, s2, s15
	s_mul_hi_u32 s15, s11, s22
	s_wait_alu 0xfffe
	s_mul_hi_u32 s2, s10, s2
	s_add_co_i32 s58, s11, s15
	s_wait_alu 0xfffe
	s_mul_i32 s16, s2, s17
	s_add_co_i32 s11, s2, 1
	s_sub_co_i32 s10, s10, s16
	s_delay_alu instid0(SALU_CYCLE_1)
	s_sub_co_i32 s15, s10, s17
	s_cmp_ge_u32 s10, s17
	s_cselect_b32 s2, s11, s2
	s_wait_alu 0xfffe
	s_cselect_b32 s10, s15, s10
	s_add_co_i32 s11, s2, 1
	s_cmp_ge_u32 s10, s17
	s_load_b64 s[16:17], s[0:1], 0x0
	s_cselect_b32 s15, s11, s2
	s_abs_i32 s38, s34
	s_wait_alu 0xfffe
	s_xor_b32 s15, s15, s23
	s_cvt_f32_u32 s2, s38
	s_sub_co_i32 s19, 0, s38
	s_wait_alu 0xfffe
	s_sub_co_i32 s47, s15, s23
	s_add_nc_u64 s[10:11], s[0:1], 0x298
	v_rcp_iflag_f32_e32 v1, s2
	s_abs_i32 s50, s47
	s_delay_alu instid0(TRANS32_DEP_1) | instskip(SKIP_2) | instid1(SALU_CYCLE_2)
	v_readfirstlane_b32 s2, v1
	s_mul_f32 s18, s2, 0x4f7ffffe
	v_cmp_eq_u32_e64 s2, 0, v0
	s_cvt_u32_f32 s18, s18
	s_delay_alu instid0(SALU_CYCLE_3) | instskip(NEXT) | instid1(SALU_CYCLE_1)
	s_mul_i32 s19, s19, s18
	s_mul_hi_u32 s15, s18, s19
	s_mov_b32 s19, s59
	s_wait_alu 0xfffe
	s_add_co_i32 s18, s18, s15
	s_and_saveexec_b32 s15, s2
; %bb.2:
	v_dual_mov_b32 v1, 0 :: v_dual_mov_b32 v2, s36
	s_delay_alu instid0(VALU_DEP_1)
	v_mov_b32_e32 v3, v1
	ds_store_b96 v1, v[1:3] offset:4096
; %bb.3:
	s_wait_alu 0xfffe
	s_or_b32 exec_lo, exec_lo, s15
	s_mul_i32 s15, s3, s9
	s_mul_i32 s13, s7, s13
	s_wait_alu 0xfffe
	s_sub_co_i32 s14, s14, s15
	s_ashr_i32 s71, s43, 31
	s_ashr_i32 s72, s30, 31
	;; [unrolled: 1-line block ×4, first 2 shown]
	s_sub_co_i32 s13, s33, s13
	s_xor_b32 s20, s21, s20
	s_add_co_i32 s15, s3, 1
	s_wait_alu 0xfffe
	s_sub_co_i32 s21, s14, s9
	s_cmp_ge_u32 s14, s9
	s_wait_dscnt 0x0
	s_cselect_b32 s3, s15, s3
	s_cselect_b32 s14, s21, s14
	s_wait_alu 0xfffe
	s_add_co_i32 s15, s3, 1
	s_cmp_ge_u32 s14, s9
	s_barrier_signal -1
	s_barrier_wait -1
	global_inv scope:SCOPE_SE
	s_load_b32 s9, s[10:11], 0xc
	s_cselect_b32 s3, s15, s3
	s_wait_kmcnt 0x0
	s_mul_i32 s13, s13, s6
	s_wait_alu 0xfffe
	s_xor_b32 s3, s3, s20
	s_mul_u64 s[56:57], s[48:49], s[58:59]
	s_wait_alu 0xfffe
	s_sub_co_i32 s3, s3, s20
	s_clause 0x1
	s_load_b96 s[40:42], s[0:1], 0x22c
	s_load_b64 s[52:53], s[0:1], 0x1c0
	s_mul_i32 s12, s3, s12
	s_mul_i32 s3, s3, s4
	s_sub_co_i32 s7, s7, s12
	s_clause 0x1
	s_load_b96 s[44:46], s[0:1], 0x154
	s_load_b64 s[54:55], s[0:1], 0xe8
	s_mul_i32 s5, s7, s5
	v_mbcnt_lo_u32_b32 v18, -1, 0
	s_add_co_i32 s5, s5, s13
	s_mul_u64 s[28:29], s[50:51], s[18:19]
	s_add_co_i32 s4, s5, s3
	v_cmp_gt_u32_e32 vcc_lo, 32, v0
	s_ashr_i32 s5, s4, 31
	v_mov_b32_e32 v7, 0
	s_lshl_b64 s[0:1], s[4:5], 2
	s_and_b32 s49, s9, 0xffff
	s_add_nc_u64 s[60:61], s[16:17], s[0:1]
	s_lshl_b32 s51, s49, 2
	v_cmp_gt_i32_e64 s0, 4, v18
	s_cvt_f32_u32 s1, s51
	s_add_co_i32 s56, s49, -1
	s_bfe_u32 s3, s9, 0xb0005
	s_add_co_i32 s82, s56, s36
	v_rcp_iflag_f32_e32 v1, s1
	s_and_b32 s74, vcc_lo, s0
	s_cmp_gt_i32 s36, 0x300
	v_mul_lo_u32 v5, s39, v0
	s_cselect_b32 s75, -1, 0
	s_cmp_gt_u32 s49, 31
	v_dual_mov_b32 v6, v7 :: v_dual_lshlrev_b32 v19, 2, v0
	s_cselect_b32 s76, -1, 0
	s_cmp_lt_u32 ttmp9, s8
	s_delay_alu instid0(TRANS32_DEP_1)
	v_readfirstlane_b32 s5, v1
	s_cselect_b32 s58, 12, 18
	s_wait_alu 0xfffe
	s_add_co_i32 s4, s3, -1
	s_bfe_u32 s77, s49, 0x30005
	s_and_b32 s4, s4, 0xffff
	v_lshlrev_b64_e32 v[1:2], 2, v[5:6]
	s_cmp_gt_u32 s4, 6
	s_mul_f32 s4, s5, 0x4f7ffffe
	s_cselect_b32 s78, -1, 0
	s_and_b32 s79, s3, 0x7f8
	s_cmp_lg_u32 s77, 0
	s_cvt_u32_f32 s3, s4
	s_cselect_b32 s80, -1, 0
	s_sub_co_i32 s4, 0, s51
	v_add_co_u32 v8, vcc_lo, s60, v1
	s_wait_alu 0xfffe
	s_mul_i32 s4, s4, s3
	v_add_co_ci_u32_e64 v9, null, s61, v2, vcc_lo
	s_mul_hi_u32 s4, s3, s4
	v_lshlrev_b64_e64 v[1:2], v18, -1
	s_add_co_i32 s62, s3, s4
	s_cvt_f32_u32 s3, s49
	s_mul_hi_u32 s4, s36, s62
	v_lshrrev_b32_e32 v2, 1, v0
	s_mul_i32 s4, s4, s51
	s_wait_alu 0xfffe
	v_rcp_iflag_f32_e32 v3, s3
	s_sub_co_i32 s4, s36, s4
	v_not_b32_e32 v22, v1
	s_sub_co_i32 s5, s4, s51
	s_cmp_ge_u32 s4, s51
	v_mov_b32_e32 v24, 0
	s_cselect_b32 s4, s5, s4
	s_mov_b32 s12, s39
	s_sub_co_i32 s6, s4, s51
	s_cmp_ge_u32 s4, s51
	v_readfirstlane_b32 s5, v3
	s_cselect_b32 s9, s6, s4
	s_sub_co_i32 s6, 0, s49
	s_sub_co_i32 s81, s36, s9
	s_abs_i32 s7, s82
	s_mul_f32 s5, s5, 0x4f7ffffe
	v_add_nc_u32_e32 v21, s81, v0
	v_or_b32_e32 v3, 3, v19
	v_mad_co_u64_u32 v[12:13], null, s39, v19, s[12:13]
	s_cvt_u32_f32 s5, s5
	v_mul_lo_u32 v1, v21, s39
	v_mul_lo_u32 v26, s39, v3
	v_cmp_eq_u32_e64 s0, 0, v18
	s_mul_i32 s6, s6, s5
	v_cmp_gt_u32_e64 s1, 2, v0
	s_mul_hi_u32 s6, s5, s6
	v_add_nc_u32_e32 v20, 0xc00, v19
	s_add_co_i32 s64, s5, s6
	s_movk_i32 s5, 0x1f0
	s_mul_hi_u32 s6, s7, s64
	v_and_or_b32 v23, v2, s5, 0xc00
	v_ashrrev_i32_e32 v2, 31, v1
	s_mul_i32 s6, s6, s49
	v_cmp_gt_u32_e64 s3, s36, v0
	s_sub_co_i32 s5, s7, s6
	s_ashr_i32 s7, s82, 31
	v_lshlrev_b64_e32 v[1:2], 2, v[1:2]
	s_wait_alu 0xfffe
	s_sub_co_i32 s6, s5, s49
	s_cmp_ge_u32 s5, s49
	v_cmp_gt_i32_e64 s4, s36, v0
	s_cselect_b32 s6, s6, s5
	v_cmp_gt_i32_e64 s5, s81, v19
	v_add_co_u32 v10, vcc_lo, s60, v1
	v_add3_u32 v1, s49, s36, v0
	s_sub_co_i32 s8, s6, s49
	s_cmp_ge_u32 s6, s49
	s_wait_alu 0xfffd
	v_add_co_ci_u32_e64 v11, null, s61, v2, vcc_lo
	s_cselect_b32 s8, s8, s6
	v_or_b32_e32 v2, 2, v19
	v_subrev_nc_u32_e32 v1, s9, v1
	s_xor_b32 s8, s8, s7
	v_cmp_gt_u32_e64 s6, s36, v21
	s_wait_alu 0xfffe
	s_sub_co_i32 s8, s7, s8
	v_mul_lo_u32 v25, s39, v2
	v_mul_lo_u32 v28, s39, v1
	s_wait_alu 0xfffe
	s_add_co_i32 s82, s82, s8
	v_cmp_gt_i32_e64 s7, s36, v21
	v_cmp_gt_i32_e64 s8, s82, v0
	v_dual_mov_b32 v32, 0 :: v_dual_lshlrev_b32 v27, 2, v5
	v_lshlrev_b32_e32 v29, 4, v0
	v_lshl_or_b32 v30, v18, 2, 0xc00
	v_mov_b32_e32 v33, s37
	v_mov_b32_e32 v13, 1
	;; [unrolled: 1-line block ×4, first 2 shown]
	s_mul_i32 s73, s39, s49
	s_mov_b32 s63, s59
	s_mov_b32 s65, s59
	s_lshl_b32 s83, s73, 2
	s_lshl_b32 s84, s49, 4
	s_mov_b32 s91, 30
	s_add_nc_u64 s[66:67], s[10:11], s[58:59]
	s_mov_b32 s37, s59
                                        ; implicit-def: $sgpr88
                                        ; implicit-def: $sgpr90
                                        ; implicit-def: $sgpr85
                                        ; implicit-def: $sgpr87
                                        ; implicit-def: $sgpr89
                                        ; implicit-def: $sgpr86
	s_branch .LBB18_7
.LBB18_4:                               ;   in Loop: Header=BB18_7 Depth=1
	s_wait_alu 0xfffe
	s_or_b32 exec_lo, exec_lo, s13
	s_delay_alu instid0(SALU_CYCLE_1)
	s_and_b32 s10, s10, exec_lo
	s_and_not1_b32 s15, s15, exec_lo
	s_and_not1_b32 s14, s14, exec_lo
	s_or_not1_b32 s12, s12, exec_lo
.LBB18_5:                               ;   in Loop: Header=BB18_7 Depth=1
	s_wait_alu 0xfffe
	s_or_b32 exec_lo, exec_lo, s9
	s_delay_alu instid0(SALU_CYCLE_1)
	s_and_not1_b32 s9, s86, exec_lo
	s_and_b32 s10, s10, exec_lo
	s_and_not1_b32 s13, s87, exec_lo
	s_wait_alu 0xfffe
	s_or_b32 s86, s9, s10
	s_and_not1_b32 s9, s89, exec_lo
	s_and_b32 s10, s15, exec_lo
	s_and_b32 s14, s14, exec_lo
	s_wait_alu 0xfffe
	s_or_b32 s89, s9, s10
	s_or_b32 s87, s13, s14
	s_or_not1_b32 s13, s12, exec_lo
.LBB18_6:                               ;   in Loop: Header=BB18_7 Depth=1
	s_wait_alu 0xfffe
	s_or_b32 exec_lo, exec_lo, s11
	s_delay_alu instid0(SALU_CYCLE_1)
	s_and_b32 s9, exec_lo, s13
	v_mov_b32_e32 v33, v4
	s_wait_alu 0xfffe
	s_or_b32 s37, s9, s37
	s_and_not1_b32 s9, s85, exec_lo
	s_and_b32 s10, s86, exec_lo
	s_and_not1_b32 s11, s90, exec_lo
	s_wait_alu 0xfffe
	s_or_b32 s85, s9, s10
	s_and_b32 s9, s89, exec_lo
	s_and_not1_b32 s10, s88, exec_lo
	s_and_b32 s12, s87, exec_lo
	s_wait_alu 0xfffe
	s_or_b32 s90, s11, s9
	s_or_b32 s88, s10, s12
	s_mov_b32 s91, s21
	s_and_not1_b32 exec_lo, exec_lo, s37
	s_cbranch_execz .LBB18_230
.LBB18_7:                               ; =>This Loop Header: Depth=1
                                        ;     Child Loop BB18_13 Depth 2
                                        ;     Child Loop BB18_28 Depth 2
                                        ;     Child Loop BB18_60 Depth 2
                                        ;     Child Loop BB18_64 Depth 2
                                        ;     Child Loop BB18_49 Depth 2
                                        ;     Child Loop BB18_54 Depth 2
                                        ;     Child Loop BB18_43 Depth 2
                                        ;     Child Loop BB18_72 Depth 2
                                        ;     Child Loop BB18_82 Depth 2
                                        ;     Child Loop BB18_93 Depth 2
                                        ;     Child Loop BB18_119 Depth 2
                                        ;     Child Loop BB18_130 Depth 2
                                        ;     Child Loop BB18_156 Depth 2
                                        ;     Child Loop BB18_167 Depth 2
                                        ;     Child Loop BB18_193 Depth 2
                                        ;     Child Loop BB18_204 Depth 2
	ds_load_b64 v[1:2], v7 offset:4096
	s_wait_dscnt 0x0
	v_readfirstlane_b32 s58, v1
	s_cmp_gt_i32 s58, 0
	s_cbranch_scc1 .LBB18_35
; %bb.8:                                ;   in Loop: Header=BB18_7 Depth=1
	s_and_b32 vcc_lo, exec_lo, s75
	s_wait_alu 0xfffe
	s_cbranch_vccz .LBB18_21
; %bb.9:                                ;   in Loop: Header=BB18_7 Depth=1
	v_cmp_gt_i32_e32 vcc_lo, 0x301, v2
	s_mov_b32 s10, 0
	s_mov_b32 s9, 0
	s_cbranch_vccz .LBB18_22
; %bb.10:                               ;   in Loop: Header=BB18_7 Depth=1
	s_and_saveexec_b32 s11, s3
	s_cbranch_execz .LBB18_67
; %bb.11:                               ;   in Loop: Header=BB18_7 Depth=1
	global_load_b32 v1, v[8:9], off
	s_load_u16 s12, s[66:67], 0x0
	s_mov_b32 s14, 0
	s_wait_kmcnt 0x0
	v_add_nc_u32_e32 v2, s12, v0
	s_mul_i32 s13, s39, s12
	s_delay_alu instid0(VALU_DEP_1)
	v_mul_lo_u32 v6, s39, v2
	v_mov_b32_e32 v2, v0
	s_branch .LBB18_13
.LBB18_12:                              ;   in Loop: Header=BB18_13 Depth=2
	s_wait_alu 0xfffe
	s_or_b32 exec_lo, exec_lo, s9
	v_cmp_le_i32_e32 vcc_lo, s36, v2
	v_dual_mov_b32 v1, v3 :: v_dual_add_nc_u32 v6, s13, v6
	s_or_b32 s14, vcc_lo, s14
	s_wait_alu 0xfffe
	s_and_not1_b32 exec_lo, exec_lo, s14
	s_cbranch_execz .LBB18_67
.LBB18_13:                              ;   Parent Loop BB18_7 Depth=1
                                        ; =>  This Inner Loop Header: Depth=2
	s_delay_alu instid0(VALU_DEP_1) | instskip(SKIP_3) | instid1(VALU_DEP_2)
	v_dual_mov_b32 v3, 0 :: v_dual_add_nc_u32 v2, s12, v2
	s_wait_dscnt 0x0
	v_mov_b32_e32 v4, 0
	s_mov_b32 s9, exec_lo
	v_cmpx_gt_u32_e64 s36, v2
	s_cbranch_execz .LBB18_15
; %bb.14:                               ;   in Loop: Header=BB18_13 Depth=2
	v_lshlrev_b64_e32 v[16:17], 2, v[6:7]
	s_delay_alu instid0(VALU_DEP_1) | instskip(SKIP_1) | instid1(VALU_DEP_2)
	v_add_co_u32 v16, vcc_lo, s60, v16
	s_wait_alu 0xfffd
	v_add_co_ci_u32_e64 v17, null, s61, v17, vcc_lo
	global_load_b32 v3, v[16:17], off
.LBB18_15:                              ;   in Loop: Header=BB18_13 Depth=2
	s_wait_alu 0xfffe
	s_or_b32 exec_lo, exec_lo, s9
	s_wait_loadcnt 0x0
	v_xor_b32_e32 v14, 0x80000000, v1
	s_delay_alu instid0(VALU_DEP_1) | instskip(NEXT) | instid1(VALU_DEP_1)
	v_and_b32_e32 v14, v14, v32
	v_cmp_eq_u32_e32 vcc_lo, v14, v24
	s_cmp_lg_u32 vcc_lo, 0
	s_cselect_b32 s9, -1, 0
	s_wait_alu 0xfffe
	s_and_b32 s9, s0, s9
	s_wait_alu 0xfffe
	s_and_saveexec_b32 s15, s9
	s_cbranch_execz .LBB18_19
; %bb.16:                               ;   in Loop: Header=BB18_13 Depth=2
	s_mov_b32 s18, exec_lo
	s_bcnt1_i32_b32 s16, vcc_lo
	s_wait_alu 0xfffe
	v_mbcnt_lo_u32_b32 v4, s18, 0
	s_mov_b32 s17, exec_lo
                                        ; implicit-def: $vgpr14
	s_delay_alu instid0(VALU_DEP_1)
	v_cmpx_eq_u32_e32 0, v4
; %bb.17:                               ;   in Loop: Header=BB18_13 Depth=2
	s_bcnt1_i32_b32 s9, s18
	s_wait_alu 0xfffe
	s_mul_i32 s9, s16, s9
	s_wait_alu 0xfffe
	v_mov_b32_e32 v14, s9
	ds_add_rtn_u32 v14, v7, v14 offset:4104
; %bb.18:                               ;   in Loop: Header=BB18_13 Depth=2
	s_or_b32 exec_lo, exec_lo, s17
	s_wait_dscnt 0x0
	v_readfirstlane_b32 s9, v14
	s_wait_alu 0xf1ff
	s_delay_alu instid0(VALU_DEP_1)
	v_mad_u32_u24 v4, s16, v4, s9
.LBB18_19:                              ;   in Loop: Header=BB18_13 Depth=2
	s_wait_alu 0xfffe
	s_or_b32 exec_lo, exec_lo, s15
	ds_bpermute_b32 v4, v7, v4
	s_and_saveexec_b32 s9, vcc_lo
	s_cbranch_execz .LBB18_12
; %bb.20:                               ;   in Loop: Header=BB18_13 Depth=2
	v_and_b32_e32 v14, vcc_lo, v22
	s_delay_alu instid0(VALU_DEP_1) | instskip(NEXT) | instid1(VALU_DEP_1)
	v_bcnt_u32_b32 v14, v14, 0
	v_lshlrev_b32_e32 v14, 2, v14
	s_wait_dscnt 0x0
	s_delay_alu instid0(VALU_DEP_1)
	v_lshl_add_u32 v4, v4, 2, v14
	ds_store_b32 v4, v1
	s_branch .LBB18_12
.LBB18_21:                              ;   in Loop: Header=BB18_7 Depth=1
	s_mov_b32 s10, -1
	s_mov_b32 s9, 0
.LBB18_22:                              ;   in Loop: Header=BB18_7 Depth=1
	s_wait_alu 0xfffe
	s_and_b32 vcc_lo, exec_lo, s10
	s_wait_alu 0xfffe
	s_cbranch_vccz .LBB18_33
.LBB18_23:                              ;   in Loop: Header=BB18_7 Depth=1
	v_mov_b32_e32 v1, 0
	s_and_saveexec_b32 s9, s3
	s_cbranch_execz .LBB18_25
; %bb.24:                               ;   in Loop: Header=BB18_7 Depth=1
	global_load_b32 v1, v[8:9], off
.LBB18_25:                              ;   in Loop: Header=BB18_7 Depth=1
	s_wait_alu 0xfffe
	s_or_b32 exec_lo, exec_lo, s9
	s_and_saveexec_b32 s9, s4
	s_cbranch_execz .LBB18_30
; %bb.26:                               ;   in Loop: Header=BB18_7 Depth=1
	s_load_u16 s10, s[66:67], 0x0
	s_mov_b32 s13, 0
	s_wait_kmcnt 0x0
	v_dual_mov_b32 v3, v0 :: v_dual_add_nc_u32 v2, s10, v0
	s_lshl_b32 s11, s10, 2
	s_mul_i32 s12, s39, s10
	s_delay_alu instid0(VALU_DEP_1)
	v_mul_lo_u32 v6, s39, v2
	v_mov_b32_e32 v2, v19
	s_branch .LBB18_28
.LBB18_27:                              ;   in Loop: Header=BB18_28 Depth=2
	s_wait_alu 0xfffe
	s_or_b32 exec_lo, exec_lo, s14
	v_cmp_le_i32_e32 vcc_lo, s36, v3
	s_wait_loadcnt 0x0
	ds_store_b32 v2, v1
	v_dual_mov_b32 v1, v4 :: v_dual_add_nc_u32 v2, s11, v2
	v_add_nc_u32_e32 v6, s12, v6
	s_or_b32 s13, vcc_lo, s13
	s_wait_alu 0xfffe
	s_and_not1_b32 exec_lo, exec_lo, s13
	s_cbranch_execz .LBB18_30
.LBB18_28:                              ;   Parent Loop BB18_7 Depth=1
                                        ; =>  This Inner Loop Header: Depth=2
	v_dual_mov_b32 v4, 0 :: v_dual_add_nc_u32 v3, s10, v3
	s_mov_b32 s14, exec_lo
	s_delay_alu instid0(VALU_DEP_1)
	v_cmpx_gt_u32_e64 s36, v3
	s_cbranch_execz .LBB18_27
; %bb.29:                               ;   in Loop: Header=BB18_28 Depth=2
	s_delay_alu instid0(VALU_DEP_4) | instskip(NEXT) | instid1(VALU_DEP_1)
	v_lshlrev_b64_e32 v[16:17], 2, v[6:7]
	v_add_co_u32 v16, vcc_lo, s60, v16
	s_wait_alu 0xfffd
	s_delay_alu instid0(VALU_DEP_2)
	v_add_co_ci_u32_e64 v17, null, s61, v17, vcc_lo
	global_load_b32 v4, v[16:17], off
	s_branch .LBB18_27
.LBB18_30:                              ;   in Loop: Header=BB18_7 Depth=1
	s_wait_alu 0xfffe
	s_or_b32 exec_lo, exec_lo, s9
	s_wait_loadcnt_dscnt 0x0
	s_barrier_signal -1
	s_barrier_wait -1
	global_inv scope:SCOPE_SE
	s_and_saveexec_b32 s9, s2
; %bb.31:                               ;   in Loop: Header=BB18_7 Depth=1
	v_mov_b32_e32 v1, s36
	ds_store_b32 v7, v1 offset:4096
; %bb.32:                               ;   in Loop: Header=BB18_7 Depth=1
	s_wait_alu 0xfffe
	s_or_b32 exec_lo, exec_lo, s9
	s_mov_b32 s9, -1
	s_wait_loadcnt_dscnt 0x0
	s_barrier_signal -1
	s_barrier_wait -1
.LBB18_33:                              ;   in Loop: Header=BB18_7 Depth=1
	s_wait_alu 0xfffe
	s_and_b32 vcc_lo, exec_lo, s9
	s_wait_alu 0xfffe
	s_cbranch_vccz .LBB18_35
; %bb.34:                               ;   in Loop: Header=BB18_7 Depth=1
	s_wait_loadcnt 0x0
	global_inv scope:SCOPE_SE
	ds_load_b32 v1, v7 offset:4096
	s_wait_dscnt 0x0
	v_readfirstlane_b32 s58, v1
.LBB18_35:                              ;   in Loop: Header=BB18_7 Depth=1
	s_delay_alu instid0(VALU_DEP_1)
	s_cmp_lt_i32 s58, 1
	s_mov_b32 s9, -1
                                        ; implicit-def: $vgpr4
	s_cbranch_scc1 .LBB18_45
; %bb.36:                               ;   in Loop: Header=BB18_7 Depth=1
	s_wait_alu 0xfffe
	s_and_b32 vcc_lo, exec_lo, s9
	s_wait_alu 0xfffe
	s_cbranch_vccnz .LBB18_58
.LBB18_37:                              ;   in Loop: Header=BB18_7 Depth=1
	v_lshlrev_b32_e32 v6, 7, v31
	s_and_saveexec_b32 s9, s0
	s_cbranch_execz .LBB18_39
.LBB18_38:                              ;   in Loop: Header=BB18_7 Depth=1
	s_wait_loadcnt 0x0
	s_delay_alu instid0(VALU_DEP_1)
	v_lshl_add_u32 v14, v6, 2, v23
	ds_store_b128 v14, v[1:4]
.LBB18_39:                              ;   in Loop: Header=BB18_7 Depth=1
	s_wait_alu 0xfffe
	s_or_b32 exec_lo, exec_lo, s9
	s_wait_loadcnt_dscnt 0x0
	s_barrier_signal -1
	s_barrier_wait -1
	global_inv scope:SCOPE_SE
	s_and_saveexec_b32 s9, s74
	s_cbranch_execz .LBB18_74
; %bb.40:                               ;   in Loop: Header=BB18_7 Depth=1
	v_mov_b32_e32 v1, 0
	s_and_not1_b32 vcc_lo, exec_lo, s76
	s_wait_alu 0xfffe
	s_cbranch_vccnz .LBB18_73
; %bb.41:                               ;   in Loop: Header=BB18_7 Depth=1
	s_and_not1_b32 vcc_lo, exec_lo, s78
	s_wait_alu 0xfffe
	s_cbranch_vccnz .LBB18_70
; %bb.42:                               ;   in Loop: Header=BB18_7 Depth=1
	v_lshl_add_u32 v2, v31, 9, v30
	v_mov_b32_e32 v1, 0
	s_mov_b32 s10, 0
.LBB18_43:                              ;   Parent Loop BB18_7 Depth=1
                                        ; =>  This Inner Loop Header: Depth=2
	ds_load_2addr_b32 v[3:4], v2 offset1:4
	ds_load_2addr_b32 v[16:17], v2 offset0:8 offset1:12
	ds_load_2addr_b32 v[34:35], v2 offset0:16 offset1:20
	;; [unrolled: 1-line block ×3, first 2 shown]
	v_add_nc_u32_e32 v2, 0x80, v2
	s_wait_alu 0xfffe
	s_add_co_i32 s10, s10, 8
	s_wait_alu 0xfffe
	s_cmp_eq_u32 s79, s10
	s_wait_dscnt 0x3
	v_add3_u32 v1, v3, v1, v4
	s_wait_dscnt 0x2
	s_delay_alu instid0(VALU_DEP_1) | instskip(SKIP_1) | instid1(VALU_DEP_1)
	v_add3_u32 v1, v16, v1, v17
	s_wait_dscnt 0x1
	v_add3_u32 v1, v34, v1, v35
	s_wait_dscnt 0x0
	s_delay_alu instid0(VALU_DEP_1)
	v_add3_u32 v1, v36, v1, v37
	s_cbranch_scc0 .LBB18_43
; %bb.44:                               ;   in Loop: Header=BB18_7 Depth=1
	s_mov_b32 s10, s79
	s_and_not1_b32 vcc_lo, exec_lo, s80
	s_wait_alu 0xfffe
	s_cbranch_vccz .LBB18_71
	s_branch .LBB18_73
.LBB18_45:                              ;   in Loop: Header=BB18_7 Depth=1
	v_dual_mov_b32 v1, 0 :: v_dual_mov_b32 v2, 0
	v_dual_mov_b32 v3, 0 :: v_dual_mov_b32 v4, 0
	s_and_saveexec_b32 s92, s5
	s_cbranch_execnz .LBB18_48
; %bb.46:                               ;   in Loop: Header=BB18_7 Depth=1
	s_wait_alu 0xfffe
	s_or_b32 exec_lo, exec_lo, s92
	v_mov_b32_e32 v14, 0
	s_and_saveexec_b32 s9, s6
	s_cbranch_execnz .LBB18_51
.LBB18_47:                              ;   in Loop: Header=BB18_7 Depth=1
	s_wait_alu 0xfffe
	s_or_b32 exec_lo, exec_lo, s9
	s_and_saveexec_b32 s13, s7
	s_cbranch_execnz .LBB18_52
	s_branch .LBB18_57
.LBB18_48:                              ;   in Loop: Header=BB18_7 Depth=1
	v_mov_b32_e32 v6, v19
	s_mov_b32 s93, 0
	s_mov_b32 s94, 0
	;; [unrolled: 1-line block ×6, first 2 shown]
.LBB18_49:                              ;   Parent Loop BB18_7 Depth=1
                                        ; =>  This Inner Loop Header: Depth=2
	s_wait_alu 0xfffe
	v_add_nc_u32_e32 v1, s94, v27
	v_add_nc_u32_e32 v3, s94, v12
	;; [unrolled: 1-line block ×5, first 2 shown]
	v_ashrrev_i32_e32 v2, 31, v1
	v_ashrrev_i32_e32 v4, 31, v3
	;; [unrolled: 1-line block ×4, first 2 shown]
	s_add_co_i32 s94, s94, s83
	v_lshlrev_b64_e32 v[1:2], 2, v[1:2]
	v_lshlrev_b64_e32 v[3:4], 2, v[3:4]
	;; [unrolled: 1-line block ×4, first 2 shown]
	s_delay_alu instid0(VALU_DEP_4)
	v_add_co_u32 v1, vcc_lo, s60, v1
	s_wait_alu 0xfffd
	v_add_co_ci_u32_e64 v2, null, s61, v2, vcc_lo
	v_add_co_u32 v3, vcc_lo, s60, v3
	s_wait_alu 0xfffd
	v_add_co_ci_u32_e64 v4, null, s61, v4, vcc_lo
	;; [unrolled: 3-line block ×4, first 2 shown]
	s_clause 0x3
	global_load_b32 v1, v[1:2], off
	global_load_b32 v2, v[3:4], off
	;; [unrolled: 1-line block ×4, first 2 shown]
	v_cmp_le_i32_e32 vcc_lo, s81, v6
	s_wait_loadcnt 0x3
	v_xor_b32_e32 v1, 0x80000000, v1
	s_wait_loadcnt 0x2
	v_xor_b32_e32 v2, 0x80000000, v2
	;; [unrolled: 2-line block ×4, first 2 shown]
	v_and_b32_e32 v14, v1, v32
	v_bfe_u32 v1, v1, s91, 2
	v_and_b32_e32 v16, v2, v32
	v_bfe_u32 v2, v2, s91, 2
	;; [unrolled: 2-line block ×3, first 2 shown]
	v_cmp_eq_u32_e64 s9, v14, v24
	v_cmp_eq_u32_e64 s13, 0, v1
	v_and_b32_e32 v34, v4, v32
	v_bfe_u32 v4, v4, s91, 2
	v_cmp_eq_u32_e64 s10, v16, v24
	v_cmp_eq_u32_e64 s14, 0, v2
	;; [unrolled: 1-line block ×4, first 2 shown]
	s_and_b32 s13, s9, s13
	v_cmp_eq_u32_e64 s12, v34, v24
	v_cmp_eq_u32_e64 s16, 0, v4
	;; [unrolled: 1-line block ×5, first 2 shown]
	s_wait_alu 0xfffe
	v_cndmask_b32_e64 v1, 0, 1, s13
	s_and_b32 s13, s10, s14
	v_cmp_eq_u32_e64 s18, 1, v2
	v_cmp_eq_u32_e64 s22, 2, v2
	v_cmp_eq_u32_e64 s26, 3, v2
	s_wait_alu 0xfffe
	v_cndmask_b32_e64 v2, 0, 1, s13
	s_and_b32 s13, s11, s15
	v_cmp_eq_u32_e64 s19, 1, v3
	v_cmp_eq_u32_e64 s23, 2, v3
	v_cmp_eq_u32_e64 s27, 3, v3
	;; [unrolled: 6-line block ×3, first 2 shown]
	s_wait_alu 0xfffe
	v_cndmask_b32_e64 v4, 0, 1, s13
	s_and_b32 s13, s9, s17
	s_wait_alu 0xfffe
	v_cndmask_b32_e64 v14, 0, 1, s13
	s_and_b32 s13, s10, s18
	;; [unrolled: 3-line block ×4, first 2 shown]
	v_cmp_ne_u32_e64 s14, 0, v16
	s_wait_alu 0xfffe
	v_cndmask_b32_e64 v34, 0, 1, s13
	s_and_b32 s13, s9, s21
	s_and_b32 s9, s9, s25
	s_wait_alu 0xfffe
	v_cndmask_b32_e64 v35, 0, 1, s13
	s_and_b32 s13, s10, s22
	v_cndmask_b32_e64 v39, 0, 1, s9
	s_and_b32 s9, s10, s26
	s_wait_alu 0xfffe
	v_cndmask_b32_e64 v36, 0, 1, s13
	s_and_b32 s13, s11, s23
	v_cndmask_b32_e64 v40, 0, 1, s9
	;; [unrolled: 5-line block ×3, first 2 shown]
	s_and_b32 s9, s12, s28
	s_wait_alu 0xfffe
	v_cndmask_b32_e64 v38, 0, 1, s13
	v_cndmask_b32_e64 v42, 0, 1, s9
	v_cmp_ne_u32_e64 s9, 0, v1
	v_cmp_ne_u32_e64 s13, 0, v14
	;; [unrolled: 1-line block ×11, first 2 shown]
	s_bcnt1_i32_b32 s9, s9
	s_bcnt1_i32_b32 s13, s13
	;; [unrolled: 1-line block ×4, first 2 shown]
	v_cmp_ne_u32_e64 s12, 0, v4
	v_cmp_ne_u32_e64 s16, 0, v34
	;; [unrolled: 1-line block ×4, first 2 shown]
	s_bcnt1_i32_b32 s10, s10
	s_bcnt1_i32_b32 s14, s14
	s_bcnt1_i32_b32 s18, s18
	s_bcnt1_i32_b32 s22, s22
	s_wait_alu 0xfffe
	s_add_co_i32 s9, s9, s98
	s_add_co_i32 s13, s13, s97
	s_add_co_i32 s17, s17, s96
	s_add_co_i32 s21, s21, s95
	s_bcnt1_i32_b32 s11, s11
	s_bcnt1_i32_b32 s15, s15
	s_bcnt1_i32_b32 s19, s19
	s_bcnt1_i32_b32 s23, s23
	s_wait_alu 0xfffe
	s_add_co_i32 s9, s9, s10
	s_add_co_i32 s10, s13, s14
	s_add_co_i32 s13, s17, s18
	s_add_co_i32 s14, s21, s22
	;; [unrolled: 9-line block ×3, first 2 shown]
	s_wait_alu 0xfffe
	s_add_co_i32 s98, s9, s12
	s_add_co_i32 s97, s10, s16
	;; [unrolled: 1-line block ×4, first 2 shown]
	s_wait_alu 0xfffe
	v_dual_mov_b32 v1, s98 :: v_dual_mov_b32 v2, s97
	v_dual_mov_b32 v3, s96 :: v_dual_mov_b32 v4, s95
	s_or_b32 s93, vcc_lo, s93
	s_wait_alu 0xfffe
	s_and_not1_b32 exec_lo, exec_lo, s93
	s_cbranch_execnz .LBB18_49
; %bb.50:                               ;   in Loop: Header=BB18_7 Depth=1
	s_or_b32 exec_lo, exec_lo, s93
	s_delay_alu instid0(SALU_CYCLE_1)
	s_or_b32 exec_lo, exec_lo, s92
	v_mov_b32_e32 v14, 0
	s_and_saveexec_b32 s9, s6
	s_cbranch_execz .LBB18_47
.LBB18_51:                              ;   in Loop: Header=BB18_7 Depth=1
	global_load_b32 v14, v[10:11], off
	s_wait_alu 0xfffe
	s_or_b32 exec_lo, exec_lo, s9
	s_and_saveexec_b32 s13, s7
	s_cbranch_execz .LBB18_57
.LBB18_52:                              ;   in Loop: Header=BB18_7 Depth=1
	v_mov_b32_e32 v16, v28
	v_mov_b32_e32 v6, v21
	s_mov_b32 s14, 0
	s_branch .LBB18_54
.LBB18_53:                              ;   in Loop: Header=BB18_54 Depth=2
	s_wait_alu 0xfffe
	s_or_b32 exec_lo, exec_lo, s9
	s_wait_loadcnt 0x0
	v_xor_b32_e32 v14, 0x80000000, v14
	v_add_nc_u32_e32 v16, s73, v16
	s_delay_alu instid0(VALU_DEP_2) | instskip(SKIP_1) | instid1(VALU_DEP_2)
	v_and_b32_e32 v34, v14, v32
	v_bfe_u32 v14, v14, s91, 2
	v_cmp_eq_u32_e32 vcc_lo, v34, v24
	s_delay_alu instid0(VALU_DEP_2)
	v_cmp_eq_u32_e64 s9, 0, v14
	v_cmp_eq_u32_e64 s10, 1, v14
	;; [unrolled: 1-line block ×4, first 2 shown]
	s_and_b32 s9, vcc_lo, s9
	s_wait_alu 0xfffe
	v_cndmask_b32_e64 v14, 0, 1, s9
	s_and_b32 s9, vcc_lo, s10
	s_wait_alu 0xfffe
	v_cndmask_b32_e64 v34, 0, 1, s9
	;; [unrolled: 3-line block ×3, first 2 shown]
	s_and_b32 s9, vcc_lo, s12
	v_cmp_ne_u32_e32 vcc_lo, 0, v14
	s_wait_alu 0xfffe
	v_cndmask_b32_e64 v36, 0, 1, s9
	v_cmp_ne_u32_e64 s9, 0, v34
	v_cmp_ne_u32_e64 s10, 0, v35
	v_cmp_le_i32_e64 s12, s36, v6
	s_bcnt1_i32_b32 s15, vcc_lo
	v_cmp_ne_u32_e64 s11, 0, v36
	s_bcnt1_i32_b32 s9, s9
	s_bcnt1_i32_b32 s10, s10
	s_wait_alu 0xfffe
	v_dual_mov_b32 v14, v17 :: v_dual_add_nc_u32 v1, s15, v1
	s_bcnt1_i32_b32 s11, s11
	v_add_nc_u32_e32 v2, s9, v2
	v_add_nc_u32_e32 v3, s10, v3
	s_wait_alu 0xfffe
	v_add_nc_u32_e32 v4, s11, v4
	s_or_b32 s14, s12, s14
	s_wait_alu 0xfffe
	s_and_not1_b32 exec_lo, exec_lo, s14
	s_cbranch_execz .LBB18_56
.LBB18_54:                              ;   Parent Loop BB18_7 Depth=1
                                        ; =>  This Inner Loop Header: Depth=2
	s_delay_alu instid0(VALU_DEP_1) | instskip(SKIP_1) | instid1(VALU_DEP_1)
	v_dual_mov_b32 v17, 0 :: v_dual_add_nc_u32 v6, s49, v6
	s_mov_b32 s9, exec_lo
	v_cmpx_gt_u32_e64 s36, v6
	s_cbranch_execz .LBB18_53
; %bb.55:                               ;   in Loop: Header=BB18_54 Depth=2
	v_ashrrev_i32_e32 v17, 31, v16
	s_delay_alu instid0(VALU_DEP_1) | instskip(NEXT) | instid1(VALU_DEP_1)
	v_lshlrev_b64_e32 v[34:35], 2, v[16:17]
	v_add_co_u32 v34, vcc_lo, s60, v34
	s_wait_alu 0xfffd
	s_delay_alu instid0(VALU_DEP_2)
	v_add_co_ci_u32_e64 v35, null, s61, v35, vcc_lo
	global_load_b32 v17, v[34:35], off
	s_branch .LBB18_53
.LBB18_56:                              ;   in Loop: Header=BB18_7 Depth=1
	s_or_b32 exec_lo, exec_lo, s14
.LBB18_57:                              ;   in Loop: Header=BB18_7 Depth=1
	s_wait_alu 0xfffe
	s_or_b32 exec_lo, exec_lo, s13
	s_branch .LBB18_37
.LBB18_58:                              ;   in Loop: Header=BB18_7 Depth=1
	s_mul_u64 s[10:11], s[58:59], s[62:63]
	v_dual_mov_b32 v1, 0 :: v_dual_mov_b32 v2, 0
	s_wait_alu 0xfffe
	s_mul_i32 s9, s11, s51
	v_dual_mov_b32 v3, 0 :: v_dual_mov_b32 v4, 0
	s_wait_alu 0xfffe
	s_sub_co_i32 s9, s58, s9
	s_mov_b32 s93, exec_lo
	s_wait_alu 0xfffe
	s_sub_co_i32 s10, s9, s51
	s_cmp_ge_u32 s9, s51
	s_wait_alu 0xfffe
	s_cselect_b32 s9, s10, s9
	s_wait_alu 0xfffe
	s_sub_co_i32 s10, s9, s51
	s_cmp_ge_u32 s9, s51
	s_wait_alu 0xfffe
	s_cselect_b32 s9, s10, s9
	s_wait_alu 0xfffe
	s_sub_co_i32 s92, s58, s9
	s_wait_alu 0xfffe
	v_cmpx_gt_u32_e64 s92, v19
	s_cbranch_execz .LBB18_62
; %bb.59:                               ;   in Loop: Header=BB18_7 Depth=1
	v_mov_b32_e32 v6, v29
	s_wait_loadcnt 0x0
	v_mov_b32_e32 v14, v19
	s_mov_b32 s94, 0
	s_mov_b32 s95, 0
	;; [unrolled: 1-line block ×5, first 2 shown]
.LBB18_60:                              ;   Parent Loop BB18_7 Depth=1
                                        ; =>  This Inner Loop Header: Depth=2
	ds_load_b128 v[1:4], v6
	s_wait_dscnt 0x0
	v_xor_b32_e32 v1, 0x80000000, v1
	v_xor_b32_e32 v2, 0x80000000, v2
	;; [unrolled: 1-line block ×4, first 2 shown]
	s_delay_alu instid0(VALU_DEP_4)
	v_and_b32_e32 v16, v1, v32
	v_bfe_u32 v1, v1, s91, 2
	v_and_b32_e32 v17, v2, v32
	v_bfe_u32 v2, v2, s91, 2
	;; [unrolled: 2-line block ×3, first 2 shown]
	v_cmp_eq_u32_e64 s9, v16, v24
	v_cmp_eq_u32_e64 s13, 0, v1
	v_and_b32_e32 v35, v4, v32
	v_bfe_u32 v4, v4, s91, 2
	v_cmp_eq_u32_e64 s10, v17, v24
	v_cmp_eq_u32_e64 s14, 0, v2
	;; [unrolled: 1-line block ×4, first 2 shown]
	s_and_b32 s13, s9, s13
	v_cmp_eq_u32_e64 s12, v35, v24
	v_cmp_eq_u32_e64 s16, 0, v4
	;; [unrolled: 1-line block ×5, first 2 shown]
	s_wait_alu 0xfffe
	v_cndmask_b32_e64 v1, 0, 1, s13
	s_and_b32 s13, s10, s14
	v_cmp_eq_u32_e64 s18, 1, v2
	v_cmp_eq_u32_e64 s22, 2, v2
	v_cmp_eq_u32_e64 s26, 3, v2
	s_wait_alu 0xfffe
	v_cndmask_b32_e64 v2, 0, 1, s13
	s_and_b32 s13, s11, s15
	v_cmp_eq_u32_e64 s19, 1, v3
	v_cmp_eq_u32_e64 s23, 2, v3
	v_cmp_eq_u32_e64 s27, 3, v3
	s_wait_alu 0xfffe
	v_cndmask_b32_e64 v3, 0, 1, s13
	s_and_b32 s13, s12, s16
	v_cmp_eq_u32_e64 s20, 1, v4
	v_cmp_eq_u32_e64 s24, 2, v4
	v_cmp_eq_u32_e64 s28, 3, v4
	s_wait_alu 0xfffe
	v_cndmask_b32_e64 v4, 0, 1, s13
	s_and_b32 s13, s9, s17
	s_wait_alu 0xfffe
	v_cndmask_b32_e64 v16, 0, 1, s13
	s_and_b32 s13, s10, s18
	;; [unrolled: 3-line block ×4, first 2 shown]
	v_cmp_ne_u32_e64 s14, 0, v17
	s_wait_alu 0xfffe
	v_cndmask_b32_e64 v35, 0, 1, s13
	s_and_b32 s13, s9, s21
	s_and_b32 s9, s9, s25
	s_wait_alu 0xfffe
	v_cndmask_b32_e64 v36, 0, 1, s13
	v_cndmask_b32_e64 v40, 0, 1, s9
	s_and_b32 s9, s10, s26
	s_and_b32 s13, s10, s22
	s_wait_alu 0xfffe
	v_cndmask_b32_e64 v41, 0, 1, s9
	s_and_b32 s9, s11, s27
	v_cndmask_b32_e64 v37, 0, 1, s13
	s_wait_alu 0xfffe
	v_cndmask_b32_e64 v42, 0, 1, s9
	s_and_b32 s9, s12, s28
	s_and_b32 s13, s11, s23
	s_wait_alu 0xfffe
	v_cndmask_b32_e64 v43, 0, 1, s9
	v_cmp_ne_u32_e64 s9, 0, v1
	v_cmp_ne_u32_e64 s10, 0, v2
	v_cndmask_b32_e64 v38, 0, 1, s13
	s_and_b32 s13, s12, s24
	v_cmp_ne_u32_e64 s11, 0, v3
	s_wait_alu 0xfffe
	v_cndmask_b32_e64 v39, 0, 1, s13
	v_cmp_ne_u32_e64 s13, 0, v16
	v_cmp_ne_u32_e64 s17, 0, v36
	;; [unrolled: 1-line block ×3, first 2 shown]
	s_bcnt1_i32_b32 s9, s9
	v_cmp_ne_u32_e64 s12, 0, v4
	v_cmp_ne_u32_e64 s18, 0, v37
	;; [unrolled: 1-line block ×3, first 2 shown]
	s_bcnt1_i32_b32 s10, s10
	s_wait_alu 0xfffe
	s_add_co_i32 s9, s9, s98
	v_cmp_ne_u32_e64 s15, 0, v34
	v_cmp_ne_u32_e64 s19, 0, v38
	;; [unrolled: 1-line block ×3, first 2 shown]
	s_bcnt1_i32_b32 s11, s11
	s_wait_alu 0xfffe
	s_add_co_i32 s9, s9, s10
	s_bcnt1_i32_b32 s13, s13
	s_bcnt1_i32_b32 s17, s17
	;; [unrolled: 1-line block ×3, first 2 shown]
	v_cmp_ne_u32_e64 s16, 0, v35
	v_cmp_ne_u32_e64 s20, 0, v39
	;; [unrolled: 1-line block ×3, first 2 shown]
	s_bcnt1_i32_b32 s12, s12
	s_wait_alu 0xfffe
	s_add_co_i32 s9, s9, s11
	s_bcnt1_i32_b32 s14, s14
	s_bcnt1_i32_b32 s18, s18
	;; [unrolled: 1-line block ×3, first 2 shown]
	s_add_co_i32 s13, s13, s97
	s_add_co_i32 s17, s17, s96
	;; [unrolled: 1-line block ×3, first 2 shown]
	s_wait_alu 0xfffe
	s_add_co_i32 s98, s9, s12
	s_wait_alu 0xfffe
	v_dual_mov_b32 v1, s98 :: v_dual_add_nc_u32 v14, s51, v14
	s_bcnt1_i32_b32 s15, s15
	s_bcnt1_i32_b32 s19, s19
	;; [unrolled: 1-line block ×3, first 2 shown]
	s_add_co_i32 s10, s13, s14
	s_add_co_i32 s13, s17, s18
	;; [unrolled: 1-line block ×3, first 2 shown]
	s_bcnt1_i32_b32 s16, s16
	s_bcnt1_i32_b32 s20, s20
	s_bcnt1_i32_b32 s24, s24
	s_wait_alu 0xfffe
	s_add_co_i32 s10, s10, s15
	s_add_co_i32 s11, s13, s19
	;; [unrolled: 1-line block ×3, first 2 shown]
	v_cmp_le_i32_e32 vcc_lo, s92, v14
	s_wait_alu 0xfffe
	s_add_co_i32 s97, s10, s16
	s_add_co_i32 s96, s11, s20
	;; [unrolled: 1-line block ×3, first 2 shown]
	s_wait_alu 0xfffe
	v_dual_mov_b32 v3, s96 :: v_dual_add_nc_u32 v6, s84, v6
	v_mov_b32_e32 v2, s97
	v_mov_b32_e32 v4, s95
	s_or_b32 s94, vcc_lo, s94
	s_wait_alu 0xfffe
	s_and_not1_b32 exec_lo, exec_lo, s94
	s_cbranch_execnz .LBB18_60
; %bb.61:                               ;   in Loop: Header=BB18_7 Depth=1
	s_or_b32 exec_lo, exec_lo, s94
.LBB18_62:                              ;   in Loop: Header=BB18_7 Depth=1
	s_delay_alu instid0(SALU_CYCLE_1) | instskip(SKIP_2) | instid1(VALU_DEP_1)
	s_or_b32 exec_lo, exec_lo, s93
	v_add_nc_u32_e32 v6, s92, v0
	s_mov_b32 s14, exec_lo
	v_cmpx_gt_i32_e64 s58, v6
	s_cbranch_execz .LBB18_66
; %bb.63:                               ;   in Loop: Header=BB18_7 Depth=1
	s_wait_loadcnt 0x0
	v_lshlrev_b32_e32 v14, 2, v6
	s_mov_b32 s15, 0
.LBB18_64:                              ;   Parent Loop BB18_7 Depth=1
                                        ; =>  This Inner Loop Header: Depth=2
	ds_load_b32 v16, v14
	v_add_nc_u32_e32 v6, s49, v6
	v_add_nc_u32_e32 v14, s51, v14
	s_delay_alu instid0(VALU_DEP_2) | instskip(SKIP_2) | instid1(VALU_DEP_1)
	v_cmp_le_i32_e32 vcc_lo, s58, v6
	s_wait_dscnt 0x0
	v_xor_b32_e32 v16, 0x80000000, v16
	v_and_b32_e32 v17, v16, v32
	v_bfe_u32 v16, v16, s91, 2
	s_delay_alu instid0(VALU_DEP_2) | instskip(NEXT) | instid1(VALU_DEP_2)
	v_cmp_eq_u32_e64 s9, v17, v24
	v_cmp_eq_u32_e64 s10, 0, v16
	;; [unrolled: 1-line block ×5, first 2 shown]
	s_and_b32 s10, s9, s10
	s_wait_alu 0xfffe
	v_cndmask_b32_e64 v16, 0, 1, s10
	s_and_b32 s10, s9, s11
	s_wait_alu 0xfffe
	v_cndmask_b32_e64 v17, 0, 1, s10
	s_and_b32 s10, s9, s12
	s_and_b32 s9, s9, s13
	s_wait_alu 0xfffe
	v_cndmask_b32_e64 v34, 0, 1, s10
	v_cndmask_b32_e64 v35, 0, 1, s9
	v_cmp_ne_u32_e64 s9, 0, v16
	v_cmp_ne_u32_e64 s10, 0, v17
	s_delay_alu instid0(VALU_DEP_4) | instskip(NEXT) | instid1(VALU_DEP_4)
	v_cmp_ne_u32_e64 s11, 0, v34
	v_cmp_ne_u32_e64 s12, 0, v35
	s_bcnt1_i32_b32 s9, s9
	s_bcnt1_i32_b32 s10, s10
	s_wait_alu 0xfffe
	v_add_nc_u32_e32 v1, s9, v1
	s_bcnt1_i32_b32 s11, s11
	s_bcnt1_i32_b32 s12, s12
	v_add_nc_u32_e32 v2, s10, v2
	s_wait_alu 0xfffe
	v_add_nc_u32_e32 v3, s11, v3
	v_add_nc_u32_e32 v4, s12, v4
	s_or_b32 s15, vcc_lo, s15
	s_wait_alu 0xfffe
	s_and_not1_b32 exec_lo, exec_lo, s15
	s_cbranch_execnz .LBB18_64
; %bb.65:                               ;   in Loop: Header=BB18_7 Depth=1
	s_or_b32 exec_lo, exec_lo, s15
.LBB18_66:                              ;   in Loop: Header=BB18_7 Depth=1
	s_wait_alu 0xfffe
	s_or_b32 exec_lo, exec_lo, s14
	v_lshlrev_b32_e32 v6, 7, v31
	s_and_saveexec_b32 s9, s0
	s_cbranch_execnz .LBB18_38
	s_branch .LBB18_39
.LBB18_67:                              ;   in Loop: Header=BB18_7 Depth=1
	s_wait_alu 0xfffe
	s_or_b32 exec_lo, exec_lo, s11
	s_wait_loadcnt_dscnt 0x0
	s_barrier_signal -1
	s_barrier_wait -1
	global_inv scope:SCOPE_SE
	s_and_saveexec_b32 s9, s2
	s_cbranch_execz .LBB18_69
; %bb.68:                               ;   in Loop: Header=BB18_7 Depth=1
	ds_load_b32 v1, v7 offset:4104
	s_wait_dscnt 0x0
	ds_store_b32 v7, v1 offset:4096
.LBB18_69:                              ;   in Loop: Header=BB18_7 Depth=1
	s_wait_alu 0xfffe
	s_or_b32 exec_lo, exec_lo, s9
	s_wait_loadcnt_dscnt 0x0
	s_barrier_signal -1
	s_mov_b32 s9, -1
	s_barrier_wait -1
	s_and_b32 vcc_lo, exec_lo, s10
	s_wait_alu 0xfffe
	s_cbranch_vccnz .LBB18_23
	s_branch .LBB18_33
.LBB18_70:                              ;   in Loop: Header=BB18_7 Depth=1
	v_mov_b32_e32 v1, 0
	s_mov_b32 s10, 0
	s_and_not1_b32 vcc_lo, exec_lo, s80
	s_wait_alu 0xfffe
	s_cbranch_vccnz .LBB18_73
.LBB18_71:                              ;   in Loop: Header=BB18_7 Depth=1
	v_lshlrev_b32_e32 v2, 9, v31
	s_lshl_b32 s10, s10, 4
	s_wait_alu 0xfffe
	s_delay_alu instid0(VALU_DEP_1)
	v_add3_u32 v2, v2, s10, v30
	s_mov_b32 s10, s77
.LBB18_72:                              ;   Parent Loop BB18_7 Depth=1
                                        ; =>  This Inner Loop Header: Depth=2
	ds_load_b32 v3, v2
	v_add_nc_u32_e32 v2, 16, v2
	s_wait_alu 0xfffe
	s_add_co_i32 s10, s10, -1
	s_wait_alu 0xfffe
	s_cmp_lg_u32 s10, 0
	s_wait_dscnt 0x0
	v_add_nc_u32_e32 v1, v3, v1
	s_cbranch_scc1 .LBB18_72
.LBB18_73:                              ;   in Loop: Header=BB18_7 Depth=1
	v_add_lshl_u32 v2, v6, v18, 2
	ds_store_b32 v2, v1 offset:3072
.LBB18_74:                              ;   in Loop: Header=BB18_7 Depth=1
	s_wait_alu 0xfffe
	s_or_b32 exec_lo, exec_lo, s9
	v_lshlrev_b32_e32 v1, 2, v6
	s_wait_loadcnt_dscnt 0x0
	s_barrier_signal -1
	s_barrier_wait -1
	global_inv scope:SCOPE_SE
	ds_load_b128 v[1:4], v1 offset:3072
	s_lshl_b32 s10, 3, s91
	v_cmp_eq_u32_e32 vcc_lo, 1, v33
	s_wait_alu 0xfffe
	s_not_b32 s17, s10
	s_mov_b32 s13, -1
	s_mov_b32 s15, -1
                                        ; implicit-def: $sgpr20
                                        ; implicit-def: $sgpr18
	s_wait_dscnt 0x0
	v_readfirstlane_b32 s12, v1
	v_readfirstlane_b32 s19, v2
	;; [unrolled: 1-line block ×4, first 2 shown]
	s_cmp_eq_u32 s12, 1
	s_cselect_b32 s11, -1, 0
	s_wait_alu 0xfffe
	s_and_b32 s14, s11, vcc_lo
	s_wait_alu 0xfffe
	s_and_saveexec_b32 s11, s14
	s_cbranch_execz .LBB18_100
; %bb.75:                               ;   in Loop: Header=BB18_7 Depth=1
	ds_load_b32 v1, v7 offset:4096
	s_wait_loadcnt_dscnt 0x0
	s_barrier_signal -1
	s_barrier_wait -1
	global_inv scope:SCOPE_SE
	v_readfirstlane_b32 s15, v1
	s_and_saveexec_b32 s18, s1
; %bb.76:                               ;   in Loop: Header=BB18_7 Depth=1
	ds_store_b32 v20, v7
; %bb.77:                               ;   in Loop: Header=BB18_7 Depth=1
	s_wait_alu 0xfffe
	s_or_b32 exec_lo, exec_lo, s18
	v_and_b32_e32 v24, s17, v24
	v_or_b32_e32 v32, s10, v32
	s_mov_b32 s18, -1
	s_mov_b32 s20, 0
	s_cmp_lt_i32 s15, 1
	s_mov_b32 s21, 0
	s_mov_b32 s22, -1
	s_wait_loadcnt_dscnt 0x0
	s_barrier_signal -1
	s_barrier_wait -1
	global_inv scope:SCOPE_SE
                                        ; implicit-def: $vgpr15
	s_cbranch_scc0 .LBB18_88
; %bb.78:                               ;   in Loop: Header=BB18_7 Depth=1
	s_mov_b32 s22, 0
                                        ; implicit-def: $vgpr15
	s_and_saveexec_b32 s23, s8
	s_cbranch_execz .LBB18_87
; %bb.79:                               ;   in Loop: Header=BB18_7 Depth=1
	v_mov_b32_e32 v1, v5
	v_mov_b32_e32 v3, v0
                                        ; implicit-def: $sgpr24
	s_branch .LBB18_82
.LBB18_80:                              ;   in Loop: Header=BB18_82 Depth=2
	s_wait_alu 0xfffe
	s_or_b32 exec_lo, exec_lo, s25
	s_wait_loadcnt_dscnt 0x0
	s_barrier_signal -1
	s_barrier_wait -1
	global_inv scope:SCOPE_SE
	ds_load_b64 v[14:15], v7 offset:3072
	s_mov_b32 s25, -1
	s_mov_b32 s26, -1
	s_wait_loadcnt_dscnt 0x0
	s_barrier_signal -1
	s_barrier_wait -1
	global_inv scope:SCOPE_SE
	v_cmp_ne_u32_e32 vcc_lo, 0, v14
	s_cbranch_vccz .LBB18_85
.LBB18_81:                              ;   in Loop: Header=BB18_82 Depth=2
	s_wait_alu 0xfffe
	s_and_b32 s25, exec_lo, s25
	s_wait_alu 0xfffe
	s_or_b32 s21, s25, s21
	s_and_not1_b32 s24, s24, exec_lo
	s_and_b32 s25, s26, exec_lo
	s_wait_alu 0xfffe
	s_or_b32 s24, s24, s25
	s_and_not1_b32 exec_lo, exec_lo, s21
	s_cbranch_execz .LBB18_86
.LBB18_82:                              ;   Parent Loop BB18_7 Depth=1
                                        ; =>  This Inner Loop Header: Depth=2
	s_mov_b32 s25, exec_lo
	s_delay_alu instid0(VALU_DEP_1)
	v_cmpx_gt_i32_e64 s36, v3
	s_cbranch_execz .LBB18_80
; %bb.83:                               ;   in Loop: Header=BB18_82 Depth=2
	v_ashrrev_i32_e32 v2, 31, v1
	s_delay_alu instid0(VALU_DEP_1) | instskip(NEXT) | instid1(VALU_DEP_1)
	v_lshlrev_b64_e32 v[14:15], 2, v[1:2]
	v_add_co_u32 v14, vcc_lo, s60, v14
	s_wait_alu 0xfffd
	s_delay_alu instid0(VALU_DEP_2) | instskip(SKIP_3) | instid1(VALU_DEP_1)
	v_add_co_ci_u32_e64 v15, null, s61, v15, vcc_lo
	global_load_b32 v14, v[14:15], off
	s_wait_loadcnt 0x0
	v_xor_b32_e32 v2, 0x80000000, v14
	v_and_b32_e32 v2, v2, v32
	s_delay_alu instid0(VALU_DEP_1)
	v_cmp_eq_u32_e32 vcc_lo, v2, v24
	s_and_b32 exec_lo, exec_lo, vcc_lo
	s_cbranch_execz .LBB18_80
; %bb.84:                               ;   in Loop: Header=BB18_82 Depth=2
	ds_store_b64 v7, v[13:14] offset:3072
	s_branch .LBB18_80
.LBB18_85:                              ;   in Loop: Header=BB18_82 Depth=2
	v_add_nc_u32_e32 v3, s49, v3
	v_add_nc_u32_e32 v1, s73, v1
	s_mov_b32 s26, 0
	s_delay_alu instid0(VALU_DEP_2)
	v_cmp_le_i32_e32 vcc_lo, s82, v3
	s_or_not1_b32 s25, vcc_lo, exec_lo
	s_branch .LBB18_81
.LBB18_86:                              ;   in Loop: Header=BB18_7 Depth=1
	s_or_b32 exec_lo, exec_lo, s21
	s_wait_alu 0xfffe
	s_and_b32 s21, s24, exec_lo
.LBB18_87:                              ;   in Loop: Header=BB18_7 Depth=1
	s_wait_alu 0xfffe
	s_or_b32 exec_lo, exec_lo, s23
.LBB18_88:                              ;   in Loop: Header=BB18_7 Depth=1
	s_wait_alu 0xfffe
	s_and_b32 vcc_lo, exec_lo, s22
	s_wait_alu 0xfffe
	s_cbranch_vccz .LBB18_99
; %bb.89:                               ;   in Loop: Header=BB18_7 Depth=1
	s_add_co_i32 s20, s15, s56
                                        ; implicit-def: $vgpr15
	s_wait_alu 0xfffe
	s_abs_i32 s58, s20
	s_wait_alu 0xfffe
	s_mul_u64 s[22:23], s[58:59], s[64:65]
	s_ashr_i32 s22, s20, 31
	s_wait_alu 0xfffe
	s_mul_i32 s18, s23, s49
	s_wait_alu 0xfffe
	s_sub_co_i32 s18, s58, s18
	s_wait_alu 0xfffe
	s_sub_co_i32 s23, s18, s49
	s_cmp_ge_u32 s18, s49
	s_wait_alu 0xfffe
	s_cselect_b32 s18, s23, s18
	s_wait_alu 0xfffe
	s_sub_co_i32 s23, s18, s49
	s_cmp_ge_u32 s18, s49
	s_wait_alu 0xfffe
	s_cselect_b32 s18, s23, s18
	s_wait_alu 0xfffe
	s_xor_b32 s18, s18, s22
	s_wait_alu 0xfffe
	s_sub_co_i32 s18, s22, s18
	s_wait_alu 0xfffe
	s_add_co_i32 s20, s20, s18
	s_mov_b32 s18, exec_lo
	s_wait_alu 0xfffe
	v_cmpx_gt_i32_e64 s20, v0
	s_cbranch_execz .LBB18_98
; %bb.90:                               ;   in Loop: Header=BB18_7 Depth=1
	v_dual_mov_b32 v1, v19 :: v_dual_mov_b32 v2, v0
	s_mov_b32 s22, 0
                                        ; implicit-def: $sgpr23
	s_branch .LBB18_93
.LBB18_91:                              ;   in Loop: Header=BB18_93 Depth=2
	s_wait_alu 0xfffe
	s_or_b32 exec_lo, exec_lo, s24
	s_wait_loadcnt_dscnt 0x0
	s_barrier_signal -1
	s_barrier_wait -1
	global_inv scope:SCOPE_SE
	ds_load_b64 v[14:15], v7 offset:3072
	s_mov_b32 s24, -1
	s_mov_b32 s25, -1
	s_wait_loadcnt_dscnt 0x0
	s_barrier_signal -1
	s_barrier_wait -1
	global_inv scope:SCOPE_SE
	v_cmp_ne_u32_e32 vcc_lo, 0, v14
	s_cbranch_vccz .LBB18_96
.LBB18_92:                              ;   in Loop: Header=BB18_93 Depth=2
	s_wait_alu 0xfffe
	s_and_b32 s24, exec_lo, s24
	s_wait_alu 0xfffe
	s_or_b32 s22, s24, s22
	s_and_not1_b32 s23, s23, exec_lo
	s_and_b32 s24, s25, exec_lo
	s_wait_alu 0xfffe
	s_or_b32 s23, s23, s24
	s_and_not1_b32 exec_lo, exec_lo, s22
	s_cbranch_execz .LBB18_97
.LBB18_93:                              ;   Parent Loop BB18_7 Depth=1
                                        ; =>  This Inner Loop Header: Depth=2
	s_mov_b32 s24, exec_lo
	s_delay_alu instid0(VALU_DEP_1)
	v_cmpx_gt_i32_e64 s15, v2
	s_cbranch_execz .LBB18_91
; %bb.94:                               ;   in Loop: Header=BB18_93 Depth=2
	ds_load_b32 v14, v1
	s_wait_dscnt 0x0
	v_xor_b32_e32 v3, 0x80000000, v14
	s_delay_alu instid0(VALU_DEP_1) | instskip(NEXT) | instid1(VALU_DEP_1)
	v_and_b32_e32 v3, v3, v32
	v_cmp_eq_u32_e32 vcc_lo, v3, v24
	s_and_b32 exec_lo, exec_lo, vcc_lo
	s_cbranch_execz .LBB18_91
; %bb.95:                               ;   in Loop: Header=BB18_93 Depth=2
	ds_store_b64 v7, v[13:14] offset:3072
	s_branch .LBB18_91
.LBB18_96:                              ;   in Loop: Header=BB18_93 Depth=2
	v_add_nc_u32_e32 v2, s49, v2
	v_add_nc_u32_e32 v1, s51, v1
	s_mov_b32 s25, 0
	s_delay_alu instid0(VALU_DEP_2)
	v_cmp_le_i32_e32 vcc_lo, s20, v2
	s_or_not1_b32 s24, vcc_lo, exec_lo
	s_branch .LBB18_92
.LBB18_97:                              ;   in Loop: Header=BB18_7 Depth=1
	s_or_b32 exec_lo, exec_lo, s22
	s_delay_alu instid0(SALU_CYCLE_1)
	s_and_not1_b32 s15, s21, exec_lo
	s_wait_alu 0xfffe
	s_and_b32 s20, s23, exec_lo
	s_wait_alu 0xfffe
	s_or_b32 s21, s15, s20
.LBB18_98:                              ;   in Loop: Header=BB18_7 Depth=1
	s_wait_alu 0xfffe
	s_or_b32 exec_lo, exec_lo, s18
	s_mov_b32 s18, 0
	s_mov_b32 s20, -1
.LBB18_99:                              ;   in Loop: Header=BB18_7 Depth=1
	s_or_not1_b32 s15, s21, exec_lo
.LBB18_100:                             ;   in Loop: Header=BB18_7 Depth=1
	s_wait_alu 0xfffe
	s_or_b32 exec_lo, exec_lo, s11
	v_readfirstlane_b32 s21, v0
	s_and_not1_b32 s11, s89, exec_lo
	s_and_b32 s20, s20, exec_lo
	s_and_not1_b32 s22, s87, exec_lo
	s_and_b32 s18, s18, exec_lo
	s_and_not1_b32 s86, s86, exec_lo
	s_wait_alu 0xfffe
	s_or_b32 s89, s11, s20
	s_or_b32 s87, s22, s18
                                        ; implicit-def: $vgpr4
	s_and_saveexec_b32 s11, s15
	s_cbranch_execz .LBB18_6
; %bb.101:                              ;   in Loop: Header=BB18_7 Depth=1
	v_dual_mov_b32 v4, 1 :: v_dual_mov_b32 v3, 1
	s_xor_b32 s14, s14, -1
	s_mov_b32 s20, 0
	s_wait_alu 0xfffe
	s_and_saveexec_b32 s13, s14
	s_cbranch_execz .LBB18_110
; %bb.102:                              ;   in Loop: Header=BB18_7 Depth=1
	s_mov_b32 s14, exec_lo
	v_cmpx_ge_i32_e64 s12, v33
	s_wait_alu 0xfffe
	s_xor_b32 s14, exec_lo, s14
	s_cbranch_execz .LBB18_107
; %bb.103:                              ;   in Loop: Header=BB18_7 Depth=1
	ds_load_b32 v1, v7 offset:4096
	v_and_b32_e32 v24, s17, v24
	v_or_b32_e32 v32, s10, v32
	s_wait_dscnt 0x0
	v_cmp_ne_u32_e32 vcc_lo, 0, v1
	s_cbranch_vccnz .LBB18_107
; %bb.104:                              ;   in Loop: Header=BB18_7 Depth=1
	s_and_saveexec_b32 s15, s2
; %bb.105:                              ;   in Loop: Header=BB18_7 Depth=1
	v_mov_b32_e32 v1, s12
	ds_store_b32 v7, v1 offset:4100
; %bb.106:                              ;   in Loop: Header=BB18_7 Depth=1
	s_wait_alu 0xfffe
	s_or_b32 exec_lo, exec_lo, s15
	s_wait_loadcnt_dscnt 0x0
	s_barrier_signal -1
	s_barrier_wait -1
	global_inv scope:SCOPE_SE
.LBB18_107:                             ;   in Loop: Header=BB18_7 Depth=1
	s_wait_alu 0xfffe
	s_or_saveexec_b32 s14, s14
	v_mov_b32_e32 v3, 8
	s_mov_b32 s15, 0
	s_wait_alu 0xfffe
	s_xor_b32 exec_lo, exec_lo, s14
; %bb.108:                              ;   in Loop: Header=BB18_7 Depth=1
	v_subrev_nc_u32_e32 v33, s12, v33
	v_mov_b32_e32 v3, 0
	s_mov_b32 s15, exec_lo
; %bb.109:                              ;   in Loop: Header=BB18_7 Depth=1
	s_or_b32 exec_lo, exec_lo, s14
	s_delay_alu instid0(VALU_DEP_2)
	v_mov_b32_e32 v4, v33
	s_wait_alu 0xfffe
	s_and_b32 s20, s15, exec_lo
.LBB18_110:                             ;   in Loop: Header=BB18_7 Depth=1
	s_wait_alu 0xfffe
	s_or_b32 exec_lo, exec_lo, s13
	s_mov_b32 s12, -1
	s_mov_b32 s18, -1
                                        ; implicit-def: $sgpr14
                                        ; implicit-def: $sgpr15
	s_and_saveexec_b32 s13, s20
	s_wait_alu 0xfffe
	s_xor_b32 s13, exec_lo, s13
	s_cbranch_execz .LBB18_227
; %bb.111:                              ;   in Loop: Header=BB18_7 Depth=1
	v_cmp_eq_u32_e32 vcc_lo, 1, v4
	s_cmp_eq_u32 s19, 1
	s_mov_b32 s21, -1
	s_cselect_b32 s14, -1, 0
                                        ; implicit-def: $sgpr15
	s_wait_alu 0xfffe
	s_and_b32 s20, s14, vcc_lo
                                        ; implicit-def: $sgpr14
	s_wait_alu 0xfffe
	s_and_saveexec_b32 s18, s20
	s_cbranch_execz .LBB18_137
; %bb.112:                              ;   in Loop: Header=BB18_7 Depth=1
	ds_load_b32 v1, v7 offset:4096
	s_wait_loadcnt_dscnt 0x0
	s_barrier_signal -1
	s_barrier_wait -1
	global_inv scope:SCOPE_SE
	v_readfirstlane_b32 s21, v1
	s_and_saveexec_b32 s14, s1
; %bb.113:                              ;   in Loop: Header=BB18_7 Depth=1
	ds_store_b32 v20, v7
; %bb.114:                              ;   in Loop: Header=BB18_7 Depth=1
	s_wait_alu 0xfffe
	s_or_b32 exec_lo, exec_lo, s14
	s_lshl_b32 s14, 1, s91
	v_or_b32_e32 v32, s10, v32
	s_wait_alu 0xfffe
	v_and_or_b32 v24, v24, s17, s14
	s_mov_b32 s14, -1
	s_mov_b32 s15, 0
	s_cmp_gt_i32 s21, 0
	s_mov_b32 s22, 0
	s_mov_b32 s23, -1
	s_wait_loadcnt_dscnt 0x0
	s_barrier_signal -1
	s_barrier_wait -1
	global_inv scope:SCOPE_SE
                                        ; implicit-def: $vgpr15
	s_cbranch_scc1 .LBB18_125
; %bb.115:                              ;   in Loop: Header=BB18_7 Depth=1
	s_mov_b32 s23, 0
                                        ; implicit-def: $vgpr15
	s_and_saveexec_b32 s24, s8
	s_cbranch_execz .LBB18_124
; %bb.116:                              ;   in Loop: Header=BB18_7 Depth=1
	v_dual_mov_b32 v1, v5 :: v_dual_mov_b32 v6, v0
                                        ; implicit-def: $sgpr25
	s_branch .LBB18_119
.LBB18_117:                             ;   in Loop: Header=BB18_119 Depth=2
	s_wait_alu 0xfffe
	s_or_b32 exec_lo, exec_lo, s26
	s_wait_loadcnt_dscnt 0x0
	s_barrier_signal -1
	s_barrier_wait -1
	global_inv scope:SCOPE_SE
	ds_load_b64 v[14:15], v7 offset:3072
	s_mov_b32 s26, -1
	s_mov_b32 s27, -1
	s_wait_loadcnt_dscnt 0x0
	s_barrier_signal -1
	s_barrier_wait -1
	global_inv scope:SCOPE_SE
	v_cmp_ne_u32_e32 vcc_lo, 0, v14
	s_cbranch_vccz .LBB18_122
.LBB18_118:                             ;   in Loop: Header=BB18_119 Depth=2
	s_wait_alu 0xfffe
	s_and_b32 s26, exec_lo, s26
	s_wait_alu 0xfffe
	s_or_b32 s22, s26, s22
	s_and_not1_b32 s25, s25, exec_lo
	s_and_b32 s26, s27, exec_lo
	s_wait_alu 0xfffe
	s_or_b32 s25, s25, s26
	s_and_not1_b32 exec_lo, exec_lo, s22
	s_cbranch_execz .LBB18_123
.LBB18_119:                             ;   Parent Loop BB18_7 Depth=1
                                        ; =>  This Inner Loop Header: Depth=2
	s_mov_b32 s26, exec_lo
	s_delay_alu instid0(VALU_DEP_1)
	v_cmpx_gt_i32_e64 s36, v6
	s_cbranch_execz .LBB18_117
; %bb.120:                              ;   in Loop: Header=BB18_119 Depth=2
	v_ashrrev_i32_e32 v2, 31, v1
	s_delay_alu instid0(VALU_DEP_1) | instskip(NEXT) | instid1(VALU_DEP_1)
	v_lshlrev_b64_e32 v[14:15], 2, v[1:2]
	v_add_co_u32 v14, vcc_lo, s60, v14
	s_wait_alu 0xfffd
	s_delay_alu instid0(VALU_DEP_2) | instskip(SKIP_3) | instid1(VALU_DEP_1)
	v_add_co_ci_u32_e64 v15, null, s61, v15, vcc_lo
	global_load_b32 v14, v[14:15], off
	s_wait_loadcnt 0x0
	v_xor_b32_e32 v2, 0x80000000, v14
	v_and_b32_e32 v2, v2, v32
	s_delay_alu instid0(VALU_DEP_1)
	v_cmp_eq_u32_e32 vcc_lo, v2, v24
	s_and_b32 exec_lo, exec_lo, vcc_lo
	s_cbranch_execz .LBB18_117
; %bb.121:                              ;   in Loop: Header=BB18_119 Depth=2
	ds_store_b64 v7, v[13:14] offset:3072
	s_branch .LBB18_117
.LBB18_122:                             ;   in Loop: Header=BB18_119 Depth=2
	v_add_nc_u32_e32 v6, s49, v6
	v_add_nc_u32_e32 v1, s73, v1
	s_mov_b32 s27, 0
	s_delay_alu instid0(VALU_DEP_2)
	v_cmp_le_i32_e32 vcc_lo, s82, v6
	s_or_not1_b32 s26, vcc_lo, exec_lo
	s_branch .LBB18_118
.LBB18_123:                             ;   in Loop: Header=BB18_7 Depth=1
	s_or_b32 exec_lo, exec_lo, s22
	s_wait_alu 0xfffe
	s_and_b32 s22, s25, exec_lo
.LBB18_124:                             ;   in Loop: Header=BB18_7 Depth=1
	s_wait_alu 0xfffe
	s_or_b32 exec_lo, exec_lo, s24
.LBB18_125:                             ;   in Loop: Header=BB18_7 Depth=1
	s_wait_alu 0xfffe
	s_and_b32 vcc_lo, exec_lo, s23
	s_wait_alu 0xfffe
	s_cbranch_vccz .LBB18_136
; %bb.126:                              ;   in Loop: Header=BB18_7 Depth=1
	s_add_co_i32 s23, s21, s56
                                        ; implicit-def: $vgpr15
	s_wait_alu 0xfffe
	s_abs_i32 s58, s23
	s_wait_alu 0xfffe
	s_mul_u64 s[14:15], s[58:59], s[64:65]
	s_wait_alu 0xfffe
	s_mul_i32 s14, s15, s49
	s_ashr_i32 s15, s23, 31
	s_wait_alu 0xfffe
	s_sub_co_i32 s14, s58, s14
	s_wait_alu 0xfffe
	s_sub_co_i32 s24, s14, s49
	s_cmp_ge_u32 s14, s49
	s_wait_alu 0xfffe
	s_cselect_b32 s14, s24, s14
	s_wait_alu 0xfffe
	s_sub_co_i32 s24, s14, s49
	s_cmp_ge_u32 s14, s49
	s_wait_alu 0xfffe
	s_cselect_b32 s14, s24, s14
	s_wait_alu 0xfffe
	s_xor_b32 s14, s14, s15
	s_wait_alu 0xfffe
	s_sub_co_i32 s14, s15, s14
	s_wait_alu 0xfffe
	s_add_co_i32 s15, s23, s14
	s_mov_b32 s14, exec_lo
	s_wait_alu 0xfffe
	v_cmpx_gt_i32_e64 s15, v0
	s_cbranch_execz .LBB18_135
; %bb.127:                              ;   in Loop: Header=BB18_7 Depth=1
	v_dual_mov_b32 v1, v19 :: v_dual_mov_b32 v2, v0
	s_mov_b32 s23, 0
                                        ; implicit-def: $sgpr24
	s_branch .LBB18_130
.LBB18_128:                             ;   in Loop: Header=BB18_130 Depth=2
	s_wait_alu 0xfffe
	s_or_b32 exec_lo, exec_lo, s25
	s_wait_loadcnt_dscnt 0x0
	s_barrier_signal -1
	s_barrier_wait -1
	global_inv scope:SCOPE_SE
	ds_load_b64 v[14:15], v7 offset:3072
	s_mov_b32 s25, -1
	s_mov_b32 s26, -1
	s_wait_loadcnt_dscnt 0x0
	s_barrier_signal -1
	s_barrier_wait -1
	global_inv scope:SCOPE_SE
	v_cmp_eq_u32_e32 vcc_lo, 0, v14
	s_cbranch_vccnz .LBB18_133
.LBB18_129:                             ;   in Loop: Header=BB18_130 Depth=2
	s_wait_alu 0xfffe
	s_and_b32 s25, exec_lo, s25
	s_wait_alu 0xfffe
	s_or_b32 s23, s25, s23
	s_and_not1_b32 s24, s24, exec_lo
	s_and_b32 s25, s26, exec_lo
	s_wait_alu 0xfffe
	s_or_b32 s24, s24, s25
	s_and_not1_b32 exec_lo, exec_lo, s23
	s_cbranch_execz .LBB18_134
.LBB18_130:                             ;   Parent Loop BB18_7 Depth=1
                                        ; =>  This Inner Loop Header: Depth=2
	s_mov_b32 s25, exec_lo
	s_delay_alu instid0(VALU_DEP_1)
	v_cmpx_gt_i32_e64 s21, v2
	s_cbranch_execz .LBB18_128
; %bb.131:                              ;   in Loop: Header=BB18_130 Depth=2
	ds_load_b32 v14, v1
	s_wait_dscnt 0x0
	v_xor_b32_e32 v6, 0x80000000, v14
	s_delay_alu instid0(VALU_DEP_1) | instskip(NEXT) | instid1(VALU_DEP_1)
	v_and_b32_e32 v6, v6, v32
	v_cmp_eq_u32_e32 vcc_lo, v6, v24
	s_and_b32 exec_lo, exec_lo, vcc_lo
	s_cbranch_execz .LBB18_128
; %bb.132:                              ;   in Loop: Header=BB18_130 Depth=2
	ds_store_b64 v7, v[13:14] offset:3072
	s_branch .LBB18_128
.LBB18_133:                             ;   in Loop: Header=BB18_130 Depth=2
	v_add_nc_u32_e32 v2, s49, v2
	v_add_nc_u32_e32 v1, s51, v1
	s_mov_b32 s26, 0
	s_delay_alu instid0(VALU_DEP_2)
	v_cmp_le_i32_e32 vcc_lo, s15, v2
	s_or_not1_b32 s25, vcc_lo, exec_lo
	s_branch .LBB18_129
.LBB18_134:                             ;   in Loop: Header=BB18_7 Depth=1
	s_or_b32 exec_lo, exec_lo, s23
	s_delay_alu instid0(SALU_CYCLE_1)
	s_and_not1_b32 s15, s22, exec_lo
	s_wait_alu 0xfffe
	s_and_b32 s21, s24, exec_lo
	s_wait_alu 0xfffe
	s_or_b32 s22, s15, s21
.LBB18_135:                             ;   in Loop: Header=BB18_7 Depth=1
	s_or_b32 exec_lo, exec_lo, s14
	s_mov_b32 s14, 0
	s_mov_b32 s15, -1
.LBB18_136:                             ;   in Loop: Header=BB18_7 Depth=1
	s_wait_alu 0xfffe
	s_or_not1_b32 s21, s22, exec_lo
.LBB18_137:                             ;   in Loop: Header=BB18_7 Depth=1
	s_wait_alu 0xfffe
	s_or_b32 exec_lo, exec_lo, s18
	s_mov_b32 s22, 0
	s_and_saveexec_b32 s18, s21
	s_cbranch_execz .LBB18_226
; %bb.138:                              ;   in Loop: Header=BB18_7 Depth=1
	v_dual_mov_b32 v6, 1 :: v_dual_mov_b32 v3, 1
	s_xor_b32 s21, s20, -1
	s_mov_b32 s23, 0
	s_wait_alu 0xfffe
	s_and_saveexec_b32 s20, s21
	s_cbranch_execz .LBB18_147
; %bb.139:                              ;   in Loop: Header=BB18_7 Depth=1
	s_mov_b32 s21, exec_lo
	v_cmpx_ge_i32_e64 s19, v4
	s_wait_alu 0xfffe
	s_xor_b32 s21, exec_lo, s21
	s_cbranch_execz .LBB18_144
; %bb.140:                              ;   in Loop: Header=BB18_7 Depth=1
	ds_load_b32 v1, v7 offset:4096
	s_lshl_b32 s22, 1, s91
	v_or_b32_e32 v32, s10, v32
	s_wait_alu 0xfffe
	v_and_or_b32 v24, v24, s17, s22
	s_wait_dscnt 0x0
	v_cmp_ne_u32_e32 vcc_lo, 0, v1
	s_cbranch_vccnz .LBB18_144
; %bb.141:                              ;   in Loop: Header=BB18_7 Depth=1
	s_and_saveexec_b32 s22, s2
; %bb.142:                              ;   in Loop: Header=BB18_7 Depth=1
	v_mov_b32_e32 v1, s19
	ds_store_b32 v7, v1 offset:4100
; %bb.143:                              ;   in Loop: Header=BB18_7 Depth=1
	s_wait_alu 0xfffe
	s_or_b32 exec_lo, exec_lo, s22
	s_wait_loadcnt_dscnt 0x0
	s_barrier_signal -1
	s_barrier_wait -1
	global_inv scope:SCOPE_SE
.LBB18_144:                             ;   in Loop: Header=BB18_7 Depth=1
	s_wait_alu 0xfffe
	s_or_saveexec_b32 s21, s21
	v_mov_b32_e32 v3, 8
	s_mov_b32 s22, 0
	s_wait_alu 0xfffe
	s_xor_b32 exec_lo, exec_lo, s21
; %bb.145:                              ;   in Loop: Header=BB18_7 Depth=1
	v_subrev_nc_u32_e32 v4, s19, v4
	v_mov_b32_e32 v3, 0
	s_mov_b32 s22, exec_lo
; %bb.146:                              ;   in Loop: Header=BB18_7 Depth=1
	s_or_b32 exec_lo, exec_lo, s21
	s_delay_alu instid0(VALU_DEP_2)
	v_mov_b32_e32 v6, v4
	s_wait_alu 0xfffe
	s_and_b32 s23, s22, exec_lo
.LBB18_147:                             ;   in Loop: Header=BB18_7 Depth=1
	s_wait_alu 0xfffe
	s_or_b32 exec_lo, exec_lo, s20
	s_mov_b32 s22, -1
                                        ; implicit-def: $sgpr20
                                        ; implicit-def: $sgpr21
	s_and_saveexec_b32 s19, s23
	s_cbranch_execz .LBB18_225
; %bb.148:                              ;   in Loop: Header=BB18_7 Depth=1
	v_cmp_eq_u32_e32 vcc_lo, 1, v6
	s_cmp_eq_u32 s16, 1
	s_mov_b32 s24, -1
	s_cselect_b32 s20, -1, 0
                                        ; implicit-def: $sgpr21
	s_wait_alu 0xfffe
	s_and_b32 s23, s20, vcc_lo
                                        ; implicit-def: $sgpr20
	s_wait_alu 0xfffe
	s_and_saveexec_b32 s22, s23
	s_cbranch_execz .LBB18_174
; %bb.149:                              ;   in Loop: Header=BB18_7 Depth=1
	ds_load_b32 v1, v7 offset:4096
	s_wait_loadcnt_dscnt 0x0
	s_barrier_signal -1
	s_barrier_wait -1
	global_inv scope:SCOPE_SE
	v_readfirstlane_b32 s24, v1
	s_and_saveexec_b32 s20, s1
; %bb.150:                              ;   in Loop: Header=BB18_7 Depth=1
	ds_store_b32 v20, v7
; %bb.151:                              ;   in Loop: Header=BB18_7 Depth=1
	s_wait_alu 0xfffe
	s_or_b32 exec_lo, exec_lo, s20
	s_lshl_b32 s20, 2, s91
	v_or_b32_e32 v32, s10, v32
	s_wait_alu 0xfffe
	v_and_or_b32 v24, v24, s17, s20
	s_mov_b32 s20, -1
	s_mov_b32 s21, 0
	s_cmp_gt_i32 s24, 0
	s_mov_b32 s25, 0
	s_mov_b32 s26, -1
	s_wait_loadcnt_dscnt 0x0
	s_barrier_signal -1
	s_barrier_wait -1
	global_inv scope:SCOPE_SE
                                        ; implicit-def: $vgpr15
	s_cbranch_scc1 .LBB18_162
; %bb.152:                              ;   in Loop: Header=BB18_7 Depth=1
	s_mov_b32 s26, 0
                                        ; implicit-def: $vgpr15
	s_and_saveexec_b32 s27, s8
	s_cbranch_execz .LBB18_161
; %bb.153:                              ;   in Loop: Header=BB18_7 Depth=1
	v_dual_mov_b32 v1, v5 :: v_dual_mov_b32 v4, v0
                                        ; implicit-def: $sgpr28
	s_branch .LBB18_156
.LBB18_154:                             ;   in Loop: Header=BB18_156 Depth=2
	s_wait_alu 0xfffe
	s_or_b32 exec_lo, exec_lo, s58
	s_wait_loadcnt_dscnt 0x0
	s_barrier_signal -1
	s_barrier_wait -1
	global_inv scope:SCOPE_SE
	ds_load_b64 v[14:15], v7 offset:3072
	s_mov_b32 s58, -1
	s_mov_b32 s92, -1
	s_wait_loadcnt_dscnt 0x0
	s_barrier_signal -1
	s_barrier_wait -1
	global_inv scope:SCOPE_SE
	v_cmp_ne_u32_e32 vcc_lo, 0, v14
	s_cbranch_vccz .LBB18_159
.LBB18_155:                             ;   in Loop: Header=BB18_156 Depth=2
	s_wait_alu 0xfffe
	s_and_b32 s58, exec_lo, s58
	s_wait_alu 0xfffe
	s_or_b32 s25, s58, s25
	s_and_not1_b32 s28, s28, exec_lo
	s_and_b32 s58, s92, exec_lo
	s_wait_alu 0xfffe
	s_or_b32 s28, s28, s58
	s_and_not1_b32 exec_lo, exec_lo, s25
	s_cbranch_execz .LBB18_160
.LBB18_156:                             ;   Parent Loop BB18_7 Depth=1
                                        ; =>  This Inner Loop Header: Depth=2
	s_mov_b32 s58, exec_lo
	s_delay_alu instid0(VALU_DEP_1)
	v_cmpx_gt_i32_e64 s36, v4
	s_cbranch_execz .LBB18_154
; %bb.157:                              ;   in Loop: Header=BB18_156 Depth=2
	v_ashrrev_i32_e32 v2, 31, v1
	s_delay_alu instid0(VALU_DEP_1) | instskip(NEXT) | instid1(VALU_DEP_1)
	v_lshlrev_b64_e32 v[14:15], 2, v[1:2]
	v_add_co_u32 v14, vcc_lo, s60, v14
	s_wait_alu 0xfffd
	s_delay_alu instid0(VALU_DEP_2) | instskip(SKIP_3) | instid1(VALU_DEP_1)
	v_add_co_ci_u32_e64 v15, null, s61, v15, vcc_lo
	global_load_b32 v14, v[14:15], off
	s_wait_loadcnt 0x0
	v_xor_b32_e32 v2, 0x80000000, v14
	v_and_b32_e32 v2, v2, v32
	s_delay_alu instid0(VALU_DEP_1)
	v_cmp_eq_u32_e32 vcc_lo, v2, v24
	s_and_b32 exec_lo, exec_lo, vcc_lo
	s_cbranch_execz .LBB18_154
; %bb.158:                              ;   in Loop: Header=BB18_156 Depth=2
	ds_store_b64 v7, v[13:14] offset:3072
	s_branch .LBB18_154
.LBB18_159:                             ;   in Loop: Header=BB18_156 Depth=2
	v_add_nc_u32_e32 v4, s49, v4
	v_add_nc_u32_e32 v1, s73, v1
	s_mov_b32 s92, 0
	s_delay_alu instid0(VALU_DEP_2)
	v_cmp_le_i32_e32 vcc_lo, s82, v4
	s_or_not1_b32 s58, vcc_lo, exec_lo
	s_branch .LBB18_155
.LBB18_160:                             ;   in Loop: Header=BB18_7 Depth=1
	s_or_b32 exec_lo, exec_lo, s25
	s_delay_alu instid0(SALU_CYCLE_1)
	s_and_b32 s25, s28, exec_lo
.LBB18_161:                             ;   in Loop: Header=BB18_7 Depth=1
	s_wait_alu 0xfffe
	s_or_b32 exec_lo, exec_lo, s27
.LBB18_162:                             ;   in Loop: Header=BB18_7 Depth=1
	s_wait_alu 0xfffe
	s_and_b32 vcc_lo, exec_lo, s26
	s_wait_alu 0xfffe
	s_cbranch_vccz .LBB18_173
; %bb.163:                              ;   in Loop: Header=BB18_7 Depth=1
	s_add_co_i32 s26, s24, s56
                                        ; implicit-def: $vgpr15
	s_wait_alu 0xfffe
	s_abs_i32 s58, s26
	s_wait_alu 0xfffe
	s_mul_u64 s[20:21], s[58:59], s[64:65]
	s_wait_alu 0xfffe
	s_mul_i32 s20, s21, s49
	s_ashr_i32 s21, s26, 31
	s_wait_alu 0xfffe
	s_sub_co_i32 s20, s58, s20
	s_wait_alu 0xfffe
	s_sub_co_i32 s27, s20, s49
	s_cmp_ge_u32 s20, s49
	s_wait_alu 0xfffe
	s_cselect_b32 s20, s27, s20
	s_wait_alu 0xfffe
	s_sub_co_i32 s27, s20, s49
	s_cmp_ge_u32 s20, s49
	s_wait_alu 0xfffe
	s_cselect_b32 s20, s27, s20
	s_wait_alu 0xfffe
	s_xor_b32 s20, s20, s21
	s_wait_alu 0xfffe
	s_sub_co_i32 s20, s21, s20
	s_wait_alu 0xfffe
	s_add_co_i32 s21, s26, s20
	s_mov_b32 s20, exec_lo
	s_wait_alu 0xfffe
	v_cmpx_gt_i32_e64 s21, v0
	s_cbranch_execz .LBB18_172
; %bb.164:                              ;   in Loop: Header=BB18_7 Depth=1
	v_dual_mov_b32 v1, v19 :: v_dual_mov_b32 v2, v0
	s_mov_b32 s26, 0
                                        ; implicit-def: $sgpr27
	s_branch .LBB18_167
.LBB18_165:                             ;   in Loop: Header=BB18_167 Depth=2
	s_or_b32 exec_lo, exec_lo, s28
	s_wait_loadcnt_dscnt 0x0
	s_barrier_signal -1
	s_barrier_wait -1
	global_inv scope:SCOPE_SE
	ds_load_b64 v[14:15], v7 offset:3072
	s_mov_b32 s28, -1
	s_mov_b32 s58, -1
	s_wait_loadcnt_dscnt 0x0
	s_barrier_signal -1
	s_barrier_wait -1
	global_inv scope:SCOPE_SE
	v_cmp_eq_u32_e32 vcc_lo, 0, v14
	s_cbranch_vccnz .LBB18_170
.LBB18_166:                             ;   in Loop: Header=BB18_167 Depth=2
	s_and_b32 s28, exec_lo, s28
	s_wait_alu 0xfffe
	s_or_b32 s26, s28, s26
	s_and_not1_b32 s27, s27, exec_lo
	s_and_b32 s28, s58, exec_lo
	s_wait_alu 0xfffe
	s_or_b32 s27, s27, s28
	s_and_not1_b32 exec_lo, exec_lo, s26
	s_cbranch_execz .LBB18_171
.LBB18_167:                             ;   Parent Loop BB18_7 Depth=1
                                        ; =>  This Inner Loop Header: Depth=2
	s_mov_b32 s28, exec_lo
	s_delay_alu instid0(VALU_DEP_1)
	v_cmpx_gt_i32_e64 s24, v2
	s_cbranch_execz .LBB18_165
; %bb.168:                              ;   in Loop: Header=BB18_167 Depth=2
	ds_load_b32 v14, v1
	s_wait_dscnt 0x0
	v_xor_b32_e32 v4, 0x80000000, v14
	s_delay_alu instid0(VALU_DEP_1) | instskip(NEXT) | instid1(VALU_DEP_1)
	v_and_b32_e32 v4, v4, v32
	v_cmp_eq_u32_e32 vcc_lo, v4, v24
	s_and_b32 exec_lo, exec_lo, vcc_lo
	s_cbranch_execz .LBB18_165
; %bb.169:                              ;   in Loop: Header=BB18_167 Depth=2
	ds_store_b64 v7, v[13:14] offset:3072
	s_branch .LBB18_165
.LBB18_170:                             ;   in Loop: Header=BB18_167 Depth=2
	v_add_nc_u32_e32 v2, s49, v2
	v_add_nc_u32_e32 v1, s51, v1
	s_mov_b32 s58, 0
	s_delay_alu instid0(VALU_DEP_2)
	v_cmp_le_i32_e32 vcc_lo, s21, v2
	s_or_not1_b32 s28, vcc_lo, exec_lo
	s_branch .LBB18_166
.LBB18_171:                             ;   in Loop: Header=BB18_7 Depth=1
	s_or_b32 exec_lo, exec_lo, s26
	s_delay_alu instid0(SALU_CYCLE_1)
	s_and_not1_b32 s21, s25, exec_lo
	s_wait_alu 0xfffe
	s_and_b32 s24, s27, exec_lo
	s_wait_alu 0xfffe
	s_or_b32 s25, s21, s24
.LBB18_172:                             ;   in Loop: Header=BB18_7 Depth=1
	s_or_b32 exec_lo, exec_lo, s20
	s_mov_b32 s20, 0
	s_mov_b32 s21, -1
.LBB18_173:                             ;   in Loop: Header=BB18_7 Depth=1
	s_wait_alu 0xfffe
	s_or_not1_b32 s24, s25, exec_lo
.LBB18_174:                             ;   in Loop: Header=BB18_7 Depth=1
	s_wait_alu 0xfffe
	s_or_b32 exec_lo, exec_lo, s22
	s_mov_b32 s25, 0
	s_and_saveexec_b32 s22, s24
	s_cbranch_execz .LBB18_224
; %bb.175:                              ;   in Loop: Header=BB18_7 Depth=1
	v_dual_mov_b32 v4, 1 :: v_dual_mov_b32 v3, 1
	s_xor_b32 s24, s23, -1
	s_wait_alu 0xfffe
	s_and_saveexec_b32 s23, s24
	s_cbranch_execz .LBB18_184
; %bb.176:                              ;   in Loop: Header=BB18_7 Depth=1
	s_mov_b32 s24, exec_lo
	v_cmpx_ge_i32_e64 s16, v6
	s_wait_alu 0xfffe
	s_xor_b32 s24, exec_lo, s24
	s_cbranch_execz .LBB18_181
; %bb.177:                              ;   in Loop: Header=BB18_7 Depth=1
	ds_load_b32 v1, v7 offset:4096
	s_lshl_b32 s25, 2, s91
	v_or_b32_e32 v32, s10, v32
	s_wait_alu 0xfffe
	v_and_or_b32 v24, v24, s17, s25
	s_wait_dscnt 0x0
	v_cmp_ne_u32_e32 vcc_lo, 0, v1
	s_cbranch_vccnz .LBB18_181
; %bb.178:                              ;   in Loop: Header=BB18_7 Depth=1
	s_and_saveexec_b32 s17, s2
; %bb.179:                              ;   in Loop: Header=BB18_7 Depth=1
	v_mov_b32_e32 v1, s16
	ds_store_b32 v7, v1 offset:4100
; %bb.180:                              ;   in Loop: Header=BB18_7 Depth=1
	s_wait_alu 0xfffe
	s_or_b32 exec_lo, exec_lo, s17
	s_wait_loadcnt_dscnt 0x0
	s_barrier_signal -1
	s_barrier_wait -1
	global_inv scope:SCOPE_SE
.LBB18_181:                             ;   in Loop: Header=BB18_7 Depth=1
	s_wait_alu 0xfffe
	s_or_saveexec_b32 s17, s24
	v_mov_b32_e32 v3, 8
	s_mov_b32 s24, 0
	s_wait_alu 0xfffe
	s_xor_b32 exec_lo, exec_lo, s17
; %bb.182:                              ;   in Loop: Header=BB18_7 Depth=1
	v_subrev_nc_u32_e32 v6, s16, v6
	v_mov_b32_e32 v3, 0
	s_mov_b32 s24, exec_lo
; %bb.183:                              ;   in Loop: Header=BB18_7 Depth=1
	s_or_b32 exec_lo, exec_lo, s17
	s_delay_alu instid0(VALU_DEP_2)
	v_mov_b32_e32 v4, v6
	s_wait_alu 0xfffe
	s_and_b32 s25, s24, exec_lo
.LBB18_184:                             ;   in Loop: Header=BB18_7 Depth=1
	s_wait_alu 0xfffe
	s_or_b32 exec_lo, exec_lo, s23
	s_mov_b32 s17, -1
                                        ; implicit-def: $sgpr24
                                        ; implicit-def: $sgpr23
	s_and_saveexec_b32 s16, s25
	s_cbranch_execz .LBB18_223
; %bb.185:                              ;   in Loop: Header=BB18_7 Depth=1
	v_cmp_eq_u32_e32 vcc_lo, 1, v4
	s_cmp_eq_u32 s9, 1
	s_mov_b32 s26, -1
	s_cselect_b32 s17, -1, 0
                                        ; implicit-def: $sgpr24
                                        ; implicit-def: $sgpr23
	s_wait_alu 0xfffe
	s_and_b32 s17, s17, vcc_lo
	s_wait_alu 0xfffe
	s_and_saveexec_b32 s25, s17
	s_cbranch_execz .LBB18_211
; %bb.186:                              ;   in Loop: Header=BB18_7 Depth=1
	ds_load_b32 v1, v7 offset:4096
	s_wait_loadcnt_dscnt 0x0
	s_barrier_signal -1
	s_barrier_wait -1
	global_inv scope:SCOPE_SE
	v_readfirstlane_b32 s26, v1
	s_and_saveexec_b32 s23, s1
; %bb.187:                              ;   in Loop: Header=BB18_7 Depth=1
	ds_store_b32 v20, v7
; %bb.188:                              ;   in Loop: Header=BB18_7 Depth=1
	s_wait_alu 0xfffe
	s_or_b32 exec_lo, exec_lo, s23
	v_or_b32_e32 v24, s10, v24
	v_or_b32_e32 v32, s10, v32
	s_mov_b32 s23, -1
	s_mov_b32 s24, 0
	s_cmp_gt_i32 s26, 0
	s_mov_b32 s27, 0
	s_mov_b32 s28, -1
	s_wait_loadcnt_dscnt 0x0
	s_barrier_signal -1
	s_barrier_wait -1
	global_inv scope:SCOPE_SE
                                        ; implicit-def: $vgpr15
	s_cbranch_scc1 .LBB18_199
; %bb.189:                              ;   in Loop: Header=BB18_7 Depth=1
	s_mov_b32 s28, 0
                                        ; implicit-def: $vgpr15
	s_and_saveexec_b32 s58, s8
	s_cbranch_execz .LBB18_198
; %bb.190:                              ;   in Loop: Header=BB18_7 Depth=1
	v_dual_mov_b32 v1, v5 :: v_dual_mov_b32 v6, v0
                                        ; implicit-def: $sgpr92
	s_branch .LBB18_193
.LBB18_191:                             ;   in Loop: Header=BB18_193 Depth=2
	s_wait_alu 0xfffe
	s_or_b32 exec_lo, exec_lo, s93
	s_wait_loadcnt_dscnt 0x0
	s_barrier_signal -1
	s_barrier_wait -1
	global_inv scope:SCOPE_SE
	ds_load_b64 v[14:15], v7 offset:3072
	s_mov_b32 s93, -1
	s_mov_b32 s94, -1
	s_wait_loadcnt_dscnt 0x0
	s_barrier_signal -1
	s_barrier_wait -1
	global_inv scope:SCOPE_SE
	v_cmp_ne_u32_e32 vcc_lo, 0, v14
	s_cbranch_vccz .LBB18_196
.LBB18_192:                             ;   in Loop: Header=BB18_193 Depth=2
	s_wait_alu 0xfffe
	s_and_b32 s93, exec_lo, s93
	s_wait_alu 0xfffe
	s_or_b32 s27, s93, s27
	s_and_not1_b32 s92, s92, exec_lo
	s_and_b32 s93, s94, exec_lo
	s_wait_alu 0xfffe
	s_or_b32 s92, s92, s93
	s_and_not1_b32 exec_lo, exec_lo, s27
	s_cbranch_execz .LBB18_197
.LBB18_193:                             ;   Parent Loop BB18_7 Depth=1
                                        ; =>  This Inner Loop Header: Depth=2
	s_mov_b32 s93, exec_lo
	s_delay_alu instid0(VALU_DEP_1)
	v_cmpx_gt_i32_e64 s36, v6
	s_cbranch_execz .LBB18_191
; %bb.194:                              ;   in Loop: Header=BB18_193 Depth=2
	v_ashrrev_i32_e32 v2, 31, v1
	s_delay_alu instid0(VALU_DEP_1) | instskip(NEXT) | instid1(VALU_DEP_1)
	v_lshlrev_b64_e32 v[14:15], 2, v[1:2]
	v_add_co_u32 v14, vcc_lo, s60, v14
	s_wait_alu 0xfffd
	s_delay_alu instid0(VALU_DEP_2) | instskip(SKIP_3) | instid1(VALU_DEP_1)
	v_add_co_ci_u32_e64 v15, null, s61, v15, vcc_lo
	global_load_b32 v14, v[14:15], off
	s_wait_loadcnt 0x0
	v_xor_b32_e32 v2, 0x80000000, v14
	v_and_b32_e32 v2, v2, v32
	s_delay_alu instid0(VALU_DEP_1)
	v_cmp_eq_u32_e32 vcc_lo, v2, v24
	s_and_b32 exec_lo, exec_lo, vcc_lo
	s_cbranch_execz .LBB18_191
; %bb.195:                              ;   in Loop: Header=BB18_193 Depth=2
	ds_store_b64 v7, v[13:14] offset:3072
	s_branch .LBB18_191
.LBB18_196:                             ;   in Loop: Header=BB18_193 Depth=2
	v_add_nc_u32_e32 v6, s49, v6
	v_add_nc_u32_e32 v1, s73, v1
	s_mov_b32 s94, 0
	s_delay_alu instid0(VALU_DEP_2)
	v_cmp_le_i32_e32 vcc_lo, s82, v6
	s_or_not1_b32 s93, vcc_lo, exec_lo
	s_branch .LBB18_192
.LBB18_197:                             ;   in Loop: Header=BB18_7 Depth=1
	s_or_b32 exec_lo, exec_lo, s27
	s_wait_alu 0xfffe
	s_and_b32 s27, s92, exec_lo
.LBB18_198:                             ;   in Loop: Header=BB18_7 Depth=1
	s_wait_alu 0xfffe
	s_or_b32 exec_lo, exec_lo, s58
.LBB18_199:                             ;   in Loop: Header=BB18_7 Depth=1
	s_delay_alu instid0(SALU_CYCLE_1)
	s_and_b32 vcc_lo, exec_lo, s28
	s_wait_alu 0xfffe
	s_cbranch_vccz .LBB18_210
; %bb.200:                              ;   in Loop: Header=BB18_7 Depth=1
	s_add_co_i32 s24, s26, s56
                                        ; implicit-def: $vgpr15
	s_wait_alu 0xfffe
	s_abs_i32 s58, s24
	s_ashr_i32 s28, s24, 31
	s_wait_alu 0xfffe
	s_mul_u64 s[92:93], s[58:59], s[64:65]
	s_wait_alu 0xfffe
	s_mul_i32 s23, s93, s49
	s_wait_alu 0xfffe
	s_sub_co_i32 s23, s58, s23
	s_wait_alu 0xfffe
	s_sub_co_i32 s58, s23, s49
	s_cmp_ge_u32 s23, s49
	s_wait_alu 0xfffe
	s_cselect_b32 s23, s58, s23
	s_wait_alu 0xfffe
	s_sub_co_i32 s58, s23, s49
	s_cmp_ge_u32 s23, s49
	s_wait_alu 0xfffe
	s_cselect_b32 s23, s58, s23
	s_wait_alu 0xfffe
	s_xor_b32 s23, s23, s28
	s_wait_alu 0xfffe
	s_sub_co_i32 s23, s28, s23
	s_wait_alu 0xfffe
	s_add_co_i32 s24, s24, s23
	s_mov_b32 s23, exec_lo
	s_wait_alu 0xfffe
	v_cmpx_gt_i32_e64 s24, v0
	s_cbranch_execz .LBB18_209
; %bb.201:                              ;   in Loop: Header=BB18_7 Depth=1
	v_dual_mov_b32 v1, v19 :: v_dual_mov_b32 v2, v0
	s_mov_b32 s28, 0
                                        ; implicit-def: $sgpr58
	s_branch .LBB18_204
.LBB18_202:                             ;   in Loop: Header=BB18_204 Depth=2
	s_wait_alu 0xfffe
	s_or_b32 exec_lo, exec_lo, s92
	s_wait_loadcnt_dscnt 0x0
	s_barrier_signal -1
	s_barrier_wait -1
	global_inv scope:SCOPE_SE
	ds_load_b64 v[14:15], v7 offset:3072
	s_mov_b32 s92, -1
	s_mov_b32 s93, -1
	s_wait_loadcnt_dscnt 0x0
	s_barrier_signal -1
	s_barrier_wait -1
	global_inv scope:SCOPE_SE
	v_cmp_eq_u32_e32 vcc_lo, 0, v14
	s_cbranch_vccnz .LBB18_207
.LBB18_203:                             ;   in Loop: Header=BB18_204 Depth=2
	s_wait_alu 0xfffe
	s_and_b32 s92, exec_lo, s92
	s_wait_alu 0xfffe
	s_or_b32 s28, s92, s28
	s_and_not1_b32 s58, s58, exec_lo
	s_and_b32 s92, s93, exec_lo
	s_wait_alu 0xfffe
	s_or_b32 s58, s58, s92
	s_and_not1_b32 exec_lo, exec_lo, s28
	s_cbranch_execz .LBB18_208
.LBB18_204:                             ;   Parent Loop BB18_7 Depth=1
                                        ; =>  This Inner Loop Header: Depth=2
	s_mov_b32 s92, exec_lo
	s_delay_alu instid0(VALU_DEP_1)
	v_cmpx_gt_i32_e64 s26, v2
	s_cbranch_execz .LBB18_202
; %bb.205:                              ;   in Loop: Header=BB18_204 Depth=2
	ds_load_b32 v14, v1
	s_wait_dscnt 0x0
	v_xor_b32_e32 v6, 0x80000000, v14
	s_delay_alu instid0(VALU_DEP_1) | instskip(NEXT) | instid1(VALU_DEP_1)
	v_and_b32_e32 v6, v6, v32
	v_cmp_eq_u32_e32 vcc_lo, v6, v24
	s_and_b32 exec_lo, exec_lo, vcc_lo
	s_cbranch_execz .LBB18_202
; %bb.206:                              ;   in Loop: Header=BB18_204 Depth=2
	ds_store_b64 v7, v[13:14] offset:3072
	s_branch .LBB18_202
.LBB18_207:                             ;   in Loop: Header=BB18_204 Depth=2
	v_add_nc_u32_e32 v2, s49, v2
	v_add_nc_u32_e32 v1, s51, v1
	s_mov_b32 s93, 0
	s_delay_alu instid0(VALU_DEP_2)
	v_cmp_le_i32_e32 vcc_lo, s24, v2
	s_or_not1_b32 s92, vcc_lo, exec_lo
	s_branch .LBB18_203
.LBB18_208:                             ;   in Loop: Header=BB18_7 Depth=1
	s_or_b32 exec_lo, exec_lo, s28
	s_delay_alu instid0(SALU_CYCLE_1)
	s_and_not1_b32 s24, s27, exec_lo
	s_wait_alu 0xfffe
	s_and_b32 s26, s58, exec_lo
	s_wait_alu 0xfffe
	s_or_b32 s27, s24, s26
.LBB18_209:                             ;   in Loop: Header=BB18_7 Depth=1
	s_or_b32 exec_lo, exec_lo, s23
	s_mov_b32 s23, 0
	s_mov_b32 s24, -1
.LBB18_210:                             ;   in Loop: Header=BB18_7 Depth=1
	s_wait_alu 0xfffe
	s_or_not1_b32 s26, s27, exec_lo
.LBB18_211:                             ;   in Loop: Header=BB18_7 Depth=1
	s_wait_alu 0xfffe
	s_or_b32 exec_lo, exec_lo, s25
	s_mov_b32 s27, 0
	s_and_saveexec_b32 s25, s26
	s_cbranch_execz .LBB18_222
; %bb.212:                              ;   in Loop: Header=BB18_7 Depth=1
	v_mov_b32_e32 v3, 1
	v_mov_b32_e32 v1, 1
	s_xor_b32 s26, s17, -1
	s_wait_alu 0xfffe
	s_and_saveexec_b32 s17, s26
	s_cbranch_execz .LBB18_221
; %bb.213:                              ;   in Loop: Header=BB18_7 Depth=1
	s_mov_b32 s26, exec_lo
	v_cmpx_ge_i32_e64 s9, v4
	s_wait_alu 0xfffe
	s_xor_b32 s26, exec_lo, s26
	s_cbranch_execz .LBB18_218
; %bb.214:                              ;   in Loop: Header=BB18_7 Depth=1
	ds_load_b32 v1, v7 offset:4096
	v_or_b32_e32 v24, s10, v24
	v_or_b32_e32 v32, s10, v32
	s_wait_dscnt 0x0
	v_cmp_ne_u32_e32 vcc_lo, 0, v1
	s_cbranch_vccnz .LBB18_218
; %bb.215:                              ;   in Loop: Header=BB18_7 Depth=1
	s_and_saveexec_b32 s10, s2
; %bb.216:                              ;   in Loop: Header=BB18_7 Depth=1
	v_mov_b32_e32 v1, s9
	ds_store_b32 v7, v1 offset:4100
; %bb.217:                              ;   in Loop: Header=BB18_7 Depth=1
	s_wait_alu 0xfffe
	s_or_b32 exec_lo, exec_lo, s10
	s_wait_loadcnt_dscnt 0x0
	s_barrier_signal -1
	s_barrier_wait -1
	global_inv scope:SCOPE_SE
.LBB18_218:                             ;   in Loop: Header=BB18_7 Depth=1
	s_wait_alu 0xfffe
	s_and_not1_saveexec_b32 s10, s26
; %bb.219:                              ;   in Loop: Header=BB18_7 Depth=1
	v_subrev_nc_u32_e32 v4, s9, v4
; %bb.220:                              ;   in Loop: Header=BB18_7 Depth=1
	s_wait_alu 0xfffe
	s_or_b32 exec_lo, exec_lo, s10
	v_mov_b32_e32 v3, 8
	s_delay_alu instid0(VALU_DEP_2)
	v_mov_b32_e32 v1, v4
.LBB18_221:                             ;   in Loop: Header=BB18_7 Depth=1
	s_wait_alu 0xfffe
	s_or_b32 exec_lo, exec_lo, s17
	s_delay_alu instid0(VALU_DEP_1)
	v_mov_b32_e32 v4, v1
	s_mov_b32 s27, exec_lo
.LBB18_222:                             ;   in Loop: Header=BB18_7 Depth=1
	s_wait_alu 0xfffe
	s_or_b32 exec_lo, exec_lo, s25
	s_delay_alu instid0(SALU_CYCLE_1)
	s_or_not1_b32 s17, s27, exec_lo
.LBB18_223:                             ;   in Loop: Header=BB18_7 Depth=1
	s_wait_alu 0xfffe
	s_or_b32 exec_lo, exec_lo, s16
	v_mov_b32_e32 v6, v4
	s_and_not1_b32 s9, s21, exec_lo
	s_and_b32 s10, s24, exec_lo
	s_and_not1_b32 s16, s20, exec_lo
	s_and_b32 s20, s23, exec_lo
	s_wait_alu 0xfffe
	s_or_b32 s21, s9, s10
	s_or_b32 s20, s16, s20
	s_and_b32 s25, s17, exec_lo
.LBB18_224:                             ;   in Loop: Header=BB18_7 Depth=1
	s_wait_alu 0xfffe
	s_or_b32 exec_lo, exec_lo, s22
	s_delay_alu instid0(SALU_CYCLE_1)
	s_or_not1_b32 s22, s25, exec_lo
.LBB18_225:                             ;   in Loop: Header=BB18_7 Depth=1
	s_wait_alu 0xfffe
	s_or_b32 exec_lo, exec_lo, s19
	v_mov_b32_e32 v4, v6
	s_and_not1_b32 s9, s15, exec_lo
	s_and_b32 s10, s21, exec_lo
	s_and_not1_b32 s14, s14, exec_lo
	s_and_b32 s16, s20, exec_lo
	s_wait_alu 0xfffe
	s_or_b32 s15, s9, s10
	s_or_b32 s14, s14, s16
	s_and_b32 s22, s22, exec_lo
.LBB18_226:                             ;   in Loop: Header=BB18_7 Depth=1
	s_wait_alu 0xfffe
	s_or_b32 exec_lo, exec_lo, s18
	s_delay_alu instid0(SALU_CYCLE_1)
	s_or_not1_b32 s18, s22, exec_lo
.LBB18_227:                             ;   in Loop: Header=BB18_7 Depth=1
	s_wait_alu 0xfffe
	s_or_b32 exec_lo, exec_lo, s13
	s_mov_b32 s10, 0
                                        ; implicit-def: $sgpr21
	s_and_saveexec_b32 s9, s18
	s_wait_alu 0xfffe
	s_xor_b32 s9, exec_lo, s9
	s_cbranch_execz .LBB18_5
; %bb.228:                              ;   in Loop: Header=BB18_7 Depth=1
	v_and_b32_e32 v1, 7, v3
	s_mov_b32 s12, -1
	s_mov_b32 s10, -1
	s_mov_b32 s13, exec_lo
                                        ; implicit-def: $sgpr21
	s_delay_alu instid0(VALU_DEP_1)
	v_cmpx_eq_u32_e32 0, v1
	s_cbranch_execz .LBB18_4
; %bb.229:                              ;   in Loop: Header=BB18_7 Depth=1
	s_add_co_i32 s21, s91, -2
	s_cmp_eq_u32 s91, 0
	v_xor_b32_e32 v31, 1, v31
	s_cselect_b32 s12, -1, 0
	s_xor_b32 s10, exec_lo, -1
	s_wait_alu 0xfffe
	s_or_not1_b32 s12, s12, exec_lo
	s_branch .LBB18_4
.LBB18_230:
	s_or_b32 exec_lo, exec_lo, s37
	s_wait_alu 0xfffe
	s_xor_b32 s4, s90, -1
	s_xor_b32 s0, s88, -1
	;; [unrolled: 1-line block ×3, first 2 shown]
	s_mov_b32 s1, 0
	s_wait_alu 0xfffe
	s_and_saveexec_b32 s5, s0
	s_wait_alu 0xfffe
	s_xor_b32 s0, exec_lo, s5
	s_cbranch_execnz .LBB18_235
; %bb.231:
	s_wait_alu 0xfffe
	s_and_not1_saveexec_b32 s0, s0
	s_cbranch_execnz .LBB18_255
.LBB18_232:
	s_wait_alu 0xfffe
	s_or_b32 exec_lo, exec_lo, s0
	s_and_saveexec_b32 s0, s1
.LBB18_233:
	; divergent unreachable
.LBB18_234:
	s_endpgm
.LBB18_235:
	s_and_saveexec_b32 s1, s4
	s_wait_alu 0xfffe
	s_xor_b32 s1, exec_lo, s1
	s_cbranch_execz .LBB18_253
; %bb.236:
	s_and_saveexec_b32 s4, s3
	s_wait_alu 0xfffe
	s_xor_b32 s3, exec_lo, s4
; %bb.237:
	v_xor_b32_e32 v15, 0x80000000, v24
; %bb.238:
	s_wait_alu 0xfffe
	s_or_b32 exec_lo, exec_lo, s3
	s_and_saveexec_b32 s3, s2
; %bb.239:
	v_dual_mov_b32 v1, 0 :: v_dual_mov_b32 v2, s36
	ds_store_b32 v1, v2 offset:4108
; %bb.240:
	s_wait_alu 0xfffe
	s_or_b32 exec_lo, exec_lo, s3
	v_mov_b32_e32 v1, 0
	s_wait_loadcnt_dscnt 0x0
	s_barrier_signal -1
	s_barrier_wait -1
	global_inv scope:SCOPE_SE
	ds_load_b32 v1, v1 offset:4108
	s_mov_b32 s3, exec_lo
	s_wait_dscnt 0x0
	v_min_i32_e32 v1, s36, v1
	s_delay_alu instid0(VALU_DEP_1)
	v_cmpx_lt_i32_e64 v0, v1
	s_cbranch_execz .LBB18_250
; %bb.241:
	s_mov_b32 s4, 0
                                        ; implicit-def: $sgpr5
                                        ; implicit-def: $sgpr7
                                        ; implicit-def: $sgpr6
	s_branch .LBB18_243
.LBB18_242:                             ;   in Loop: Header=BB18_243 Depth=1
	s_wait_alu 0xfffe
	s_or_b32 exec_lo, exec_lo, s8
	s_delay_alu instid0(SALU_CYCLE_1)
	s_and_b32 s8, exec_lo, s7
	s_wait_alu 0xfffe
	s_or_b32 s4, s8, s4
	s_and_not1_b32 s5, s5, exec_lo
	s_and_b32 s8, s6, exec_lo
	s_wait_alu 0xfffe
	s_or_b32 s5, s5, s8
	s_and_not1_b32 exec_lo, exec_lo, s4
	s_cbranch_execz .LBB18_245
.LBB18_243:                             ; =>This Inner Loop Header: Depth=1
	v_ashrrev_i32_e32 v6, 31, v5
	s_or_b32 s6, s6, exec_lo
	s_or_b32 s7, s7, exec_lo
	s_mov_b32 s8, exec_lo
	s_delay_alu instid0(VALU_DEP_1) | instskip(NEXT) | instid1(VALU_DEP_1)
	v_lshlrev_b64_e32 v[2:3], 2, v[5:6]
	v_add_co_u32 v2, vcc_lo, s60, v2
	s_wait_alu 0xfffd
	s_delay_alu instid0(VALU_DEP_2)
	v_add_co_ci_u32_e64 v3, null, s61, v3, vcc_lo
	global_load_b32 v3, v[2:3], off
	v_mov_b32_e32 v2, v0
                                        ; implicit-def: $vgpr0
	s_wait_loadcnt 0x0
	v_cmpx_ne_u32_e64 v3, v15
	s_cbranch_execz .LBB18_242
; %bb.244:                              ;   in Loop: Header=BB18_243 Depth=1
	s_delay_alu instid0(VALU_DEP_2) | instskip(SKIP_3) | instid1(VALU_DEP_2)
	v_add_nc_u32_e32 v0, s49, v2
	v_add_nc_u32_e32 v5, s73, v5
	s_and_not1_b32 s7, s7, exec_lo
	s_and_not1_b32 s6, s6, exec_lo
	v_cmp_ge_i32_e32 vcc_lo, v0, v1
	s_and_b32 s9, vcc_lo, exec_lo
	s_wait_alu 0xfffe
	s_or_b32 s7, s7, s9
	s_branch .LBB18_242
.LBB18_245:
	s_or_b32 exec_lo, exec_lo, s4
	s_wait_alu 0xfffe
	s_and_saveexec_b32 s4, s5
	s_wait_alu 0xfffe
	s_xor_b32 s4, exec_lo, s4
	s_cbranch_execz .LBB18_250
; %bb.246:
	s_mov_b32 s5, exec_lo
	s_brev_b32 s4, -2
.LBB18_247:                             ; =>This Inner Loop Header: Depth=1
	s_wait_alu 0xfffe
	s_ctz_i32_b32 s6, s5
	s_wait_alu 0xfffe
	v_readlane_b32 s7, v2, s6
	s_lshl_b32 s6, 1, s6
	s_wait_alu 0xfffe
	s_and_not1_b32 s5, s5, s6
	s_min_i32 s4, s4, s7
	s_wait_alu 0xfffe
	s_cmp_lg_u32 s5, 0
	s_cbranch_scc1 .LBB18_247
; %bb.248:
	v_mbcnt_lo_u32_b32 v0, exec_lo, 0
	s_mov_b32 s5, exec_lo
	s_delay_alu instid0(VALU_DEP_1)
	v_cmpx_eq_u32_e32 0, v0
	s_wait_alu 0xfffe
	s_xor_b32 s5, exec_lo, s5
; %bb.249:
	v_dual_mov_b32 v0, 0 :: v_dual_mov_b32 v1, s4
	ds_min_i32 v0, v1 offset:4108
.LBB18_250:
	s_wait_alu 0xfffe
	s_or_b32 exec_lo, exec_lo, s3
	s_wait_loadcnt_dscnt 0x0
	s_barrier_signal -1
	s_barrier_wait -1
	global_inv scope:SCOPE_SE
	s_and_saveexec_b32 s3, s2
	s_cbranch_execz .LBB18_252
; %bb.251:
	s_mul_i32 s4, s57, s68
	s_mul_i32 s2, s43, s31
	s_wait_alu 0xfffe
	s_sub_co_i32 s4, s48, s4
	s_sub_co_i32 s2, s33, s2
	s_xor_b32 s5, s71, s72
	s_add_co_i32 s6, s57, 1
	s_wait_alu 0xfffe
	s_sub_co_i32 s7, s4, s68
	s_cmp_ge_u32 s4, s68
	s_wait_kmcnt 0x0
	s_mul_i32 s2, s2, s46
	s_cselect_b32 s6, s6, s57
	s_wait_alu 0xfffe
	s_cselect_b32 s4, s7, s4
	s_add_co_i32 s7, s6, 1
	s_wait_alu 0xfffe
	s_cmp_ge_u32 s4, s68
	v_mov_b32_e32 v2, 0
	s_cselect_b32 s4, s7, s6
	s_mul_i32 s7, s29, s38
	s_wait_alu 0xfffe
	s_xor_b32 s4, s4, s5
	s_mul_i32 s6, s47, s35
	s_wait_alu 0xfffe
	s_sub_co_i32 s4, s4, s5
	s_sub_co_i32 s6, s33, s6
	s_wait_alu 0xfffe
	s_mul_i32 s5, s4, s30
	s_mul_i32 s4, s4, s44
	s_wait_alu 0xfffe
	s_sub_co_i32 s5, s43, s5
	s_xor_b32 s8, s69, s70
	s_wait_alu 0xfffe
	s_mul_i32 s5, s5, s45
	ds_load_b32 v0, v2 offset:4108
	s_wait_alu 0xfffe
	s_add_co_i32 s2, s5, s2
	s_sub_co_i32 s5, s50, s7
	s_wait_alu 0xfffe
	s_add_co_i32 s4, s2, s4
	s_add_co_i32 s2, s29, 1
	s_sub_co_i32 s7, s5, s38
	s_cmp_ge_u32 s5, s38
	s_mul_i32 s6, s6, s42
	s_wait_alu 0xfffe
	s_cselect_b32 s2, s2, s29
	s_cselect_b32 s5, s7, s5
	s_wait_alu 0xfffe
	s_add_co_i32 s7, s2, 1
	s_cmp_ge_u32 s5, s38
	s_wait_alu 0xfffe
	s_cselect_b32 s2, s7, s2
	s_wait_alu 0xfffe
	s_xor_b32 s2, s2, s8
	s_wait_alu 0xfffe
	s_sub_co_i32 s2, s2, s8
	s_wait_alu 0xfffe
	s_mul_i32 s5, s2, s34
	s_mul_i32 s2, s2, s40
	s_wait_alu 0xfffe
	s_sub_co_i32 s5, s47, s5
	s_wait_dscnt 0x0
	v_ashrrev_i32_e32 v1, 31, v0
	s_wait_alu 0xfffe
	s_mul_i32 s5, s5, s41
	s_wait_alu 0xfffe
	s_add_co_i32 s5, s5, s6
	s_wait_alu 0xfffe
	s_add_co_i32 s6, s5, s2
	s_ashr_i32 s5, s4, 31
	s_wait_alu 0xfffe
	s_ashr_i32 s7, s6, 31
	s_lshl_b64 s[4:5], s[4:5], 2
	s_wait_alu 0xfffe
	s_lshl_b64 s[6:7], s[6:7], 3
	s_add_nc_u64 s[4:5], s[54:55], s[4:5]
	s_wait_alu 0xfffe
	s_add_nc_u64 s[6:7], s[52:53], s[6:7]
	s_clause 0x1
	global_store_b64 v2, v[0:1], s[6:7]
	global_store_b32 v2, v15, s[4:5]
.LBB18_252:
	s_wait_alu 0xfffe
	s_or_b32 exec_lo, exec_lo, s3
.LBB18_253:
	s_wait_alu 0xfffe
	s_or_saveexec_b32 s1, s1
	s_mov_b32 s2, 0
	s_wait_alu 0xfffe
	s_xor_b32 exec_lo, exec_lo, s1
	s_cbranch_execnz .LBB18_256
.LBB18_254:
	s_or_b32 exec_lo, exec_lo, s1
	s_wait_alu 0xfffe
	s_and_b32 s1, s2, exec_lo
	s_and_not1_saveexec_b32 s0, s0
	s_cbranch_execz .LBB18_232
.LBB18_255:
	s_wait_alu 0xfffe
	s_or_b32 s1, s1, exec_lo
	s_trap 2
	s_or_b32 exec_lo, exec_lo, s0
	s_wait_alu 0xfffe
	s_and_saveexec_b32 s0, s1
	s_cbranch_execnz .LBB18_233
	s_branch .LBB18_234
.LBB18_256:
	s_mov_b32 s2, exec_lo
	s_trap 2
	s_branch .LBB18_254
	.section	.rodata,"a",@progbits
	.p2align	6, 0x0
	.amdhsa_kernel _ZN2at6native12_GLOBAL__N_114gatherKthValueIiiLi3EEEvNS_4cuda6detail10TensorInfoIKT_T0_EES8_S8_S8_S8_NS5_IS6_S8_EENS5_IlS8_EE
		.amdhsa_group_segment_fixed_size 4112
		.amdhsa_private_segment_fixed_size 0
		.amdhsa_kernarg_size 920
		.amdhsa_user_sgpr_count 2
		.amdhsa_user_sgpr_dispatch_ptr 0
		.amdhsa_user_sgpr_queue_ptr 0
		.amdhsa_user_sgpr_kernarg_segment_ptr 1
		.amdhsa_user_sgpr_dispatch_id 0
		.amdhsa_user_sgpr_private_segment_size 0
		.amdhsa_wavefront_size32 1
		.amdhsa_uses_dynamic_stack 0
		.amdhsa_enable_private_segment 0
		.amdhsa_system_sgpr_workgroup_id_x 1
		.amdhsa_system_sgpr_workgroup_id_y 1
		.amdhsa_system_sgpr_workgroup_id_z 1
		.amdhsa_system_sgpr_workgroup_info 0
		.amdhsa_system_vgpr_workitem_id 0
		.amdhsa_next_free_vgpr 44
		.amdhsa_next_free_sgpr 99
		.amdhsa_reserve_vcc 1
		.amdhsa_float_round_mode_32 0
		.amdhsa_float_round_mode_16_64 0
		.amdhsa_float_denorm_mode_32 3
		.amdhsa_float_denorm_mode_16_64 3
		.amdhsa_fp16_overflow 0
		.amdhsa_workgroup_processor_mode 1
		.amdhsa_memory_ordered 1
		.amdhsa_forward_progress 1
		.amdhsa_inst_pref_size 92
		.amdhsa_round_robin_scheduling 0
		.amdhsa_exception_fp_ieee_invalid_op 0
		.amdhsa_exception_fp_denorm_src 0
		.amdhsa_exception_fp_ieee_div_zero 0
		.amdhsa_exception_fp_ieee_overflow 0
		.amdhsa_exception_fp_ieee_underflow 0
		.amdhsa_exception_fp_ieee_inexact 0
		.amdhsa_exception_int_div_zero 0
	.end_amdhsa_kernel
	.section	.text._ZN2at6native12_GLOBAL__N_114gatherKthValueIiiLi3EEEvNS_4cuda6detail10TensorInfoIKT_T0_EES8_S8_S8_S8_NS5_IS6_S8_EENS5_IlS8_EE,"axG",@progbits,_ZN2at6native12_GLOBAL__N_114gatherKthValueIiiLi3EEEvNS_4cuda6detail10TensorInfoIKT_T0_EES8_S8_S8_S8_NS5_IS6_S8_EENS5_IlS8_EE,comdat
.Lfunc_end18:
	.size	_ZN2at6native12_GLOBAL__N_114gatherKthValueIiiLi3EEEvNS_4cuda6detail10TensorInfoIKT_T0_EES8_S8_S8_S8_NS5_IS6_S8_EENS5_IlS8_EE, .Lfunc_end18-_ZN2at6native12_GLOBAL__N_114gatherKthValueIiiLi3EEEvNS_4cuda6detail10TensorInfoIKT_T0_EES8_S8_S8_S8_NS5_IS6_S8_EENS5_IlS8_EE
                                        ; -- End function
	.set _ZN2at6native12_GLOBAL__N_114gatherKthValueIiiLi3EEEvNS_4cuda6detail10TensorInfoIKT_T0_EES8_S8_S8_S8_NS5_IS6_S8_EENS5_IlS8_EE.num_vgpr, 44
	.set _ZN2at6native12_GLOBAL__N_114gatherKthValueIiiLi3EEEvNS_4cuda6detail10TensorInfoIKT_T0_EES8_S8_S8_S8_NS5_IS6_S8_EENS5_IlS8_EE.num_agpr, 0
	.set _ZN2at6native12_GLOBAL__N_114gatherKthValueIiiLi3EEEvNS_4cuda6detail10TensorInfoIKT_T0_EES8_S8_S8_S8_NS5_IS6_S8_EENS5_IlS8_EE.numbered_sgpr, 99
	.set _ZN2at6native12_GLOBAL__N_114gatherKthValueIiiLi3EEEvNS_4cuda6detail10TensorInfoIKT_T0_EES8_S8_S8_S8_NS5_IS6_S8_EENS5_IlS8_EE.num_named_barrier, 0
	.set _ZN2at6native12_GLOBAL__N_114gatherKthValueIiiLi3EEEvNS_4cuda6detail10TensorInfoIKT_T0_EES8_S8_S8_S8_NS5_IS6_S8_EENS5_IlS8_EE.private_seg_size, 0
	.set _ZN2at6native12_GLOBAL__N_114gatherKthValueIiiLi3EEEvNS_4cuda6detail10TensorInfoIKT_T0_EES8_S8_S8_S8_NS5_IS6_S8_EENS5_IlS8_EE.uses_vcc, 1
	.set _ZN2at6native12_GLOBAL__N_114gatherKthValueIiiLi3EEEvNS_4cuda6detail10TensorInfoIKT_T0_EES8_S8_S8_S8_NS5_IS6_S8_EENS5_IlS8_EE.uses_flat_scratch, 0
	.set _ZN2at6native12_GLOBAL__N_114gatherKthValueIiiLi3EEEvNS_4cuda6detail10TensorInfoIKT_T0_EES8_S8_S8_S8_NS5_IS6_S8_EENS5_IlS8_EE.has_dyn_sized_stack, 0
	.set _ZN2at6native12_GLOBAL__N_114gatherKthValueIiiLi3EEEvNS_4cuda6detail10TensorInfoIKT_T0_EES8_S8_S8_S8_NS5_IS6_S8_EENS5_IlS8_EE.has_recursion, 0
	.set _ZN2at6native12_GLOBAL__N_114gatherKthValueIiiLi3EEEvNS_4cuda6detail10TensorInfoIKT_T0_EES8_S8_S8_S8_NS5_IS6_S8_EENS5_IlS8_EE.has_indirect_call, 0
	.section	.AMDGPU.csdata,"",@progbits
; Kernel info:
; codeLenInByte = 11704
; TotalNumSgprs: 101
; NumVgprs: 44
; ScratchSize: 0
; MemoryBound: 0
; FloatMode: 240
; IeeeMode: 1
; LDSByteSize: 4112 bytes/workgroup (compile time only)
; SGPRBlocks: 0
; VGPRBlocks: 5
; NumSGPRsForWavesPerEU: 101
; NumVGPRsForWavesPerEU: 44
; Occupancy: 16
; WaveLimiterHint : 1
; COMPUTE_PGM_RSRC2:SCRATCH_EN: 0
; COMPUTE_PGM_RSRC2:USER_SGPR: 2
; COMPUTE_PGM_RSRC2:TRAP_HANDLER: 0
; COMPUTE_PGM_RSRC2:TGID_X_EN: 1
; COMPUTE_PGM_RSRC2:TGID_Y_EN: 1
; COMPUTE_PGM_RSRC2:TGID_Z_EN: 1
; COMPUTE_PGM_RSRC2:TIDIG_COMP_CNT: 0
	.section	.text._ZN2at6native12_GLOBAL__N_114gatherKthValueIiiLin1EEEvNS_4cuda6detail10TensorInfoIKT_T0_EES8_S8_S8_S8_NS5_IS6_S8_EENS5_IlS8_EE,"axG",@progbits,_ZN2at6native12_GLOBAL__N_114gatherKthValueIiiLin1EEEvNS_4cuda6detail10TensorInfoIKT_T0_EES8_S8_S8_S8_NS5_IS6_S8_EENS5_IlS8_EE,comdat
	.globl	_ZN2at6native12_GLOBAL__N_114gatherKthValueIiiLin1EEEvNS_4cuda6detail10TensorInfoIKT_T0_EES8_S8_S8_S8_NS5_IS6_S8_EENS5_IlS8_EE ; -- Begin function _ZN2at6native12_GLOBAL__N_114gatherKthValueIiiLin1EEEvNS_4cuda6detail10TensorInfoIKT_T0_EES8_S8_S8_S8_NS5_IS6_S8_EENS5_IlS8_EE
	.p2align	8
	.type	_ZN2at6native12_GLOBAL__N_114gatherKthValueIiiLin1EEEvNS_4cuda6detail10TensorInfoIKT_T0_EES8_S8_S8_S8_NS5_IS6_S8_EENS5_IlS8_EE,@function
_ZN2at6native12_GLOBAL__N_114gatherKthValueIiiLin1EEEvNS_4cuda6detail10TensorInfoIKT_T0_EES8_S8_S8_S8_NS5_IS6_S8_EENS5_IlS8_EE: ; @_ZN2at6native12_GLOBAL__N_114gatherKthValueIiiLin1EEEvNS_4cuda6detail10TensorInfoIKT_T0_EES8_S8_S8_S8_NS5_IS6_S8_EENS5_IlS8_EE
; %bb.0:
	s_clause 0x1
	s_load_b64 s[4:5], s[0:1], 0x298
	s_load_b128 s[36:39], s[0:1], 0xd8
	s_lshr_b32 s2, ttmp7, 16
	s_and_b32 s3, ttmp7, 0xffff
	s_wait_kmcnt 0x0
	s_mul_i32 s2, s5, s2
	s_delay_alu instid0(SALU_CYCLE_1) | instskip(NEXT) | instid1(SALU_CYCLE_1)
	s_add_co_i32 s2, s2, s3
	s_mul_i32 s2, s2, s4
	s_delay_alu instid0(SALU_CYCLE_1) | instskip(NEXT) | instid1(SALU_CYCLE_1)
	s_add_co_i32 s33, s2, ttmp9
	s_cmp_ge_i32 s33, s38
	s_cbranch_scc1 .LBB19_243
; %bb.1:
	s_load_b32 s6, s[0:1], 0xd0
	s_mov_b32 s3, 0
	s_mov_b32 s5, s33
	s_wait_kmcnt 0x0
	s_cmp_lt_i32 s6, 2
	s_cbranch_scc1 .LBB19_4
; %bb.2:
	s_add_co_i32 s2, s6, -1
	s_mov_b32 s5, s33
	s_lshl_b64 s[8:9], s[2:3], 2
	s_add_co_i32 s2, s6, 1
	s_add_nc_u64 s[8:9], s[0:1], s[8:9]
	s_delay_alu instid0(SALU_CYCLE_1)
	s_add_nc_u64 s[6:7], s[8:9], 8
.LBB19_3:                               ; =>This Inner Loop Header: Depth=1
	s_clause 0x1
	s_load_b32 s8, s[6:7], 0x0
	s_load_b32 s9, s[6:7], 0x64
	s_mov_b32 s13, s5
	s_add_nc_u64 s[6:7], s[6:7], -4
	s_wait_kmcnt 0x0
	s_abs_i32 s10, s8
	s_wait_alu 0xfffe
	s_cvt_f32_u32 s11, s10
	s_sub_co_i32 s12, 0, s10
	s_wait_alu 0xfffe
	s_delay_alu instid0(SALU_CYCLE_1) | instskip(NEXT) | instid1(TRANS32_DEP_1)
	v_rcp_iflag_f32_e32 v1, s11
	v_readfirstlane_b32 s11, v1
	s_mul_f32 s11, s11, 0x4f7ffffe
	s_wait_alu 0xfffe
	s_delay_alu instid0(SALU_CYCLE_2) | instskip(SKIP_1) | instid1(SALU_CYCLE_2)
	s_cvt_u32_f32 s11, s11
	s_wait_alu 0xfffe
	s_mul_i32 s12, s12, s11
	s_delay_alu instid0(SALU_CYCLE_1)
	s_mul_hi_u32 s5, s11, s12
	s_abs_i32 s12, s13
	s_add_co_i32 s11, s11, s5
	s_wait_alu 0xfffe
	s_mul_hi_u32 s5, s12, s11
	s_xor_b32 s11, s13, s8
	s_mul_i32 s14, s5, s10
	s_wait_alu 0xfffe
	s_ashr_i32 s11, s11, 31
	s_sub_co_i32 s12, s12, s14
	s_add_co_i32 s14, s5, 1
	s_sub_co_i32 s15, s12, s10
	s_cmp_ge_u32 s12, s10
	s_cselect_b32 s5, s14, s5
	s_cselect_b32 s12, s15, s12
	s_add_co_i32 s14, s5, 1
	s_cmp_ge_u32 s12, s10
	s_cselect_b32 s5, s14, s5
	s_add_co_i32 s2, s2, -1
	s_wait_alu 0xfffe
	s_xor_b32 s5, s5, s11
	s_delay_alu instid0(SALU_CYCLE_1) | instskip(NEXT) | instid1(SALU_CYCLE_1)
	s_sub_co_i32 s5, s5, s11
	s_mul_i32 s8, s5, s8
	s_delay_alu instid0(SALU_CYCLE_1) | instskip(NEXT) | instid1(SALU_CYCLE_1)
	s_sub_co_i32 s8, s13, s8
	s_mul_i32 s8, s9, s8
	s_delay_alu instid0(SALU_CYCLE_1)
	s_add_co_i32 s3, s8, s3
	s_cmp_gt_u32 s2, 2
	s_cbranch_scc1 .LBB19_3
.LBB19_4:
	s_load_b32 s2, s[0:1], 0x1b8
	s_add_nc_u64 s[10:11], s[0:1], 0x298
	s_add_nc_u64 s[6:7], s[0:1], 0xe8
	s_mov_b32 s29, 0
	s_mov_b32 s38, s33
	s_wait_kmcnt 0x0
	s_cmp_lt_i32 s2, 2
	s_cbranch_scc1 .LBB19_7
; %bb.5:
	s_add_co_i32 s28, s2, -1
	s_add_co_i32 s2, s2, 1
	s_lshl_b64 s[8:9], s[28:29], 2
	s_mov_b32 s38, s33
	s_add_nc_u64 s[8:9], s[6:7], s[8:9]
	s_delay_alu instid0(SALU_CYCLE_1)
	s_add_nc_u64 s[8:9], s[8:9], 8
.LBB19_6:                               ; =>This Inner Loop Header: Depth=1
	s_clause 0x1
	s_load_b32 s12, s[8:9], 0x0
	s_load_b32 s13, s[8:9], 0x64
	s_abs_i32 s18, s38
	s_mov_b32 s17, s38
	s_add_nc_u64 s[8:9], s[8:9], -4
	s_wait_kmcnt 0x0
	s_abs_i32 s14, s12
	s_wait_alu 0xfffe
	s_cvt_f32_u32 s15, s14
	s_sub_co_i32 s16, 0, s14
	s_wait_alu 0xfffe
	s_delay_alu instid0(SALU_CYCLE_1) | instskip(NEXT) | instid1(TRANS32_DEP_1)
	v_rcp_iflag_f32_e32 v1, s15
	v_readfirstlane_b32 s15, v1
	s_mul_f32 s15, s15, 0x4f7ffffe
	s_wait_alu 0xfffe
	s_delay_alu instid0(SALU_CYCLE_2) | instskip(SKIP_1) | instid1(SALU_CYCLE_2)
	s_cvt_u32_f32 s15, s15
	s_wait_alu 0xfffe
	s_mul_i32 s16, s16, s15
	s_delay_alu instid0(SALU_CYCLE_1) | instskip(NEXT) | instid1(SALU_CYCLE_1)
	s_mul_hi_u32 s16, s15, s16
	s_add_co_i32 s15, s15, s16
	s_xor_b32 s16, s38, s12
	s_wait_alu 0xfffe
	s_mul_hi_u32 s15, s18, s15
	s_ashr_i32 s16, s16, 31
	s_wait_alu 0xfffe
	s_mul_i32 s19, s15, s14
	s_delay_alu instid0(SALU_CYCLE_1)
	s_sub_co_i32 s18, s18, s19
	s_add_co_i32 s19, s15, 1
	s_sub_co_i32 s20, s18, s14
	s_cmp_ge_u32 s18, s14
	s_cselect_b32 s15, s19, s15
	s_cselect_b32 s18, s20, s18
	s_wait_alu 0xfffe
	s_add_co_i32 s19, s15, 1
	s_cmp_ge_u32 s18, s14
	s_cselect_b32 s14, s19, s15
	s_add_co_i32 s2, s2, -1
	s_wait_alu 0xfffe
	s_xor_b32 s14, s14, s16
	s_wait_alu 0xfffe
	s_sub_co_i32 s38, s14, s16
	s_delay_alu instid0(SALU_CYCLE_1) | instskip(NEXT) | instid1(SALU_CYCLE_1)
	s_mul_i32 s12, s38, s12
	s_sub_co_i32 s12, s17, s12
	s_delay_alu instid0(SALU_CYCLE_1) | instskip(NEXT) | instid1(SALU_CYCLE_1)
	s_mul_i32 s12, s13, s12
	s_add_co_i32 s29, s12, s29
	s_cmp_gt_u32 s2, 2
	s_cbranch_scc1 .LBB19_6
.LBB19_7:
	s_clause 0x1
	s_load_b32 s12, s[0:1], 0x6c
	s_load_b32 s2, s[0:1], 0x290
	s_mov_b32 s31, 0
	s_wait_kmcnt 0x0
	s_cmp_lt_i32 s2, 2
	s_cbranch_scc1 .LBB19_10
; %bb.8:
	s_add_co_i32 s30, s2, -1
	s_add_nc_u64 s[8:9], s[0:1], 0x1c0
	s_lshl_b64 s[14:15], s[30:31], 2
	s_add_co_i32 s2, s2, 1
	s_wait_alu 0xfffe
	s_add_nc_u64 s[8:9], s[8:9], s[14:15]
	s_delay_alu instid0(SALU_CYCLE_1)
	s_add_nc_u64 s[8:9], s[8:9], 8
.LBB19_9:                               ; =>This Inner Loop Header: Depth=1
	s_clause 0x1
	s_load_b32 s13, s[8:9], 0x0
	s_load_b32 s14, s[8:9], 0x64
	s_abs_i32 s19, s33
	s_mov_b32 s18, s33
	s_add_nc_u64 s[8:9], s[8:9], -4
	s_wait_kmcnt 0x0
	s_abs_i32 s15, s13
	s_wait_alu 0xfffe
	s_cvt_f32_u32 s16, s15
	s_sub_co_i32 s17, 0, s15
	s_wait_alu 0xfffe
	s_delay_alu instid0(SALU_CYCLE_1) | instskip(NEXT) | instid1(TRANS32_DEP_1)
	v_rcp_iflag_f32_e32 v1, s16
	v_readfirstlane_b32 s16, v1
	s_mul_f32 s16, s16, 0x4f7ffffe
	s_wait_alu 0xfffe
	s_delay_alu instid0(SALU_CYCLE_2) | instskip(SKIP_1) | instid1(SALU_CYCLE_2)
	s_cvt_u32_f32 s16, s16
	s_wait_alu 0xfffe
	s_mul_i32 s17, s17, s16
	s_wait_alu 0xfffe
	s_mul_hi_u32 s17, s16, s17
	s_wait_alu 0xfffe
	s_add_co_i32 s16, s16, s17
	s_xor_b32 s17, s33, s13
	s_wait_alu 0xfffe
	s_mul_hi_u32 s16, s19, s16
	s_ashr_i32 s17, s17, 31
	s_wait_alu 0xfffe
	s_mul_i32 s20, s16, s15
	s_delay_alu instid0(SALU_CYCLE_1)
	s_sub_co_i32 s19, s19, s20
	s_add_co_i32 s20, s16, 1
	s_sub_co_i32 s21, s19, s15
	s_cmp_ge_u32 s19, s15
	s_cselect_b32 s16, s20, s16
	s_cselect_b32 s19, s21, s19
	s_wait_alu 0xfffe
	s_add_co_i32 s20, s16, 1
	s_cmp_ge_u32 s19, s15
	s_cselect_b32 s15, s20, s16
	s_add_co_i32 s2, s2, -1
	s_wait_alu 0xfffe
	s_xor_b32 s15, s15, s17
	s_wait_alu 0xfffe
	s_sub_co_i32 s33, s15, s17
	s_delay_alu instid0(SALU_CYCLE_1) | instskip(NEXT) | instid1(SALU_CYCLE_1)
	s_mul_i32 s13, s33, s13
	s_sub_co_i32 s13, s18, s13
	s_delay_alu instid0(SALU_CYCLE_1) | instskip(NEXT) | instid1(SALU_CYCLE_1)
	s_mul_i32 s13, s14, s13
	s_add_co_i32 s31, s13, s31
	s_cmp_gt_u32 s2, 2
	s_cbranch_scc1 .LBB19_9
.LBB19_10:
	s_clause 0x1
	s_load_b32 s30, s[6:7], 0x6c
	s_load_b64 s[6:7], s[0:1], 0x0
	v_cmp_eq_u32_e64 s2, 0, v0
	s_mov_b32 s43, 0
	s_and_saveexec_b32 s8, s2
; %bb.11:
	v_dual_mov_b32 v1, 0 :: v_dual_mov_b32 v2, s36
	s_delay_alu instid0(VALU_DEP_1)
	v_mov_b32_e32 v3, v1
	ds_store_b96 v1, v[1:3] offset:4096
; %bb.12:
	s_or_b32 exec_lo, exec_lo, s8
	s_wait_dscnt 0x0
	s_barrier_signal -1
	s_barrier_wait -1
	global_inv scope:SCOPE_SE
	s_load_b32 s13, s[10:11], 0xc
	s_clause 0x2
	s_load_b32 s52, s[0:1], 0x22c
	s_load_b64 s[34:35], s[0:1], 0xe8
	s_load_b64 s[40:41], s[0:1], 0x1c0
	v_mbcnt_lo_u32_b32 v19, -1, 0
	s_mul_i32 s5, s12, s5
	v_cmp_gt_u32_e32 vcc_lo, 32, v0
	s_add_co_i32 s8, s5, s3
	v_lshrrev_b32_e32 v3, 1, v0
	v_cmp_gt_i32_e64 s3, 4, v19
	s_ashr_i32 s9, s8, 31
	s_movk_i32 s12, 0x1f0
	s_lshl_b64 s[8:9], s[8:9], 2
	v_and_or_b32 v21, v3, s12, 0xc00
	s_and_b32 s54, vcc_lo, s3
	s_wait_kmcnt 0x0
	s_add_nc_u64 s[44:45], s[6:7], s[8:9]
	v_dual_mov_b32 v7, 0 :: v_dual_lshlrev_b32 v18, 2, v0
	v_mul_lo_u32 v5, s39, v0
	v_cmp_gt_u32_e64 s0, 2, v0
	s_and_b32 s53, s13, 0xffff
	s_bfe_u32 s5, s13, 0xb0005
	s_lshl_b32 s55, s53, 2
	s_add_co_i32 s56, s53, -1
	s_cvt_f32_u32 s3, s55
	s_add_co_i32 s65, s56, s36
	s_cmp_gt_i32 s36, 0x300
	s_cvt_f32_u32 s14, s53
	v_rcp_iflag_f32_e32 v1, s3
	s_cselect_b32 s58, -1, 0
	s_cmp_gt_u32 s53, 31
	s_wait_alu 0xfffe
	v_rcp_iflag_f32_e32 v4, s14
	s_cselect_b32 s59, -1, 0
	s_cmp_lt_u32 ttmp9, s4
	v_dual_mov_b32 v6, v7 :: v_dual_lshlrev_b32 v27, 2, v5
	s_cselect_b32 s42, 12, 18
	s_add_co_i32 s4, s5, -1
	v_readfirstlane_b32 s13, v1
	s_and_b32 s4, s4, 0xffff
	s_bfe_u32 s60, s53, 0x30005
	s_cmp_gt_u32 s4, 6
	v_lshlrev_b64_e64 v[1:2], v19, -1
	s_mul_f32 s4, s13, 0x4f7ffffe
	s_cselect_b32 s61, -1, 0
	s_and_b32 s62, s5, 0x7f8
	s_cmp_lg_u32 s60, 0
	s_cvt_u32_f32 s5, s4
	s_cselect_b32 s63, -1, 0
	s_sub_co_i32 s4, 0, s55
	v_lshlrev_b64_e32 v[2:3], 2, v[5:6]
	s_mul_i32 s13, s4, s5
	v_not_b32_e32 v23, v1
	s_wait_alu 0xfffe
	s_mul_hi_u32 s13, s5, s13
	v_cmp_gt_u32_e64 s1, s36, v0
	s_wait_alu 0xfffe
	s_add_co_i32 s46, s5, s13
	v_readfirstlane_b32 s13, v4
	s_mul_hi_u32 s5, s36, s46
	v_add_co_u32 v8, vcc_lo, s44, v2
	s_mul_i32 s5, s5, s55
	s_mul_f32 s13, s13, 0x4f7ffffe
	s_sub_co_i32 s5, s36, s5
	v_add_co_ci_u32_e64 v9, null, s45, v3, vcc_lo
	s_sub_co_i32 s12, s5, s55
	s_cmp_ge_u32 s5, s55
	s_wait_alu 0xfffe
	s_cvt_u32_f32 s7, s13
	s_cselect_b32 s5, s12, s5
	s_mov_b32 s12, s39
	s_sub_co_i32 s6, s5, s55
	s_cmp_ge_u32 s5, s55
	s_wait_alu 0xfffe
	v_mad_co_u64_u32 v[12:13], null, s39, v18, s[12:13]
	s_cselect_b32 s9, s6, s5
	v_mov_b32_e32 v13, 1
	s_sub_co_i32 s64, s36, s9
	s_sub_co_i32 s5, 0, s53
	v_add_nc_u32_e32 v22, s64, v0
	s_mul_i32 s5, s5, s7
	s_abs_i32 s6, s65
	s_mul_hi_u32 s5, s7, s5
	v_or_b32_e32 v3, 3, v18
	v_mul_lo_u32 v10, v22, s39
	s_add_co_i32 s48, s7, s5
	s_ashr_i32 s7, s65, 31
	s_mul_hi_u32 s5, s6, s48
	v_mul_lo_u32 v26, s39, v3
	s_mul_i32 s5, s5, s53
	v_cmp_gt_i32_e64 s3, s36, v0
	s_sub_co_i32 s5, s6, s5
	v_ashrrev_i32_e32 v11, 31, v10
	s_sub_co_i32 s6, s5, s53
	s_cmp_ge_u32 s5, s53
	v_cmp_eq_u32_e64 s4, 0, v19
	s_cselect_b32 s6, s6, s5
	v_lshlrev_b64_e32 v[1:2], 2, v[10:11]
	s_sub_co_i32 s8, s6, s53
	s_cmp_ge_u32 s6, s53
	v_dual_mov_b32 v33, s37 :: v_dual_add_nc_u32 v20, 0xc00, v18
	s_cselect_b32 s8, s8, s6
	s_delay_alu instid0(VALU_DEP_2)
	v_add_co_u32 v10, vcc_lo, s44, v1
	v_add3_u32 v1, s53, s36, v0
	s_wait_alu 0xfffd
	v_add_co_ci_u32_e64 v11, null, s45, v2, vcc_lo
	v_or_b32_e32 v2, 2, v18
	s_xor_b32 s8, s8, s7
	v_subrev_nc_u32_e32 v1, s9, v1
	s_sub_co_i32 s8, s7, s8
	v_cmp_gt_i32_e64 s5, s64, v18
	v_mul_lo_u32 v25, s39, v2
	s_wait_alu 0xfffe
	s_add_co_i32 s65, s65, s8
	v_mul_lo_u32 v28, s39, v1
	v_cmp_gt_u32_e64 s6, s36, v22
	v_cmp_gt_i32_e64 s7, s36, v22
	s_wait_alu 0xfffe
	v_cmp_gt_i32_e64 s8, s65, v0
	v_dual_mov_b32 v24, 0 :: v_dual_lshlrev_b32 v29, 4, v0
	v_lshl_or_b32 v30, v19, 2, 0xc00
	v_dual_mov_b32 v15, 0 :: v_dual_mov_b32 v32, 0
	v_mov_b32_e32 v31, 0
	s_mul_i32 s57, s39, s53
	s_mov_b32 s47, s43
	s_mov_b32 s49, s43
	s_lshl_b32 s66, s57, 2
	s_lshl_b32 s67, s53, 4
	s_mov_b32 s74, 30
	s_add_nc_u64 s[50:51], s[10:11], s[42:43]
	s_mov_b32 s37, 0
                                        ; implicit-def: $sgpr71
                                        ; implicit-def: $sgpr73
                                        ; implicit-def: $sgpr68
                                        ; implicit-def: $sgpr70
                                        ; implicit-def: $sgpr72
                                        ; implicit-def: $sgpr69
	s_branch .LBB19_16
.LBB19_13:                              ;   in Loop: Header=BB19_16 Depth=1
	s_wait_alu 0xfffe
	s_or_b32 exec_lo, exec_lo, s13
	s_delay_alu instid0(SALU_CYCLE_1)
	s_and_b32 s10, s10, exec_lo
	s_and_not1_b32 s15, s15, exec_lo
	s_and_not1_b32 s14, s14, exec_lo
	s_or_not1_b32 s12, s12, exec_lo
.LBB19_14:                              ;   in Loop: Header=BB19_16 Depth=1
	s_wait_alu 0xfffe
	s_or_b32 exec_lo, exec_lo, s9
	s_delay_alu instid0(SALU_CYCLE_1)
	s_and_not1_b32 s9, s69, exec_lo
	s_and_b32 s10, s10, exec_lo
	s_and_not1_b32 s13, s70, exec_lo
	s_wait_alu 0xfffe
	s_or_b32 s69, s9, s10
	s_and_not1_b32 s9, s72, exec_lo
	s_and_b32 s10, s15, exec_lo
	s_and_b32 s14, s14, exec_lo
	s_wait_alu 0xfffe
	s_or_b32 s72, s9, s10
	s_or_b32 s70, s13, s14
	s_or_not1_b32 s13, s12, exec_lo
.LBB19_15:                              ;   in Loop: Header=BB19_16 Depth=1
	s_wait_alu 0xfffe
	s_or_b32 exec_lo, exec_lo, s11
	s_delay_alu instid0(SALU_CYCLE_1)
	s_and_b32 s9, exec_lo, s13
	v_mov_b32_e32 v33, v4
	s_wait_alu 0xfffe
	s_or_b32 s37, s9, s37
	s_and_not1_b32 s9, s68, exec_lo
	s_and_b32 s10, s69, exec_lo
	s_and_not1_b32 s11, s73, exec_lo
	s_wait_alu 0xfffe
	s_or_b32 s68, s9, s10
	s_and_b32 s9, s72, exec_lo
	s_and_not1_b32 s10, s71, exec_lo
	s_and_b32 s12, s70, exec_lo
	s_wait_alu 0xfffe
	s_or_b32 s73, s11, s9
	s_or_b32 s71, s10, s12
	s_mov_b32 s74, s21
	s_and_not1_b32 exec_lo, exec_lo, s37
	s_cbranch_execz .LBB19_239
.LBB19_16:                              ; =>This Loop Header: Depth=1
                                        ;     Child Loop BB19_22 Depth 2
                                        ;     Child Loop BB19_37 Depth 2
	;; [unrolled: 1-line block ×16, first 2 shown]
	ds_load_b64 v[1:2], v7 offset:4096
	s_wait_dscnt 0x0
	v_readfirstlane_b32 s42, v1
	s_cmp_gt_i32 s42, 0
	s_cbranch_scc1 .LBB19_44
; %bb.17:                               ;   in Loop: Header=BB19_16 Depth=1
	s_and_b32 vcc_lo, exec_lo, s58
	s_wait_alu 0xfffe
	s_cbranch_vccz .LBB19_30
; %bb.18:                               ;   in Loop: Header=BB19_16 Depth=1
	v_cmp_gt_i32_e32 vcc_lo, 0x301, v2
	s_mov_b32 s10, 0
	s_mov_b32 s9, 0
	s_cbranch_vccz .LBB19_31
; %bb.19:                               ;   in Loop: Header=BB19_16 Depth=1
	s_and_saveexec_b32 s11, s1
	s_cbranch_execz .LBB19_76
; %bb.20:                               ;   in Loop: Header=BB19_16 Depth=1
	global_load_b32 v1, v[8:9], off
	s_load_u16 s12, s[50:51], 0x0
	s_mov_b32 s14, 0
	s_wait_kmcnt 0x0
	v_add_nc_u32_e32 v2, s12, v0
	s_mul_i32 s13, s39, s12
	s_delay_alu instid0(VALU_DEP_1)
	v_mul_lo_u32 v6, s39, v2
	v_mov_b32_e32 v2, v0
	s_branch .LBB19_22
.LBB19_21:                              ;   in Loop: Header=BB19_22 Depth=2
	s_wait_alu 0xfffe
	s_or_b32 exec_lo, exec_lo, s9
	v_cmp_le_i32_e32 vcc_lo, s36, v2
	v_dual_mov_b32 v1, v3 :: v_dual_add_nc_u32 v6, s13, v6
	s_or_b32 s14, vcc_lo, s14
	s_wait_alu 0xfffe
	s_and_not1_b32 exec_lo, exec_lo, s14
	s_cbranch_execz .LBB19_76
.LBB19_22:                              ;   Parent Loop BB19_16 Depth=1
                                        ; =>  This Inner Loop Header: Depth=2
	s_delay_alu instid0(VALU_DEP_1) | instskip(SKIP_3) | instid1(VALU_DEP_2)
	v_dual_mov_b32 v3, 0 :: v_dual_add_nc_u32 v2, s12, v2
	s_wait_dscnt 0x0
	v_mov_b32_e32 v4, 0
	s_mov_b32 s9, exec_lo
	v_cmpx_gt_u32_e64 s36, v2
	s_cbranch_execz .LBB19_24
; %bb.23:                               ;   in Loop: Header=BB19_22 Depth=2
	v_lshlrev_b64_e32 v[16:17], 2, v[6:7]
	s_delay_alu instid0(VALU_DEP_1) | instskip(SKIP_1) | instid1(VALU_DEP_2)
	v_add_co_u32 v16, vcc_lo, s44, v16
	s_wait_alu 0xfffd
	v_add_co_ci_u32_e64 v17, null, s45, v17, vcc_lo
	global_load_b32 v3, v[16:17], off
.LBB19_24:                              ;   in Loop: Header=BB19_22 Depth=2
	s_wait_alu 0xfffe
	s_or_b32 exec_lo, exec_lo, s9
	s_wait_loadcnt 0x0
	v_xor_b32_e32 v14, 0x80000000, v1
	s_delay_alu instid0(VALU_DEP_1) | instskip(NEXT) | instid1(VALU_DEP_1)
	v_and_b32_e32 v14, v14, v32
	v_cmp_eq_u32_e32 vcc_lo, v14, v24
	s_cmp_lg_u32 vcc_lo, 0
	s_cselect_b32 s9, -1, 0
	s_wait_alu 0xfffe
	s_and_b32 s9, s4, s9
	s_wait_alu 0xfffe
	s_and_saveexec_b32 s15, s9
	s_cbranch_execz .LBB19_28
; %bb.25:                               ;   in Loop: Header=BB19_22 Depth=2
	s_mov_b32 s18, exec_lo
	s_bcnt1_i32_b32 s16, vcc_lo
	s_wait_alu 0xfffe
	v_mbcnt_lo_u32_b32 v4, s18, 0
	s_mov_b32 s17, exec_lo
                                        ; implicit-def: $vgpr14
	s_delay_alu instid0(VALU_DEP_1)
	v_cmpx_eq_u32_e32 0, v4
; %bb.26:                               ;   in Loop: Header=BB19_22 Depth=2
	s_bcnt1_i32_b32 s9, s18
	s_wait_alu 0xfffe
	s_mul_i32 s9, s16, s9
	s_wait_alu 0xfffe
	v_mov_b32_e32 v14, s9
	ds_add_rtn_u32 v14, v7, v14 offset:4104
; %bb.27:                               ;   in Loop: Header=BB19_22 Depth=2
	s_or_b32 exec_lo, exec_lo, s17
	s_wait_dscnt 0x0
	v_readfirstlane_b32 s9, v14
	s_wait_alu 0xf1ff
	s_delay_alu instid0(VALU_DEP_1)
	v_mad_u32_u24 v4, s16, v4, s9
.LBB19_28:                              ;   in Loop: Header=BB19_22 Depth=2
	s_wait_alu 0xfffe
	s_or_b32 exec_lo, exec_lo, s15
	ds_bpermute_b32 v4, v7, v4
	s_and_saveexec_b32 s9, vcc_lo
	s_cbranch_execz .LBB19_21
; %bb.29:                               ;   in Loop: Header=BB19_22 Depth=2
	v_and_b32_e32 v14, vcc_lo, v23
	s_delay_alu instid0(VALU_DEP_1) | instskip(NEXT) | instid1(VALU_DEP_1)
	v_bcnt_u32_b32 v14, v14, 0
	v_lshlrev_b32_e32 v14, 2, v14
	s_wait_dscnt 0x0
	s_delay_alu instid0(VALU_DEP_1)
	v_lshl_add_u32 v4, v4, 2, v14
	ds_store_b32 v4, v1
	s_branch .LBB19_21
.LBB19_30:                              ;   in Loop: Header=BB19_16 Depth=1
	s_mov_b32 s10, -1
	s_mov_b32 s9, 0
.LBB19_31:                              ;   in Loop: Header=BB19_16 Depth=1
	s_wait_alu 0xfffe
	s_and_b32 vcc_lo, exec_lo, s10
	s_wait_alu 0xfffe
	s_cbranch_vccz .LBB19_42
.LBB19_32:                              ;   in Loop: Header=BB19_16 Depth=1
	v_mov_b32_e32 v1, 0
	s_and_saveexec_b32 s9, s1
	s_cbranch_execz .LBB19_34
; %bb.33:                               ;   in Loop: Header=BB19_16 Depth=1
	global_load_b32 v1, v[8:9], off
.LBB19_34:                              ;   in Loop: Header=BB19_16 Depth=1
	s_wait_alu 0xfffe
	s_or_b32 exec_lo, exec_lo, s9
	s_and_saveexec_b32 s9, s3
	s_cbranch_execz .LBB19_39
; %bb.35:                               ;   in Loop: Header=BB19_16 Depth=1
	s_load_u16 s10, s[50:51], 0x0
	s_mov_b32 s13, 0
	s_wait_kmcnt 0x0
	v_dual_mov_b32 v3, v0 :: v_dual_add_nc_u32 v2, s10, v0
	s_lshl_b32 s11, s10, 2
	s_mul_i32 s12, s39, s10
	s_delay_alu instid0(VALU_DEP_1)
	v_mul_lo_u32 v6, s39, v2
	v_mov_b32_e32 v2, v18
	s_branch .LBB19_37
.LBB19_36:                              ;   in Loop: Header=BB19_37 Depth=2
	s_wait_alu 0xfffe
	s_or_b32 exec_lo, exec_lo, s14
	v_cmp_le_i32_e32 vcc_lo, s36, v3
	s_wait_loadcnt 0x0
	ds_store_b32 v2, v1
	v_dual_mov_b32 v1, v4 :: v_dual_add_nc_u32 v2, s11, v2
	v_add_nc_u32_e32 v6, s12, v6
	s_or_b32 s13, vcc_lo, s13
	s_wait_alu 0xfffe
	s_and_not1_b32 exec_lo, exec_lo, s13
	s_cbranch_execz .LBB19_39
.LBB19_37:                              ;   Parent Loop BB19_16 Depth=1
                                        ; =>  This Inner Loop Header: Depth=2
	v_dual_mov_b32 v4, 0 :: v_dual_add_nc_u32 v3, s10, v3
	s_mov_b32 s14, exec_lo
	s_delay_alu instid0(VALU_DEP_1)
	v_cmpx_gt_u32_e64 s36, v3
	s_cbranch_execz .LBB19_36
; %bb.38:                               ;   in Loop: Header=BB19_37 Depth=2
	s_delay_alu instid0(VALU_DEP_4) | instskip(NEXT) | instid1(VALU_DEP_1)
	v_lshlrev_b64_e32 v[16:17], 2, v[6:7]
	v_add_co_u32 v16, vcc_lo, s44, v16
	s_wait_alu 0xfffd
	s_delay_alu instid0(VALU_DEP_2)
	v_add_co_ci_u32_e64 v17, null, s45, v17, vcc_lo
	global_load_b32 v4, v[16:17], off
	s_branch .LBB19_36
.LBB19_39:                              ;   in Loop: Header=BB19_16 Depth=1
	s_wait_alu 0xfffe
	s_or_b32 exec_lo, exec_lo, s9
	s_wait_loadcnt_dscnt 0x0
	s_barrier_signal -1
	s_barrier_wait -1
	global_inv scope:SCOPE_SE
	s_and_saveexec_b32 s9, s2
; %bb.40:                               ;   in Loop: Header=BB19_16 Depth=1
	v_mov_b32_e32 v1, s36
	ds_store_b32 v7, v1 offset:4096
; %bb.41:                               ;   in Loop: Header=BB19_16 Depth=1
	s_wait_alu 0xfffe
	s_or_b32 exec_lo, exec_lo, s9
	s_mov_b32 s9, -1
	s_wait_loadcnt_dscnt 0x0
	s_barrier_signal -1
	s_barrier_wait -1
.LBB19_42:                              ;   in Loop: Header=BB19_16 Depth=1
	s_wait_alu 0xfffe
	s_and_b32 vcc_lo, exec_lo, s9
	s_wait_alu 0xfffe
	s_cbranch_vccz .LBB19_44
; %bb.43:                               ;   in Loop: Header=BB19_16 Depth=1
	s_wait_loadcnt 0x0
	global_inv scope:SCOPE_SE
	ds_load_b32 v1, v7 offset:4096
	s_wait_dscnt 0x0
	v_readfirstlane_b32 s42, v1
.LBB19_44:                              ;   in Loop: Header=BB19_16 Depth=1
	s_delay_alu instid0(VALU_DEP_1)
	s_cmp_lt_i32 s42, 1
	s_mov_b32 s9, -1
                                        ; implicit-def: $vgpr4
	s_cbranch_scc1 .LBB19_54
; %bb.45:                               ;   in Loop: Header=BB19_16 Depth=1
	s_wait_alu 0xfffe
	s_and_b32 vcc_lo, exec_lo, s9
	s_wait_alu 0xfffe
	s_cbranch_vccnz .LBB19_67
.LBB19_46:                              ;   in Loop: Header=BB19_16 Depth=1
	v_lshlrev_b32_e32 v6, 7, v31
	s_and_saveexec_b32 s9, s4
	s_cbranch_execz .LBB19_48
.LBB19_47:                              ;   in Loop: Header=BB19_16 Depth=1
	s_wait_loadcnt 0x0
	s_delay_alu instid0(VALU_DEP_1)
	v_lshl_add_u32 v14, v6, 2, v21
	ds_store_b128 v14, v[1:4]
.LBB19_48:                              ;   in Loop: Header=BB19_16 Depth=1
	s_wait_alu 0xfffe
	s_or_b32 exec_lo, exec_lo, s9
	s_wait_loadcnt_dscnt 0x0
	s_barrier_signal -1
	s_barrier_wait -1
	global_inv scope:SCOPE_SE
	s_and_saveexec_b32 s9, s54
	s_cbranch_execz .LBB19_83
; %bb.49:                               ;   in Loop: Header=BB19_16 Depth=1
	v_mov_b32_e32 v1, 0
	s_and_not1_b32 vcc_lo, exec_lo, s59
	s_wait_alu 0xfffe
	s_cbranch_vccnz .LBB19_82
; %bb.50:                               ;   in Loop: Header=BB19_16 Depth=1
	s_and_not1_b32 vcc_lo, exec_lo, s61
	s_wait_alu 0xfffe
	s_cbranch_vccnz .LBB19_79
; %bb.51:                               ;   in Loop: Header=BB19_16 Depth=1
	v_lshl_add_u32 v2, v31, 9, v30
	v_mov_b32_e32 v1, 0
	s_mov_b32 s10, 0
.LBB19_52:                              ;   Parent Loop BB19_16 Depth=1
                                        ; =>  This Inner Loop Header: Depth=2
	ds_load_2addr_b32 v[3:4], v2 offset1:4
	ds_load_2addr_b32 v[16:17], v2 offset0:8 offset1:12
	ds_load_2addr_b32 v[34:35], v2 offset0:16 offset1:20
	;; [unrolled: 1-line block ×3, first 2 shown]
	v_add_nc_u32_e32 v2, 0x80, v2
	s_wait_alu 0xfffe
	s_add_co_i32 s10, s10, 8
	s_wait_alu 0xfffe
	s_cmp_eq_u32 s62, s10
	s_wait_dscnt 0x3
	v_add3_u32 v1, v3, v1, v4
	s_wait_dscnt 0x2
	s_delay_alu instid0(VALU_DEP_1) | instskip(SKIP_1) | instid1(VALU_DEP_1)
	v_add3_u32 v1, v16, v1, v17
	s_wait_dscnt 0x1
	v_add3_u32 v1, v34, v1, v35
	s_wait_dscnt 0x0
	s_delay_alu instid0(VALU_DEP_1)
	v_add3_u32 v1, v36, v1, v37
	s_cbranch_scc0 .LBB19_52
; %bb.53:                               ;   in Loop: Header=BB19_16 Depth=1
	s_mov_b32 s10, s62
	s_and_not1_b32 vcc_lo, exec_lo, s63
	s_wait_alu 0xfffe
	s_cbranch_vccz .LBB19_80
	s_branch .LBB19_82
.LBB19_54:                              ;   in Loop: Header=BB19_16 Depth=1
	v_dual_mov_b32 v1, 0 :: v_dual_mov_b32 v2, 0
	v_dual_mov_b32 v3, 0 :: v_dual_mov_b32 v4, 0
	s_and_saveexec_b32 s75, s5
	s_cbranch_execnz .LBB19_57
; %bb.55:                               ;   in Loop: Header=BB19_16 Depth=1
	s_wait_alu 0xfffe
	s_or_b32 exec_lo, exec_lo, s75
	v_mov_b32_e32 v14, 0
	s_and_saveexec_b32 s9, s6
	s_cbranch_execnz .LBB19_60
.LBB19_56:                              ;   in Loop: Header=BB19_16 Depth=1
	s_wait_alu 0xfffe
	s_or_b32 exec_lo, exec_lo, s9
	s_and_saveexec_b32 s13, s7
	s_cbranch_execnz .LBB19_61
	s_branch .LBB19_66
.LBB19_57:                              ;   in Loop: Header=BB19_16 Depth=1
	v_mov_b32_e32 v6, v18
	s_mov_b32 s76, 0
	s_mov_b32 s77, 0
	;; [unrolled: 1-line block ×6, first 2 shown]
.LBB19_58:                              ;   Parent Loop BB19_16 Depth=1
                                        ; =>  This Inner Loop Header: Depth=2
	s_wait_alu 0xfffe
	v_add_nc_u32_e32 v1, s77, v27
	v_add_nc_u32_e32 v3, s77, v12
	;; [unrolled: 1-line block ×5, first 2 shown]
	v_ashrrev_i32_e32 v2, 31, v1
	v_ashrrev_i32_e32 v4, 31, v3
	;; [unrolled: 1-line block ×4, first 2 shown]
	s_add_co_i32 s77, s77, s66
	v_lshlrev_b64_e32 v[1:2], 2, v[1:2]
	v_lshlrev_b64_e32 v[3:4], 2, v[3:4]
	;; [unrolled: 1-line block ×4, first 2 shown]
	s_delay_alu instid0(VALU_DEP_4)
	v_add_co_u32 v1, vcc_lo, s44, v1
	s_wait_alu 0xfffd
	v_add_co_ci_u32_e64 v2, null, s45, v2, vcc_lo
	v_add_co_u32 v3, vcc_lo, s44, v3
	s_wait_alu 0xfffd
	v_add_co_ci_u32_e64 v4, null, s45, v4, vcc_lo
	;; [unrolled: 3-line block ×4, first 2 shown]
	s_clause 0x3
	global_load_b32 v1, v[1:2], off
	global_load_b32 v2, v[3:4], off
	global_load_b32 v3, v[16:17], off
	global_load_b32 v4, v[34:35], off
	v_cmp_le_i32_e32 vcc_lo, s64, v6
	s_wait_loadcnt 0x3
	v_xor_b32_e32 v1, 0x80000000, v1
	s_wait_loadcnt 0x2
	v_xor_b32_e32 v2, 0x80000000, v2
	;; [unrolled: 2-line block ×4, first 2 shown]
	v_and_b32_e32 v14, v1, v32
	v_bfe_u32 v1, v1, s74, 2
	v_and_b32_e32 v16, v2, v32
	v_bfe_u32 v2, v2, s74, 2
	;; [unrolled: 2-line block ×3, first 2 shown]
	v_cmp_eq_u32_e64 s9, v14, v24
	v_cmp_eq_u32_e64 s13, 0, v1
	v_and_b32_e32 v34, v4, v32
	v_bfe_u32 v4, v4, s74, 2
	v_cmp_eq_u32_e64 s10, v16, v24
	v_cmp_eq_u32_e64 s14, 0, v2
	;; [unrolled: 1-line block ×4, first 2 shown]
	s_and_b32 s13, s9, s13
	v_cmp_eq_u32_e64 s12, v34, v24
	v_cmp_eq_u32_e64 s16, 0, v4
	;; [unrolled: 1-line block ×5, first 2 shown]
	s_wait_alu 0xfffe
	v_cndmask_b32_e64 v1, 0, 1, s13
	s_and_b32 s13, s10, s14
	v_cmp_eq_u32_e64 s18, 1, v2
	v_cmp_eq_u32_e64 s22, 2, v2
	v_cmp_eq_u32_e64 s26, 3, v2
	s_wait_alu 0xfffe
	v_cndmask_b32_e64 v2, 0, 1, s13
	s_and_b32 s13, s11, s15
	v_cmp_eq_u32_e64 s19, 1, v3
	v_cmp_eq_u32_e64 s23, 2, v3
	v_cmp_eq_u32_e64 s27, 3, v3
	;; [unrolled: 6-line block ×3, first 2 shown]
	s_wait_alu 0xfffe
	v_cndmask_b32_e64 v4, 0, 1, s13
	s_and_b32 s13, s9, s17
	s_wait_alu 0xfffe
	v_cndmask_b32_e64 v14, 0, 1, s13
	s_and_b32 s13, s10, s18
	;; [unrolled: 3-line block ×4, first 2 shown]
	v_cmp_ne_u32_e64 s14, 0, v16
	s_wait_alu 0xfffe
	v_cndmask_b32_e64 v34, 0, 1, s13
	s_and_b32 s13, s9, s21
	s_and_b32 s9, s9, s25
	s_wait_alu 0xfffe
	v_cndmask_b32_e64 v35, 0, 1, s13
	s_and_b32 s13, s10, s22
	v_cndmask_b32_e64 v39, 0, 1, s9
	s_and_b32 s9, s10, s26
	s_wait_alu 0xfffe
	v_cndmask_b32_e64 v36, 0, 1, s13
	s_and_b32 s13, s11, s23
	v_cndmask_b32_e64 v40, 0, 1, s9
	;; [unrolled: 5-line block ×3, first 2 shown]
	s_and_b32 s9, s12, s28
	s_wait_alu 0xfffe
	v_cndmask_b32_e64 v38, 0, 1, s13
	v_cndmask_b32_e64 v42, 0, 1, s9
	v_cmp_ne_u32_e64 s9, 0, v1
	v_cmp_ne_u32_e64 s13, 0, v14
	;; [unrolled: 1-line block ×11, first 2 shown]
	s_bcnt1_i32_b32 s9, s9
	s_bcnt1_i32_b32 s13, s13
	;; [unrolled: 1-line block ×4, first 2 shown]
	v_cmp_ne_u32_e64 s12, 0, v4
	v_cmp_ne_u32_e64 s16, 0, v34
	;; [unrolled: 1-line block ×4, first 2 shown]
	s_bcnt1_i32_b32 s10, s10
	s_bcnt1_i32_b32 s14, s14
	s_bcnt1_i32_b32 s18, s18
	s_bcnt1_i32_b32 s22, s22
	s_wait_alu 0xfffe
	s_add_co_i32 s9, s9, s81
	s_add_co_i32 s13, s13, s80
	s_add_co_i32 s17, s17, s79
	s_add_co_i32 s21, s21, s78
	s_bcnt1_i32_b32 s11, s11
	s_bcnt1_i32_b32 s15, s15
	s_bcnt1_i32_b32 s19, s19
	s_bcnt1_i32_b32 s23, s23
	s_wait_alu 0xfffe
	s_add_co_i32 s9, s9, s10
	s_add_co_i32 s10, s13, s14
	s_add_co_i32 s13, s17, s18
	s_add_co_i32 s14, s21, s22
	;; [unrolled: 9-line block ×3, first 2 shown]
	s_wait_alu 0xfffe
	s_add_co_i32 s81, s9, s12
	s_add_co_i32 s80, s10, s16
	s_add_co_i32 s79, s11, s20
	s_add_co_i32 s78, s13, s24
	s_wait_alu 0xfffe
	v_dual_mov_b32 v1, s81 :: v_dual_mov_b32 v2, s80
	v_dual_mov_b32 v3, s79 :: v_dual_mov_b32 v4, s78
	s_or_b32 s76, vcc_lo, s76
	s_wait_alu 0xfffe
	s_and_not1_b32 exec_lo, exec_lo, s76
	s_cbranch_execnz .LBB19_58
; %bb.59:                               ;   in Loop: Header=BB19_16 Depth=1
	s_or_b32 exec_lo, exec_lo, s76
	s_delay_alu instid0(SALU_CYCLE_1)
	s_or_b32 exec_lo, exec_lo, s75
	v_mov_b32_e32 v14, 0
	s_and_saveexec_b32 s9, s6
	s_cbranch_execz .LBB19_56
.LBB19_60:                              ;   in Loop: Header=BB19_16 Depth=1
	global_load_b32 v14, v[10:11], off
	s_wait_alu 0xfffe
	s_or_b32 exec_lo, exec_lo, s9
	s_and_saveexec_b32 s13, s7
	s_cbranch_execz .LBB19_66
.LBB19_61:                              ;   in Loop: Header=BB19_16 Depth=1
	v_mov_b32_e32 v16, v28
	v_mov_b32_e32 v6, v22
	s_mov_b32 s14, 0
	s_branch .LBB19_63
.LBB19_62:                              ;   in Loop: Header=BB19_63 Depth=2
	s_wait_alu 0xfffe
	s_or_b32 exec_lo, exec_lo, s9
	s_wait_loadcnt 0x0
	v_xor_b32_e32 v14, 0x80000000, v14
	v_add_nc_u32_e32 v16, s57, v16
	s_delay_alu instid0(VALU_DEP_2) | instskip(SKIP_1) | instid1(VALU_DEP_2)
	v_and_b32_e32 v34, v14, v32
	v_bfe_u32 v14, v14, s74, 2
	v_cmp_eq_u32_e32 vcc_lo, v34, v24
	s_delay_alu instid0(VALU_DEP_2)
	v_cmp_eq_u32_e64 s9, 0, v14
	v_cmp_eq_u32_e64 s10, 1, v14
	;; [unrolled: 1-line block ×4, first 2 shown]
	s_and_b32 s9, vcc_lo, s9
	s_wait_alu 0xfffe
	v_cndmask_b32_e64 v14, 0, 1, s9
	s_and_b32 s9, vcc_lo, s10
	s_wait_alu 0xfffe
	v_cndmask_b32_e64 v34, 0, 1, s9
	;; [unrolled: 3-line block ×3, first 2 shown]
	s_and_b32 s9, vcc_lo, s12
	v_cmp_ne_u32_e32 vcc_lo, 0, v14
	s_wait_alu 0xfffe
	v_cndmask_b32_e64 v36, 0, 1, s9
	v_cmp_ne_u32_e64 s9, 0, v34
	v_cmp_ne_u32_e64 s10, 0, v35
	v_cmp_le_i32_e64 s12, s36, v6
	s_bcnt1_i32_b32 s15, vcc_lo
	v_cmp_ne_u32_e64 s11, 0, v36
	s_bcnt1_i32_b32 s9, s9
	s_bcnt1_i32_b32 s10, s10
	s_wait_alu 0xfffe
	v_dual_mov_b32 v14, v17 :: v_dual_add_nc_u32 v1, s15, v1
	s_bcnt1_i32_b32 s11, s11
	v_add_nc_u32_e32 v2, s9, v2
	v_add_nc_u32_e32 v3, s10, v3
	s_wait_alu 0xfffe
	v_add_nc_u32_e32 v4, s11, v4
	s_or_b32 s14, s12, s14
	s_wait_alu 0xfffe
	s_and_not1_b32 exec_lo, exec_lo, s14
	s_cbranch_execz .LBB19_65
.LBB19_63:                              ;   Parent Loop BB19_16 Depth=1
                                        ; =>  This Inner Loop Header: Depth=2
	s_delay_alu instid0(VALU_DEP_1) | instskip(SKIP_1) | instid1(VALU_DEP_1)
	v_dual_mov_b32 v17, 0 :: v_dual_add_nc_u32 v6, s53, v6
	s_mov_b32 s9, exec_lo
	v_cmpx_gt_u32_e64 s36, v6
	s_cbranch_execz .LBB19_62
; %bb.64:                               ;   in Loop: Header=BB19_63 Depth=2
	v_ashrrev_i32_e32 v17, 31, v16
	s_delay_alu instid0(VALU_DEP_1) | instskip(NEXT) | instid1(VALU_DEP_1)
	v_lshlrev_b64_e32 v[34:35], 2, v[16:17]
	v_add_co_u32 v34, vcc_lo, s44, v34
	s_wait_alu 0xfffd
	s_delay_alu instid0(VALU_DEP_2)
	v_add_co_ci_u32_e64 v35, null, s45, v35, vcc_lo
	global_load_b32 v17, v[34:35], off
	s_branch .LBB19_62
.LBB19_65:                              ;   in Loop: Header=BB19_16 Depth=1
	s_or_b32 exec_lo, exec_lo, s14
.LBB19_66:                              ;   in Loop: Header=BB19_16 Depth=1
	s_wait_alu 0xfffe
	s_or_b32 exec_lo, exec_lo, s13
	s_branch .LBB19_46
.LBB19_67:                              ;   in Loop: Header=BB19_16 Depth=1
	s_mul_u64 s[10:11], s[42:43], s[46:47]
	v_dual_mov_b32 v1, 0 :: v_dual_mov_b32 v2, 0
	s_wait_alu 0xfffe
	s_mul_i32 s9, s11, s55
	v_dual_mov_b32 v3, 0 :: v_dual_mov_b32 v4, 0
	s_wait_alu 0xfffe
	s_sub_co_i32 s9, s42, s9
	s_mov_b32 s76, exec_lo
	s_wait_alu 0xfffe
	s_sub_co_i32 s10, s9, s55
	s_cmp_ge_u32 s9, s55
	s_wait_alu 0xfffe
	s_cselect_b32 s9, s10, s9
	s_wait_alu 0xfffe
	s_sub_co_i32 s10, s9, s55
	s_cmp_ge_u32 s9, s55
	s_wait_alu 0xfffe
	s_cselect_b32 s9, s10, s9
	s_wait_alu 0xfffe
	s_sub_co_i32 s75, s42, s9
	s_wait_alu 0xfffe
	v_cmpx_gt_u32_e64 s75, v18
	s_cbranch_execz .LBB19_71
; %bb.68:                               ;   in Loop: Header=BB19_16 Depth=1
	v_mov_b32_e32 v6, v29
	s_wait_loadcnt 0x0
	v_mov_b32_e32 v14, v18
	s_mov_b32 s77, 0
	s_mov_b32 s78, 0
	;; [unrolled: 1-line block ×5, first 2 shown]
.LBB19_69:                              ;   Parent Loop BB19_16 Depth=1
                                        ; =>  This Inner Loop Header: Depth=2
	ds_load_b128 v[1:4], v6
	s_wait_dscnt 0x0
	v_xor_b32_e32 v1, 0x80000000, v1
	v_xor_b32_e32 v2, 0x80000000, v2
	;; [unrolled: 1-line block ×4, first 2 shown]
	s_delay_alu instid0(VALU_DEP_4)
	v_and_b32_e32 v16, v1, v32
	v_bfe_u32 v1, v1, s74, 2
	v_and_b32_e32 v17, v2, v32
	v_bfe_u32 v2, v2, s74, 2
	;; [unrolled: 2-line block ×3, first 2 shown]
	v_cmp_eq_u32_e64 s9, v16, v24
	v_cmp_eq_u32_e64 s13, 0, v1
	v_and_b32_e32 v35, v4, v32
	v_bfe_u32 v4, v4, s74, 2
	v_cmp_eq_u32_e64 s10, v17, v24
	v_cmp_eq_u32_e64 s14, 0, v2
	;; [unrolled: 1-line block ×4, first 2 shown]
	s_and_b32 s13, s9, s13
	v_cmp_eq_u32_e64 s12, v35, v24
	v_cmp_eq_u32_e64 s16, 0, v4
	;; [unrolled: 1-line block ×5, first 2 shown]
	s_wait_alu 0xfffe
	v_cndmask_b32_e64 v1, 0, 1, s13
	s_and_b32 s13, s10, s14
	v_cmp_eq_u32_e64 s18, 1, v2
	v_cmp_eq_u32_e64 s22, 2, v2
	v_cmp_eq_u32_e64 s26, 3, v2
	s_wait_alu 0xfffe
	v_cndmask_b32_e64 v2, 0, 1, s13
	s_and_b32 s13, s11, s15
	v_cmp_eq_u32_e64 s19, 1, v3
	v_cmp_eq_u32_e64 s23, 2, v3
	v_cmp_eq_u32_e64 s27, 3, v3
	;; [unrolled: 6-line block ×3, first 2 shown]
	s_wait_alu 0xfffe
	v_cndmask_b32_e64 v4, 0, 1, s13
	s_and_b32 s13, s9, s17
	s_wait_alu 0xfffe
	v_cndmask_b32_e64 v16, 0, 1, s13
	s_and_b32 s13, s10, s18
	;; [unrolled: 3-line block ×4, first 2 shown]
	v_cmp_ne_u32_e64 s14, 0, v17
	s_wait_alu 0xfffe
	v_cndmask_b32_e64 v35, 0, 1, s13
	s_and_b32 s13, s9, s21
	s_and_b32 s9, s9, s25
	s_wait_alu 0xfffe
	v_cndmask_b32_e64 v36, 0, 1, s13
	v_cndmask_b32_e64 v40, 0, 1, s9
	s_and_b32 s9, s10, s26
	s_and_b32 s13, s10, s22
	s_wait_alu 0xfffe
	v_cndmask_b32_e64 v41, 0, 1, s9
	s_and_b32 s9, s11, s27
	v_cndmask_b32_e64 v37, 0, 1, s13
	s_wait_alu 0xfffe
	v_cndmask_b32_e64 v42, 0, 1, s9
	s_and_b32 s9, s12, s28
	s_and_b32 s13, s11, s23
	s_wait_alu 0xfffe
	v_cndmask_b32_e64 v43, 0, 1, s9
	v_cmp_ne_u32_e64 s9, 0, v1
	v_cmp_ne_u32_e64 s10, 0, v2
	v_cndmask_b32_e64 v38, 0, 1, s13
	s_and_b32 s13, s12, s24
	v_cmp_ne_u32_e64 s11, 0, v3
	s_wait_alu 0xfffe
	v_cndmask_b32_e64 v39, 0, 1, s13
	v_cmp_ne_u32_e64 s13, 0, v16
	v_cmp_ne_u32_e64 s17, 0, v36
	;; [unrolled: 1-line block ×3, first 2 shown]
	s_bcnt1_i32_b32 s9, s9
	v_cmp_ne_u32_e64 s12, 0, v4
	v_cmp_ne_u32_e64 s18, 0, v37
	;; [unrolled: 1-line block ×3, first 2 shown]
	s_bcnt1_i32_b32 s10, s10
	s_wait_alu 0xfffe
	s_add_co_i32 s9, s9, s81
	v_cmp_ne_u32_e64 s15, 0, v34
	v_cmp_ne_u32_e64 s19, 0, v38
	;; [unrolled: 1-line block ×3, first 2 shown]
	s_bcnt1_i32_b32 s11, s11
	s_wait_alu 0xfffe
	s_add_co_i32 s9, s9, s10
	s_bcnt1_i32_b32 s13, s13
	s_bcnt1_i32_b32 s17, s17
	;; [unrolled: 1-line block ×3, first 2 shown]
	v_cmp_ne_u32_e64 s16, 0, v35
	v_cmp_ne_u32_e64 s20, 0, v39
	;; [unrolled: 1-line block ×3, first 2 shown]
	s_bcnt1_i32_b32 s12, s12
	s_wait_alu 0xfffe
	s_add_co_i32 s9, s9, s11
	s_bcnt1_i32_b32 s14, s14
	s_bcnt1_i32_b32 s18, s18
	s_bcnt1_i32_b32 s22, s22
	s_add_co_i32 s13, s13, s80
	s_add_co_i32 s17, s17, s79
	;; [unrolled: 1-line block ×3, first 2 shown]
	s_wait_alu 0xfffe
	s_add_co_i32 s81, s9, s12
	s_wait_alu 0xfffe
	v_dual_mov_b32 v1, s81 :: v_dual_add_nc_u32 v14, s55, v14
	s_bcnt1_i32_b32 s15, s15
	s_bcnt1_i32_b32 s19, s19
	;; [unrolled: 1-line block ×3, first 2 shown]
	s_add_co_i32 s10, s13, s14
	s_add_co_i32 s13, s17, s18
	;; [unrolled: 1-line block ×3, first 2 shown]
	s_bcnt1_i32_b32 s16, s16
	s_bcnt1_i32_b32 s20, s20
	;; [unrolled: 1-line block ×3, first 2 shown]
	s_wait_alu 0xfffe
	s_add_co_i32 s10, s10, s15
	s_add_co_i32 s11, s13, s19
	;; [unrolled: 1-line block ×3, first 2 shown]
	v_cmp_le_i32_e32 vcc_lo, s75, v14
	s_wait_alu 0xfffe
	s_add_co_i32 s80, s10, s16
	s_add_co_i32 s79, s11, s20
	;; [unrolled: 1-line block ×3, first 2 shown]
	s_wait_alu 0xfffe
	v_dual_mov_b32 v3, s79 :: v_dual_add_nc_u32 v6, s67, v6
	v_mov_b32_e32 v2, s80
	v_mov_b32_e32 v4, s78
	s_or_b32 s77, vcc_lo, s77
	s_wait_alu 0xfffe
	s_and_not1_b32 exec_lo, exec_lo, s77
	s_cbranch_execnz .LBB19_69
; %bb.70:                               ;   in Loop: Header=BB19_16 Depth=1
	s_or_b32 exec_lo, exec_lo, s77
.LBB19_71:                              ;   in Loop: Header=BB19_16 Depth=1
	s_delay_alu instid0(SALU_CYCLE_1) | instskip(SKIP_2) | instid1(VALU_DEP_1)
	s_or_b32 exec_lo, exec_lo, s76
	v_add_nc_u32_e32 v6, s75, v0
	s_mov_b32 s14, exec_lo
	v_cmpx_gt_i32_e64 s42, v6
	s_cbranch_execz .LBB19_75
; %bb.72:                               ;   in Loop: Header=BB19_16 Depth=1
	s_wait_loadcnt 0x0
	v_lshlrev_b32_e32 v14, 2, v6
	s_mov_b32 s15, 0
.LBB19_73:                              ;   Parent Loop BB19_16 Depth=1
                                        ; =>  This Inner Loop Header: Depth=2
	ds_load_b32 v16, v14
	v_add_nc_u32_e32 v6, s53, v6
	v_add_nc_u32_e32 v14, s55, v14
	s_delay_alu instid0(VALU_DEP_2) | instskip(SKIP_2) | instid1(VALU_DEP_1)
	v_cmp_le_i32_e32 vcc_lo, s42, v6
	s_wait_dscnt 0x0
	v_xor_b32_e32 v16, 0x80000000, v16
	v_and_b32_e32 v17, v16, v32
	v_bfe_u32 v16, v16, s74, 2
	s_delay_alu instid0(VALU_DEP_2) | instskip(NEXT) | instid1(VALU_DEP_2)
	v_cmp_eq_u32_e64 s9, v17, v24
	v_cmp_eq_u32_e64 s10, 0, v16
	;; [unrolled: 1-line block ×5, first 2 shown]
	s_and_b32 s10, s9, s10
	s_wait_alu 0xfffe
	v_cndmask_b32_e64 v16, 0, 1, s10
	s_and_b32 s10, s9, s11
	s_wait_alu 0xfffe
	v_cndmask_b32_e64 v17, 0, 1, s10
	s_and_b32 s10, s9, s12
	s_and_b32 s9, s9, s13
	s_wait_alu 0xfffe
	v_cndmask_b32_e64 v34, 0, 1, s10
	v_cndmask_b32_e64 v35, 0, 1, s9
	v_cmp_ne_u32_e64 s9, 0, v16
	v_cmp_ne_u32_e64 s10, 0, v17
	s_delay_alu instid0(VALU_DEP_4) | instskip(NEXT) | instid1(VALU_DEP_4)
	v_cmp_ne_u32_e64 s11, 0, v34
	v_cmp_ne_u32_e64 s12, 0, v35
	s_bcnt1_i32_b32 s9, s9
	s_bcnt1_i32_b32 s10, s10
	s_wait_alu 0xfffe
	v_add_nc_u32_e32 v1, s9, v1
	s_bcnt1_i32_b32 s11, s11
	s_bcnt1_i32_b32 s12, s12
	v_add_nc_u32_e32 v2, s10, v2
	s_wait_alu 0xfffe
	v_add_nc_u32_e32 v3, s11, v3
	v_add_nc_u32_e32 v4, s12, v4
	s_or_b32 s15, vcc_lo, s15
	s_wait_alu 0xfffe
	s_and_not1_b32 exec_lo, exec_lo, s15
	s_cbranch_execnz .LBB19_73
; %bb.74:                               ;   in Loop: Header=BB19_16 Depth=1
	s_or_b32 exec_lo, exec_lo, s15
.LBB19_75:                              ;   in Loop: Header=BB19_16 Depth=1
	s_wait_alu 0xfffe
	s_or_b32 exec_lo, exec_lo, s14
	v_lshlrev_b32_e32 v6, 7, v31
	s_and_saveexec_b32 s9, s4
	s_cbranch_execnz .LBB19_47
	s_branch .LBB19_48
.LBB19_76:                              ;   in Loop: Header=BB19_16 Depth=1
	s_wait_alu 0xfffe
	s_or_b32 exec_lo, exec_lo, s11
	s_wait_loadcnt_dscnt 0x0
	s_barrier_signal -1
	s_barrier_wait -1
	global_inv scope:SCOPE_SE
	s_and_saveexec_b32 s9, s2
	s_cbranch_execz .LBB19_78
; %bb.77:                               ;   in Loop: Header=BB19_16 Depth=1
	ds_load_b32 v1, v7 offset:4104
	s_wait_dscnt 0x0
	ds_store_b32 v7, v1 offset:4096
.LBB19_78:                              ;   in Loop: Header=BB19_16 Depth=1
	s_wait_alu 0xfffe
	s_or_b32 exec_lo, exec_lo, s9
	s_wait_loadcnt_dscnt 0x0
	s_barrier_signal -1
	s_mov_b32 s9, -1
	s_barrier_wait -1
	s_and_b32 vcc_lo, exec_lo, s10
	s_wait_alu 0xfffe
	s_cbranch_vccnz .LBB19_32
	s_branch .LBB19_42
.LBB19_79:                              ;   in Loop: Header=BB19_16 Depth=1
	v_mov_b32_e32 v1, 0
	s_mov_b32 s10, 0
	s_and_not1_b32 vcc_lo, exec_lo, s63
	s_wait_alu 0xfffe
	s_cbranch_vccnz .LBB19_82
.LBB19_80:                              ;   in Loop: Header=BB19_16 Depth=1
	v_lshlrev_b32_e32 v2, 9, v31
	s_lshl_b32 s10, s10, 4
	s_wait_alu 0xfffe
	s_delay_alu instid0(VALU_DEP_1)
	v_add3_u32 v2, v2, s10, v30
	s_mov_b32 s10, s60
.LBB19_81:                              ;   Parent Loop BB19_16 Depth=1
                                        ; =>  This Inner Loop Header: Depth=2
	ds_load_b32 v3, v2
	v_add_nc_u32_e32 v2, 16, v2
	s_wait_alu 0xfffe
	s_add_co_i32 s10, s10, -1
	s_wait_alu 0xfffe
	s_cmp_lg_u32 s10, 0
	s_wait_dscnt 0x0
	v_add_nc_u32_e32 v1, v3, v1
	s_cbranch_scc1 .LBB19_81
.LBB19_82:                              ;   in Loop: Header=BB19_16 Depth=1
	v_add_lshl_u32 v2, v6, v19, 2
	ds_store_b32 v2, v1 offset:3072
.LBB19_83:                              ;   in Loop: Header=BB19_16 Depth=1
	s_wait_alu 0xfffe
	s_or_b32 exec_lo, exec_lo, s9
	v_lshlrev_b32_e32 v1, 2, v6
	s_wait_loadcnt_dscnt 0x0
	s_barrier_signal -1
	s_barrier_wait -1
	global_inv scope:SCOPE_SE
	ds_load_b128 v[1:4], v1 offset:3072
	s_lshl_b32 s10, 3, s74
	v_cmp_eq_u32_e32 vcc_lo, 1, v33
	s_wait_alu 0xfffe
	s_not_b32 s17, s10
	s_mov_b32 s13, -1
	s_mov_b32 s15, -1
                                        ; implicit-def: $sgpr20
                                        ; implicit-def: $sgpr18
	s_wait_dscnt 0x0
	v_readfirstlane_b32 s12, v1
	v_readfirstlane_b32 s19, v2
	;; [unrolled: 1-line block ×4, first 2 shown]
	s_cmp_eq_u32 s12, 1
	s_cselect_b32 s11, -1, 0
	s_wait_alu 0xfffe
	s_and_b32 s14, s11, vcc_lo
	s_wait_alu 0xfffe
	s_and_saveexec_b32 s11, s14
	s_cbranch_execz .LBB19_109
; %bb.84:                               ;   in Loop: Header=BB19_16 Depth=1
	ds_load_b32 v1, v7 offset:4096
	s_wait_loadcnt_dscnt 0x0
	s_barrier_signal -1
	s_barrier_wait -1
	global_inv scope:SCOPE_SE
	v_readfirstlane_b32 s15, v1
	s_and_saveexec_b32 s18, s0
; %bb.85:                               ;   in Loop: Header=BB19_16 Depth=1
	ds_store_b32 v20, v7
; %bb.86:                               ;   in Loop: Header=BB19_16 Depth=1
	s_wait_alu 0xfffe
	s_or_b32 exec_lo, exec_lo, s18
	v_and_b32_e32 v24, s17, v24
	v_or_b32_e32 v32, s10, v32
	s_mov_b32 s18, -1
	s_mov_b32 s20, 0
	s_cmp_lt_i32 s15, 1
	s_mov_b32 s21, 0
	s_mov_b32 s22, -1
	s_wait_loadcnt_dscnt 0x0
	s_barrier_signal -1
	s_barrier_wait -1
	global_inv scope:SCOPE_SE
                                        ; implicit-def: $vgpr15
	s_cbranch_scc0 .LBB19_97
; %bb.87:                               ;   in Loop: Header=BB19_16 Depth=1
	s_mov_b32 s22, 0
                                        ; implicit-def: $vgpr15
	s_and_saveexec_b32 s23, s8
	s_cbranch_execz .LBB19_96
; %bb.88:                               ;   in Loop: Header=BB19_16 Depth=1
	v_mov_b32_e32 v1, v5
	v_mov_b32_e32 v3, v0
                                        ; implicit-def: $sgpr24
	s_branch .LBB19_91
.LBB19_89:                              ;   in Loop: Header=BB19_91 Depth=2
	s_wait_alu 0xfffe
	s_or_b32 exec_lo, exec_lo, s25
	s_wait_loadcnt_dscnt 0x0
	s_barrier_signal -1
	s_barrier_wait -1
	global_inv scope:SCOPE_SE
	ds_load_b64 v[14:15], v7 offset:3072
	s_mov_b32 s25, -1
	s_mov_b32 s26, -1
	s_wait_loadcnt_dscnt 0x0
	s_barrier_signal -1
	s_barrier_wait -1
	global_inv scope:SCOPE_SE
	v_cmp_ne_u32_e32 vcc_lo, 0, v14
	s_cbranch_vccz .LBB19_94
.LBB19_90:                              ;   in Loop: Header=BB19_91 Depth=2
	s_wait_alu 0xfffe
	s_and_b32 s25, exec_lo, s25
	s_wait_alu 0xfffe
	s_or_b32 s21, s25, s21
	s_and_not1_b32 s24, s24, exec_lo
	s_and_b32 s25, s26, exec_lo
	s_wait_alu 0xfffe
	s_or_b32 s24, s24, s25
	s_and_not1_b32 exec_lo, exec_lo, s21
	s_cbranch_execz .LBB19_95
.LBB19_91:                              ;   Parent Loop BB19_16 Depth=1
                                        ; =>  This Inner Loop Header: Depth=2
	s_mov_b32 s25, exec_lo
	s_delay_alu instid0(VALU_DEP_1)
	v_cmpx_gt_i32_e64 s36, v3
	s_cbranch_execz .LBB19_89
; %bb.92:                               ;   in Loop: Header=BB19_91 Depth=2
	v_ashrrev_i32_e32 v2, 31, v1
	s_delay_alu instid0(VALU_DEP_1) | instskip(NEXT) | instid1(VALU_DEP_1)
	v_lshlrev_b64_e32 v[14:15], 2, v[1:2]
	v_add_co_u32 v14, vcc_lo, s44, v14
	s_wait_alu 0xfffd
	s_delay_alu instid0(VALU_DEP_2) | instskip(SKIP_3) | instid1(VALU_DEP_1)
	v_add_co_ci_u32_e64 v15, null, s45, v15, vcc_lo
	global_load_b32 v14, v[14:15], off
	s_wait_loadcnt 0x0
	v_xor_b32_e32 v2, 0x80000000, v14
	v_and_b32_e32 v2, v2, v32
	s_delay_alu instid0(VALU_DEP_1)
	v_cmp_eq_u32_e32 vcc_lo, v2, v24
	s_and_b32 exec_lo, exec_lo, vcc_lo
	s_cbranch_execz .LBB19_89
; %bb.93:                               ;   in Loop: Header=BB19_91 Depth=2
	ds_store_b64 v7, v[13:14] offset:3072
	s_branch .LBB19_89
.LBB19_94:                              ;   in Loop: Header=BB19_91 Depth=2
	v_add_nc_u32_e32 v3, s53, v3
	v_add_nc_u32_e32 v1, s57, v1
	s_mov_b32 s26, 0
	s_delay_alu instid0(VALU_DEP_2)
	v_cmp_le_i32_e32 vcc_lo, s65, v3
	s_or_not1_b32 s25, vcc_lo, exec_lo
	s_branch .LBB19_90
.LBB19_95:                              ;   in Loop: Header=BB19_16 Depth=1
	s_or_b32 exec_lo, exec_lo, s21
	s_wait_alu 0xfffe
	s_and_b32 s21, s24, exec_lo
.LBB19_96:                              ;   in Loop: Header=BB19_16 Depth=1
	s_wait_alu 0xfffe
	s_or_b32 exec_lo, exec_lo, s23
.LBB19_97:                              ;   in Loop: Header=BB19_16 Depth=1
	s_wait_alu 0xfffe
	s_and_b32 vcc_lo, exec_lo, s22
	s_wait_alu 0xfffe
	s_cbranch_vccz .LBB19_108
; %bb.98:                               ;   in Loop: Header=BB19_16 Depth=1
	s_add_co_i32 s20, s15, s56
                                        ; implicit-def: $vgpr15
	s_wait_alu 0xfffe
	s_abs_i32 s42, s20
	s_wait_alu 0xfffe
	s_mul_u64 s[22:23], s[42:43], s[48:49]
	s_ashr_i32 s22, s20, 31
	s_wait_alu 0xfffe
	s_mul_i32 s18, s23, s53
	s_wait_alu 0xfffe
	s_sub_co_i32 s18, s42, s18
	s_wait_alu 0xfffe
	s_sub_co_i32 s23, s18, s53
	s_cmp_ge_u32 s18, s53
	s_wait_alu 0xfffe
	s_cselect_b32 s18, s23, s18
	s_wait_alu 0xfffe
	s_sub_co_i32 s23, s18, s53
	s_cmp_ge_u32 s18, s53
	s_wait_alu 0xfffe
	s_cselect_b32 s18, s23, s18
	s_wait_alu 0xfffe
	s_xor_b32 s18, s18, s22
	s_wait_alu 0xfffe
	s_sub_co_i32 s18, s22, s18
	s_wait_alu 0xfffe
	s_add_co_i32 s20, s20, s18
	s_mov_b32 s18, exec_lo
	s_wait_alu 0xfffe
	v_cmpx_gt_i32_e64 s20, v0
	s_cbranch_execz .LBB19_107
; %bb.99:                               ;   in Loop: Header=BB19_16 Depth=1
	v_dual_mov_b32 v1, v18 :: v_dual_mov_b32 v2, v0
	s_mov_b32 s22, 0
                                        ; implicit-def: $sgpr23
	s_branch .LBB19_102
.LBB19_100:                             ;   in Loop: Header=BB19_102 Depth=2
	s_wait_alu 0xfffe
	s_or_b32 exec_lo, exec_lo, s24
	s_wait_loadcnt_dscnt 0x0
	s_barrier_signal -1
	s_barrier_wait -1
	global_inv scope:SCOPE_SE
	ds_load_b64 v[14:15], v7 offset:3072
	s_mov_b32 s24, -1
	s_mov_b32 s25, -1
	s_wait_loadcnt_dscnt 0x0
	s_barrier_signal -1
	s_barrier_wait -1
	global_inv scope:SCOPE_SE
	v_cmp_ne_u32_e32 vcc_lo, 0, v14
	s_cbranch_vccz .LBB19_105
.LBB19_101:                             ;   in Loop: Header=BB19_102 Depth=2
	s_wait_alu 0xfffe
	s_and_b32 s24, exec_lo, s24
	s_wait_alu 0xfffe
	s_or_b32 s22, s24, s22
	s_and_not1_b32 s23, s23, exec_lo
	s_and_b32 s24, s25, exec_lo
	s_wait_alu 0xfffe
	s_or_b32 s23, s23, s24
	s_and_not1_b32 exec_lo, exec_lo, s22
	s_cbranch_execz .LBB19_106
.LBB19_102:                             ;   Parent Loop BB19_16 Depth=1
                                        ; =>  This Inner Loop Header: Depth=2
	s_mov_b32 s24, exec_lo
	s_delay_alu instid0(VALU_DEP_1)
	v_cmpx_gt_i32_e64 s15, v2
	s_cbranch_execz .LBB19_100
; %bb.103:                              ;   in Loop: Header=BB19_102 Depth=2
	ds_load_b32 v14, v1
	s_wait_dscnt 0x0
	v_xor_b32_e32 v3, 0x80000000, v14
	s_delay_alu instid0(VALU_DEP_1) | instskip(NEXT) | instid1(VALU_DEP_1)
	v_and_b32_e32 v3, v3, v32
	v_cmp_eq_u32_e32 vcc_lo, v3, v24
	s_and_b32 exec_lo, exec_lo, vcc_lo
	s_cbranch_execz .LBB19_100
; %bb.104:                              ;   in Loop: Header=BB19_102 Depth=2
	ds_store_b64 v7, v[13:14] offset:3072
	s_branch .LBB19_100
.LBB19_105:                             ;   in Loop: Header=BB19_102 Depth=2
	v_add_nc_u32_e32 v2, s53, v2
	v_add_nc_u32_e32 v1, s55, v1
	s_mov_b32 s25, 0
	s_delay_alu instid0(VALU_DEP_2)
	v_cmp_le_i32_e32 vcc_lo, s20, v2
	s_or_not1_b32 s24, vcc_lo, exec_lo
	s_branch .LBB19_101
.LBB19_106:                             ;   in Loop: Header=BB19_16 Depth=1
	s_or_b32 exec_lo, exec_lo, s22
	s_delay_alu instid0(SALU_CYCLE_1)
	s_and_not1_b32 s15, s21, exec_lo
	s_wait_alu 0xfffe
	s_and_b32 s20, s23, exec_lo
	s_wait_alu 0xfffe
	s_or_b32 s21, s15, s20
.LBB19_107:                             ;   in Loop: Header=BB19_16 Depth=1
	s_wait_alu 0xfffe
	s_or_b32 exec_lo, exec_lo, s18
	s_mov_b32 s18, 0
	s_mov_b32 s20, -1
.LBB19_108:                             ;   in Loop: Header=BB19_16 Depth=1
	s_or_not1_b32 s15, s21, exec_lo
.LBB19_109:                             ;   in Loop: Header=BB19_16 Depth=1
	s_wait_alu 0xfffe
	s_or_b32 exec_lo, exec_lo, s11
	v_readfirstlane_b32 s21, v0
	s_and_not1_b32 s11, s72, exec_lo
	s_and_b32 s20, s20, exec_lo
	s_and_not1_b32 s22, s70, exec_lo
	s_and_b32 s18, s18, exec_lo
	s_and_not1_b32 s69, s69, exec_lo
	s_wait_alu 0xfffe
	s_or_b32 s72, s11, s20
	s_or_b32 s70, s22, s18
                                        ; implicit-def: $vgpr4
	s_and_saveexec_b32 s11, s15
	s_cbranch_execz .LBB19_15
; %bb.110:                              ;   in Loop: Header=BB19_16 Depth=1
	v_dual_mov_b32 v4, 1 :: v_dual_mov_b32 v3, 1
	s_xor_b32 s14, s14, -1
	s_mov_b32 s20, 0
	s_wait_alu 0xfffe
	s_and_saveexec_b32 s13, s14
	s_cbranch_execz .LBB19_119
; %bb.111:                              ;   in Loop: Header=BB19_16 Depth=1
	s_mov_b32 s14, exec_lo
	v_cmpx_ge_i32_e64 s12, v33
	s_wait_alu 0xfffe
	s_xor_b32 s14, exec_lo, s14
	s_cbranch_execz .LBB19_116
; %bb.112:                              ;   in Loop: Header=BB19_16 Depth=1
	ds_load_b32 v1, v7 offset:4096
	v_and_b32_e32 v24, s17, v24
	v_or_b32_e32 v32, s10, v32
	s_wait_dscnt 0x0
	v_cmp_ne_u32_e32 vcc_lo, 0, v1
	s_cbranch_vccnz .LBB19_116
; %bb.113:                              ;   in Loop: Header=BB19_16 Depth=1
	s_and_saveexec_b32 s15, s2
; %bb.114:                              ;   in Loop: Header=BB19_16 Depth=1
	v_mov_b32_e32 v1, s12
	ds_store_b32 v7, v1 offset:4100
; %bb.115:                              ;   in Loop: Header=BB19_16 Depth=1
	s_wait_alu 0xfffe
	s_or_b32 exec_lo, exec_lo, s15
	s_wait_loadcnt_dscnt 0x0
	s_barrier_signal -1
	s_barrier_wait -1
	global_inv scope:SCOPE_SE
.LBB19_116:                             ;   in Loop: Header=BB19_16 Depth=1
	s_wait_alu 0xfffe
	s_or_saveexec_b32 s14, s14
	v_mov_b32_e32 v3, 8
	s_mov_b32 s15, 0
	s_wait_alu 0xfffe
	s_xor_b32 exec_lo, exec_lo, s14
; %bb.117:                              ;   in Loop: Header=BB19_16 Depth=1
	v_subrev_nc_u32_e32 v33, s12, v33
	v_mov_b32_e32 v3, 0
	s_mov_b32 s15, exec_lo
; %bb.118:                              ;   in Loop: Header=BB19_16 Depth=1
	s_or_b32 exec_lo, exec_lo, s14
	s_delay_alu instid0(VALU_DEP_2)
	v_mov_b32_e32 v4, v33
	s_wait_alu 0xfffe
	s_and_b32 s20, s15, exec_lo
.LBB19_119:                             ;   in Loop: Header=BB19_16 Depth=1
	s_wait_alu 0xfffe
	s_or_b32 exec_lo, exec_lo, s13
	s_mov_b32 s12, -1
	s_mov_b32 s18, -1
                                        ; implicit-def: $sgpr14
                                        ; implicit-def: $sgpr15
	s_and_saveexec_b32 s13, s20
	s_wait_alu 0xfffe
	s_xor_b32 s13, exec_lo, s13
	s_cbranch_execz .LBB19_236
; %bb.120:                              ;   in Loop: Header=BB19_16 Depth=1
	v_cmp_eq_u32_e32 vcc_lo, 1, v4
	s_cmp_eq_u32 s19, 1
	s_mov_b32 s21, -1
	s_cselect_b32 s14, -1, 0
                                        ; implicit-def: $sgpr15
	s_wait_alu 0xfffe
	s_and_b32 s20, s14, vcc_lo
                                        ; implicit-def: $sgpr14
	s_wait_alu 0xfffe
	s_and_saveexec_b32 s18, s20
	s_cbranch_execz .LBB19_146
; %bb.121:                              ;   in Loop: Header=BB19_16 Depth=1
	ds_load_b32 v1, v7 offset:4096
	s_wait_loadcnt_dscnt 0x0
	s_barrier_signal -1
	s_barrier_wait -1
	global_inv scope:SCOPE_SE
	v_readfirstlane_b32 s21, v1
	s_and_saveexec_b32 s14, s0
; %bb.122:                              ;   in Loop: Header=BB19_16 Depth=1
	ds_store_b32 v20, v7
; %bb.123:                              ;   in Loop: Header=BB19_16 Depth=1
	s_wait_alu 0xfffe
	s_or_b32 exec_lo, exec_lo, s14
	s_lshl_b32 s14, 1, s74
	v_or_b32_e32 v32, s10, v32
	s_wait_alu 0xfffe
	v_and_or_b32 v24, v24, s17, s14
	s_mov_b32 s14, -1
	s_mov_b32 s15, 0
	s_cmp_gt_i32 s21, 0
	s_mov_b32 s22, 0
	s_mov_b32 s23, -1
	s_wait_loadcnt_dscnt 0x0
	s_barrier_signal -1
	s_barrier_wait -1
	global_inv scope:SCOPE_SE
                                        ; implicit-def: $vgpr15
	s_cbranch_scc1 .LBB19_134
; %bb.124:                              ;   in Loop: Header=BB19_16 Depth=1
	s_mov_b32 s23, 0
                                        ; implicit-def: $vgpr15
	s_and_saveexec_b32 s24, s8
	s_cbranch_execz .LBB19_133
; %bb.125:                              ;   in Loop: Header=BB19_16 Depth=1
	v_dual_mov_b32 v1, v5 :: v_dual_mov_b32 v6, v0
                                        ; implicit-def: $sgpr25
	s_branch .LBB19_128
.LBB19_126:                             ;   in Loop: Header=BB19_128 Depth=2
	s_wait_alu 0xfffe
	s_or_b32 exec_lo, exec_lo, s26
	s_wait_loadcnt_dscnt 0x0
	s_barrier_signal -1
	s_barrier_wait -1
	global_inv scope:SCOPE_SE
	ds_load_b64 v[14:15], v7 offset:3072
	s_mov_b32 s26, -1
	s_mov_b32 s27, -1
	s_wait_loadcnt_dscnt 0x0
	s_barrier_signal -1
	s_barrier_wait -1
	global_inv scope:SCOPE_SE
	v_cmp_ne_u32_e32 vcc_lo, 0, v14
	s_cbranch_vccz .LBB19_131
.LBB19_127:                             ;   in Loop: Header=BB19_128 Depth=2
	s_wait_alu 0xfffe
	s_and_b32 s26, exec_lo, s26
	s_wait_alu 0xfffe
	s_or_b32 s22, s26, s22
	s_and_not1_b32 s25, s25, exec_lo
	s_and_b32 s26, s27, exec_lo
	s_wait_alu 0xfffe
	s_or_b32 s25, s25, s26
	s_and_not1_b32 exec_lo, exec_lo, s22
	s_cbranch_execz .LBB19_132
.LBB19_128:                             ;   Parent Loop BB19_16 Depth=1
                                        ; =>  This Inner Loop Header: Depth=2
	s_mov_b32 s26, exec_lo
	s_delay_alu instid0(VALU_DEP_1)
	v_cmpx_gt_i32_e64 s36, v6
	s_cbranch_execz .LBB19_126
; %bb.129:                              ;   in Loop: Header=BB19_128 Depth=2
	v_ashrrev_i32_e32 v2, 31, v1
	s_delay_alu instid0(VALU_DEP_1) | instskip(NEXT) | instid1(VALU_DEP_1)
	v_lshlrev_b64_e32 v[14:15], 2, v[1:2]
	v_add_co_u32 v14, vcc_lo, s44, v14
	s_wait_alu 0xfffd
	s_delay_alu instid0(VALU_DEP_2) | instskip(SKIP_3) | instid1(VALU_DEP_1)
	v_add_co_ci_u32_e64 v15, null, s45, v15, vcc_lo
	global_load_b32 v14, v[14:15], off
	s_wait_loadcnt 0x0
	v_xor_b32_e32 v2, 0x80000000, v14
	v_and_b32_e32 v2, v2, v32
	s_delay_alu instid0(VALU_DEP_1)
	v_cmp_eq_u32_e32 vcc_lo, v2, v24
	s_and_b32 exec_lo, exec_lo, vcc_lo
	s_cbranch_execz .LBB19_126
; %bb.130:                              ;   in Loop: Header=BB19_128 Depth=2
	ds_store_b64 v7, v[13:14] offset:3072
	s_branch .LBB19_126
.LBB19_131:                             ;   in Loop: Header=BB19_128 Depth=2
	v_add_nc_u32_e32 v6, s53, v6
	v_add_nc_u32_e32 v1, s57, v1
	s_mov_b32 s27, 0
	s_delay_alu instid0(VALU_DEP_2)
	v_cmp_le_i32_e32 vcc_lo, s65, v6
	s_or_not1_b32 s26, vcc_lo, exec_lo
	s_branch .LBB19_127
.LBB19_132:                             ;   in Loop: Header=BB19_16 Depth=1
	s_or_b32 exec_lo, exec_lo, s22
	s_wait_alu 0xfffe
	s_and_b32 s22, s25, exec_lo
.LBB19_133:                             ;   in Loop: Header=BB19_16 Depth=1
	s_wait_alu 0xfffe
	s_or_b32 exec_lo, exec_lo, s24
.LBB19_134:                             ;   in Loop: Header=BB19_16 Depth=1
	s_wait_alu 0xfffe
	s_and_b32 vcc_lo, exec_lo, s23
	s_wait_alu 0xfffe
	s_cbranch_vccz .LBB19_145
; %bb.135:                              ;   in Loop: Header=BB19_16 Depth=1
	s_add_co_i32 s23, s21, s56
                                        ; implicit-def: $vgpr15
	s_wait_alu 0xfffe
	s_abs_i32 s42, s23
	s_wait_alu 0xfffe
	s_mul_u64 s[14:15], s[42:43], s[48:49]
	s_wait_alu 0xfffe
	s_mul_i32 s14, s15, s53
	s_ashr_i32 s15, s23, 31
	s_wait_alu 0xfffe
	s_sub_co_i32 s14, s42, s14
	s_wait_alu 0xfffe
	s_sub_co_i32 s24, s14, s53
	s_cmp_ge_u32 s14, s53
	s_wait_alu 0xfffe
	s_cselect_b32 s14, s24, s14
	s_wait_alu 0xfffe
	s_sub_co_i32 s24, s14, s53
	s_cmp_ge_u32 s14, s53
	s_wait_alu 0xfffe
	s_cselect_b32 s14, s24, s14
	s_wait_alu 0xfffe
	s_xor_b32 s14, s14, s15
	s_wait_alu 0xfffe
	s_sub_co_i32 s14, s15, s14
	s_wait_alu 0xfffe
	s_add_co_i32 s15, s23, s14
	s_mov_b32 s14, exec_lo
	s_wait_alu 0xfffe
	v_cmpx_gt_i32_e64 s15, v0
	s_cbranch_execz .LBB19_144
; %bb.136:                              ;   in Loop: Header=BB19_16 Depth=1
	v_dual_mov_b32 v1, v18 :: v_dual_mov_b32 v2, v0
	s_mov_b32 s23, 0
                                        ; implicit-def: $sgpr24
	s_branch .LBB19_139
.LBB19_137:                             ;   in Loop: Header=BB19_139 Depth=2
	s_wait_alu 0xfffe
	s_or_b32 exec_lo, exec_lo, s25
	s_wait_loadcnt_dscnt 0x0
	s_barrier_signal -1
	s_barrier_wait -1
	global_inv scope:SCOPE_SE
	ds_load_b64 v[14:15], v7 offset:3072
	s_mov_b32 s25, -1
	s_mov_b32 s26, -1
	s_wait_loadcnt_dscnt 0x0
	s_barrier_signal -1
	s_barrier_wait -1
	global_inv scope:SCOPE_SE
	v_cmp_eq_u32_e32 vcc_lo, 0, v14
	s_cbranch_vccnz .LBB19_142
.LBB19_138:                             ;   in Loop: Header=BB19_139 Depth=2
	s_wait_alu 0xfffe
	s_and_b32 s25, exec_lo, s25
	s_wait_alu 0xfffe
	s_or_b32 s23, s25, s23
	s_and_not1_b32 s24, s24, exec_lo
	s_and_b32 s25, s26, exec_lo
	s_wait_alu 0xfffe
	s_or_b32 s24, s24, s25
	s_and_not1_b32 exec_lo, exec_lo, s23
	s_cbranch_execz .LBB19_143
.LBB19_139:                             ;   Parent Loop BB19_16 Depth=1
                                        ; =>  This Inner Loop Header: Depth=2
	s_mov_b32 s25, exec_lo
	s_delay_alu instid0(VALU_DEP_1)
	v_cmpx_gt_i32_e64 s21, v2
	s_cbranch_execz .LBB19_137
; %bb.140:                              ;   in Loop: Header=BB19_139 Depth=2
	ds_load_b32 v14, v1
	s_wait_dscnt 0x0
	v_xor_b32_e32 v6, 0x80000000, v14
	s_delay_alu instid0(VALU_DEP_1) | instskip(NEXT) | instid1(VALU_DEP_1)
	v_and_b32_e32 v6, v6, v32
	v_cmp_eq_u32_e32 vcc_lo, v6, v24
	s_and_b32 exec_lo, exec_lo, vcc_lo
	s_cbranch_execz .LBB19_137
; %bb.141:                              ;   in Loop: Header=BB19_139 Depth=2
	ds_store_b64 v7, v[13:14] offset:3072
	s_branch .LBB19_137
.LBB19_142:                             ;   in Loop: Header=BB19_139 Depth=2
	v_add_nc_u32_e32 v2, s53, v2
	v_add_nc_u32_e32 v1, s55, v1
	s_mov_b32 s26, 0
	s_delay_alu instid0(VALU_DEP_2)
	v_cmp_le_i32_e32 vcc_lo, s15, v2
	s_or_not1_b32 s25, vcc_lo, exec_lo
	s_branch .LBB19_138
.LBB19_143:                             ;   in Loop: Header=BB19_16 Depth=1
	s_or_b32 exec_lo, exec_lo, s23
	s_delay_alu instid0(SALU_CYCLE_1)
	s_and_not1_b32 s15, s22, exec_lo
	s_wait_alu 0xfffe
	s_and_b32 s21, s24, exec_lo
	s_wait_alu 0xfffe
	s_or_b32 s22, s15, s21
.LBB19_144:                             ;   in Loop: Header=BB19_16 Depth=1
	s_or_b32 exec_lo, exec_lo, s14
	s_mov_b32 s14, 0
	s_mov_b32 s15, -1
.LBB19_145:                             ;   in Loop: Header=BB19_16 Depth=1
	s_wait_alu 0xfffe
	s_or_not1_b32 s21, s22, exec_lo
.LBB19_146:                             ;   in Loop: Header=BB19_16 Depth=1
	s_wait_alu 0xfffe
	s_or_b32 exec_lo, exec_lo, s18
	s_mov_b32 s22, 0
	s_and_saveexec_b32 s18, s21
	s_cbranch_execz .LBB19_235
; %bb.147:                              ;   in Loop: Header=BB19_16 Depth=1
	v_dual_mov_b32 v6, 1 :: v_dual_mov_b32 v3, 1
	s_xor_b32 s21, s20, -1
	s_mov_b32 s23, 0
	s_wait_alu 0xfffe
	s_and_saveexec_b32 s20, s21
	s_cbranch_execz .LBB19_156
; %bb.148:                              ;   in Loop: Header=BB19_16 Depth=1
	s_mov_b32 s21, exec_lo
	v_cmpx_ge_i32_e64 s19, v4
	s_wait_alu 0xfffe
	s_xor_b32 s21, exec_lo, s21
	s_cbranch_execz .LBB19_153
; %bb.149:                              ;   in Loop: Header=BB19_16 Depth=1
	ds_load_b32 v1, v7 offset:4096
	s_lshl_b32 s22, 1, s74
	v_or_b32_e32 v32, s10, v32
	s_wait_alu 0xfffe
	v_and_or_b32 v24, v24, s17, s22
	s_wait_dscnt 0x0
	v_cmp_ne_u32_e32 vcc_lo, 0, v1
	s_cbranch_vccnz .LBB19_153
; %bb.150:                              ;   in Loop: Header=BB19_16 Depth=1
	s_and_saveexec_b32 s22, s2
; %bb.151:                              ;   in Loop: Header=BB19_16 Depth=1
	v_mov_b32_e32 v1, s19
	ds_store_b32 v7, v1 offset:4100
; %bb.152:                              ;   in Loop: Header=BB19_16 Depth=1
	s_wait_alu 0xfffe
	s_or_b32 exec_lo, exec_lo, s22
	s_wait_loadcnt_dscnt 0x0
	s_barrier_signal -1
	s_barrier_wait -1
	global_inv scope:SCOPE_SE
.LBB19_153:                             ;   in Loop: Header=BB19_16 Depth=1
	s_wait_alu 0xfffe
	s_or_saveexec_b32 s21, s21
	v_mov_b32_e32 v3, 8
	s_mov_b32 s22, 0
	s_wait_alu 0xfffe
	s_xor_b32 exec_lo, exec_lo, s21
; %bb.154:                              ;   in Loop: Header=BB19_16 Depth=1
	v_subrev_nc_u32_e32 v4, s19, v4
	v_mov_b32_e32 v3, 0
	s_mov_b32 s22, exec_lo
; %bb.155:                              ;   in Loop: Header=BB19_16 Depth=1
	s_or_b32 exec_lo, exec_lo, s21
	s_delay_alu instid0(VALU_DEP_2)
	v_mov_b32_e32 v6, v4
	s_wait_alu 0xfffe
	s_and_b32 s23, s22, exec_lo
.LBB19_156:                             ;   in Loop: Header=BB19_16 Depth=1
	s_wait_alu 0xfffe
	s_or_b32 exec_lo, exec_lo, s20
	s_mov_b32 s22, -1
                                        ; implicit-def: $sgpr20
                                        ; implicit-def: $sgpr21
	s_and_saveexec_b32 s19, s23
	s_cbranch_execz .LBB19_234
; %bb.157:                              ;   in Loop: Header=BB19_16 Depth=1
	v_cmp_eq_u32_e32 vcc_lo, 1, v6
	s_cmp_eq_u32 s16, 1
	s_mov_b32 s24, -1
	s_cselect_b32 s20, -1, 0
                                        ; implicit-def: $sgpr21
	s_wait_alu 0xfffe
	s_and_b32 s23, s20, vcc_lo
                                        ; implicit-def: $sgpr20
	s_wait_alu 0xfffe
	s_and_saveexec_b32 s22, s23
	s_cbranch_execz .LBB19_183
; %bb.158:                              ;   in Loop: Header=BB19_16 Depth=1
	ds_load_b32 v1, v7 offset:4096
	s_wait_loadcnt_dscnt 0x0
	s_barrier_signal -1
	s_barrier_wait -1
	global_inv scope:SCOPE_SE
	v_readfirstlane_b32 s24, v1
	s_and_saveexec_b32 s20, s0
; %bb.159:                              ;   in Loop: Header=BB19_16 Depth=1
	ds_store_b32 v20, v7
; %bb.160:                              ;   in Loop: Header=BB19_16 Depth=1
	s_wait_alu 0xfffe
	s_or_b32 exec_lo, exec_lo, s20
	s_lshl_b32 s20, 2, s74
	v_or_b32_e32 v32, s10, v32
	s_wait_alu 0xfffe
	v_and_or_b32 v24, v24, s17, s20
	s_mov_b32 s20, -1
	s_mov_b32 s21, 0
	s_cmp_gt_i32 s24, 0
	s_mov_b32 s25, 0
	s_mov_b32 s26, -1
	s_wait_loadcnt_dscnt 0x0
	s_barrier_signal -1
	s_barrier_wait -1
	global_inv scope:SCOPE_SE
                                        ; implicit-def: $vgpr15
	s_cbranch_scc1 .LBB19_171
; %bb.161:                              ;   in Loop: Header=BB19_16 Depth=1
	s_mov_b32 s26, 0
                                        ; implicit-def: $vgpr15
	s_and_saveexec_b32 s27, s8
	s_cbranch_execz .LBB19_170
; %bb.162:                              ;   in Loop: Header=BB19_16 Depth=1
	v_dual_mov_b32 v1, v5 :: v_dual_mov_b32 v4, v0
                                        ; implicit-def: $sgpr28
	s_branch .LBB19_165
.LBB19_163:                             ;   in Loop: Header=BB19_165 Depth=2
	s_wait_alu 0xfffe
	s_or_b32 exec_lo, exec_lo, s42
	s_wait_loadcnt_dscnt 0x0
	s_barrier_signal -1
	s_barrier_wait -1
	global_inv scope:SCOPE_SE
	ds_load_b64 v[14:15], v7 offset:3072
	s_mov_b32 s42, -1
	s_mov_b32 s75, -1
	s_wait_loadcnt_dscnt 0x0
	s_barrier_signal -1
	s_barrier_wait -1
	global_inv scope:SCOPE_SE
	v_cmp_ne_u32_e32 vcc_lo, 0, v14
	s_cbranch_vccz .LBB19_168
.LBB19_164:                             ;   in Loop: Header=BB19_165 Depth=2
	s_wait_alu 0xfffe
	s_and_b32 s42, exec_lo, s42
	s_wait_alu 0xfffe
	s_or_b32 s25, s42, s25
	s_and_not1_b32 s28, s28, exec_lo
	s_and_b32 s42, s75, exec_lo
	s_wait_alu 0xfffe
	s_or_b32 s28, s28, s42
	s_and_not1_b32 exec_lo, exec_lo, s25
	s_cbranch_execz .LBB19_169
.LBB19_165:                             ;   Parent Loop BB19_16 Depth=1
                                        ; =>  This Inner Loop Header: Depth=2
	s_mov_b32 s42, exec_lo
	s_delay_alu instid0(VALU_DEP_1)
	v_cmpx_gt_i32_e64 s36, v4
	s_cbranch_execz .LBB19_163
; %bb.166:                              ;   in Loop: Header=BB19_165 Depth=2
	v_ashrrev_i32_e32 v2, 31, v1
	s_delay_alu instid0(VALU_DEP_1) | instskip(NEXT) | instid1(VALU_DEP_1)
	v_lshlrev_b64_e32 v[14:15], 2, v[1:2]
	v_add_co_u32 v14, vcc_lo, s44, v14
	s_wait_alu 0xfffd
	s_delay_alu instid0(VALU_DEP_2) | instskip(SKIP_3) | instid1(VALU_DEP_1)
	v_add_co_ci_u32_e64 v15, null, s45, v15, vcc_lo
	global_load_b32 v14, v[14:15], off
	s_wait_loadcnt 0x0
	v_xor_b32_e32 v2, 0x80000000, v14
	v_and_b32_e32 v2, v2, v32
	s_delay_alu instid0(VALU_DEP_1)
	v_cmp_eq_u32_e32 vcc_lo, v2, v24
	s_and_b32 exec_lo, exec_lo, vcc_lo
	s_cbranch_execz .LBB19_163
; %bb.167:                              ;   in Loop: Header=BB19_165 Depth=2
	ds_store_b64 v7, v[13:14] offset:3072
	s_branch .LBB19_163
.LBB19_168:                             ;   in Loop: Header=BB19_165 Depth=2
	v_add_nc_u32_e32 v4, s53, v4
	v_add_nc_u32_e32 v1, s57, v1
	s_mov_b32 s75, 0
	s_delay_alu instid0(VALU_DEP_2)
	v_cmp_le_i32_e32 vcc_lo, s65, v4
	s_or_not1_b32 s42, vcc_lo, exec_lo
	s_branch .LBB19_164
.LBB19_169:                             ;   in Loop: Header=BB19_16 Depth=1
	s_or_b32 exec_lo, exec_lo, s25
	s_delay_alu instid0(SALU_CYCLE_1)
	s_and_b32 s25, s28, exec_lo
.LBB19_170:                             ;   in Loop: Header=BB19_16 Depth=1
	s_wait_alu 0xfffe
	s_or_b32 exec_lo, exec_lo, s27
.LBB19_171:                             ;   in Loop: Header=BB19_16 Depth=1
	s_wait_alu 0xfffe
	s_and_b32 vcc_lo, exec_lo, s26
	s_wait_alu 0xfffe
	s_cbranch_vccz .LBB19_182
; %bb.172:                              ;   in Loop: Header=BB19_16 Depth=1
	s_add_co_i32 s26, s24, s56
                                        ; implicit-def: $vgpr15
	s_wait_alu 0xfffe
	s_abs_i32 s42, s26
	s_wait_alu 0xfffe
	s_mul_u64 s[20:21], s[42:43], s[48:49]
	s_wait_alu 0xfffe
	s_mul_i32 s20, s21, s53
	s_ashr_i32 s21, s26, 31
	s_wait_alu 0xfffe
	s_sub_co_i32 s20, s42, s20
	s_wait_alu 0xfffe
	s_sub_co_i32 s27, s20, s53
	s_cmp_ge_u32 s20, s53
	s_wait_alu 0xfffe
	s_cselect_b32 s20, s27, s20
	s_wait_alu 0xfffe
	s_sub_co_i32 s27, s20, s53
	s_cmp_ge_u32 s20, s53
	s_wait_alu 0xfffe
	s_cselect_b32 s20, s27, s20
	s_wait_alu 0xfffe
	s_xor_b32 s20, s20, s21
	s_wait_alu 0xfffe
	s_sub_co_i32 s20, s21, s20
	s_wait_alu 0xfffe
	s_add_co_i32 s21, s26, s20
	s_mov_b32 s20, exec_lo
	s_wait_alu 0xfffe
	v_cmpx_gt_i32_e64 s21, v0
	s_cbranch_execz .LBB19_181
; %bb.173:                              ;   in Loop: Header=BB19_16 Depth=1
	v_dual_mov_b32 v1, v18 :: v_dual_mov_b32 v2, v0
	s_mov_b32 s26, 0
                                        ; implicit-def: $sgpr27
	s_branch .LBB19_176
.LBB19_174:                             ;   in Loop: Header=BB19_176 Depth=2
	s_or_b32 exec_lo, exec_lo, s28
	s_wait_loadcnt_dscnt 0x0
	s_barrier_signal -1
	s_barrier_wait -1
	global_inv scope:SCOPE_SE
	ds_load_b64 v[14:15], v7 offset:3072
	s_mov_b32 s28, -1
	s_mov_b32 s42, -1
	s_wait_loadcnt_dscnt 0x0
	s_barrier_signal -1
	s_barrier_wait -1
	global_inv scope:SCOPE_SE
	v_cmp_eq_u32_e32 vcc_lo, 0, v14
	s_cbranch_vccnz .LBB19_179
.LBB19_175:                             ;   in Loop: Header=BB19_176 Depth=2
	s_and_b32 s28, exec_lo, s28
	s_wait_alu 0xfffe
	s_or_b32 s26, s28, s26
	s_and_not1_b32 s27, s27, exec_lo
	s_and_b32 s28, s42, exec_lo
	s_wait_alu 0xfffe
	s_or_b32 s27, s27, s28
	s_and_not1_b32 exec_lo, exec_lo, s26
	s_cbranch_execz .LBB19_180
.LBB19_176:                             ;   Parent Loop BB19_16 Depth=1
                                        ; =>  This Inner Loop Header: Depth=2
	s_mov_b32 s28, exec_lo
	s_delay_alu instid0(VALU_DEP_1)
	v_cmpx_gt_i32_e64 s24, v2
	s_cbranch_execz .LBB19_174
; %bb.177:                              ;   in Loop: Header=BB19_176 Depth=2
	ds_load_b32 v14, v1
	s_wait_dscnt 0x0
	v_xor_b32_e32 v4, 0x80000000, v14
	s_delay_alu instid0(VALU_DEP_1) | instskip(NEXT) | instid1(VALU_DEP_1)
	v_and_b32_e32 v4, v4, v32
	v_cmp_eq_u32_e32 vcc_lo, v4, v24
	s_and_b32 exec_lo, exec_lo, vcc_lo
	s_cbranch_execz .LBB19_174
; %bb.178:                              ;   in Loop: Header=BB19_176 Depth=2
	ds_store_b64 v7, v[13:14] offset:3072
	s_branch .LBB19_174
.LBB19_179:                             ;   in Loop: Header=BB19_176 Depth=2
	v_add_nc_u32_e32 v2, s53, v2
	v_add_nc_u32_e32 v1, s55, v1
	s_mov_b32 s42, 0
	s_delay_alu instid0(VALU_DEP_2)
	v_cmp_le_i32_e32 vcc_lo, s21, v2
	s_or_not1_b32 s28, vcc_lo, exec_lo
	s_branch .LBB19_175
.LBB19_180:                             ;   in Loop: Header=BB19_16 Depth=1
	s_or_b32 exec_lo, exec_lo, s26
	s_delay_alu instid0(SALU_CYCLE_1)
	s_and_not1_b32 s21, s25, exec_lo
	s_wait_alu 0xfffe
	s_and_b32 s24, s27, exec_lo
	s_wait_alu 0xfffe
	s_or_b32 s25, s21, s24
.LBB19_181:                             ;   in Loop: Header=BB19_16 Depth=1
	s_or_b32 exec_lo, exec_lo, s20
	s_mov_b32 s20, 0
	s_mov_b32 s21, -1
.LBB19_182:                             ;   in Loop: Header=BB19_16 Depth=1
	s_wait_alu 0xfffe
	s_or_not1_b32 s24, s25, exec_lo
.LBB19_183:                             ;   in Loop: Header=BB19_16 Depth=1
	s_wait_alu 0xfffe
	s_or_b32 exec_lo, exec_lo, s22
	s_mov_b32 s25, 0
	s_and_saveexec_b32 s22, s24
	s_cbranch_execz .LBB19_233
; %bb.184:                              ;   in Loop: Header=BB19_16 Depth=1
	v_dual_mov_b32 v4, 1 :: v_dual_mov_b32 v3, 1
	s_xor_b32 s24, s23, -1
	s_wait_alu 0xfffe
	s_and_saveexec_b32 s23, s24
	s_cbranch_execz .LBB19_193
; %bb.185:                              ;   in Loop: Header=BB19_16 Depth=1
	s_mov_b32 s24, exec_lo
	v_cmpx_ge_i32_e64 s16, v6
	s_wait_alu 0xfffe
	s_xor_b32 s24, exec_lo, s24
	s_cbranch_execz .LBB19_190
; %bb.186:                              ;   in Loop: Header=BB19_16 Depth=1
	ds_load_b32 v1, v7 offset:4096
	s_lshl_b32 s25, 2, s74
	v_or_b32_e32 v32, s10, v32
	s_wait_alu 0xfffe
	v_and_or_b32 v24, v24, s17, s25
	s_wait_dscnt 0x0
	v_cmp_ne_u32_e32 vcc_lo, 0, v1
	s_cbranch_vccnz .LBB19_190
; %bb.187:                              ;   in Loop: Header=BB19_16 Depth=1
	s_and_saveexec_b32 s17, s2
; %bb.188:                              ;   in Loop: Header=BB19_16 Depth=1
	v_mov_b32_e32 v1, s16
	ds_store_b32 v7, v1 offset:4100
; %bb.189:                              ;   in Loop: Header=BB19_16 Depth=1
	s_wait_alu 0xfffe
	s_or_b32 exec_lo, exec_lo, s17
	s_wait_loadcnt_dscnt 0x0
	s_barrier_signal -1
	s_barrier_wait -1
	global_inv scope:SCOPE_SE
.LBB19_190:                             ;   in Loop: Header=BB19_16 Depth=1
	s_wait_alu 0xfffe
	s_or_saveexec_b32 s17, s24
	v_mov_b32_e32 v3, 8
	s_mov_b32 s24, 0
	s_wait_alu 0xfffe
	s_xor_b32 exec_lo, exec_lo, s17
; %bb.191:                              ;   in Loop: Header=BB19_16 Depth=1
	v_subrev_nc_u32_e32 v6, s16, v6
	v_mov_b32_e32 v3, 0
	s_mov_b32 s24, exec_lo
; %bb.192:                              ;   in Loop: Header=BB19_16 Depth=1
	s_or_b32 exec_lo, exec_lo, s17
	s_delay_alu instid0(VALU_DEP_2)
	v_mov_b32_e32 v4, v6
	s_wait_alu 0xfffe
	s_and_b32 s25, s24, exec_lo
.LBB19_193:                             ;   in Loop: Header=BB19_16 Depth=1
	s_wait_alu 0xfffe
	s_or_b32 exec_lo, exec_lo, s23
	s_mov_b32 s17, -1
                                        ; implicit-def: $sgpr24
                                        ; implicit-def: $sgpr23
	s_and_saveexec_b32 s16, s25
	s_cbranch_execz .LBB19_232
; %bb.194:                              ;   in Loop: Header=BB19_16 Depth=1
	v_cmp_eq_u32_e32 vcc_lo, 1, v4
	s_cmp_eq_u32 s9, 1
	s_mov_b32 s26, -1
	s_cselect_b32 s17, -1, 0
                                        ; implicit-def: $sgpr24
                                        ; implicit-def: $sgpr23
	s_wait_alu 0xfffe
	s_and_b32 s17, s17, vcc_lo
	s_wait_alu 0xfffe
	s_and_saveexec_b32 s25, s17
	s_cbranch_execz .LBB19_220
; %bb.195:                              ;   in Loop: Header=BB19_16 Depth=1
	ds_load_b32 v1, v7 offset:4096
	s_wait_loadcnt_dscnt 0x0
	s_barrier_signal -1
	s_barrier_wait -1
	global_inv scope:SCOPE_SE
	v_readfirstlane_b32 s26, v1
	s_and_saveexec_b32 s23, s0
; %bb.196:                              ;   in Loop: Header=BB19_16 Depth=1
	ds_store_b32 v20, v7
; %bb.197:                              ;   in Loop: Header=BB19_16 Depth=1
	s_wait_alu 0xfffe
	s_or_b32 exec_lo, exec_lo, s23
	v_or_b32_e32 v24, s10, v24
	v_or_b32_e32 v32, s10, v32
	s_mov_b32 s23, -1
	s_mov_b32 s24, 0
	s_cmp_gt_i32 s26, 0
	s_mov_b32 s27, 0
	s_mov_b32 s28, -1
	s_wait_loadcnt_dscnt 0x0
	s_barrier_signal -1
	s_barrier_wait -1
	global_inv scope:SCOPE_SE
                                        ; implicit-def: $vgpr15
	s_cbranch_scc1 .LBB19_208
; %bb.198:                              ;   in Loop: Header=BB19_16 Depth=1
	s_mov_b32 s28, 0
                                        ; implicit-def: $vgpr15
	s_and_saveexec_b32 s42, s8
	s_cbranch_execz .LBB19_207
; %bb.199:                              ;   in Loop: Header=BB19_16 Depth=1
	v_dual_mov_b32 v1, v5 :: v_dual_mov_b32 v6, v0
                                        ; implicit-def: $sgpr75
	s_branch .LBB19_202
.LBB19_200:                             ;   in Loop: Header=BB19_202 Depth=2
	s_wait_alu 0xfffe
	s_or_b32 exec_lo, exec_lo, s76
	s_wait_loadcnt_dscnt 0x0
	s_barrier_signal -1
	s_barrier_wait -1
	global_inv scope:SCOPE_SE
	ds_load_b64 v[14:15], v7 offset:3072
	s_mov_b32 s76, -1
	s_mov_b32 s77, -1
	s_wait_loadcnt_dscnt 0x0
	s_barrier_signal -1
	s_barrier_wait -1
	global_inv scope:SCOPE_SE
	v_cmp_ne_u32_e32 vcc_lo, 0, v14
	s_cbranch_vccz .LBB19_205
.LBB19_201:                             ;   in Loop: Header=BB19_202 Depth=2
	s_wait_alu 0xfffe
	s_and_b32 s76, exec_lo, s76
	s_wait_alu 0xfffe
	s_or_b32 s27, s76, s27
	s_and_not1_b32 s75, s75, exec_lo
	s_and_b32 s76, s77, exec_lo
	s_wait_alu 0xfffe
	s_or_b32 s75, s75, s76
	s_and_not1_b32 exec_lo, exec_lo, s27
	s_cbranch_execz .LBB19_206
.LBB19_202:                             ;   Parent Loop BB19_16 Depth=1
                                        ; =>  This Inner Loop Header: Depth=2
	s_mov_b32 s76, exec_lo
	s_delay_alu instid0(VALU_DEP_1)
	v_cmpx_gt_i32_e64 s36, v6
	s_cbranch_execz .LBB19_200
; %bb.203:                              ;   in Loop: Header=BB19_202 Depth=2
	v_ashrrev_i32_e32 v2, 31, v1
	s_delay_alu instid0(VALU_DEP_1) | instskip(NEXT) | instid1(VALU_DEP_1)
	v_lshlrev_b64_e32 v[14:15], 2, v[1:2]
	v_add_co_u32 v14, vcc_lo, s44, v14
	s_wait_alu 0xfffd
	s_delay_alu instid0(VALU_DEP_2) | instskip(SKIP_3) | instid1(VALU_DEP_1)
	v_add_co_ci_u32_e64 v15, null, s45, v15, vcc_lo
	global_load_b32 v14, v[14:15], off
	s_wait_loadcnt 0x0
	v_xor_b32_e32 v2, 0x80000000, v14
	v_and_b32_e32 v2, v2, v32
	s_delay_alu instid0(VALU_DEP_1)
	v_cmp_eq_u32_e32 vcc_lo, v2, v24
	s_and_b32 exec_lo, exec_lo, vcc_lo
	s_cbranch_execz .LBB19_200
; %bb.204:                              ;   in Loop: Header=BB19_202 Depth=2
	ds_store_b64 v7, v[13:14] offset:3072
	s_branch .LBB19_200
.LBB19_205:                             ;   in Loop: Header=BB19_202 Depth=2
	v_add_nc_u32_e32 v6, s53, v6
	v_add_nc_u32_e32 v1, s57, v1
	s_mov_b32 s77, 0
	s_delay_alu instid0(VALU_DEP_2)
	v_cmp_le_i32_e32 vcc_lo, s65, v6
	s_or_not1_b32 s76, vcc_lo, exec_lo
	s_branch .LBB19_201
.LBB19_206:                             ;   in Loop: Header=BB19_16 Depth=1
	s_or_b32 exec_lo, exec_lo, s27
	s_wait_alu 0xfffe
	s_and_b32 s27, s75, exec_lo
.LBB19_207:                             ;   in Loop: Header=BB19_16 Depth=1
	s_wait_alu 0xfffe
	s_or_b32 exec_lo, exec_lo, s42
.LBB19_208:                             ;   in Loop: Header=BB19_16 Depth=1
	s_delay_alu instid0(SALU_CYCLE_1)
	s_and_b32 vcc_lo, exec_lo, s28
	s_wait_alu 0xfffe
	s_cbranch_vccz .LBB19_219
; %bb.209:                              ;   in Loop: Header=BB19_16 Depth=1
	s_add_co_i32 s24, s26, s56
                                        ; implicit-def: $vgpr15
	s_wait_alu 0xfffe
	s_abs_i32 s42, s24
	s_ashr_i32 s28, s24, 31
	s_wait_alu 0xfffe
	s_mul_u64 s[76:77], s[42:43], s[48:49]
	s_wait_alu 0xfffe
	s_mul_i32 s23, s77, s53
	s_wait_alu 0xfffe
	s_sub_co_i32 s23, s42, s23
	s_wait_alu 0xfffe
	s_sub_co_i32 s42, s23, s53
	s_cmp_ge_u32 s23, s53
	s_wait_alu 0xfffe
	s_cselect_b32 s23, s42, s23
	s_wait_alu 0xfffe
	s_sub_co_i32 s42, s23, s53
	s_cmp_ge_u32 s23, s53
	s_wait_alu 0xfffe
	s_cselect_b32 s23, s42, s23
	s_wait_alu 0xfffe
	s_xor_b32 s23, s23, s28
	s_wait_alu 0xfffe
	s_sub_co_i32 s23, s28, s23
	s_wait_alu 0xfffe
	s_add_co_i32 s24, s24, s23
	s_mov_b32 s23, exec_lo
	s_wait_alu 0xfffe
	v_cmpx_gt_i32_e64 s24, v0
	s_cbranch_execz .LBB19_218
; %bb.210:                              ;   in Loop: Header=BB19_16 Depth=1
	v_dual_mov_b32 v1, v18 :: v_dual_mov_b32 v2, v0
	s_mov_b32 s28, 0
                                        ; implicit-def: $sgpr42
	s_branch .LBB19_213
.LBB19_211:                             ;   in Loop: Header=BB19_213 Depth=2
	s_wait_alu 0xfffe
	s_or_b32 exec_lo, exec_lo, s75
	s_wait_loadcnt_dscnt 0x0
	s_barrier_signal -1
	s_barrier_wait -1
	global_inv scope:SCOPE_SE
	ds_load_b64 v[14:15], v7 offset:3072
	s_mov_b32 s75, -1
	s_mov_b32 s76, -1
	s_wait_loadcnt_dscnt 0x0
	s_barrier_signal -1
	s_barrier_wait -1
	global_inv scope:SCOPE_SE
	v_cmp_eq_u32_e32 vcc_lo, 0, v14
	s_cbranch_vccnz .LBB19_216
.LBB19_212:                             ;   in Loop: Header=BB19_213 Depth=2
	s_wait_alu 0xfffe
	s_and_b32 s75, exec_lo, s75
	s_wait_alu 0xfffe
	s_or_b32 s28, s75, s28
	s_and_not1_b32 s42, s42, exec_lo
	s_and_b32 s75, s76, exec_lo
	s_wait_alu 0xfffe
	s_or_b32 s42, s42, s75
	s_and_not1_b32 exec_lo, exec_lo, s28
	s_cbranch_execz .LBB19_217
.LBB19_213:                             ;   Parent Loop BB19_16 Depth=1
                                        ; =>  This Inner Loop Header: Depth=2
	s_mov_b32 s75, exec_lo
	s_delay_alu instid0(VALU_DEP_1)
	v_cmpx_gt_i32_e64 s26, v2
	s_cbranch_execz .LBB19_211
; %bb.214:                              ;   in Loop: Header=BB19_213 Depth=2
	ds_load_b32 v14, v1
	s_wait_dscnt 0x0
	v_xor_b32_e32 v6, 0x80000000, v14
	s_delay_alu instid0(VALU_DEP_1) | instskip(NEXT) | instid1(VALU_DEP_1)
	v_and_b32_e32 v6, v6, v32
	v_cmp_eq_u32_e32 vcc_lo, v6, v24
	s_and_b32 exec_lo, exec_lo, vcc_lo
	s_cbranch_execz .LBB19_211
; %bb.215:                              ;   in Loop: Header=BB19_213 Depth=2
	ds_store_b64 v7, v[13:14] offset:3072
	s_branch .LBB19_211
.LBB19_216:                             ;   in Loop: Header=BB19_213 Depth=2
	v_add_nc_u32_e32 v2, s53, v2
	v_add_nc_u32_e32 v1, s55, v1
	s_mov_b32 s76, 0
	s_delay_alu instid0(VALU_DEP_2)
	v_cmp_le_i32_e32 vcc_lo, s24, v2
	s_or_not1_b32 s75, vcc_lo, exec_lo
	s_branch .LBB19_212
.LBB19_217:                             ;   in Loop: Header=BB19_16 Depth=1
	s_or_b32 exec_lo, exec_lo, s28
	s_delay_alu instid0(SALU_CYCLE_1)
	s_and_not1_b32 s24, s27, exec_lo
	s_wait_alu 0xfffe
	s_and_b32 s26, s42, exec_lo
	s_wait_alu 0xfffe
	s_or_b32 s27, s24, s26
.LBB19_218:                             ;   in Loop: Header=BB19_16 Depth=1
	s_or_b32 exec_lo, exec_lo, s23
	s_mov_b32 s23, 0
	s_mov_b32 s24, -1
.LBB19_219:                             ;   in Loop: Header=BB19_16 Depth=1
	s_wait_alu 0xfffe
	s_or_not1_b32 s26, s27, exec_lo
.LBB19_220:                             ;   in Loop: Header=BB19_16 Depth=1
	s_wait_alu 0xfffe
	s_or_b32 exec_lo, exec_lo, s25
	s_mov_b32 s27, 0
	s_and_saveexec_b32 s25, s26
	s_cbranch_execz .LBB19_231
; %bb.221:                              ;   in Loop: Header=BB19_16 Depth=1
	v_mov_b32_e32 v3, 1
	v_mov_b32_e32 v1, 1
	s_xor_b32 s26, s17, -1
	s_wait_alu 0xfffe
	s_and_saveexec_b32 s17, s26
	s_cbranch_execz .LBB19_230
; %bb.222:                              ;   in Loop: Header=BB19_16 Depth=1
	s_mov_b32 s26, exec_lo
	v_cmpx_ge_i32_e64 s9, v4
	s_wait_alu 0xfffe
	s_xor_b32 s26, exec_lo, s26
	s_cbranch_execz .LBB19_227
; %bb.223:                              ;   in Loop: Header=BB19_16 Depth=1
	ds_load_b32 v1, v7 offset:4096
	v_or_b32_e32 v24, s10, v24
	v_or_b32_e32 v32, s10, v32
	s_wait_dscnt 0x0
	v_cmp_ne_u32_e32 vcc_lo, 0, v1
	s_cbranch_vccnz .LBB19_227
; %bb.224:                              ;   in Loop: Header=BB19_16 Depth=1
	s_and_saveexec_b32 s10, s2
; %bb.225:                              ;   in Loop: Header=BB19_16 Depth=1
	v_mov_b32_e32 v1, s9
	ds_store_b32 v7, v1 offset:4100
; %bb.226:                              ;   in Loop: Header=BB19_16 Depth=1
	s_wait_alu 0xfffe
	s_or_b32 exec_lo, exec_lo, s10
	s_wait_loadcnt_dscnt 0x0
	s_barrier_signal -1
	s_barrier_wait -1
	global_inv scope:SCOPE_SE
.LBB19_227:                             ;   in Loop: Header=BB19_16 Depth=1
	s_wait_alu 0xfffe
	s_and_not1_saveexec_b32 s10, s26
; %bb.228:                              ;   in Loop: Header=BB19_16 Depth=1
	v_subrev_nc_u32_e32 v4, s9, v4
; %bb.229:                              ;   in Loop: Header=BB19_16 Depth=1
	s_wait_alu 0xfffe
	s_or_b32 exec_lo, exec_lo, s10
	v_mov_b32_e32 v3, 8
	s_delay_alu instid0(VALU_DEP_2)
	v_mov_b32_e32 v1, v4
.LBB19_230:                             ;   in Loop: Header=BB19_16 Depth=1
	s_wait_alu 0xfffe
	s_or_b32 exec_lo, exec_lo, s17
	s_delay_alu instid0(VALU_DEP_1)
	v_mov_b32_e32 v4, v1
	s_mov_b32 s27, exec_lo
.LBB19_231:                             ;   in Loop: Header=BB19_16 Depth=1
	s_wait_alu 0xfffe
	s_or_b32 exec_lo, exec_lo, s25
	s_delay_alu instid0(SALU_CYCLE_1)
	s_or_not1_b32 s17, s27, exec_lo
.LBB19_232:                             ;   in Loop: Header=BB19_16 Depth=1
	s_wait_alu 0xfffe
	s_or_b32 exec_lo, exec_lo, s16
	v_mov_b32_e32 v6, v4
	s_and_not1_b32 s9, s21, exec_lo
	s_and_b32 s10, s24, exec_lo
	s_and_not1_b32 s16, s20, exec_lo
	s_and_b32 s20, s23, exec_lo
	s_wait_alu 0xfffe
	s_or_b32 s21, s9, s10
	s_or_b32 s20, s16, s20
	s_and_b32 s25, s17, exec_lo
.LBB19_233:                             ;   in Loop: Header=BB19_16 Depth=1
	s_wait_alu 0xfffe
	s_or_b32 exec_lo, exec_lo, s22
	s_delay_alu instid0(SALU_CYCLE_1)
	s_or_not1_b32 s22, s25, exec_lo
.LBB19_234:                             ;   in Loop: Header=BB19_16 Depth=1
	s_wait_alu 0xfffe
	s_or_b32 exec_lo, exec_lo, s19
	v_mov_b32_e32 v4, v6
	s_and_not1_b32 s9, s15, exec_lo
	s_and_b32 s10, s21, exec_lo
	s_and_not1_b32 s14, s14, exec_lo
	s_and_b32 s16, s20, exec_lo
	s_wait_alu 0xfffe
	s_or_b32 s15, s9, s10
	s_or_b32 s14, s14, s16
	s_and_b32 s22, s22, exec_lo
.LBB19_235:                             ;   in Loop: Header=BB19_16 Depth=1
	s_wait_alu 0xfffe
	s_or_b32 exec_lo, exec_lo, s18
	s_delay_alu instid0(SALU_CYCLE_1)
	s_or_not1_b32 s18, s22, exec_lo
.LBB19_236:                             ;   in Loop: Header=BB19_16 Depth=1
	s_wait_alu 0xfffe
	s_or_b32 exec_lo, exec_lo, s13
	s_mov_b32 s10, 0
                                        ; implicit-def: $sgpr21
	s_and_saveexec_b32 s9, s18
	s_wait_alu 0xfffe
	s_xor_b32 s9, exec_lo, s9
	s_cbranch_execz .LBB19_14
; %bb.237:                              ;   in Loop: Header=BB19_16 Depth=1
	v_and_b32_e32 v1, 7, v3
	s_mov_b32 s12, -1
	s_mov_b32 s10, -1
	s_mov_b32 s13, exec_lo
                                        ; implicit-def: $sgpr21
	s_delay_alu instid0(VALU_DEP_1)
	v_cmpx_eq_u32_e32 0, v1
	s_cbranch_execz .LBB19_13
; %bb.238:                              ;   in Loop: Header=BB19_16 Depth=1
	s_add_co_i32 s21, s74, -2
	s_cmp_eq_u32 s74, 0
	v_xor_b32_e32 v31, 1, v31
	s_cselect_b32 s12, -1, 0
	s_xor_b32 s10, exec_lo, -1
	s_wait_alu 0xfffe
	s_or_not1_b32 s12, s12, exec_lo
	s_branch .LBB19_13
.LBB19_239:
	s_or_b32 exec_lo, exec_lo, s37
	s_xor_b32 s4, s73, -1
	s_xor_b32 s0, s71, -1
	;; [unrolled: 1-line block ×3, first 2 shown]
	s_mov_b32 s1, 0
	s_and_saveexec_b32 s5, s0
	s_delay_alu instid0(SALU_CYCLE_1)
	s_xor_b32 s0, exec_lo, s5
	s_cbranch_execnz .LBB19_244
; %bb.240:
	s_and_not1_saveexec_b32 s0, s0
	s_cbranch_execnz .LBB19_264
.LBB19_241:
	s_or_b32 exec_lo, exec_lo, s0
	s_and_saveexec_b32 s0, s1
.LBB19_242:
	; divergent unreachable
.LBB19_243:
	s_endpgm
.LBB19_244:
	s_and_saveexec_b32 s1, s4
	s_delay_alu instid0(SALU_CYCLE_1)
	s_xor_b32 s1, exec_lo, s1
	s_cbranch_execz .LBB19_262
; %bb.245:
	s_wait_alu 0xfffe
	s_and_saveexec_b32 s4, s3
	s_delay_alu instid0(SALU_CYCLE_1)
	s_xor_b32 s3, exec_lo, s4
; %bb.246:
	v_xor_b32_e32 v15, 0x80000000, v24
; %bb.247:
	s_wait_alu 0xfffe
	s_or_b32 exec_lo, exec_lo, s3
	s_and_saveexec_b32 s3, s2
; %bb.248:
	v_dual_mov_b32 v1, 0 :: v_dual_mov_b32 v2, s36
	ds_store_b32 v1, v2 offset:4108
; %bb.249:
	s_wait_alu 0xfffe
	s_or_b32 exec_lo, exec_lo, s3
	v_mov_b32_e32 v1, 0
	s_wait_loadcnt_dscnt 0x0
	s_barrier_signal -1
	s_barrier_wait -1
	global_inv scope:SCOPE_SE
	ds_load_b32 v1, v1 offset:4108
	s_mov_b32 s3, exec_lo
	s_wait_dscnt 0x0
	v_min_i32_e32 v1, s36, v1
	s_delay_alu instid0(VALU_DEP_1)
	v_cmpx_lt_i32_e64 v0, v1
	s_cbranch_execz .LBB19_259
; %bb.250:
	s_mov_b32 s4, 0
                                        ; implicit-def: $sgpr5
                                        ; implicit-def: $sgpr7
                                        ; implicit-def: $sgpr6
	s_branch .LBB19_252
.LBB19_251:                             ;   in Loop: Header=BB19_252 Depth=1
	s_wait_alu 0xfffe
	s_or_b32 exec_lo, exec_lo, s8
	s_delay_alu instid0(SALU_CYCLE_1)
	s_and_b32 s8, exec_lo, s7
	s_wait_alu 0xfffe
	s_or_b32 s4, s8, s4
	s_and_not1_b32 s5, s5, exec_lo
	s_and_b32 s8, s6, exec_lo
	s_wait_alu 0xfffe
	s_or_b32 s5, s5, s8
	s_and_not1_b32 exec_lo, exec_lo, s4
	s_cbranch_execz .LBB19_254
.LBB19_252:                             ; =>This Inner Loop Header: Depth=1
	v_ashrrev_i32_e32 v6, 31, v5
	s_or_b32 s6, s6, exec_lo
	s_or_b32 s7, s7, exec_lo
	s_mov_b32 s8, exec_lo
	s_delay_alu instid0(VALU_DEP_1) | instskip(NEXT) | instid1(VALU_DEP_1)
	v_lshlrev_b64_e32 v[2:3], 2, v[5:6]
	v_add_co_u32 v2, vcc_lo, s44, v2
	s_wait_alu 0xfffd
	s_delay_alu instid0(VALU_DEP_2)
	v_add_co_ci_u32_e64 v3, null, s45, v3, vcc_lo
	global_load_b32 v3, v[2:3], off
	v_mov_b32_e32 v2, v0
                                        ; implicit-def: $vgpr0
	s_wait_loadcnt 0x0
	v_cmpx_ne_u32_e64 v3, v15
	s_cbranch_execz .LBB19_251
; %bb.253:                              ;   in Loop: Header=BB19_252 Depth=1
	s_delay_alu instid0(VALU_DEP_2) | instskip(SKIP_3) | instid1(VALU_DEP_2)
	v_add_nc_u32_e32 v0, s53, v2
	v_add_nc_u32_e32 v5, s57, v5
	s_and_not1_b32 s7, s7, exec_lo
	s_and_not1_b32 s6, s6, exec_lo
	v_cmp_ge_i32_e32 vcc_lo, v0, v1
	s_and_b32 s9, vcc_lo, exec_lo
	s_wait_alu 0xfffe
	s_or_b32 s7, s7, s9
	s_branch .LBB19_251
.LBB19_254:
	s_or_b32 exec_lo, exec_lo, s4
	s_and_saveexec_b32 s4, s5
	s_delay_alu instid0(SALU_CYCLE_1)
	s_xor_b32 s4, exec_lo, s4
	s_cbranch_execz .LBB19_259
; %bb.255:
	s_mov_b32 s5, exec_lo
	s_brev_b32 s4, -2
.LBB19_256:                             ; =>This Inner Loop Header: Depth=1
	s_ctz_i32_b32 s6, s5
	s_wait_alu 0xfffe
	v_readlane_b32 s7, v2, s6
	s_lshl_b32 s6, 1, s6
	s_wait_alu 0xfffe
	s_and_not1_b32 s5, s5, s6
	s_min_i32 s4, s4, s7
	s_cmp_lg_u32 s5, 0
	s_cbranch_scc1 .LBB19_256
; %bb.257:
	v_mbcnt_lo_u32_b32 v0, exec_lo, 0
	s_mov_b32 s5, exec_lo
	s_delay_alu instid0(VALU_DEP_1)
	v_cmpx_eq_u32_e32 0, v0
	s_xor_b32 s5, exec_lo, s5
; %bb.258:
	v_dual_mov_b32 v0, 0 :: v_dual_mov_b32 v1, s4
	ds_min_i32 v0, v1 offset:4108
.LBB19_259:
	s_wait_alu 0xfffe
	s_or_b32 exec_lo, exec_lo, s3
	s_wait_loadcnt_dscnt 0x0
	s_barrier_signal -1
	s_barrier_wait -1
	global_inv scope:SCOPE_SE
	s_and_saveexec_b32 s3, s2
	s_cbranch_execz .LBB19_261
; %bb.260:
	v_mov_b32_e32 v2, 0
	s_mul_i32 s5, s52, s33
	s_mul_i32 s2, s30, s38
	s_wait_alu 0xfffe
	s_add_co_i32 s6, s5, s31
	s_add_co_i32 s4, s2, s29
	ds_load_b32 v0, v2 offset:4108
	s_wait_alu 0xfffe
	s_ashr_i32 s7, s6, 31
	s_ashr_i32 s5, s4, 31
	s_wait_alu 0xfffe
	s_lshl_b64 s[6:7], s[6:7], 3
	s_lshl_b64 s[4:5], s[4:5], 2
	s_wait_alu 0xfffe
	s_add_nc_u64 s[6:7], s[40:41], s[6:7]
	s_add_nc_u64 s[4:5], s[34:35], s[4:5]
	s_wait_dscnt 0x0
	v_ashrrev_i32_e32 v1, 31, v0
	s_clause 0x1
	global_store_b64 v2, v[0:1], s[6:7]
	global_store_b32 v2, v15, s[4:5]
.LBB19_261:
	s_wait_alu 0xfffe
	s_or_b32 exec_lo, exec_lo, s3
.LBB19_262:
	s_or_saveexec_b32 s1, s1
	s_mov_b32 s2, 0
	s_xor_b32 exec_lo, exec_lo, s1
	s_cbranch_execnz .LBB19_265
.LBB19_263:
	s_or_b32 exec_lo, exec_lo, s1
	s_wait_alu 0xfffe
	s_and_b32 s1, s2, exec_lo
	s_and_not1_saveexec_b32 s0, s0
	s_cbranch_execz .LBB19_241
.LBB19_264:
	s_or_b32 s1, s1, exec_lo
	s_trap 2
	s_or_b32 exec_lo, exec_lo, s0
	s_and_saveexec_b32 s0, s1
	s_cbranch_execnz .LBB19_242
	s_branch .LBB19_243
.LBB19_265:
	s_mov_b32 s2, exec_lo
	s_trap 2
	s_branch .LBB19_263
	.section	.rodata,"a",@progbits
	.p2align	6, 0x0
	.amdhsa_kernel _ZN2at6native12_GLOBAL__N_114gatherKthValueIiiLin1EEEvNS_4cuda6detail10TensorInfoIKT_T0_EES8_S8_S8_S8_NS5_IS6_S8_EENS5_IlS8_EE
		.amdhsa_group_segment_fixed_size 4112
		.amdhsa_private_segment_fixed_size 0
		.amdhsa_kernarg_size 920
		.amdhsa_user_sgpr_count 2
		.amdhsa_user_sgpr_dispatch_ptr 0
		.amdhsa_user_sgpr_queue_ptr 0
		.amdhsa_user_sgpr_kernarg_segment_ptr 1
		.amdhsa_user_sgpr_dispatch_id 0
		.amdhsa_user_sgpr_private_segment_size 0
		.amdhsa_wavefront_size32 1
		.amdhsa_uses_dynamic_stack 0
		.amdhsa_enable_private_segment 0
		.amdhsa_system_sgpr_workgroup_id_x 1
		.amdhsa_system_sgpr_workgroup_id_y 1
		.amdhsa_system_sgpr_workgroup_id_z 1
		.amdhsa_system_sgpr_workgroup_info 0
		.amdhsa_system_vgpr_workitem_id 0
		.amdhsa_next_free_vgpr 44
		.amdhsa_next_free_sgpr 82
		.amdhsa_reserve_vcc 1
		.amdhsa_float_round_mode_32 0
		.amdhsa_float_round_mode_16_64 0
		.amdhsa_float_denorm_mode_32 3
		.amdhsa_float_denorm_mode_16_64 3
		.amdhsa_fp16_overflow 0
		.amdhsa_workgroup_processor_mode 1
		.amdhsa_memory_ordered 1
		.amdhsa_forward_progress 1
		.amdhsa_inst_pref_size 90
		.amdhsa_round_robin_scheduling 0
		.amdhsa_exception_fp_ieee_invalid_op 0
		.amdhsa_exception_fp_denorm_src 0
		.amdhsa_exception_fp_ieee_div_zero 0
		.amdhsa_exception_fp_ieee_overflow 0
		.amdhsa_exception_fp_ieee_underflow 0
		.amdhsa_exception_fp_ieee_inexact 0
		.amdhsa_exception_int_div_zero 0
	.end_amdhsa_kernel
	.section	.text._ZN2at6native12_GLOBAL__N_114gatherKthValueIiiLin1EEEvNS_4cuda6detail10TensorInfoIKT_T0_EES8_S8_S8_S8_NS5_IS6_S8_EENS5_IlS8_EE,"axG",@progbits,_ZN2at6native12_GLOBAL__N_114gatherKthValueIiiLin1EEEvNS_4cuda6detail10TensorInfoIKT_T0_EES8_S8_S8_S8_NS5_IS6_S8_EENS5_IlS8_EE,comdat
.Lfunc_end19:
	.size	_ZN2at6native12_GLOBAL__N_114gatherKthValueIiiLin1EEEvNS_4cuda6detail10TensorInfoIKT_T0_EES8_S8_S8_S8_NS5_IS6_S8_EENS5_IlS8_EE, .Lfunc_end19-_ZN2at6native12_GLOBAL__N_114gatherKthValueIiiLin1EEEvNS_4cuda6detail10TensorInfoIKT_T0_EES8_S8_S8_S8_NS5_IS6_S8_EENS5_IlS8_EE
                                        ; -- End function
	.set _ZN2at6native12_GLOBAL__N_114gatherKthValueIiiLin1EEEvNS_4cuda6detail10TensorInfoIKT_T0_EES8_S8_S8_S8_NS5_IS6_S8_EENS5_IlS8_EE.num_vgpr, 44
	.set _ZN2at6native12_GLOBAL__N_114gatherKthValueIiiLin1EEEvNS_4cuda6detail10TensorInfoIKT_T0_EES8_S8_S8_S8_NS5_IS6_S8_EENS5_IlS8_EE.num_agpr, 0
	.set _ZN2at6native12_GLOBAL__N_114gatherKthValueIiiLin1EEEvNS_4cuda6detail10TensorInfoIKT_T0_EES8_S8_S8_S8_NS5_IS6_S8_EENS5_IlS8_EE.numbered_sgpr, 82
	.set _ZN2at6native12_GLOBAL__N_114gatherKthValueIiiLin1EEEvNS_4cuda6detail10TensorInfoIKT_T0_EES8_S8_S8_S8_NS5_IS6_S8_EENS5_IlS8_EE.num_named_barrier, 0
	.set _ZN2at6native12_GLOBAL__N_114gatherKthValueIiiLin1EEEvNS_4cuda6detail10TensorInfoIKT_T0_EES8_S8_S8_S8_NS5_IS6_S8_EENS5_IlS8_EE.private_seg_size, 0
	.set _ZN2at6native12_GLOBAL__N_114gatherKthValueIiiLin1EEEvNS_4cuda6detail10TensorInfoIKT_T0_EES8_S8_S8_S8_NS5_IS6_S8_EENS5_IlS8_EE.uses_vcc, 1
	.set _ZN2at6native12_GLOBAL__N_114gatherKthValueIiiLin1EEEvNS_4cuda6detail10TensorInfoIKT_T0_EES8_S8_S8_S8_NS5_IS6_S8_EENS5_IlS8_EE.uses_flat_scratch, 0
	.set _ZN2at6native12_GLOBAL__N_114gatherKthValueIiiLin1EEEvNS_4cuda6detail10TensorInfoIKT_T0_EES8_S8_S8_S8_NS5_IS6_S8_EENS5_IlS8_EE.has_dyn_sized_stack, 0
	.set _ZN2at6native12_GLOBAL__N_114gatherKthValueIiiLin1EEEvNS_4cuda6detail10TensorInfoIKT_T0_EES8_S8_S8_S8_NS5_IS6_S8_EENS5_IlS8_EE.has_recursion, 0
	.set _ZN2at6native12_GLOBAL__N_114gatherKthValueIiiLin1EEEvNS_4cuda6detail10TensorInfoIKT_T0_EES8_S8_S8_S8_NS5_IS6_S8_EENS5_IlS8_EE.has_indirect_call, 0
	.section	.AMDGPU.csdata,"",@progbits
; Kernel info:
; codeLenInByte = 11472
; TotalNumSgprs: 84
; NumVgprs: 44
; ScratchSize: 0
; MemoryBound: 0
; FloatMode: 240
; IeeeMode: 1
; LDSByteSize: 4112 bytes/workgroup (compile time only)
; SGPRBlocks: 0
; VGPRBlocks: 5
; NumSGPRsForWavesPerEU: 84
; NumVGPRsForWavesPerEU: 44
; Occupancy: 16
; WaveLimiterHint : 1
; COMPUTE_PGM_RSRC2:SCRATCH_EN: 0
; COMPUTE_PGM_RSRC2:USER_SGPR: 2
; COMPUTE_PGM_RSRC2:TRAP_HANDLER: 0
; COMPUTE_PGM_RSRC2:TGID_X_EN: 1
; COMPUTE_PGM_RSRC2:TGID_Y_EN: 1
; COMPUTE_PGM_RSRC2:TGID_Z_EN: 1
; COMPUTE_PGM_RSRC2:TIDIG_COMP_CNT: 0
	.section	.text._ZN2at6native12_GLOBAL__N_114gatherKthValueIilLi1EEEvNS_4cuda6detail10TensorInfoIKT_T0_EES8_S8_S8_S8_NS5_IS6_S8_EENS5_IlS8_EE,"axG",@progbits,_ZN2at6native12_GLOBAL__N_114gatherKthValueIilLi1EEEvNS_4cuda6detail10TensorInfoIKT_T0_EES8_S8_S8_S8_NS5_IS6_S8_EENS5_IlS8_EE,comdat
	.globl	_ZN2at6native12_GLOBAL__N_114gatherKthValueIilLi1EEEvNS_4cuda6detail10TensorInfoIKT_T0_EES8_S8_S8_S8_NS5_IS6_S8_EENS5_IlS8_EE ; -- Begin function _ZN2at6native12_GLOBAL__N_114gatherKthValueIilLi1EEEvNS_4cuda6detail10TensorInfoIKT_T0_EES8_S8_S8_S8_NS5_IS6_S8_EENS5_IlS8_EE
	.p2align	8
	.type	_ZN2at6native12_GLOBAL__N_114gatherKthValueIilLi1EEEvNS_4cuda6detail10TensorInfoIKT_T0_EES8_S8_S8_S8_NS5_IS6_S8_EENS5_IlS8_EE,@function
_ZN2at6native12_GLOBAL__N_114gatherKthValueIilLi1EEEvNS_4cuda6detail10TensorInfoIKT_T0_EES8_S8_S8_S8_NS5_IS6_S8_EENS5_IlS8_EE: ; @_ZN2at6native12_GLOBAL__N_114gatherKthValueIilLi1EEEvNS_4cuda6detail10TensorInfoIKT_T0_EES8_S8_S8_S8_NS5_IS6_S8_EENS5_IlS8_EE
; %bb.0:
	s_clause 0x1
	s_load_b64 s[8:9], s[0:1], 0x500
	s_load_b256 s[36:43], s[0:1], 0x1a0
	s_lshr_b32 s2, ttmp7, 16
	s_and_b32 s3, ttmp7, 0xffff
	s_mov_b32 s27, 0
	s_wait_kmcnt 0x0
	s_mul_i32 s2, s9, s2
	s_delay_alu instid0(SALU_CYCLE_1) | instskip(NEXT) | instid1(SALU_CYCLE_1)
	s_add_co_i32 s2, s2, s3
	s_mul_i32 s2, s2, s8
	s_delay_alu instid0(SALU_CYCLE_1) | instskip(NEXT) | instid1(SALU_CYCLE_1)
	s_add_co_i32 s26, s2, ttmp9
	v_cmp_le_i64_e64 s2, s[40:41], s[26:27]
	s_and_b32 vcc_lo, exec_lo, s2
	s_cbranch_vccnz .LBB20_268
; %bb.1:
	s_clause 0x1
	s_load_b64 s[10:11], s[0:1], 0xd0
	s_load_b64 s[4:5], s[0:1], 0x0
	v_cmp_eq_u32_e64 s2, 0, v0
	s_add_nc_u64 s[6:7], s[0:1], 0x500
	s_and_saveexec_b32 s3, s2
	s_cbranch_execz .LBB20_3
; %bb.2:
	v_dual_mov_b32 v1, 0 :: v_dual_mov_b32 v4, s37
	s_delay_alu instid0(VALU_DEP_1)
	v_dual_mov_b32 v3, s36 :: v_dual_mov_b32 v2, v1
	ds_store_b32 v1, v1 offset:5136
	ds_store_b128 v1, v[1:4] offset:5120
.LBB20_3:
	s_or_b32 exec_lo, exec_lo, s3
	v_mad_co_u64_u32 v[2:3], null, s42, v0, 0
	s_wait_kmcnt 0x0
	s_mul_u64 s[10:11], s[10:11], s[26:27]
	s_clause 0x3
	s_load_b64 s[34:35], s[0:1], 0x430
	s_load_b64 s[28:29], s[0:1], 0x360
	;; [unrolled: 1-line block ×4, first 2 shown]
	s_lshl_b64 s[10:11], s[10:11], 2
	s_wait_dscnt 0x0
	s_add_nc_u64 s[48:49], s[4:5], s[10:11]
	s_barrier_signal -1
	v_dual_mov_b32 v1, v3 :: v_dual_lshlrev_b32 v14, 2, v0
	s_barrier_wait -1
	v_mbcnt_lo_u32_b32 v32, -1, 0
	global_inv scope:SCOPE_SE
	s_load_b32 s5, s[6:7], 0xc
	v_dual_mov_b32 v26, s38 :: v_dual_lshlrev_b32 v35, 4, v0
	v_mad_co_u64_u32 v[3:4], null, s43, v0, v[1:2]
	v_lshlrev_b64_e64 v[6:7], v32, -1
	s_delay_alu instid0(VALU_DEP_3)
	v_or_b32_e32 v7, 12, v35
	v_or_b32_e32 v9, 8, v35
	v_cmp_gt_u32_e32 vcc_lo, 32, v0
	v_cmp_gt_i32_e64 s0, 4, v32
	v_or_b32_e32 v12, 4, v35
	v_lshlrev_b64_e32 v[4:5], 2, v[2:3]
	v_mad_co_u64_u32 v[16:17], null, s42, v7, 0
	v_mad_co_u64_u32 v[18:19], null, s42, v9, 0
	s_and_b32 s33, vcc_lo, s0
	v_add_co_u32 v10, vcc_lo, s48, v4
	v_mad_co_u64_u32 v[20:21], null, s42, v12, 0
	v_dual_mov_b32 v13, 0 :: v_dual_mov_b32 v4, v17
	v_add_co_ci_u32_e64 v11, null, s49, v5, vcc_lo
	v_mov_b32_e32 v5, v19
	s_wait_kmcnt 0x0
	s_and_b32 s44, s5, 0xffff
	s_bfe_u32 s5, s5, 0xb0005
	s_cmp_gt_u32 s44, 31
	v_mov_b32_e32 v1, v13
	s_cselect_b32 s81, -1, 0
	s_cmp_lt_u32 ttmp9, s8
	v_mad_co_u64_u32 v[7:8], null, s43, v7, v[4:5]
	v_not_b32_e32 v34, v6
	s_cselect_b32 s24, 12, 18
	s_add_co_i32 s8, s5, -1
	v_mov_b32_e32 v6, v21
	s_and_b32 s8, s8, 0xffff
	s_bfe_u32 s82, s44, 0x30005
	s_cmp_gt_u32 s8, 6
	s_mov_b32 s25, 0
	v_mad_co_u64_u32 v[4:5], null, s43, v9, v[5:6]
	s_cselect_b32 s83, -1, 0
	s_and_b32 s84, s5, 0x7f8
	v_mad_co_u64_u32 v[5:6], null, s43, v12, v[6:7]
	s_cmp_lg_u32 s82, 0
	s_movk_i32 s8, 0x3e0
	s_cselect_b32 s85, -1, 0
	s_lshl_b64 s[54:55], s[42:43], 2
	v_add_co_u32 v39, s5, s36, v0
	v_mul_lo_u32 v42, 0, s54
	v_cmp_lt_i64_e64 s80, 0x300, s[36:37]
	v_cmp_gt_u64_e64 s4, s[36:37], v[0:1]
	v_cmp_gt_i64_e64 s0, s[36:37], v[0:1]
	s_mov_b32 s45, s25
	v_lshlrev_b64_e32 v[21:22], 4, v[2:3]
	v_cmp_eq_u32_e64 s1, 0, v32
	v_cmp_gt_u32_e64 s3, 2, v0
	v_dual_mov_b32 v36, v7 :: v_dual_add_nc_u32 v33, 0xc00, v14
	v_dual_mov_b32 v15, v13 :: v_dual_mov_b32 v38, v5
	v_and_or_b32 v17, v0, s8, 0xc00
	v_mov_b32_e32 v37, v4
	v_add_co_ci_u32_e64 v40, null, s37, 0, s5
	v_lshl_or_b32 v41, v32, 3, 0xc00
	v_mov_b32_e32 v27, s39
	v_mov_b32_e32 v23, 1
	;; [unrolled: 1-line block ×5, first 2 shown]
	s_add_nc_u64 s[50:51], s[44:45], -1
	s_mul_u64 s[8:9], s[42:43], s[44:45]
	s_add_nc_u64 s[52:53], s[50:51], s[36:37]
	s_lshl_b64 s[56:57], s[42:43], 4
	s_wait_alu 0xfffe
	s_lshl_b64 s[46:47], s[8:9], 2
	s_lshl_b32 s86, s44, 2
	s_mov_b32 s87, 30
	s_add_nc_u64 s[38:39], s[6:7], s[24:25]
	s_mov_b32 s88, 0
	s_mov_b32 s89, 0
                                        ; implicit-def: $sgpr93
                                        ; implicit-def: $sgpr95
                                        ; implicit-def: $sgpr90
                                        ; implicit-def: $sgpr92
                                        ; implicit-def: $sgpr94
                                        ; implicit-def: $sgpr91
	s_branch .LBB20_7
.LBB20_4:                               ;   in Loop: Header=BB20_7 Depth=1
	s_wait_alu 0xfffe
	s_or_b32 exec_lo, exec_lo, s8
	s_delay_alu instid0(SALU_CYCLE_1)
	s_and_b32 s6, s6, exec_lo
	s_and_not1_b32 s22, s22, exec_lo
	s_and_not1_b32 s21, s21, exec_lo
	s_or_not1_b32 s18, s7, exec_lo
.LBB20_5:                               ;   in Loop: Header=BB20_7 Depth=1
	s_wait_alu 0xfffe
	s_or_b32 exec_lo, exec_lo, s5
	s_delay_alu instid0(SALU_CYCLE_1)
	s_and_not1_b32 s5, s91, exec_lo
	s_and_b32 s6, s6, exec_lo
	s_and_not1_b32 s7, s92, exec_lo
	s_wait_alu 0xfffe
	s_or_b32 s91, s5, s6
	s_and_not1_b32 s5, s94, exec_lo
	s_and_b32 s6, s22, exec_lo
	s_and_b32 s8, s21, exec_lo
	s_wait_alu 0xfffe
	s_or_b32 s94, s5, s6
	s_or_b32 s92, s7, s8
	s_or_not1_b32 s18, s18, exec_lo
.LBB20_6:                               ;   in Loop: Header=BB20_7 Depth=1
	s_wait_alu 0xfffe
	s_or_b32 exec_lo, exec_lo, s17
	s_delay_alu instid0(SALU_CYCLE_1)
	s_and_b32 s5, exec_lo, s18
	v_dual_mov_b32 v27, v7 :: v_dual_mov_b32 v26, v6
	s_wait_alu 0xfffe
	s_or_b32 s88, s5, s88
	s_and_not1_b32 s5, s90, exec_lo
	s_and_b32 s6, s91, exec_lo
	s_and_not1_b32 s7, s95, exec_lo
	s_wait_alu 0xfffe
	s_or_b32 s90, s5, s6
	s_and_b32 s5, s94, exec_lo
	s_and_not1_b32 s6, s93, exec_lo
	s_and_b32 s8, s92, exec_lo
	s_wait_alu 0xfffe
	s_or_b32 s95, s7, s5
	s_or_b32 s93, s6, s8
	s_and_not1_b32 exec_lo, exec_lo, s88
	s_cbranch_execz .LBB20_264
.LBB20_7:                               ; =>This Loop Header: Depth=1
                                        ;     Child Loop BB20_13 Depth 2
                                        ;     Child Loop BB20_26 Depth 2
	;; [unrolled: 1-line block ×16, first 2 shown]
	ds_load_b128 v[2:5], v13 offset:5120
	s_wait_dscnt 0x0
	v_readfirstlane_b32 s59, v3
	v_readfirstlane_b32 s58, v2
	s_wait_alu 0xf1ff
	s_delay_alu instid0(VALU_DEP_1)
	v_cmp_gt_i64_e64 s5, s[58:59], 0
	s_and_b32 vcc_lo, exec_lo, s5
	s_wait_alu 0xfffe
	s_cbranch_vccnz .LBB20_34
; %bb.8:                                ;   in Loop: Header=BB20_7 Depth=1
	s_and_b32 vcc_lo, exec_lo, s80
	s_wait_alu 0xfffe
	s_cbranch_vccz .LBB20_21
; %bb.9:                                ;   in Loop: Header=BB20_7 Depth=1
	v_cmp_gt_i64_e32 vcc_lo, 0x301, v[4:5]
	s_mov_b32 s7, 0
	s_mov_b32 s5, 0
	s_cbranch_vccz .LBB20_22
; %bb.10:                               ;   in Loop: Header=BB20_7 Depth=1
	s_and_saveexec_b32 s8, s4
	s_cbranch_execz .LBB20_68
; %bb.11:                               ;   in Loop: Header=BB20_7 Depth=1
	global_load_u16 v2, v13, s[38:39]
	global_load_b32 v7, v[10:11], off
	s_mov_b32 s9, 0
	s_wait_loadcnt 0x1
	v_and_b32_e32 v6, 0xffff, v2
	s_delay_alu instid0(VALU_DEP_1) | instskip(SKIP_2) | instid1(VALU_DEP_3)
	v_add_nc_u32_e32 v4, v0, v6
	v_mul_lo_u32 v5, v6, s55
	v_mul_hi_u32 v9, v6, s54
	v_mad_co_u64_u32 v[2:3], null, s54, v4, s[48:49]
	s_delay_alu instid0(VALU_DEP_1) | instskip(NEXT) | instid1(VALU_DEP_4)
	v_mad_co_u64_u32 v[3:4], null, s55, v4, v[3:4]
	v_add_nc_u32_e32 v4, v5, v42
	s_delay_alu instid0(VALU_DEP_1)
	v_add_nc_u32_e32 v9, v4, v9
	v_mov_b32_e32 v5, v1
	v_mul_lo_u32 v8, v6, s54
	v_mov_b32_e32 v4, v0
	s_branch .LBB20_13
.LBB20_12:                              ;   in Loop: Header=BB20_13 Depth=2
	s_wait_alu 0xfffe
	s_or_b32 exec_lo, exec_lo, s6
	v_add_co_u32 v2, vcc_lo, v2, v8
	s_wait_alu 0xfffd
	v_add_co_ci_u32_e64 v3, null, v3, v9, vcc_lo
	v_mov_b32_e32 v7, v12
	s_and_not1_b32 exec_lo, exec_lo, s9
	s_cbranch_execz .LBB20_68
.LBB20_13:                              ;   Parent Loop BB20_7 Depth=1
                                        ; =>  This Inner Loop Header: Depth=2
	s_delay_alu instid0(VALU_DEP_1)
	v_add_co_u32 v4, vcc_lo, v4, v6
	s_wait_alu 0xfffd
	v_add_co_ci_u32_e64 v5, null, 0, v5, vcc_lo
	s_wait_dscnt 0x0
	v_mov_b32_e32 v24, 0
	v_mov_b32_e32 v12, 0
	s_mov_b32 s6, exec_lo
	v_cmp_le_i64_e32 vcc_lo, s[36:37], v[4:5]
	v_cmpx_gt_i64_e64 s[36:37], v[4:5]
	s_cbranch_execz .LBB20_15
; %bb.14:                               ;   in Loop: Header=BB20_13 Depth=2
	global_load_b32 v12, v[2:3], off
.LBB20_15:                              ;   in Loop: Header=BB20_13 Depth=2
	s_wait_alu 0xfffe
	s_or_b32 exec_lo, exec_lo, s6
	s_wait_loadcnt 0x0
	v_xor_b32_e32 v28, 0x80000000, v7
	s_delay_alu instid0(VALU_DEP_1) | instskip(NEXT) | instid1(VALU_DEP_1)
	v_and_b32_e32 v28, v28, v43
	v_cmp_eq_u32_e64 s5, v28, v19
	s_cmp_lg_u32 s5, 0
	s_cselect_b32 s6, -1, 0
	s_wait_alu 0xfffe
	s_and_b32 s6, s1, s6
	s_wait_alu 0xfffe
	s_and_saveexec_b32 s10, s6
	s_cbranch_execz .LBB20_19
; %bb.16:                               ;   in Loop: Header=BB20_13 Depth=2
	s_mov_b32 s13, exec_lo
	s_bcnt1_i32_b32 s11, s5
	s_wait_alu 0xfffe
	v_mbcnt_lo_u32_b32 v24, s13, 0
	s_mov_b32 s12, exec_lo
                                        ; implicit-def: $vgpr28
	s_delay_alu instid0(VALU_DEP_1)
	v_cmpx_eq_u32_e32 0, v24
; %bb.17:                               ;   in Loop: Header=BB20_13 Depth=2
	s_bcnt1_i32_b32 s6, s13
	s_wait_alu 0xfffe
	s_mul_i32 s6, s11, s6
	s_wait_alu 0xfffe
	v_mov_b32_e32 v28, s6
	ds_add_rtn_u32 v28, v13, v28 offset:5136
; %bb.18:                               ;   in Loop: Header=BB20_13 Depth=2
	s_or_b32 exec_lo, exec_lo, s12
	s_wait_dscnt 0x0
	v_readfirstlane_b32 s6, v28
	s_wait_alu 0xf1ff
	s_delay_alu instid0(VALU_DEP_1)
	v_mad_u32_u24 v24, s11, v24, s6
.LBB20_19:                              ;   in Loop: Header=BB20_13 Depth=2
	s_wait_alu 0xfffe
	s_or_b32 exec_lo, exec_lo, s10
	ds_bpermute_b32 v24, v13, v24
	s_and_b32 s6, exec_lo, vcc_lo
	s_wait_alu 0xfffe
	s_or_b32 s9, s6, s9
	s_and_saveexec_b32 s6, s5
	s_cbranch_execz .LBB20_12
; %bb.20:                               ;   in Loop: Header=BB20_13 Depth=2
	v_and_b32_e32 v28, s5, v34
	s_delay_alu instid0(VALU_DEP_1) | instskip(NEXT) | instid1(VALU_DEP_1)
	v_bcnt_u32_b32 v28, v28, 0
	v_lshlrev_b32_e32 v28, 2, v28
	s_wait_dscnt 0x0
	s_delay_alu instid0(VALU_DEP_1)
	v_lshl_add_u32 v24, v24, 2, v28
	ds_store_b32 v24, v7
	s_branch .LBB20_12
.LBB20_21:                              ;   in Loop: Header=BB20_7 Depth=1
	s_mov_b32 s7, -1
	s_mov_b32 s5, 0
.LBB20_22:                              ;   in Loop: Header=BB20_7 Depth=1
	s_wait_alu 0xfffe
	s_and_b32 vcc_lo, exec_lo, s7
	s_wait_alu 0xfffe
	s_cbranch_vccz .LBB20_32
.LBB20_23:                              ;   in Loop: Header=BB20_7 Depth=1
	s_and_saveexec_b32 s6, s0
	s_cbranch_execz .LBB20_29
; %bb.24:                               ;   in Loop: Header=BB20_7 Depth=1
	global_load_u16 v2, v13, s[38:39]
	global_load_b32 v8, v[10:11], off
	s_mov_b32 s7, exec_lo
	s_wait_loadcnt 0x1
	v_dual_mov_b32 v2, v0 :: v_dual_and_b32 v9, 0xffff, v2
	s_delay_alu instid0(VALU_DEP_1) | instskip(NEXT) | instid1(VALU_DEP_1)
	v_add_nc_u32_e32 v12, v9, v0
	v_cmpx_gt_i64_e64 s[36:37], v[12:13]
	s_cbranch_execz .LBB20_28
; %bb.25:                               ;   in Loop: Header=BB20_7 Depth=1
	v_mul_lo_u32 v5, v9, s55
	v_mad_co_u64_u32 v[2:3], null, s54, v12, s[48:49]
	v_mul_hi_u32 v6, v9, s54
	v_mul_lo_u32 v24, v9, s54
	s_mov_b32 s8, 0
	s_delay_alu instid0(VALU_DEP_4) | instskip(NEXT) | instid1(VALU_DEP_4)
	v_add_nc_u32_e32 v7, v5, v42
	v_mad_co_u64_u32 v[3:4], null, s55, v12, v[3:4]
	v_dual_mov_b32 v4, v12 :: v_dual_mov_b32 v5, v13
	s_delay_alu instid0(VALU_DEP_3)
	v_dual_mov_b32 v7, v1 :: v_dual_add_nc_u32 v12, v7, v6
	v_mov_b32_e32 v6, v0
.LBB20_26:                              ;   Parent Loop BB20_7 Depth=1
                                        ; =>  This Inner Loop Header: Depth=2
	global_load_b32 v28, v[2:3], off
	v_dual_mov_b32 v30, v5 :: v_dual_mov_b32 v29, v4
	v_lshlrev_b32_e32 v6, 2, v6
	s_delay_alu instid0(VALU_DEP_2) | instskip(SKIP_1) | instid1(VALU_DEP_3)
	v_add_co_u32 v4, vcc_lo, v29, v9
	s_wait_alu 0xfffd
	v_add_co_ci_u32_e64 v5, null, 0, v30, vcc_lo
	v_add_co_u32 v2, vcc_lo, v2, v24
	s_wait_alu 0xfffd
	v_add_co_ci_u32_e64 v3, null, v3, v12, vcc_lo
	s_delay_alu instid0(VALU_DEP_3)
	v_cmp_le_i64_e64 s5, s[36:37], v[4:5]
	s_wait_loadcnt 0x1
	ds_store_b32 v6, v8
	v_dual_mov_b32 v6, v29 :: v_dual_mov_b32 v7, v30
	s_wait_alu 0xfffe
	s_or_b32 s8, s5, s8
	s_wait_loadcnt 0x0
	v_mov_b32_e32 v8, v28
	s_wait_alu 0xfffe
	s_and_not1_b32 exec_lo, exec_lo, s8
	s_cbranch_execnz .LBB20_26
; %bb.27:                               ;   in Loop: Header=BB20_7 Depth=1
	s_or_b32 exec_lo, exec_lo, s8
	v_sub_nc_u32_e32 v2, v4, v9
	v_mov_b32_e32 v8, v28
.LBB20_28:                              ;   in Loop: Header=BB20_7 Depth=1
	s_wait_alu 0xfffe
	s_or_b32 exec_lo, exec_lo, s7
	s_delay_alu instid0(VALU_DEP_2)
	v_lshlrev_b32_e32 v2, 2, v2
	s_wait_loadcnt 0x0
	ds_store_b32 v2, v8
.LBB20_29:                              ;   in Loop: Header=BB20_7 Depth=1
	s_wait_alu 0xfffe
	s_or_b32 exec_lo, exec_lo, s6
	s_wait_loadcnt_dscnt 0x0
	s_barrier_signal -1
	s_barrier_wait -1
	global_inv scope:SCOPE_SE
	s_and_saveexec_b32 s5, s2
; %bb.30:                               ;   in Loop: Header=BB20_7 Depth=1
	v_dual_mov_b32 v2, s36 :: v_dual_mov_b32 v3, s37
	ds_store_b64 v13, v[2:3] offset:5120
; %bb.31:                               ;   in Loop: Header=BB20_7 Depth=1
	s_wait_alu 0xfffe
	s_or_b32 exec_lo, exec_lo, s5
	s_mov_b32 s5, -1
	s_wait_loadcnt_dscnt 0x0
	s_barrier_signal -1
	s_barrier_wait -1
.LBB20_32:                              ;   in Loop: Header=BB20_7 Depth=1
	s_wait_alu 0xfffe
	s_and_b32 vcc_lo, exec_lo, s5
	s_wait_alu 0xfffe
	s_cbranch_vccz .LBB20_34
; %bb.33:                               ;   in Loop: Header=BB20_7 Depth=1
	s_wait_loadcnt 0x0
	global_inv scope:SCOPE_SE
	ds_load_b64 v[2:3], v13 offset:5120
	s_wait_dscnt 0x0
	v_readfirstlane_b32 s58, v2
.LBB20_34:                              ;   in Loop: Header=BB20_7 Depth=1
	s_delay_alu instid0(VALU_DEP_1)
	s_cmp_lt_i32 s58, 1
	s_mov_b32 s5, -1
                                        ; implicit-def: $vgpr2_vgpr3
                                        ; implicit-def: $vgpr6_vgpr7
	s_cbranch_scc1 .LBB20_44
; %bb.35:                               ;   in Loop: Header=BB20_7 Depth=1
	s_wait_alu 0xfffe
	s_and_b32 vcc_lo, exec_lo, s5
	s_wait_alu 0xfffe
	s_cbranch_vccnz .LBB20_58
.LBB20_36:                              ;   in Loop: Header=BB20_7 Depth=1
	s_lshl_b32 s5, s89, 7
	s_and_saveexec_b32 s6, s1
	s_cbranch_execz .LBB20_38
.LBB20_37:                              ;   in Loop: Header=BB20_7 Depth=1
	s_wait_alu 0xfffe
	v_lshl_add_u32 v12, s5, 3, v17
	ds_store_b128 v12, v[2:5]
	ds_store_b128 v12, v[6:9] offset:16
.LBB20_38:                              ;   in Loop: Header=BB20_7 Depth=1
	s_wait_alu 0xfffe
	s_or_b32 exec_lo, exec_lo, s6
	s_wait_loadcnt_dscnt 0x0
	s_barrier_signal -1
	s_barrier_wait -1
	global_inv scope:SCOPE_SE
	s_and_saveexec_b32 s6, s33
	s_cbranch_execz .LBB20_75
; %bb.39:                               ;   in Loop: Header=BB20_7 Depth=1
	v_mov_b32_e32 v2, 0
	v_mov_b32_e32 v3, 0
	s_and_not1_b32 vcc_lo, exec_lo, s81
	s_wait_alu 0xfffe
	s_cbranch_vccnz .LBB20_74
; %bb.40:                               ;   in Loop: Header=BB20_7 Depth=1
	v_mov_b32_e32 v2, 0
	v_mov_b32_e32 v3, 0
	s_and_not1_b32 vcc_lo, exec_lo, s83
	s_wait_alu 0xfffe
	s_cbranch_vccnz .LBB20_71
; %bb.41:                               ;   in Loop: Header=BB20_7 Depth=1
	v_lshl_add_u32 v4, s89, 10, v41
	s_mov_b32 s7, 0
.LBB20_42:                              ;   Parent Loop BB20_7 Depth=1
                                        ; =>  This Inner Loop Header: Depth=2
	ds_load_2addr_b64 v[5:8], v4 offset1:4
	ds_load_2addr_b64 v[28:31], v4 offset0:8 offset1:12
	ds_load_2addr_b64 v[44:47], v4 offset0:16 offset1:20
	s_wait_alu 0xfffe
	s_add_co_i32 s7, s7, 8
	s_wait_alu 0xfffe
	s_cmp_eq_u32 s84, s7
	s_wait_dscnt 0x2
	v_add_co_u32 v2, vcc_lo, v5, v2
	s_wait_alu 0xfffd
	v_add_co_ci_u32_e64 v3, null, v6, v3, vcc_lo
	s_delay_alu instid0(VALU_DEP_2) | instskip(SKIP_1) | instid1(VALU_DEP_2)
	v_add_co_u32 v2, vcc_lo, v7, v2
	s_wait_alu 0xfffd
	v_add_co_ci_u32_e64 v3, null, v8, v3, vcc_lo
	ds_load_2addr_b64 v[5:8], v4 offset0:24 offset1:28
	s_wait_dscnt 0x2
	v_add_co_u32 v2, vcc_lo, v28, v2
	s_wait_alu 0xfffd
	v_add_co_ci_u32_e64 v3, null, v29, v3, vcc_lo
	v_add_nc_u32_e32 v4, 0x100, v4
	s_delay_alu instid0(VALU_DEP_3) | instskip(SKIP_1) | instid1(VALU_DEP_3)
	v_add_co_u32 v2, vcc_lo, v30, v2
	s_wait_alu 0xfffd
	v_add_co_ci_u32_e64 v3, null, v31, v3, vcc_lo
	s_wait_dscnt 0x1
	s_delay_alu instid0(VALU_DEP_2) | instskip(SKIP_1) | instid1(VALU_DEP_2)
	v_add_co_u32 v2, vcc_lo, v44, v2
	s_wait_alu 0xfffd
	v_add_co_ci_u32_e64 v3, null, v45, v3, vcc_lo
	s_delay_alu instid0(VALU_DEP_2) | instskip(SKIP_1) | instid1(VALU_DEP_2)
	v_add_co_u32 v2, vcc_lo, v46, v2
	s_wait_alu 0xfffd
	v_add_co_ci_u32_e64 v3, null, v47, v3, vcc_lo
	s_wait_dscnt 0x0
	s_delay_alu instid0(VALU_DEP_2) | instskip(SKIP_1) | instid1(VALU_DEP_2)
	v_add_co_u32 v2, vcc_lo, v5, v2
	s_wait_alu 0xfffd
	v_add_co_ci_u32_e64 v3, null, v6, v3, vcc_lo
	s_delay_alu instid0(VALU_DEP_2) | instskip(SKIP_1) | instid1(VALU_DEP_2)
	v_add_co_u32 v2, vcc_lo, v7, v2
	s_wait_alu 0xfffd
	v_add_co_ci_u32_e64 v3, null, v8, v3, vcc_lo
	s_cbranch_scc0 .LBB20_42
; %bb.43:                               ;   in Loop: Header=BB20_7 Depth=1
	s_mov_b32 s7, s84
	s_and_not1_b32 vcc_lo, exec_lo, s85
	s_wait_alu 0xfffe
	s_cbranch_vccz .LBB20_72
	s_branch .LBB20_74
.LBB20_44:                              ;   in Loop: Header=BB20_7 Depth=1
	global_load_u16 v2, v13, s[38:39]
	s_mov_b32 s6, s25
	s_mov_b32 s7, s37
	s_wait_loadcnt 0x0
	v_readfirstlane_b32 s5, v2
	s_wait_alu 0xfffe
	s_and_b32 s60, s5, 0xffff
	s_wait_alu 0xfffe
	s_lshl_b32 s62, s60, 2
	s_cmp_lg_u64 s[6:7], 0
	s_cbranch_scc0 .LBB20_67
; %bb.45:                               ;   in Loop: Header=BB20_7 Depth=1
	s_mov_b32 s63, s25
	s_wait_alu 0xfffe
	s_add_nc_u64 s[6:7], s[62:63], 0
	s_wait_alu 0xfffe
	s_xor_b64 s[6:7], s[6:7], 0
	s_wait_alu 0xfffe
	s_cvt_f32_u32 s5, s6
	s_cvt_f32_u32 s8, s7
	s_sub_nc_u64 s[10:11], 0, s[6:7]
	s_wait_alu 0xfffe
	s_delay_alu instid0(SALU_CYCLE_1) | instskip(SKIP_1) | instid1(SALU_CYCLE_2)
	s_fmamk_f32 s5, s8, 0x4f800000, s5
	s_wait_alu 0xfffe
	v_s_rcp_f32 s5, s5
	s_delay_alu instid0(TRANS32_DEP_1) | instskip(SKIP_1) | instid1(SALU_CYCLE_2)
	s_mul_f32 s5, s5, 0x5f7ffffc
	s_wait_alu 0xfffe
	s_mul_f32 s8, s5, 0x2f800000
	s_wait_alu 0xfffe
	s_delay_alu instid0(SALU_CYCLE_2) | instskip(SKIP_1) | instid1(SALU_CYCLE_2)
	s_trunc_f32 s8, s8
	s_wait_alu 0xfffe
	s_fmamk_f32 s5, s8, 0xcf800000, s5
	s_cvt_u32_f32 s9, s8
	s_wait_alu 0xfffe
	s_delay_alu instid0(SALU_CYCLE_1) | instskip(SKIP_1) | instid1(SALU_CYCLE_2)
	s_cvt_u32_f32 s8, s5
	s_wait_alu 0xfffe
	s_mul_u64 s[12:13], s[10:11], s[8:9]
	s_wait_alu 0xfffe
	s_mul_hi_u32 s15, s8, s13
	s_mul_i32 s14, s8, s13
	s_mul_hi_u32 s24, s8, s12
	s_mul_i32 s16, s9, s12
	s_wait_alu 0xfffe
	s_add_nc_u64 s[14:15], s[24:25], s[14:15]
	s_mul_hi_u32 s5, s9, s12
	s_mul_hi_u32 s17, s9, s13
	s_mul_i32 s12, s9, s13
	s_add_co_u32 s13, s14, s16
	s_wait_alu 0xfffe
	s_add_co_ci_u32 s24, s15, s5
	s_add_co_ci_u32 s13, s17, 0
	s_wait_alu 0xfffe
	s_add_nc_u64 s[12:13], s[24:25], s[12:13]
	s_wait_alu 0xfffe
	s_add_co_u32 s8, s8, s12
	s_cselect_b32 s5, -1, 0
	s_wait_alu 0xfffe
	s_cmp_lg_u32 s5, 0
	s_add_co_ci_u32 s9, s9, s13
	s_wait_alu 0xfffe
	s_mul_u64 s[10:11], s[10:11], s[8:9]
	s_wait_alu 0xfffe
	s_mul_hi_u32 s13, s8, s11
	s_mul_i32 s12, s8, s11
	s_mul_hi_u32 s24, s8, s10
	s_mul_i32 s14, s9, s10
	s_wait_alu 0xfffe
	s_add_nc_u64 s[12:13], s[24:25], s[12:13]
	s_mul_hi_u32 s5, s9, s10
	s_mul_hi_u32 s15, s9, s11
	s_mul_i32 s10, s9, s11
	s_wait_alu 0xfffe
	s_add_co_u32 s11, s12, s14
	s_add_co_ci_u32 s24, s13, s5
	s_add_co_ci_u32 s11, s15, 0
	s_wait_alu 0xfffe
	s_add_nc_u64 s[10:11], s[24:25], s[10:11]
	s_wait_alu 0xfffe
	s_add_co_u32 s5, s8, s10
	s_cselect_b32 s8, -1, 0
	s_wait_alu 0xfffe
	s_cmp_lg_u32 s8, 0
	s_add_co_ci_u32 s14, s9, s11
	s_ashr_i32 s8, s37, 31
	s_wait_alu 0xfffe
	s_mov_b32 s9, s8
	s_wait_alu 0xfffe
	s_add_nc_u64 s[10:11], s[36:37], s[8:9]
	s_wait_alu 0xfffe
	s_xor_b64 s[10:11], s[10:11], s[8:9]
	s_wait_alu 0xfffe
	s_mul_hi_u32 s13, s10, s14
	s_mul_i32 s12, s10, s14
	s_mul_hi_u32 s24, s10, s5
	s_mul_hi_u32 s16, s11, s5
	s_mul_i32 s5, s11, s5
	s_wait_alu 0xfffe
	s_add_nc_u64 s[12:13], s[24:25], s[12:13]
	s_mul_hi_u32 s15, s11, s14
	s_wait_alu 0xfffe
	s_add_co_u32 s5, s12, s5
	s_add_co_ci_u32 s24, s13, s16
	s_mul_i32 s14, s11, s14
	s_add_co_ci_u32 s15, s15, 0
	s_wait_alu 0xfffe
	s_add_nc_u64 s[12:13], s[24:25], s[14:15]
	s_wait_alu 0xfffe
	s_mul_u64 s[12:13], s[6:7], s[12:13]
	s_wait_alu 0xfffe
	s_sub_co_u32 s5, s10, s12
	s_cselect_b32 s10, -1, 0
	s_sub_co_i32 s12, s11, s13
	s_wait_alu 0xfffe
	s_cmp_lg_u32 s10, 0
	s_sub_co_ci_u32 s12, s12, s7
	s_sub_co_u32 s14, s5, s6
	s_cselect_b32 s15, -1, 0
	s_delay_alu instid0(SALU_CYCLE_1)
	s_cmp_lg_u32 s15, 0
	s_wait_alu 0xfffe
	s_sub_co_ci_u32 s16, s12, 0
	s_wait_alu 0xfffe
	s_cmp_ge_u32 s16, s7
	s_cselect_b32 s17, -1, 0
	s_cmp_ge_u32 s14, s6
	s_cselect_b32 s18, -1, 0
	s_cmp_eq_u32 s16, s7
	s_wait_alu 0xfffe
	s_cselect_b32 s17, s18, s17
	s_cmp_lg_u32 s15, 0
	s_sub_co_ci_u32 s12, s12, s7
	s_sub_co_u32 s15, s14, s6
	s_cselect_b32 s18, -1, 0
	s_delay_alu instid0(SALU_CYCLE_1)
	s_cmp_lg_u32 s18, 0
	s_wait_alu 0xfffe
	s_sub_co_ci_u32 s12, s12, 0
	s_cmp_lg_u32 s17, 0
	s_cselect_b32 s14, s15, s14
	s_wait_alu 0xfffe
	s_cselect_b32 s12, s12, s16
	s_cmp_lg_u32 s10, 0
	s_sub_co_ci_u32 s10, s11, s13
	s_wait_alu 0xfffe
	s_cmp_ge_u32 s10, s7
	s_cselect_b32 s11, -1, 0
	s_cmp_ge_u32 s5, s6
	s_cselect_b32 s6, -1, 0
	s_cmp_eq_u32 s10, s7
	s_wait_alu 0xfffe
	s_cselect_b32 s6, s6, s11
	s_wait_alu 0xfffe
	s_cmp_lg_u32 s6, 0
	s_cselect_b32 s7, s12, s10
	s_cselect_b32 s6, s14, s5
	s_wait_alu 0xfffe
	s_xor_b64 s[6:7], s[6:7], s[8:9]
	s_wait_alu 0xfffe
	s_sub_nc_u64 s[64:65], s[6:7], s[8:9]
	s_cbranch_execnz .LBB20_47
.LBB20_46:                              ;   in Loop: Header=BB20_7 Depth=1
	s_wait_alu 0xfffe
	v_cvt_f32_u32_e32 v2, s62
	s_sub_co_i32 s6, 0, s62
	s_delay_alu instid0(VALU_DEP_1) | instskip(NEXT) | instid1(TRANS32_DEP_1)
	v_rcp_iflag_f32_e32 v2, v2
	v_mul_f32_e32 v2, 0x4f7ffffe, v2
	s_delay_alu instid0(VALU_DEP_1) | instskip(NEXT) | instid1(VALU_DEP_1)
	v_cvt_u32_f32_e32 v2, v2
	v_readfirstlane_b32 s5, v2
	s_wait_alu 0xfffe
	s_mul_i32 s6, s6, s5
	s_wait_alu 0xfffe
	s_mul_hi_u32 s6, s5, s6
	s_wait_alu 0xfffe
	s_add_co_i32 s5, s5, s6
	s_wait_alu 0xfffe
	s_mul_hi_u32 s5, s36, s5
	s_wait_alu 0xfffe
	s_mul_i32 s5, s5, s62
	s_wait_alu 0xfffe
	s_sub_co_i32 s5, s36, s5
	s_wait_alu 0xfffe
	s_sub_co_i32 s6, s5, s62
	s_cmp_ge_u32 s5, s62
	s_wait_alu 0xfffe
	s_cselect_b32 s5, s6, s5
	s_wait_alu 0xfffe
	s_sub_co_i32 s6, s5, s62
	s_cmp_ge_u32 s5, s62
	s_wait_alu 0xfffe
	s_cselect_b32 s24, s6, s5
	s_wait_alu 0xfffe
	s_mov_b64 s[64:65], s[24:25]
.LBB20_47:                              ;   in Loop: Header=BB20_7 Depth=1
	v_mov_b32_e32 v2, 0
	v_dual_mov_b32 v6, 0 :: v_dual_mov_b32 v3, 0
	v_dual_mov_b32 v4, 0 :: v_dual_mov_b32 v7, 0
	;; [unrolled: 1-line block ×3, first 2 shown]
	v_mov_b32_e32 v9, 0
	s_wait_alu 0xfffe
	s_sub_nc_u64 s[66:67], s[36:37], s[64:65]
	s_mov_b32 s61, s25
	s_mov_b32 s59, exec_lo
	s_wait_alu 0xfffe
	v_cmpx_gt_i64_e64 s[66:67], v[14:15]
	s_cbranch_execz .LBB20_51
; %bb.48:                               ;   in Loop: Header=BB20_7 Depth=1
	v_dual_mov_b32 v29, v15 :: v_dual_mov_b32 v28, v14
	s_mul_u64 s[68:69], s[56:57], s[60:61]
	s_mov_b64 s[70:71], 0
	s_mov_b32 s63, 0
	s_mov_b64 s[72:73], s[48:49]
	s_mov_b64 s[74:75], 0
	;; [unrolled: 1-line block ×4, first 2 shown]
.LBB20_49:                              ;   Parent Loop BB20_7 Depth=1
                                        ; =>  This Inner Loop Header: Depth=2
	s_wait_alu 0xfffe
	v_add_co_u32 v2, vcc_lo, s72, v21
	s_wait_alu 0xfffd
	v_add_co_ci_u32_e64 v3, null, s73, v22, vcc_lo
	v_add_co_u32 v4, vcc_lo, s72, v20
	s_wait_alu 0xfffd
	v_add_co_ci_u32_e64 v5, null, s73, v38, vcc_lo
	;; [unrolled: 3-line block ×4, first 2 shown]
	s_clause 0x3
	global_load_b32 v2, v[2:3], off
	global_load_b32 v3, v[4:5], off
	;; [unrolled: 1-line block ×4, first 2 shown]
	v_add_co_u32 v28, vcc_lo, v28, s62
	s_wait_alu 0xfffd
	v_add_co_ci_u32_e64 v29, null, 0, v29, vcc_lo
	s_add_nc_u64 s[72:73], s[72:73], s[68:69]
	v_cmp_le_i64_e32 vcc_lo, s[66:67], v[28:29]
	s_wait_loadcnt 0x3
	v_xor_b32_e32 v2, 0x80000000, v2
	s_wait_loadcnt 0x2
	v_xor_b32_e32 v3, 0x80000000, v3
	;; [unrolled: 2-line block ×4, first 2 shown]
	v_and_b32_e32 v6, v2, v43
	v_bfe_u32 v2, v2, s87, 2
	v_and_b32_e32 v7, v3, v43
	v_bfe_u32 v3, v3, s87, 2
	;; [unrolled: 2-line block ×3, first 2 shown]
	v_cmp_eq_u32_e64 s5, v6, v19
	v_cmp_eq_u32_e64 s9, 0, v2
	v_and_b32_e32 v9, v5, v43
	v_bfe_u32 v5, v5, s87, 2
	v_cmp_eq_u32_e64 s6, v7, v19
	v_cmp_eq_u32_e64 s10, 0, v3
	v_cmp_eq_u32_e64 s7, v8, v19
	v_cmp_eq_u32_e64 s11, 0, v4
	s_and_b32 s9, s5, s9
	v_cmp_eq_u32_e64 s8, v9, v19
	v_cmp_eq_u32_e64 s12, 0, v5
	;; [unrolled: 1-line block ×5, first 2 shown]
	s_wait_alu 0xfffe
	v_cndmask_b32_e64 v2, 0, 1, s9
	s_and_b32 s9, s6, s10
	v_cmp_eq_u32_e64 s14, 1, v3
	v_cmp_eq_u32_e64 s18, 2, v3
	v_cmp_eq_u32_e64 s22, 3, v3
	s_wait_alu 0xfffe
	v_cndmask_b32_e64 v3, 0, 1, s9
	s_and_b32 s9, s7, s11
	v_cmp_eq_u32_e64 s15, 1, v4
	v_cmp_eq_u32_e64 s19, 2, v4
	v_cmp_eq_u32_e64 s23, 3, v4
	;; [unrolled: 6-line block ×3, first 2 shown]
	s_wait_alu 0xfffe
	v_cndmask_b32_e64 v5, 0, 1, s9
	s_and_b32 s9, s5, s13
	s_wait_alu 0xfffe
	v_cndmask_b32_e64 v6, 0, 1, s9
	s_and_b32 s9, s6, s14
	;; [unrolled: 3-line block ×4, first 2 shown]
	v_cmp_ne_u32_e64 s10, 0, v7
	s_wait_alu 0xfffe
	v_cndmask_b32_e64 v9, 0, 1, s9
	s_and_b32 s9, s5, s17
	s_and_b32 s5, s5, s21
	s_wait_alu 0xfffe
	v_cndmask_b32_e64 v12, 0, 1, s9
	v_cndmask_b32_e64 v44, 0, 1, s5
	s_and_b32 s5, s6, s22
	s_and_b32 s9, s6, s18
	s_wait_alu 0xfffe
	v_cndmask_b32_e64 v45, 0, 1, s5
	s_and_b32 s5, s7, s23
	v_cndmask_b32_e64 v24, 0, 1, s9
	s_and_b32 s9, s7, s19
	s_wait_alu 0xfffe
	v_cndmask_b32_e64 v46, 0, 1, s5
	s_and_b32 s5, s8, s24
	v_cndmask_b32_e64 v30, 0, 1, s9
	s_and_b32 s9, s8, s20
	s_wait_alu 0xfffe
	v_cndmask_b32_e64 v47, 0, 1, s5
	v_cmp_ne_u32_e64 s5, 0, v2
	v_cmp_ne_u32_e64 s6, 0, v3
	v_cndmask_b32_e64 v31, 0, 1, s9
	v_cmp_ne_u32_e64 s7, 0, v4
	v_cmp_ne_u32_e64 s9, 0, v6
	;; [unrolled: 1-line block ×6, first 2 shown]
	s_bcnt1_i32_b32 s5, s5
	s_bcnt1_i32_b32 s6, s6
	v_cmp_ne_u32_e64 s12, 0, v9
	v_cmp_ne_u32_e64 s15, 0, v30
	;; [unrolled: 1-line block ×4, first 2 shown]
	s_bcnt1_i32_b32 s7, s7
	s_bcnt1_i32_b32 s9, s9
	s_bcnt1_i32_b32 s10, s10
	s_wait_alu 0xfffe
	s_add_co_i32 s5, s6, s5
	v_cmp_ne_u32_e64 s16, 0, v31
	v_cmp_ne_u32_e64 s19, 0, v46
	s_bcnt1_i32_b32 s8, s8
	s_bcnt1_i32_b32 s11, s11
	;; [unrolled: 1-line block ×4, first 2 shown]
	s_add_co_i32 s6, s10, s9
	s_wait_alu 0xfffe
	s_add_co_i32 s5, s5, s7
	v_cmp_ne_u32_e64 s20, 0, v47
	s_bcnt1_i32_b32 s12, s12
	s_bcnt1_i32_b32 s15, s15
	;; [unrolled: 1-line block ×4, first 2 shown]
	s_add_co_i32 s9, s14, s13
	s_add_co_i32 s6, s6, s11
	s_wait_alu 0xfffe
	s_add_co_i32 s24, s5, s8
	s_bcnt1_i32_b32 s16, s16
	s_bcnt1_i32_b32 s19, s19
	s_add_co_i32 s10, s18, s17
	s_add_co_i32 s7, s9, s15
	s_wait_alu 0xfffe
	s_add_nc_u64 s[78:79], s[78:79], s[24:25]
	s_add_co_i32 s24, s6, s12
	s_bcnt1_i32_b32 s20, s20
	s_add_co_i32 s9, s10, s19
	s_wait_alu 0xfffe
	s_add_nc_u64 s[76:77], s[76:77], s[24:25]
	s_add_co_i32 s24, s7, s16
	v_mov_b32_e32 v2, s78
	s_wait_alu 0xfffe
	s_add_nc_u64 s[74:75], s[74:75], s[24:25]
	s_add_co_i32 s24, s9, s20
	v_mov_b32_e32 v4, s76
	s_wait_alu 0xfffe
	s_add_nc_u64 s[70:71], s[70:71], s[24:25]
	v_mov_b32_e32 v3, s79
	v_dual_mov_b32 v5, s77 :: v_dual_mov_b32 v6, s74
	s_wait_alu 0xfffe
	v_dual_mov_b32 v7, s75 :: v_dual_mov_b32 v8, s70
	v_mov_b32_e32 v9, s71
	s_or_b32 s63, vcc_lo, s63
	s_wait_alu 0xfffe
	s_and_not1_b32 exec_lo, exec_lo, s63
	s_cbranch_execnz .LBB20_49
; %bb.50:                               ;   in Loop: Header=BB20_7 Depth=1
	s_or_b32 exec_lo, exec_lo, s63
.LBB20_51:                              ;   in Loop: Header=BB20_7 Depth=1
	s_wait_alu 0xfffe
	s_or_b32 exec_lo, exec_lo, s59
	v_add_co_u32 v28, s5, s66, v0
	s_wait_alu 0xf1ff
	v_add_co_ci_u32_e64 v29, null, s67, 0, s5
	s_mov_b32 s10, exec_lo
	v_cmpx_gt_i64_e64 s[36:37], v[28:29]
	s_cbranch_execz .LBB20_57
; %bb.52:                               ;   in Loop: Header=BB20_7 Depth=1
	v_mul_lo_u32 v12, v29, s42
	v_mul_lo_u32 v24, v28, s43
	v_mad_co_u64_u32 v[30:31], null, v28, s42, 0
	s_mul_u64 s[8:9], s[54:55], s[60:61]
	s_mov_b32 s11, 0
	v_add3_u32 v31, v31, v24, v12
	s_delay_alu instid0(VALU_DEP_1) | instskip(NEXT) | instid1(VALU_DEP_1)
	v_lshlrev_b64_e32 v[30:31], 2, v[30:31]
	v_add_co_u32 v30, vcc_lo, s48, v30
	s_wait_alu 0xfffd
	s_delay_alu instid0(VALU_DEP_2)
	v_add_co_ci_u32_e64 v31, null, s49, v31, vcc_lo
	v_add_co_u32 v12, vcc_lo, v39, s60
	global_load_b32 v24, v[30:31], off
	s_wait_alu 0xfffd
	v_add_co_ci_u32_e64 v30, null, 0, v40, vcc_lo
	v_sub_co_u32 v12, vcc_lo, v12, s64
	s_wait_alu 0xfffd
	s_delay_alu instid0(VALU_DEP_2) | instskip(NEXT) | instid1(VALU_DEP_2)
	v_subrev_co_ci_u32_e64 v30, null, s65, v30, vcc_lo
	v_mul_lo_u32 v45, s55, v12
	s_delay_alu instid0(VALU_DEP_2) | instskip(SKIP_1) | instid1(VALU_DEP_1)
	v_mul_lo_u32 v44, s54, v30
	v_mad_co_u64_u32 v[30:31], null, s54, v12, s[48:49]
	v_add3_u32 v31, v45, v31, v44
	s_branch .LBB20_54
.LBB20_53:                              ;   in Loop: Header=BB20_54 Depth=2
	s_wait_alu 0xfffe
	s_or_b32 exec_lo, exec_lo, s6
	s_wait_loadcnt 0x0
	v_xor_b32_e32 v24, 0x80000000, v24
	s_and_b32 s7, exec_lo, vcc_lo
	s_wait_alu 0xfffe
	s_or_b32 s11, s7, s11
	s_delay_alu instid0(VALU_DEP_1) | instskip(SKIP_1) | instid1(VALU_DEP_2)
	v_and_b32_e32 v44, v24, v43
	v_bfe_u32 v24, v24, s87, 2
	v_cmp_eq_u32_e64 s5, v44, v19
	s_delay_alu instid0(VALU_DEP_2)
	v_cmp_eq_u32_e64 s6, 0, v24
	v_cmp_eq_u32_e32 vcc_lo, 1, v24
	v_cmp_eq_u32_e64 s7, 2, v24
	s_and_b32 s6, s5, s6
	s_wait_alu 0xfffe
	v_cndmask_b32_e64 v44, 0, 1, s6
	s_and_b32 s6, s5, vcc_lo
	v_cmp_eq_u32_e32 vcc_lo, 3, v24
	s_wait_alu 0xfffe
	v_cndmask_b32_e64 v45, 0, 1, s6
	s_and_b32 s6, s5, s7
	s_wait_alu 0xfffe
	v_cndmask_b32_e64 v24, 0, 1, s6
	v_cmp_ne_u32_e64 s6, 0, v44
	v_cmp_ne_u32_e64 s7, 0, v45
	s_and_b32 s5, s5, vcc_lo
	s_wait_alu 0xfffe
	v_cndmask_b32_e64 v44, 0, 1, s5
	s_bcnt1_i32_b32 s5, s6
	v_cmp_ne_u32_e32 vcc_lo, 0, v24
	s_bcnt1_i32_b32 s6, s7
	s_wait_alu 0xfffe
	v_add_co_u32 v2, s5, v2, s5
	s_wait_alu 0xf1ff
	v_add_co_ci_u32_e64 v3, null, 0, v3, s5
	v_add_co_u32 v4, s5, v4, s6
	s_wait_alu 0xf1ff
	v_add_co_ci_u32_e64 v5, null, 0, v5, s5
	s_bcnt1_i32_b32 s5, vcc_lo
	v_cmp_ne_u32_e32 vcc_lo, 0, v44
	s_wait_alu 0xfffe
	v_add_co_u32 v6, s5, v6, s5
	s_wait_alu 0xf1ff
	v_add_co_ci_u32_e64 v7, null, 0, v7, s5
	s_bcnt1_i32_b32 s5, vcc_lo
	v_mov_b32_e32 v24, v12
	s_wait_alu 0xfffe
	v_add_co_u32 v8, vcc_lo, v8, s5
	s_wait_alu 0xfffd
	v_add_co_ci_u32_e64 v9, null, 0, v9, vcc_lo
	v_add_co_u32 v30, vcc_lo, v30, s8
	s_wait_alu 0xfffd
	v_add_co_ci_u32_e64 v31, null, s9, v31, vcc_lo
	s_and_not1_b32 exec_lo, exec_lo, s11
	s_cbranch_execz .LBB20_56
.LBB20_54:                              ;   Parent Loop BB20_7 Depth=1
                                        ; =>  This Inner Loop Header: Depth=2
	v_add_co_u32 v28, vcc_lo, v28, s60
	s_wait_alu 0xfffd
	v_add_co_ci_u32_e64 v29, null, 0, v29, vcc_lo
	v_mov_b32_e32 v12, 0
	s_mov_b32 s6, exec_lo
	s_delay_alu instid0(VALU_DEP_2)
	v_cmp_le_i64_e32 vcc_lo, s[36:37], v[28:29]
	v_cmpx_gt_i64_e64 s[36:37], v[28:29]
	s_cbranch_execz .LBB20_53
; %bb.55:                               ;   in Loop: Header=BB20_54 Depth=2
	global_load_b32 v12, v[30:31], off
	s_branch .LBB20_53
.LBB20_56:                              ;   in Loop: Header=BB20_7 Depth=1
	s_or_b32 exec_lo, exec_lo, s11
.LBB20_57:                              ;   in Loop: Header=BB20_7 Depth=1
	s_wait_alu 0xfffe
	s_or_b32 exec_lo, exec_lo, s10
	s_branch .LBB20_36
.LBB20_58:                              ;   in Loop: Header=BB20_7 Depth=1
	global_load_u16 v2, v13, s[38:39]
	v_mov_b32_e32 v4, 0
	v_mov_b32_e32 v6, 0
	v_dual_mov_b32 v8, 0 :: v_dual_mov_b32 v7, 0
	v_mov_b32_e32 v9, 0
	s_mov_b32 s70, exec_lo
	v_mov_b32_e32 v5, 0
	s_wait_loadcnt 0x0
	v_readfirstlane_b32 s5, v2
	v_and_b32_e32 v12, 0xffff, v2
	s_and_b32 s68, 0xffff, s5
	s_wait_alu 0xfffe
	s_lshl_b32 s59, s68, 2
	s_wait_alu 0xfffe
	s_cvt_f32_u32 s5, s59
	s_sub_co_i32 s6, 0, s59
	s_wait_alu 0xfffe
	s_delay_alu instid0(SALU_CYCLE_1) | instskip(NEXT) | instid1(TRANS32_DEP_1)
	v_rcp_iflag_f32_e32 v3, s5
	v_readfirstlane_b32 s5, v3
	s_mul_f32 s5, s5, 0x4f7ffffe
	s_wait_alu 0xfffe
	s_delay_alu instid0(SALU_CYCLE_2) | instskip(SKIP_1) | instid1(SALU_CYCLE_2)
	s_cvt_u32_f32 s5, s5
	s_wait_alu 0xfffe
	s_mul_i32 s6, s6, s5
	s_wait_alu 0xfffe
	s_mul_hi_u32 s6, s5, s6
	s_wait_alu 0xfffe
	s_add_co_i32 s5, s5, s6
	s_wait_alu 0xfffe
	s_mul_hi_u32 s5, s58, s5
	s_wait_alu 0xfffe
	s_mul_i32 s6, s5, s59
	s_add_co_i32 s7, s5, 1
	s_wait_alu 0xfffe
	s_sub_co_i32 s6, s58, s6
	s_wait_alu 0xfffe
	s_sub_co_i32 s8, s6, s59
	s_cmp_ge_u32 s6, s59
	s_cselect_b32 s5, s7, s5
	s_wait_alu 0xfffe
	s_cselect_b32 s6, s8, s6
	s_add_co_i32 s7, s5, 1
	s_wait_alu 0xfffe
	s_cmp_ge_u32 s6, s59
	s_cselect_b32 s69, s7, s5
	s_wait_alu 0xfffe
	v_mul_hi_u32 v3, s69, v12
	v_mul_lo_u32 v2, s69, v12
	s_delay_alu instid0(VALU_DEP_1) | instskip(SKIP_2) | instid1(VALU_DEP_3)
	v_lshlrev_b64_e32 v[28:29], 2, v[2:3]
	v_mov_b32_e32 v2, 0
	v_mov_b32_e32 v3, 0
	v_cmpx_gt_u64_e64 v[28:29], v[14:15]
	s_cbranch_execz .LBB20_62
; %bb.59:                               ;   in Loop: Header=BB20_7 Depth=1
	v_dual_mov_b32 v24, v35 :: v_dual_mov_b32 v31, v15
	v_mov_b32_e32 v30, v14
	s_lshl_b32 s71, s68, 4
	s_mov_b64 s[60:61], 0
	s_mov_b32 s72, 0
	s_mov_b64 s[62:63], 0
	s_mov_b64 s[64:65], 0
	;; [unrolled: 1-line block ×3, first 2 shown]
.LBB20_60:                              ;   Parent Loop BB20_7 Depth=1
                                        ; =>  This Inner Loop Header: Depth=2
	ds_load_b128 v[2:5], v24
	v_add_co_u32 v30, vcc_lo, v30, s59
	s_wait_alu 0xfffd
	v_add_co_ci_u32_e64 v31, null, 0, v31, vcc_lo
	s_delay_alu instid0(VALU_DEP_1)
	v_cmp_ge_u64_e32 vcc_lo, v[30:31], v[28:29]
	s_wait_dscnt 0x0
	v_xor_b32_e32 v2, 0x80000000, v2
	v_xor_b32_e32 v3, 0x80000000, v3
	v_xor_b32_e32 v4, 0x80000000, v4
	v_xor_b32_e32 v5, 0x80000000, v5
	s_delay_alu instid0(VALU_DEP_4)
	v_and_b32_e32 v6, v2, v43
	v_bfe_u32 v2, v2, s87, 2
	v_and_b32_e32 v7, v3, v43
	v_bfe_u32 v3, v3, s87, 2
	;; [unrolled: 2-line block ×3, first 2 shown]
	v_cmp_eq_u32_e64 s5, v6, v19
	v_cmp_eq_u32_e64 s9, 0, v2
	v_and_b32_e32 v9, v5, v43
	v_bfe_u32 v5, v5, s87, 2
	v_cmp_eq_u32_e64 s6, v7, v19
	v_cmp_eq_u32_e64 s10, 0, v3
	;; [unrolled: 1-line block ×4, first 2 shown]
	s_and_b32 s9, s5, s9
	v_cmp_eq_u32_e64 s8, v9, v19
	v_cmp_eq_u32_e64 s12, 0, v5
	;; [unrolled: 1-line block ×5, first 2 shown]
	s_wait_alu 0xfffe
	v_cndmask_b32_e64 v2, 0, 1, s9
	s_and_b32 s9, s6, s10
	v_cmp_eq_u32_e64 s14, 1, v3
	v_cmp_eq_u32_e64 s18, 2, v3
	v_cmp_eq_u32_e64 s22, 3, v3
	s_wait_alu 0xfffe
	v_cndmask_b32_e64 v3, 0, 1, s9
	s_and_b32 s9, s7, s11
	v_cmp_eq_u32_e64 s15, 1, v4
	v_cmp_eq_u32_e64 s19, 2, v4
	v_cmp_eq_u32_e64 s23, 3, v4
	;; [unrolled: 6-line block ×3, first 2 shown]
	s_wait_alu 0xfffe
	v_cndmask_b32_e64 v5, 0, 1, s9
	s_and_b32 s9, s5, s13
	s_wait_alu 0xfffe
	v_cndmask_b32_e64 v6, 0, 1, s9
	s_and_b32 s9, s6, s14
	;; [unrolled: 3-line block ×4, first 2 shown]
	v_cmp_ne_u32_e64 s10, 0, v7
	s_wait_alu 0xfffe
	v_cndmask_b32_e64 v9, 0, 1, s9
	s_and_b32 s9, s5, s17
	s_and_b32 s5, s5, s21
	s_wait_alu 0xfffe
	v_cndmask_b32_e64 v44, 0, 1, s9
	v_cndmask_b32_e64 v48, 0, 1, s5
	s_and_b32 s5, s6, s22
	s_and_b32 s9, s6, s18
	s_wait_alu 0xfffe
	v_cndmask_b32_e64 v49, 0, 1, s5
	s_and_b32 s5, s7, s23
	v_cndmask_b32_e64 v45, 0, 1, s9
	s_and_b32 s9, s7, s19
	s_wait_alu 0xfffe
	v_cndmask_b32_e64 v50, 0, 1, s5
	s_and_b32 s5, s8, s24
	v_cndmask_b32_e64 v46, 0, 1, s9
	s_and_b32 s9, s8, s20
	s_wait_alu 0xfffe
	v_cndmask_b32_e64 v51, 0, 1, s5
	v_cmp_ne_u32_e64 s5, 0, v2
	v_cmp_ne_u32_e64 s6, 0, v3
	v_cndmask_b32_e64 v47, 0, 1, s9
	v_cmp_ne_u32_e64 s7, 0, v4
	v_cmp_ne_u32_e64 s9, 0, v6
	;; [unrolled: 1-line block ×6, first 2 shown]
	s_bcnt1_i32_b32 s5, s5
	s_bcnt1_i32_b32 s6, s6
	v_cmp_ne_u32_e64 s12, 0, v9
	v_cmp_ne_u32_e64 s15, 0, v46
	;; [unrolled: 1-line block ×4, first 2 shown]
	s_bcnt1_i32_b32 s7, s7
	s_bcnt1_i32_b32 s9, s9
	;; [unrolled: 1-line block ×3, first 2 shown]
	s_wait_alu 0xfffe
	s_add_co_i32 s5, s6, s5
	v_cmp_ne_u32_e64 s16, 0, v47
	v_cmp_ne_u32_e64 s19, 0, v50
	s_bcnt1_i32_b32 s8, s8
	s_bcnt1_i32_b32 s11, s11
	;; [unrolled: 1-line block ×4, first 2 shown]
	s_add_co_i32 s6, s10, s9
	s_wait_alu 0xfffe
	s_add_co_i32 s5, s5, s7
	v_cmp_ne_u32_e64 s20, 0, v51
	s_bcnt1_i32_b32 s12, s12
	s_bcnt1_i32_b32 s15, s15
	;; [unrolled: 1-line block ×4, first 2 shown]
	s_add_co_i32 s9, s14, s13
	s_add_co_i32 s6, s6, s11
	s_wait_alu 0xfffe
	s_add_co_i32 s24, s5, s8
	s_bcnt1_i32_b32 s16, s16
	s_bcnt1_i32_b32 s19, s19
	s_add_co_i32 s10, s18, s17
	s_add_co_i32 s7, s9, s15
	s_wait_alu 0xfffe
	s_add_nc_u64 s[66:67], s[66:67], s[24:25]
	s_add_co_i32 s24, s6, s12
	s_bcnt1_i32_b32 s20, s20
	s_add_co_i32 s9, s10, s19
	s_wait_alu 0xfffe
	s_add_nc_u64 s[64:65], s[64:65], s[24:25]
	s_add_co_i32 s24, s7, s16
	v_mov_b32_e32 v2, s66
	s_wait_alu 0xfffe
	s_add_nc_u64 s[62:63], s[62:63], s[24:25]
	s_add_co_i32 s24, s9, s20
	v_mov_b32_e32 v4, s64
	s_wait_alu 0xfffe
	s_add_nc_u64 s[60:61], s[60:61], s[24:25]
	v_mov_b32_e32 v6, s62
	s_wait_alu 0xfffe
	v_mov_b32_e32 v8, s60
	v_dual_mov_b32 v3, s67 :: v_dual_add_nc_u32 v24, s71, v24
	v_mov_b32_e32 v5, s65
	v_mov_b32_e32 v7, s63
	;; [unrolled: 1-line block ×3, first 2 shown]
	s_or_b32 s72, vcc_lo, s72
	s_wait_alu 0xfffe
	s_and_not1_b32 exec_lo, exec_lo, s72
	s_cbranch_execnz .LBB20_60
; %bb.61:                               ;   in Loop: Header=BB20_7 Depth=1
	s_or_b32 exec_lo, exec_lo, s72
.LBB20_62:                              ;   in Loop: Header=BB20_7 Depth=1
	s_delay_alu instid0(SALU_CYCLE_1)
	s_or_b32 exec_lo, exec_lo, s70
	v_add_co_u32 v28, vcc_lo, v28, v0
	s_wait_alu 0xfffd
	v_add_co_ci_u32_e64 v29, null, 0, v29, vcc_lo
	s_and_b32 s24, s58, 0x7fffffff
	s_mov_b32 s10, exec_lo
	s_wait_alu 0xfffe
	v_cmpx_gt_u64_e64 s[24:25], v[28:29]
	s_cbranch_execz .LBB20_66
; %bb.63:                               ;   in Loop: Header=BB20_7 Depth=1
	s_mul_i32 s69, s69, s68
	s_mov_b32 s11, 0
	s_wait_alu 0xfffe
	v_lshl_add_u32 v24, s69, 4, v14
.LBB20_64:                              ;   Parent Loop BB20_7 Depth=1
                                        ; =>  This Inner Loop Header: Depth=2
	ds_load_b32 v30, v24
	v_add_co_u32 v28, vcc_lo, v28, v12
	s_wait_alu 0xfffd
	v_add_co_ci_u32_e64 v29, null, 0, v29, vcc_lo
	v_add_nc_u32_e32 v24, s59, v24
	s_delay_alu instid0(VALU_DEP_2) | instskip(SKIP_2) | instid1(VALU_DEP_1)
	v_cmp_le_u64_e32 vcc_lo, s[24:25], v[28:29]
	s_wait_dscnt 0x0
	v_xor_b32_e32 v30, 0x80000000, v30
	v_and_b32_e32 v31, v30, v43
	v_bfe_u32 v30, v30, s87, 2
	s_delay_alu instid0(VALU_DEP_2) | instskip(NEXT) | instid1(VALU_DEP_2)
	v_cmp_eq_u32_e64 s5, v31, v19
	v_cmp_eq_u32_e64 s6, 0, v30
	;; [unrolled: 1-line block ×5, first 2 shown]
	s_and_b32 s6, s5, s6
	s_wait_alu 0xfffe
	v_cndmask_b32_e64 v30, 0, 1, s6
	s_and_b32 s6, s5, s7
	s_wait_alu 0xfffe
	v_cndmask_b32_e64 v31, 0, 1, s6
	s_and_b32 s6, s5, s8
	s_and_b32 s5, s5, s9
	s_wait_alu 0xfffe
	v_cndmask_b32_e64 v44, 0, 1, s6
	v_cndmask_b32_e64 v45, 0, 1, s5
	v_cmp_ne_u32_e64 s5, 0, v30
	v_cmp_ne_u32_e64 s6, 0, v31
	s_delay_alu instid0(VALU_DEP_4) | instskip(NEXT) | instid1(VALU_DEP_4)
	v_cmp_ne_u32_e64 s7, 0, v44
	v_cmp_ne_u32_e64 s8, 0, v45
	s_bcnt1_i32_b32 s5, s5
	s_bcnt1_i32_b32 s6, s6
	s_wait_alu 0xfffe
	v_add_co_u32 v2, s5, v2, s5
	s_bcnt1_i32_b32 s7, s7
	v_add_co_ci_u32_e64 v3, null, 0, v3, s5
	v_add_co_u32 v4, s5, v4, s6
	s_bcnt1_i32_b32 s8, s8
	v_add_co_ci_u32_e64 v5, null, 0, v5, s5
	s_wait_alu 0xfffe
	v_add_co_u32 v6, s5, v6, s7
	s_wait_alu 0xf1ff
	v_add_co_ci_u32_e64 v7, null, 0, v7, s5
	v_add_co_u32 v8, s5, v8, s8
	s_wait_alu 0xf1ff
	v_add_co_ci_u32_e64 v9, null, 0, v9, s5
	s_or_b32 s11, vcc_lo, s11
	s_wait_alu 0xfffe
	s_and_not1_b32 exec_lo, exec_lo, s11
	s_cbranch_execnz .LBB20_64
; %bb.65:                               ;   in Loop: Header=BB20_7 Depth=1
	s_or_b32 exec_lo, exec_lo, s11
.LBB20_66:                              ;   in Loop: Header=BB20_7 Depth=1
	s_wait_alu 0xfffe
	s_or_b32 exec_lo, exec_lo, s10
	s_lshl_b32 s5, s89, 7
	s_and_saveexec_b32 s6, s1
	s_cbranch_execnz .LBB20_37
	s_branch .LBB20_38
.LBB20_67:                              ;   in Loop: Header=BB20_7 Depth=1
                                        ; implicit-def: $sgpr64_sgpr65
	s_branch .LBB20_46
.LBB20_68:                              ;   in Loop: Header=BB20_7 Depth=1
	s_wait_alu 0xfffe
	s_or_b32 exec_lo, exec_lo, s8
	s_wait_loadcnt_dscnt 0x0
	s_barrier_signal -1
	s_barrier_wait -1
	global_inv scope:SCOPE_SE
	s_and_saveexec_b32 s5, s2
	s_cbranch_execz .LBB20_70
; %bb.69:                               ;   in Loop: Header=BB20_7 Depth=1
	ds_load_b32 v2, v13 offset:5136
	s_wait_dscnt 0x0
	v_ashrrev_i32_e32 v3, 31, v2
	ds_store_b64 v13, v[2:3] offset:5120
.LBB20_70:                              ;   in Loop: Header=BB20_7 Depth=1
	s_wait_alu 0xfffe
	s_or_b32 exec_lo, exec_lo, s5
	s_wait_loadcnt_dscnt 0x0
	s_barrier_signal -1
	s_mov_b32 s5, -1
	s_barrier_wait -1
	s_and_b32 vcc_lo, exec_lo, s7
	s_wait_alu 0xfffe
	s_cbranch_vccnz .LBB20_23
	s_branch .LBB20_32
.LBB20_71:                              ;   in Loop: Header=BB20_7 Depth=1
	s_mov_b32 s7, 0
	s_and_not1_b32 vcc_lo, exec_lo, s85
	s_wait_alu 0xfffe
	s_cbranch_vccnz .LBB20_74
.LBB20_72:                              ;   in Loop: Header=BB20_7 Depth=1
	s_lshl_b32 s8, s89, 10
	s_lshl_b32 s7, s7, 5
	s_wait_alu 0xfffe
	v_add3_u32 v4, s8, s7, v41
	s_mov_b32 s7, s82
.LBB20_73:                              ;   Parent Loop BB20_7 Depth=1
                                        ; =>  This Inner Loop Header: Depth=2
	ds_load_b64 v[5:6], v4
	v_add_nc_u32_e32 v4, 32, v4
	s_wait_alu 0xfffe
	s_add_co_i32 s7, s7, -1
	s_wait_alu 0xfffe
	s_cmp_lg_u32 s7, 0
	s_wait_dscnt 0x0
	v_add_co_u32 v2, vcc_lo, v5, v2
	s_wait_alu 0xfffd
	v_add_co_ci_u32_e64 v3, null, v6, v3, vcc_lo
	s_cbranch_scc1 .LBB20_73
.LBB20_74:                              ;   in Loop: Header=BB20_7 Depth=1
	v_add_lshl_u32 v4, s5, v32, 3
	ds_store_b64 v4, v[2:3] offset:3072
.LBB20_75:                              ;   in Loop: Header=BB20_7 Depth=1
	s_wait_alu 0xfffe
	s_or_b32 exec_lo, exec_lo, s6
	s_lshl_b32 s5, s5, 3
	s_wait_loadcnt_dscnt 0x0
	s_wait_alu 0xfffe
	v_mov_b32_e32 v6, s5
	s_barrier_signal -1
	s_barrier_wait -1
	global_inv scope:SCOPE_SE
	v_cmp_eq_u64_e32 vcc_lo, 1, v[26:27]
	ds_load_b128 v[2:5], v6 offset:3072
	ds_load_b128 v[6:9], v6 offset:3088
	s_lshl_b32 s16, 3, s87
	s_mov_b32 s18, -1
	s_wait_alu 0xfffe
	s_not_b32 s20, s16
                                        ; implicit-def: $sgpr15
                                        ; implicit-def: $sgpr14
	s_wait_dscnt 0x1
	v_cmp_eq_u64_e64 s5, 1, v[2:3]
	s_wait_dscnt 0x0
	v_readfirstlane_b32 s8, v6
	v_readfirstlane_b32 s9, v7
	;; [unrolled: 1-line block ×4, first 2 shown]
	s_and_b32 s19, s5, vcc_lo
	s_mov_b32 s5, -1
	s_and_saveexec_b32 s17, s19
	s_cbranch_execz .LBB20_107
; %bb.76:                               ;   in Loop: Header=BB20_7 Depth=1
	ds_load_b64 v[6:7], v13 offset:5120
	s_wait_loadcnt_dscnt 0x0
	s_barrier_signal -1
	s_barrier_wait -1
	global_inv scope:SCOPE_SE
	v_readfirstlane_b32 s10, v6
	v_readfirstlane_b32 s11, v7
	s_and_saveexec_b32 s5, s3
; %bb.77:                               ;   in Loop: Header=BB20_7 Depth=1
	ds_store_b32 v33, v13
; %bb.78:                               ;   in Loop: Header=BB20_7 Depth=1
	s_wait_alu 0xfffe
	s_or_b32 exec_lo, exec_lo, s5
	v_cmp_lt_i64_e64 s5, s[10:11], 1
	v_and_b32_e32 v19, s20, v19
	v_or_b32_e32 v43, s16, v43
	s_mov_b32 s14, -1
	s_mov_b32 s15, 0
	s_mov_b32 s21, -1
	s_and_b32 vcc_lo, exec_lo, s5
	s_mov_b32 s5, 0
	s_wait_loadcnt_dscnt 0x0
	s_barrier_signal -1
	s_barrier_wait -1
	global_inv scope:SCOPE_SE
                                        ; implicit-def: $vgpr25
	s_wait_alu 0xfffe
	s_cbranch_vccz .LBB20_92
; %bb.79:                               ;   in Loop: Header=BB20_7 Depth=1
	s_mov_b32 s12, s25
	s_mov_b32 s13, s53
	s_wait_alu 0xfffe
	s_cmp_lg_u64 s[12:13], 0
	s_cbranch_scc0 .LBB20_133
; %bb.80:                               ;   in Loop: Header=BB20_7 Depth=1
	s_add_nc_u64 s[12:13], s[44:45], 0
	s_wait_alu 0xfffe
	s_xor_b64 s[12:13], s[12:13], 0
	s_wait_alu 0xfffe
	s_cvt_f32_u32 s5, s12
	s_cvt_f32_u32 s21, s13
	s_sub_nc_u64 s[58:59], 0, s[12:13]
	s_wait_alu 0xfffe
	s_delay_alu instid0(SALU_CYCLE_1) | instskip(SKIP_1) | instid1(SALU_CYCLE_2)
	s_fmamk_f32 s5, s21, 0x4f800000, s5
	s_wait_alu 0xfffe
	v_s_rcp_f32 s5, s5
	s_delay_alu instid0(TRANS32_DEP_1) | instskip(SKIP_1) | instid1(SALU_CYCLE_2)
	s_mul_f32 s5, s5, 0x5f7ffffc
	s_wait_alu 0xfffe
	s_mul_f32 s21, s5, 0x2f800000
	s_wait_alu 0xfffe
	s_delay_alu instid0(SALU_CYCLE_2) | instskip(SKIP_1) | instid1(SALU_CYCLE_2)
	s_trunc_f32 s21, s21
	s_wait_alu 0xfffe
	s_fmamk_f32 s5, s21, 0xcf800000, s5
	s_cvt_u32_f32 s23, s21
	s_wait_alu 0xfffe
	s_delay_alu instid0(SALU_CYCLE_1) | instskip(NEXT) | instid1(SALU_CYCLE_3)
	s_cvt_u32_f32 s22, s5
	s_mul_u64 s[60:61], s[58:59], s[22:23]
	s_wait_alu 0xfffe
	s_mul_hi_u32 s63, s22, s61
	s_mul_i32 s62, s22, s61
	s_mul_hi_u32 s24, s22, s60
	s_mul_i32 s21, s23, s60
	s_wait_alu 0xfffe
	s_add_nc_u64 s[62:63], s[24:25], s[62:63]
	s_mul_hi_u32 s5, s23, s60
	s_mul_hi_u32 s64, s23, s61
	s_wait_alu 0xfffe
	s_add_co_u32 s21, s62, s21
	s_add_co_ci_u32 s24, s63, s5
	s_mul_i32 s60, s23, s61
	s_add_co_ci_u32 s61, s64, 0
	s_wait_alu 0xfffe
	s_add_nc_u64 s[60:61], s[24:25], s[60:61]
	s_wait_alu 0xfffe
	s_add_co_u32 s22, s22, s60
	s_cselect_b32 s5, -1, 0
	s_wait_alu 0xfffe
	s_cmp_lg_u32 s5, 0
	s_add_co_ci_u32 s23, s23, s61
	s_delay_alu instid0(SALU_CYCLE_1)
	s_mul_u64 s[58:59], s[58:59], s[22:23]
	s_wait_alu 0xfffe
	s_mul_hi_u32 s61, s22, s59
	s_mul_i32 s60, s22, s59
	s_mul_hi_u32 s24, s22, s58
	s_mul_i32 s21, s23, s58
	s_wait_alu 0xfffe
	s_add_nc_u64 s[60:61], s[24:25], s[60:61]
	s_mul_hi_u32 s5, s23, s58
	s_mul_hi_u32 s62, s23, s59
	s_wait_alu 0xfffe
	s_add_co_u32 s21, s60, s21
	s_add_co_ci_u32 s24, s61, s5
	s_mul_i32 s58, s23, s59
	s_add_co_ci_u32 s59, s62, 0
	s_wait_alu 0xfffe
	s_add_nc_u64 s[58:59], s[24:25], s[58:59]
	s_wait_alu 0xfffe
	s_add_co_u32 s5, s22, s58
	s_cselect_b32 s21, -1, 0
	s_wait_alu 0xfffe
	s_cmp_lg_u32 s21, 0
	s_add_co_ci_u32 s21, s23, s59
	s_ashr_i32 s22, s53, 31
	s_delay_alu instid0(SALU_CYCLE_1) | instskip(NEXT) | instid1(SALU_CYCLE_1)
	s_mov_b32 s23, s22
	s_add_nc_u64 s[58:59], s[52:53], s[22:23]
	s_wait_alu 0xfffe
	s_xor_b64 s[58:59], s[58:59], s[22:23]
	s_wait_alu 0xfffe
	s_mul_hi_u32 s61, s58, s21
	s_mul_i32 s60, s58, s21
	s_mul_hi_u32 s24, s58, s5
	s_mul_hi_u32 s64, s59, s5
	s_mul_i32 s5, s59, s5
	s_wait_alu 0xfffe
	s_add_nc_u64 s[60:61], s[24:25], s[60:61]
	s_mul_hi_u32 s63, s59, s21
	s_wait_alu 0xfffe
	s_add_co_u32 s5, s60, s5
	s_add_co_ci_u32 s24, s61, s64
	s_mul_i32 s62, s59, s21
	s_add_co_ci_u32 s63, s63, 0
	s_wait_alu 0xfffe
	s_add_nc_u64 s[60:61], s[24:25], s[62:63]
	s_wait_alu 0xfffe
	s_mul_u64 s[60:61], s[12:13], s[60:61]
	s_wait_alu 0xfffe
	s_sub_co_u32 s5, s58, s60
	s_cselect_b32 s21, -1, 0
	s_sub_co_i32 s24, s59, s61
	s_wait_alu 0xfffe
	s_cmp_lg_u32 s21, 0
	s_sub_co_ci_u32 s24, s24, s13
	s_sub_co_u32 s58, s5, s12
	s_cselect_b32 s60, -1, 0
	s_wait_alu 0xfffe
	s_cmp_lg_u32 s60, 0
	s_sub_co_ci_u32 s62, s24, 0
	s_wait_alu 0xfffe
	s_cmp_ge_u32 s62, s13
	s_cselect_b32 s63, -1, 0
	s_cmp_ge_u32 s58, s12
	s_cselect_b32 s64, -1, 0
	s_cmp_eq_u32 s62, s13
	s_wait_alu 0xfffe
	s_cselect_b32 s63, s64, s63
	s_cmp_lg_u32 s60, 0
	s_sub_co_ci_u32 s24, s24, s13
	s_sub_co_u32 s60, s58, s12
	s_cselect_b32 s64, -1, 0
	s_wait_alu 0xfffe
	s_cmp_lg_u32 s64, 0
	s_sub_co_ci_u32 s24, s24, 0
	s_cmp_lg_u32 s63, 0
	s_cselect_b32 s58, s60, s58
	s_wait_alu 0xfffe
	s_cselect_b32 s24, s24, s62
	s_cmp_lg_u32 s21, 0
	s_sub_co_ci_u32 s21, s59, s61
	s_wait_alu 0xfffe
	s_cmp_ge_u32 s21, s13
	s_cselect_b32 s59, -1, 0
	s_cmp_ge_u32 s5, s12
	s_cselect_b32 s12, -1, 0
	s_cmp_eq_u32 s21, s13
	s_wait_alu 0xfffe
	s_cselect_b32 s12, s12, s59
	s_wait_alu 0xfffe
	s_cmp_lg_u32 s12, 0
	s_cselect_b32 s13, s24, s21
	s_cselect_b32 s12, s58, s5
	s_wait_alu 0xfffe
	s_xor_b64 s[12:13], s[12:13], s[22:23]
	s_wait_alu 0xfffe
	s_sub_nc_u64 s[12:13], s[12:13], s[22:23]
	s_cbranch_execnz .LBB20_82
.LBB20_81:                              ;   in Loop: Header=BB20_7 Depth=1
	v_cvt_f32_u32_e32 v6, s44
	s_sub_co_i32 s12, 0, s44
	s_delay_alu instid0(VALU_DEP_1) | instskip(NEXT) | instid1(TRANS32_DEP_1)
	v_rcp_iflag_f32_e32 v6, v6
	v_mul_f32_e32 v6, 0x4f7ffffe, v6
	s_delay_alu instid0(VALU_DEP_1) | instskip(NEXT) | instid1(VALU_DEP_1)
	v_cvt_u32_f32_e32 v6, v6
	v_readfirstlane_b32 s5, v6
	s_wait_alu 0xfffe
	s_mul_i32 s12, s12, s5
	s_wait_alu 0xfffe
	s_mul_hi_u32 s12, s5, s12
	s_wait_alu 0xfffe
	s_add_co_i32 s5, s5, s12
	s_wait_alu 0xfffe
	s_mul_hi_u32 s5, s52, s5
	s_wait_alu 0xfffe
	s_mul_i32 s5, s5, s44
	s_wait_alu 0xfffe
	s_sub_co_i32 s5, s52, s5
	s_wait_alu 0xfffe
	s_sub_co_i32 s12, s5, s44
	s_cmp_ge_u32 s5, s44
	s_wait_alu 0xfffe
	s_cselect_b32 s5, s12, s5
	s_wait_alu 0xfffe
	s_sub_co_i32 s12, s5, s44
	s_cmp_ge_u32 s5, s44
	s_wait_alu 0xfffe
	s_cselect_b32 s24, s12, s5
	s_wait_alu 0xfffe
	s_mov_b64 s[12:13], s[24:25]
.LBB20_82:                              ;   in Loop: Header=BB20_7 Depth=1
	s_wait_alu 0xfffe
	s_sub_nc_u64 s[12:13], s[52:53], s[12:13]
	s_mov_b32 s21, 0
	s_mov_b32 s5, 0
	s_mov_b32 s22, exec_lo
                                        ; implicit-def: $vgpr25
	s_wait_alu 0xfffe
	v_cmpx_gt_i64_e64 s[12:13], v[0:1]
	s_cbranch_execz .LBB20_91
; %bb.83:                               ;   in Loop: Header=BB20_7 Depth=1
	v_dual_mov_b32 v6, v10 :: v_dual_mov_b32 v7, v11
	v_dual_mov_b32 v9, v1 :: v_dual_mov_b32 v8, v0
	s_mov_b32 s23, 0
                                        ; implicit-def: $sgpr24
	s_branch .LBB20_86
.LBB20_84:                              ;   in Loop: Header=BB20_86 Depth=2
	s_wait_alu 0xfffe
	s_or_b32 exec_lo, exec_lo, s5
	s_wait_loadcnt_dscnt 0x0
	s_barrier_signal -1
	s_barrier_wait -1
	global_inv scope:SCOPE_SE
	ds_load_b64 v[24:25], v13 offset:3072
	s_mov_b32 s5, -1
	s_mov_b32 s58, -1
	s_wait_loadcnt_dscnt 0x0
	s_barrier_signal -1
	s_barrier_wait -1
	global_inv scope:SCOPE_SE
	v_cmp_ne_u32_e32 vcc_lo, 0, v24
	s_cbranch_vccz .LBB20_89
.LBB20_85:                              ;   in Loop: Header=BB20_86 Depth=2
	s_wait_alu 0xfffe
	s_and_b32 s5, exec_lo, s5
	s_wait_alu 0xfffe
	s_or_b32 s23, s5, s23
	s_and_not1_b32 s5, s24, exec_lo
	s_and_b32 s24, s58, exec_lo
	s_wait_alu 0xfffe
	s_or_b32 s24, s5, s24
	s_and_not1_b32 exec_lo, exec_lo, s23
	s_cbranch_execz .LBB20_90
.LBB20_86:                              ;   Parent Loop BB20_7 Depth=1
                                        ; =>  This Inner Loop Header: Depth=2
	s_mov_b32 s5, exec_lo
	s_delay_alu instid0(VALU_DEP_1)
	v_cmpx_gt_i64_e64 s[36:37], v[8:9]
	s_cbranch_execz .LBB20_84
; %bb.87:                               ;   in Loop: Header=BB20_86 Depth=2
	global_load_b32 v24, v[6:7], off
	s_wait_loadcnt 0x0
	v_xor_b32_e32 v12, 0x80000000, v24
	s_delay_alu instid0(VALU_DEP_1) | instskip(NEXT) | instid1(VALU_DEP_1)
	v_and_b32_e32 v12, v12, v43
	v_cmp_eq_u32_e32 vcc_lo, v12, v19
	s_and_b32 exec_lo, exec_lo, vcc_lo
	s_cbranch_execz .LBB20_84
; %bb.88:                               ;   in Loop: Header=BB20_86 Depth=2
	ds_store_b64 v13, v[23:24] offset:3072
	s_branch .LBB20_84
.LBB20_89:                              ;   in Loop: Header=BB20_86 Depth=2
	v_add_co_u32 v8, vcc_lo, v8, s44
	s_wait_alu 0xfffd
	v_add_co_ci_u32_e64 v9, null, 0, v9, vcc_lo
	v_add_co_u32 v6, s5, v6, s46
	s_wait_alu 0xf1fe
	v_add_co_ci_u32_e64 v7, null, s47, v7, s5
	s_delay_alu instid0(VALU_DEP_3)
	v_cmp_le_i64_e32 vcc_lo, s[12:13], v[8:9]
	s_mov_b32 s58, 0
	s_or_not1_b32 s5, vcc_lo, exec_lo
	s_branch .LBB20_85
.LBB20_90:                              ;   in Loop: Header=BB20_7 Depth=1
	s_or_b32 exec_lo, exec_lo, s23
	s_wait_alu 0xfffe
	s_and_b32 s5, s24, exec_lo
.LBB20_91:                              ;   in Loop: Header=BB20_7 Depth=1
	s_or_b32 exec_lo, exec_lo, s22
.LBB20_92:                              ;   in Loop: Header=BB20_7 Depth=1
	s_delay_alu instid0(SALU_CYCLE_1)
	s_and_b32 vcc_lo, exec_lo, s21
	s_wait_alu 0xfffe
	s_cbranch_vccz .LBB20_106
; %bb.93:                               ;   in Loop: Header=BB20_7 Depth=1
	s_add_nc_u64 s[12:13], s[10:11], s[50:51]
	s_mov_b32 s14, s25
	s_wait_alu 0xfffe
	s_mov_b32 s15, s13
	s_delay_alu instid0(SALU_CYCLE_1)
	s_cmp_lg_u64 s[14:15], 0
	s_cbranch_scc0 .LBB20_134
; %bb.94:                               ;   in Loop: Header=BB20_7 Depth=1
	s_add_nc_u64 s[14:15], s[44:45], 0
	s_delay_alu instid0(SALU_CYCLE_1) | instskip(NEXT) | instid1(SALU_CYCLE_1)
	s_xor_b64 s[14:15], s[14:15], 0
	s_cvt_f32_u32 s21, s14
	s_cvt_f32_u32 s22, s15
	s_sub_nc_u64 s[58:59], 0, s[14:15]
	s_wait_alu 0xfffe
	s_delay_alu instid0(SALU_CYCLE_1) | instskip(SKIP_1) | instid1(SALU_CYCLE_2)
	s_fmamk_f32 s21, s22, 0x4f800000, s21
	s_wait_alu 0xfffe
	v_s_rcp_f32 s21, s21
	s_delay_alu instid0(TRANS32_DEP_1) | instskip(SKIP_1) | instid1(SALU_CYCLE_2)
	s_mul_f32 s21, s21, 0x5f7ffffc
	s_wait_alu 0xfffe
	s_mul_f32 s22, s21, 0x2f800000
	s_delay_alu instid0(SALU_CYCLE_3) | instskip(NEXT) | instid1(SALU_CYCLE_3)
	s_trunc_f32 s22, s22
	s_fmamk_f32 s21, s22, 0xcf800000, s21
	s_cvt_u32_f32 s23, s22
	s_wait_alu 0xfffe
	s_delay_alu instid0(SALU_CYCLE_1) | instskip(NEXT) | instid1(SALU_CYCLE_3)
	s_cvt_u32_f32 s22, s21
	s_mul_u64 s[60:61], s[58:59], s[22:23]
	s_wait_alu 0xfffe
	s_mul_hi_u32 s63, s22, s61
	s_mul_i32 s62, s22, s61
	s_mul_hi_u32 s24, s22, s60
	s_mul_i32 s64, s23, s60
	s_wait_alu 0xfffe
	s_add_nc_u64 s[62:63], s[24:25], s[62:63]
	s_mul_hi_u32 s21, s23, s60
	s_mul_hi_u32 s65, s23, s61
	s_wait_alu 0xfffe
	s_add_co_u32 s24, s62, s64
	s_add_co_ci_u32 s24, s63, s21
	s_mul_i32 s60, s23, s61
	s_add_co_ci_u32 s61, s65, 0
	s_wait_alu 0xfffe
	s_add_nc_u64 s[60:61], s[24:25], s[60:61]
	s_wait_alu 0xfffe
	s_add_co_u32 s22, s22, s60
	s_cselect_b32 s21, -1, 0
	s_wait_alu 0xfffe
	s_cmp_lg_u32 s21, 0
	s_add_co_ci_u32 s23, s23, s61
	s_delay_alu instid0(SALU_CYCLE_1)
	s_mul_u64 s[58:59], s[58:59], s[22:23]
	s_wait_alu 0xfffe
	s_mul_hi_u32 s61, s22, s59
	s_mul_i32 s60, s22, s59
	s_mul_hi_u32 s24, s22, s58
	s_mul_i32 s62, s23, s58
	s_wait_alu 0xfffe
	s_add_nc_u64 s[60:61], s[24:25], s[60:61]
	s_mul_hi_u32 s21, s23, s58
	s_mul_hi_u32 s63, s23, s59
	s_wait_alu 0xfffe
	s_add_co_u32 s24, s60, s62
	s_add_co_ci_u32 s24, s61, s21
	s_mul_i32 s58, s23, s59
	s_add_co_ci_u32 s59, s63, 0
	s_wait_alu 0xfffe
	s_add_nc_u64 s[58:59], s[24:25], s[58:59]
	s_wait_alu 0xfffe
	s_add_co_u32 s21, s22, s58
	s_cselect_b32 s22, -1, 0
	s_delay_alu instid0(SALU_CYCLE_1) | instskip(SKIP_2) | instid1(SALU_CYCLE_1)
	s_cmp_lg_u32 s22, 0
	s_add_co_ci_u32 s62, s23, s59
	s_ashr_i32 s22, s13, 31
	s_mov_b32 s23, s22
	s_delay_alu instid0(SALU_CYCLE_1)
	s_add_nc_u64 s[58:59], s[12:13], s[22:23]
	s_wait_alu 0xfffe
	s_xor_b64 s[58:59], s[58:59], s[22:23]
	s_wait_alu 0xfffe
	s_mul_hi_u32 s61, s58, s62
	s_mul_i32 s60, s58, s62
	s_mul_hi_u32 s24, s58, s21
	s_mul_hi_u32 s64, s59, s21
	s_mul_i32 s21, s59, s21
	s_wait_alu 0xfffe
	s_add_nc_u64 s[60:61], s[24:25], s[60:61]
	s_mul_hi_u32 s63, s59, s62
	s_wait_alu 0xfffe
	s_add_co_u32 s21, s60, s21
	s_add_co_ci_u32 s24, s61, s64
	s_mul_i32 s62, s59, s62
	s_add_co_ci_u32 s63, s63, 0
	s_wait_alu 0xfffe
	s_add_nc_u64 s[60:61], s[24:25], s[62:63]
	s_wait_alu 0xfffe
	s_mul_u64 s[60:61], s[14:15], s[60:61]
	s_wait_alu 0xfffe
	s_sub_co_u32 s21, s58, s60
	s_cselect_b32 s24, -1, 0
	s_sub_co_i32 s58, s59, s61
	s_wait_alu 0xfffe
	s_cmp_lg_u32 s24, 0
	s_sub_co_ci_u32 s58, s58, s15
	s_sub_co_u32 s60, s21, s14
	s_cselect_b32 s62, -1, 0
	s_wait_alu 0xfffe
	s_cmp_lg_u32 s62, 0
	s_sub_co_ci_u32 s63, s58, 0
	s_wait_alu 0xfffe
	s_cmp_ge_u32 s63, s15
	s_cselect_b32 s64, -1, 0
	s_cmp_ge_u32 s60, s14
	s_cselect_b32 s65, -1, 0
	s_cmp_eq_u32 s63, s15
	s_wait_alu 0xfffe
	s_cselect_b32 s64, s65, s64
	s_cmp_lg_u32 s62, 0
	s_sub_co_ci_u32 s58, s58, s15
	s_sub_co_u32 s62, s60, s14
	s_cselect_b32 s65, -1, 0
	s_wait_alu 0xfffe
	s_cmp_lg_u32 s65, 0
	s_sub_co_ci_u32 s58, s58, 0
	s_cmp_lg_u32 s64, 0
	s_cselect_b32 s60, s62, s60
	s_wait_alu 0xfffe
	s_cselect_b32 s58, s58, s63
	s_cmp_lg_u32 s24, 0
	s_sub_co_ci_u32 s24, s59, s61
	s_wait_alu 0xfffe
	s_cmp_ge_u32 s24, s15
	s_cselect_b32 s59, -1, 0
	s_cmp_ge_u32 s21, s14
	s_cselect_b32 s14, -1, 0
	s_cmp_eq_u32 s24, s15
	s_wait_alu 0xfffe
	s_cselect_b32 s14, s14, s59
	s_delay_alu instid0(SALU_CYCLE_1) | instskip(SKIP_2) | instid1(SALU_CYCLE_1)
	s_cmp_lg_u32 s14, 0
	s_cselect_b32 s15, s58, s24
	s_cselect_b32 s14, s60, s21
	s_xor_b64 s[14:15], s[14:15], s[22:23]
	s_delay_alu instid0(SALU_CYCLE_1)
	s_sub_nc_u64 s[14:15], s[14:15], s[22:23]
	s_cbranch_execnz .LBB20_96
.LBB20_95:                              ;   in Loop: Header=BB20_7 Depth=1
	v_cvt_f32_u32_e32 v6, s44
	s_sub_co_i32 s15, 0, s44
	s_delay_alu instid0(VALU_DEP_1) | instskip(NEXT) | instid1(TRANS32_DEP_1)
	v_rcp_iflag_f32_e32 v6, v6
	v_mul_f32_e32 v6, 0x4f7ffffe, v6
	s_delay_alu instid0(VALU_DEP_1) | instskip(NEXT) | instid1(VALU_DEP_1)
	v_cvt_u32_f32_e32 v6, v6
	v_readfirstlane_b32 s14, v6
	s_mul_i32 s15, s15, s14
	s_delay_alu instid0(SALU_CYCLE_1) | instskip(NEXT) | instid1(SALU_CYCLE_1)
	s_mul_hi_u32 s15, s14, s15
	s_add_co_i32 s14, s14, s15
	s_delay_alu instid0(SALU_CYCLE_1) | instskip(NEXT) | instid1(SALU_CYCLE_1)
	s_mul_hi_u32 s14, s12, s14
	s_mul_i32 s14, s14, s44
	s_delay_alu instid0(SALU_CYCLE_1) | instskip(NEXT) | instid1(SALU_CYCLE_1)
	s_sub_co_i32 s14, s12, s14
	s_sub_co_i32 s15, s14, s44
	s_cmp_ge_u32 s14, s44
	s_cselect_b32 s14, s15, s14
	s_delay_alu instid0(SALU_CYCLE_1)
	s_sub_co_i32 s15, s14, s44
	s_cmp_ge_u32 s14, s44
	s_cselect_b32 s24, s15, s14
	s_wait_alu 0xfffe
	s_mov_b64 s[14:15], s[24:25]
.LBB20_96:                              ;   in Loop: Header=BB20_7 Depth=1
	s_delay_alu instid0(SALU_CYCLE_1)
	s_sub_nc_u64 s[12:13], s[12:13], s[14:15]
	s_mov_b32 s14, exec_lo
                                        ; implicit-def: $vgpr25
	s_wait_alu 0xfffe
	v_cmpx_gt_i64_e64 s[12:13], v[0:1]
	s_cbranch_execz .LBB20_105
; %bb.97:                               ;   in Loop: Header=BB20_7 Depth=1
	v_dual_mov_b32 v8, v14 :: v_dual_mov_b32 v7, v1
	v_mov_b32_e32 v6, v0
	s_mov_b32 s15, 0
                                        ; implicit-def: $sgpr21
	s_branch .LBB20_100
.LBB20_98:                              ;   in Loop: Header=BB20_100 Depth=2
	s_or_b32 exec_lo, exec_lo, s22
	s_wait_loadcnt_dscnt 0x0
	s_barrier_signal -1
	s_barrier_wait -1
	global_inv scope:SCOPE_SE
	ds_load_b64 v[24:25], v13 offset:3072
	s_mov_b32 s22, -1
	s_mov_b32 s23, -1
	s_wait_loadcnt_dscnt 0x0
	s_barrier_signal -1
	s_barrier_wait -1
	global_inv scope:SCOPE_SE
	v_cmp_ne_u32_e32 vcc_lo, 0, v24
	s_cbranch_vccz .LBB20_103
.LBB20_99:                              ;   in Loop: Header=BB20_100 Depth=2
	s_and_b32 s22, exec_lo, s22
	s_delay_alu instid0(SALU_CYCLE_1)
	s_or_b32 s15, s22, s15
	s_wait_alu 0xfffe
	s_and_not1_b32 s21, s21, exec_lo
	s_and_b32 s22, s23, exec_lo
	s_wait_alu 0xfffe
	s_or_b32 s21, s21, s22
	s_and_not1_b32 exec_lo, exec_lo, s15
	s_cbranch_execz .LBB20_104
.LBB20_100:                             ;   Parent Loop BB20_7 Depth=1
                                        ; =>  This Inner Loop Header: Depth=2
	s_mov_b32 s22, exec_lo
	s_delay_alu instid0(VALU_DEP_1)
	v_cmpx_gt_u64_e64 s[10:11], v[6:7]
	s_cbranch_execz .LBB20_98
; %bb.101:                              ;   in Loop: Header=BB20_100 Depth=2
	ds_load_b32 v24, v8
	s_wait_dscnt 0x0
	v_xor_b32_e32 v9, 0x80000000, v24
	s_delay_alu instid0(VALU_DEP_1) | instskip(NEXT) | instid1(VALU_DEP_1)
	v_and_b32_e32 v9, v9, v43
	v_cmp_eq_u32_e32 vcc_lo, v9, v19
	s_and_b32 exec_lo, exec_lo, vcc_lo
	s_cbranch_execz .LBB20_98
; %bb.102:                              ;   in Loop: Header=BB20_100 Depth=2
	ds_store_b64 v13, v[23:24] offset:3072
	s_branch .LBB20_98
.LBB20_103:                             ;   in Loop: Header=BB20_100 Depth=2
	v_add_co_u32 v6, vcc_lo, v6, s44
	s_wait_alu 0xfffd
	v_add_co_ci_u32_e64 v7, null, 0, v7, vcc_lo
	v_add_nc_u32_e32 v8, s86, v8
	s_mov_b32 s23, 0
	s_delay_alu instid0(VALU_DEP_2)
	v_cmp_le_i64_e32 vcc_lo, s[12:13], v[6:7]
	s_or_not1_b32 s22, vcc_lo, exec_lo
	s_branch .LBB20_99
.LBB20_104:                             ;   in Loop: Header=BB20_7 Depth=1
	s_or_b32 exec_lo, exec_lo, s15
	s_delay_alu instid0(SALU_CYCLE_1)
	s_and_not1_b32 s5, s5, exec_lo
	s_wait_alu 0xfffe
	s_and_b32 s10, s21, exec_lo
	s_wait_alu 0xfffe
	s_or_b32 s5, s5, s10
.LBB20_105:                             ;   in Loop: Header=BB20_7 Depth=1
	s_or_b32 exec_lo, exec_lo, s14
	s_mov_b32 s14, 0
	s_mov_b32 s15, -1
.LBB20_106:                             ;   in Loop: Header=BB20_7 Depth=1
	s_wait_alu 0xfffe
	s_or_not1_b32 s5, s5, exec_lo
.LBB20_107:                             ;   in Loop: Header=BB20_7 Depth=1
	s_wait_alu 0xfffe
	s_or_b32 exec_lo, exec_lo, s17
	s_delay_alu instid0(SALU_CYCLE_1)
	s_and_not1_b32 s10, s94, exec_lo
	s_and_b32 s11, s15, exec_lo
	s_and_not1_b32 s12, s92, exec_lo
	s_and_b32 s13, s14, exec_lo
	s_and_not1_b32 s91, s91, exec_lo
	s_wait_alu 0xfffe
	s_or_b32 s94, s10, s11
	s_or_b32 s92, s12, s13
                                        ; implicit-def: $vgpr6_vgpr7
	s_and_saveexec_b32 s17, s5
	s_cbranch_execz .LBB20_6
; %bb.108:                              ;   in Loop: Header=BB20_7 Depth=1
	v_mov_b32_e32 v6, 1
	v_dual_mov_b32 v7, 0 :: v_dual_mov_b32 v12, 1
	s_xor_b32 s11, s19, -1
	s_mov_b32 s10, 0
	s_wait_alu 0xfffe
	s_and_saveexec_b32 s5, s11
	s_cbranch_execz .LBB20_117
; %bb.109:                              ;   in Loop: Header=BB20_7 Depth=1
	s_mov_b32 s10, exec_lo
	v_cmpx_le_i64_e64 v[26:27], v[2:3]
	s_wait_alu 0xfffe
	s_xor_b32 s10, exec_lo, s10
	s_cbranch_execz .LBB20_114
; %bb.110:                              ;   in Loop: Header=BB20_7 Depth=1
	ds_load_b64 v[6:7], v13 offset:5120
	v_and_b32_e32 v19, s20, v19
	v_or_b32_e32 v43, s16, v43
	s_wait_dscnt 0x0
	v_cmp_ne_u64_e32 vcc_lo, 0, v[6:7]
	s_cbranch_vccnz .LBB20_114
; %bb.111:                              ;   in Loop: Header=BB20_7 Depth=1
	s_and_saveexec_b32 s11, s2
; %bb.112:                              ;   in Loop: Header=BB20_7 Depth=1
	ds_store_b64 v13, v[2:3] offset:5128
; %bb.113:                              ;   in Loop: Header=BB20_7 Depth=1
	s_wait_alu 0xfffe
	s_or_b32 exec_lo, exec_lo, s11
	s_wait_loadcnt_dscnt 0x0
	s_barrier_signal -1
	s_barrier_wait -1
	global_inv scope:SCOPE_SE
.LBB20_114:                             ;   in Loop: Header=BB20_7 Depth=1
	s_wait_alu 0xfffe
	s_or_saveexec_b32 s10, s10
	v_mov_b32_e32 v12, 8
	s_mov_b32 s11, 0
	s_wait_alu 0xfffe
	s_xor_b32 exec_lo, exec_lo, s10
; %bb.115:                              ;   in Loop: Header=BB20_7 Depth=1
	v_sub_co_u32 v26, vcc_lo, v26, v2
	s_wait_alu 0xfffd
	v_sub_co_ci_u32_e64 v27, null, v27, v3, vcc_lo
	v_mov_b32_e32 v12, 0
	s_mov_b32 s11, exec_lo
; %bb.116:                              ;   in Loop: Header=BB20_7 Depth=1
	s_or_b32 exec_lo, exec_lo, s10
	s_delay_alu instid0(VALU_DEP_2)
	v_dual_mov_b32 v6, v26 :: v_dual_mov_b32 v7, v27
	s_wait_alu 0xfffe
	s_and_b32 s10, s11, exec_lo
.LBB20_117:                             ;   in Loop: Header=BB20_7 Depth=1
	s_wait_alu 0xfffe
	s_or_b32 exec_lo, exec_lo, s5
	s_mov_b32 s18, -1
	s_mov_b32 s5, -1
                                        ; implicit-def: $sgpr21
                                        ; implicit-def: $sgpr22
	s_and_saveexec_b32 s11, s10
	s_wait_alu 0xfffe
	s_xor_b32 s19, exec_lo, s11
	s_cbranch_execz .LBB20_259
; %bb.118:                              ;   in Loop: Header=BB20_7 Depth=1
	v_cmp_eq_u64_e32 vcc_lo, 1, v[4:5]
	v_cmp_eq_u64_e64 s5, 1, v[6:7]
                                        ; implicit-def: $sgpr22
                                        ; implicit-def: $sgpr21
	s_and_b32 s58, vcc_lo, s5
	s_mov_b32 s5, -1
	s_wait_alu 0xfffe
	s_and_saveexec_b32 s23, s58
	s_cbranch_execz .LBB20_152
; %bb.119:                              ;   in Loop: Header=BB20_7 Depth=1
	ds_load_b64 v[2:3], v13 offset:5120
	s_wait_loadcnt_dscnt 0x0
	s_barrier_signal -1
	s_barrier_wait -1
	global_inv scope:SCOPE_SE
	v_readfirstlane_b32 s10, v2
	v_readfirstlane_b32 s11, v3
	s_and_saveexec_b32 s5, s3
; %bb.120:                              ;   in Loop: Header=BB20_7 Depth=1
	ds_store_b32 v33, v13
; %bb.121:                              ;   in Loop: Header=BB20_7 Depth=1
	s_wait_alu 0xfffe
	s_or_b32 exec_lo, exec_lo, s5
	s_lshl_b32 s5, 1, s87
	v_or_b32_e32 v43, s16, v43
	s_wait_alu 0xfffe
	v_and_or_b32 v19, v19, s20, s5
	v_cmp_gt_i64_e64 s5, s[10:11], 0
	s_mov_b32 s21, -1
	s_mov_b32 s22, 0
	s_mov_b32 s14, -1
	s_wait_loadcnt_dscnt 0x0
	s_barrier_signal -1
	s_and_b32 vcc_lo, exec_lo, s5
	s_mov_b32 s5, 0
	s_barrier_wait -1
	global_inv scope:SCOPE_SE
                                        ; implicit-def: $vgpr25
	s_wait_alu 0xfffe
	s_cbranch_vccnz .LBB20_137
; %bb.122:                              ;   in Loop: Header=BB20_7 Depth=1
	s_mov_b32 s12, s25
	s_mov_b32 s13, s53
	s_wait_alu 0xfffe
	s_cmp_lg_u64 s[12:13], 0
	s_cbranch_scc0 .LBB20_179
; %bb.123:                              ;   in Loop: Header=BB20_7 Depth=1
	s_add_nc_u64 s[12:13], s[44:45], 0
	s_wait_alu 0xfffe
	s_xor_b64 s[12:13], s[12:13], 0
	s_wait_alu 0xfffe
	s_cvt_f32_u32 s5, s12
	s_cvt_f32_u32 s14, s13
	s_sub_nc_u64 s[60:61], 0, s[12:13]
	s_wait_alu 0xfffe
	s_delay_alu instid0(SALU_CYCLE_1) | instskip(SKIP_1) | instid1(SALU_CYCLE_2)
	s_fmamk_f32 s5, s14, 0x4f800000, s5
	s_wait_alu 0xfffe
	v_s_rcp_f32 s5, s5
	s_delay_alu instid0(TRANS32_DEP_1) | instskip(SKIP_1) | instid1(SALU_CYCLE_2)
	s_mul_f32 s5, s5, 0x5f7ffffc
	s_wait_alu 0xfffe
	s_mul_f32 s14, s5, 0x2f800000
	s_delay_alu instid0(SALU_CYCLE_3) | instskip(NEXT) | instid1(SALU_CYCLE_3)
	s_trunc_f32 s14, s14
	s_fmamk_f32 s5, s14, 0xcf800000, s5
	s_cvt_u32_f32 s15, s14
	s_wait_alu 0xfffe
	s_delay_alu instid0(SALU_CYCLE_1) | instskip(NEXT) | instid1(SALU_CYCLE_3)
	s_cvt_u32_f32 s14, s5
	s_mul_u64 s[62:63], s[60:61], s[14:15]
	s_wait_alu 0xfffe
	s_mul_hi_u32 s65, s14, s63
	s_mul_i32 s64, s14, s63
	s_mul_hi_u32 s24, s14, s62
	s_mul_i32 s59, s15, s62
	s_wait_alu 0xfffe
	s_add_nc_u64 s[64:65], s[24:25], s[64:65]
	s_mul_hi_u32 s5, s15, s62
	s_mul_hi_u32 s66, s15, s63
	s_wait_alu 0xfffe
	s_add_co_u32 s24, s64, s59
	s_add_co_ci_u32 s24, s65, s5
	s_mul_i32 s62, s15, s63
	s_add_co_ci_u32 s63, s66, 0
	s_wait_alu 0xfffe
	s_add_nc_u64 s[62:63], s[24:25], s[62:63]
	s_wait_alu 0xfffe
	s_add_co_u32 s14, s14, s62
	s_cselect_b32 s5, -1, 0
	s_wait_alu 0xfffe
	s_cmp_lg_u32 s5, 0
	s_add_co_ci_u32 s15, s15, s63
	s_delay_alu instid0(SALU_CYCLE_1)
	s_mul_u64 s[60:61], s[60:61], s[14:15]
	s_wait_alu 0xfffe
	s_mul_hi_u32 s63, s14, s61
	s_mul_i32 s62, s14, s61
	s_mul_hi_u32 s24, s14, s60
	s_mul_i32 s59, s15, s60
	s_wait_alu 0xfffe
	s_add_nc_u64 s[62:63], s[24:25], s[62:63]
	s_mul_hi_u32 s5, s15, s60
	s_mul_hi_u32 s64, s15, s61
	s_wait_alu 0xfffe
	s_add_co_u32 s24, s62, s59
	s_add_co_ci_u32 s24, s63, s5
	s_mul_i32 s60, s15, s61
	s_add_co_ci_u32 s61, s64, 0
	s_wait_alu 0xfffe
	s_add_nc_u64 s[60:61], s[24:25], s[60:61]
	s_wait_alu 0xfffe
	s_add_co_u32 s5, s14, s60
	s_cselect_b32 s14, -1, 0
	s_delay_alu instid0(SALU_CYCLE_1) | instskip(SKIP_2) | instid1(SALU_CYCLE_1)
	s_cmp_lg_u32 s14, 0
	s_add_co_ci_u32 s59, s15, s61
	s_ashr_i32 s14, s53, 31
	s_mov_b32 s15, s14
	s_delay_alu instid0(SALU_CYCLE_1)
	s_add_nc_u64 s[60:61], s[52:53], s[14:15]
	s_wait_alu 0xfffe
	s_xor_b64 s[60:61], s[60:61], s[14:15]
	s_wait_alu 0xfffe
	s_mul_hi_u32 s63, s60, s59
	s_mul_i32 s62, s60, s59
	s_mul_hi_u32 s24, s60, s5
	s_mul_hi_u32 s66, s61, s5
	s_mul_i32 s5, s61, s5
	s_wait_alu 0xfffe
	s_add_nc_u64 s[62:63], s[24:25], s[62:63]
	s_mul_hi_u32 s65, s61, s59
	s_wait_alu 0xfffe
	s_add_co_u32 s5, s62, s5
	s_add_co_ci_u32 s24, s63, s66
	s_mul_i32 s64, s61, s59
	s_add_co_ci_u32 s65, s65, 0
	s_wait_alu 0xfffe
	s_add_nc_u64 s[62:63], s[24:25], s[64:65]
	s_wait_alu 0xfffe
	s_mul_u64 s[62:63], s[12:13], s[62:63]
	s_wait_alu 0xfffe
	s_sub_co_u32 s5, s60, s62
	s_cselect_b32 s24, -1, 0
	s_sub_co_i32 s59, s61, s63
	s_wait_alu 0xfffe
	s_cmp_lg_u32 s24, 0
	s_sub_co_ci_u32 s59, s59, s13
	s_sub_co_u32 s60, s5, s12
	s_cselect_b32 s62, -1, 0
	s_wait_alu 0xfffe
	s_cmp_lg_u32 s62, 0
	s_sub_co_ci_u32 s64, s59, 0
	s_wait_alu 0xfffe
	s_cmp_ge_u32 s64, s13
	s_cselect_b32 s65, -1, 0
	s_cmp_ge_u32 s60, s12
	s_cselect_b32 s66, -1, 0
	s_cmp_eq_u32 s64, s13
	s_wait_alu 0xfffe
	s_cselect_b32 s65, s66, s65
	s_cmp_lg_u32 s62, 0
	s_sub_co_ci_u32 s59, s59, s13
	s_sub_co_u32 s62, s60, s12
	s_cselect_b32 s66, -1, 0
	s_wait_alu 0xfffe
	s_cmp_lg_u32 s66, 0
	s_sub_co_ci_u32 s59, s59, 0
	s_cmp_lg_u32 s65, 0
	s_cselect_b32 s60, s62, s60
	s_wait_alu 0xfffe
	s_cselect_b32 s59, s59, s64
	s_cmp_lg_u32 s24, 0
	s_sub_co_ci_u32 s24, s61, s63
	s_wait_alu 0xfffe
	s_cmp_ge_u32 s24, s13
	s_cselect_b32 s61, -1, 0
	s_cmp_ge_u32 s5, s12
	s_cselect_b32 s12, -1, 0
	s_cmp_eq_u32 s24, s13
	s_wait_alu 0xfffe
	s_cselect_b32 s12, s12, s61
	s_wait_alu 0xfffe
	s_cmp_lg_u32 s12, 0
	s_cselect_b32 s13, s59, s24
	s_cselect_b32 s12, s60, s5
	s_wait_alu 0xfffe
	s_xor_b64 s[12:13], s[12:13], s[14:15]
	s_wait_alu 0xfffe
	s_sub_nc_u64 s[12:13], s[12:13], s[14:15]
	s_cbranch_execnz .LBB20_125
.LBB20_124:                             ;   in Loop: Header=BB20_7 Depth=1
	v_cvt_f32_u32_e32 v2, s44
	s_sub_co_i32 s12, 0, s44
	s_delay_alu instid0(VALU_DEP_1) | instskip(NEXT) | instid1(TRANS32_DEP_1)
	v_rcp_iflag_f32_e32 v2, v2
	v_mul_f32_e32 v2, 0x4f7ffffe, v2
	s_delay_alu instid0(VALU_DEP_1) | instskip(NEXT) | instid1(VALU_DEP_1)
	v_cvt_u32_f32_e32 v2, v2
	v_readfirstlane_b32 s5, v2
	s_wait_alu 0xfffe
	s_mul_i32 s12, s12, s5
	s_wait_alu 0xfffe
	s_mul_hi_u32 s12, s5, s12
	s_wait_alu 0xfffe
	s_add_co_i32 s5, s5, s12
	s_wait_alu 0xfffe
	s_mul_hi_u32 s5, s52, s5
	s_wait_alu 0xfffe
	s_mul_i32 s5, s5, s44
	s_wait_alu 0xfffe
	s_sub_co_i32 s5, s52, s5
	s_wait_alu 0xfffe
	s_sub_co_i32 s12, s5, s44
	s_cmp_ge_u32 s5, s44
	s_wait_alu 0xfffe
	s_cselect_b32 s5, s12, s5
	s_wait_alu 0xfffe
	s_sub_co_i32 s12, s5, s44
	s_cmp_ge_u32 s5, s44
	s_wait_alu 0xfffe
	s_cselect_b32 s24, s12, s5
	s_wait_alu 0xfffe
	s_mov_b64 s[12:13], s[24:25]
.LBB20_125:                             ;   in Loop: Header=BB20_7 Depth=1
	s_wait_alu 0xfffe
	s_sub_nc_u64 s[12:13], s[52:53], s[12:13]
	s_mov_b32 s14, 0
	s_mov_b32 s5, 0
	s_mov_b32 s15, exec_lo
                                        ; implicit-def: $vgpr25
	s_wait_alu 0xfffe
	v_cmpx_gt_i64_e64 s[12:13], v[0:1]
	s_cbranch_execz .LBB20_136
; %bb.126:                              ;   in Loop: Header=BB20_7 Depth=1
	v_dual_mov_b32 v2, v10 :: v_dual_mov_b32 v3, v11
	v_dual_mov_b32 v9, v1 :: v_dual_mov_b32 v8, v0
	s_mov_b32 s24, 0
                                        ; implicit-def: $sgpr59
	s_branch .LBB20_129
.LBB20_127:                             ;   in Loop: Header=BB20_129 Depth=2
	s_wait_alu 0xfffe
	s_or_b32 exec_lo, exec_lo, s5
	s_wait_loadcnt_dscnt 0x0
	s_barrier_signal -1
	s_barrier_wait -1
	global_inv scope:SCOPE_SE
	ds_load_b64 v[24:25], v13 offset:3072
	s_mov_b32 s5, -1
	s_mov_b32 s60, -1
	s_wait_loadcnt_dscnt 0x0
	s_barrier_signal -1
	s_barrier_wait -1
	global_inv scope:SCOPE_SE
	v_cmp_ne_u32_e32 vcc_lo, 0, v24
	s_cbranch_vccz .LBB20_132
.LBB20_128:                             ;   in Loop: Header=BB20_129 Depth=2
	s_wait_alu 0xfffe
	s_and_b32 s5, exec_lo, s5
	s_wait_alu 0xfffe
	s_or_b32 s24, s5, s24
	s_and_not1_b32 s5, s59, exec_lo
	s_and_b32 s59, s60, exec_lo
	s_wait_alu 0xfffe
	s_or_b32 s59, s5, s59
	s_and_not1_b32 exec_lo, exec_lo, s24
	s_cbranch_execz .LBB20_135
.LBB20_129:                             ;   Parent Loop BB20_7 Depth=1
                                        ; =>  This Inner Loop Header: Depth=2
	s_mov_b32 s5, exec_lo
	s_delay_alu instid0(VALU_DEP_1)
	v_cmpx_gt_i64_e64 s[36:37], v[8:9]
	s_cbranch_execz .LBB20_127
; %bb.130:                              ;   in Loop: Header=BB20_129 Depth=2
	global_load_b32 v24, v[2:3], off
	s_wait_loadcnt 0x0
	v_xor_b32_e32 v25, 0x80000000, v24
	s_delay_alu instid0(VALU_DEP_1) | instskip(NEXT) | instid1(VALU_DEP_1)
	v_and_b32_e32 v25, v25, v43
	v_cmp_eq_u32_e32 vcc_lo, v25, v19
	s_and_b32 exec_lo, exec_lo, vcc_lo
	s_cbranch_execz .LBB20_127
; %bb.131:                              ;   in Loop: Header=BB20_129 Depth=2
	ds_store_b64 v13, v[23:24] offset:3072
	s_branch .LBB20_127
.LBB20_132:                             ;   in Loop: Header=BB20_129 Depth=2
	v_add_co_u32 v8, vcc_lo, v8, s44
	s_wait_alu 0xfffd
	v_add_co_ci_u32_e64 v9, null, 0, v9, vcc_lo
	v_add_co_u32 v2, s5, v2, s46
	s_wait_alu 0xf1fe
	v_add_co_ci_u32_e64 v3, null, s47, v3, s5
	s_delay_alu instid0(VALU_DEP_3)
	v_cmp_le_i64_e32 vcc_lo, s[12:13], v[8:9]
	s_mov_b32 s60, 0
	s_or_not1_b32 s5, vcc_lo, exec_lo
	s_branch .LBB20_128
.LBB20_133:                             ;   in Loop: Header=BB20_7 Depth=1
                                        ; implicit-def: $sgpr12_sgpr13
	s_branch .LBB20_81
.LBB20_134:                             ;   in Loop: Header=BB20_7 Depth=1
                                        ; implicit-def: $sgpr14_sgpr15
	s_branch .LBB20_95
.LBB20_135:                             ;   in Loop: Header=BB20_7 Depth=1
	s_or_b32 exec_lo, exec_lo, s24
	s_wait_alu 0xfffe
	s_and_b32 s5, s59, exec_lo
.LBB20_136:                             ;   in Loop: Header=BB20_7 Depth=1
	s_or_b32 exec_lo, exec_lo, s15
.LBB20_137:                             ;   in Loop: Header=BB20_7 Depth=1
	s_delay_alu instid0(SALU_CYCLE_1)
	s_and_b32 vcc_lo, exec_lo, s14
	s_wait_alu 0xfffe
	s_cbranch_vccz .LBB20_151
; %bb.138:                              ;   in Loop: Header=BB20_7 Depth=1
	s_add_nc_u64 s[12:13], s[10:11], s[50:51]
	s_mov_b32 s14, s25
	s_wait_alu 0xfffe
	s_mov_b32 s15, s13
	s_delay_alu instid0(SALU_CYCLE_1)
	s_cmp_lg_u64 s[14:15], 0
	s_cbranch_scc0 .LBB20_180
; %bb.139:                              ;   in Loop: Header=BB20_7 Depth=1
	s_add_nc_u64 s[14:15], s[44:45], 0
	s_delay_alu instid0(SALU_CYCLE_1) | instskip(NEXT) | instid1(SALU_CYCLE_1)
	s_xor_b64 s[14:15], s[14:15], 0
	s_cvt_f32_u32 s21, s14
	s_cvt_f32_u32 s22, s15
	s_sub_nc_u64 s[62:63], 0, s[14:15]
	s_wait_alu 0xfffe
	s_delay_alu instid0(SALU_CYCLE_1) | instskip(SKIP_1) | instid1(SALU_CYCLE_2)
	s_fmamk_f32 s21, s22, 0x4f800000, s21
	s_wait_alu 0xfffe
	v_s_rcp_f32 s21, s21
	s_delay_alu instid0(TRANS32_DEP_1) | instskip(SKIP_1) | instid1(SALU_CYCLE_2)
	s_mul_f32 s21, s21, 0x5f7ffffc
	s_wait_alu 0xfffe
	s_mul_f32 s22, s21, 0x2f800000
	s_delay_alu instid0(SALU_CYCLE_3) | instskip(NEXT) | instid1(SALU_CYCLE_3)
	s_trunc_f32 s22, s22
	s_fmamk_f32 s21, s22, 0xcf800000, s21
	s_cvt_u32_f32 s61, s22
	s_wait_alu 0xfffe
	s_delay_alu instid0(SALU_CYCLE_1) | instskip(SKIP_1) | instid1(SALU_CYCLE_2)
	s_cvt_u32_f32 s60, s21
	s_wait_alu 0xfffe
	s_mul_u64 s[64:65], s[62:63], s[60:61]
	s_wait_alu 0xfffe
	s_mul_hi_u32 s67, s60, s65
	s_mul_i32 s66, s60, s65
	s_mul_hi_u32 s24, s60, s64
	s_mul_i32 s22, s61, s64
	s_wait_alu 0xfffe
	s_add_nc_u64 s[66:67], s[24:25], s[66:67]
	s_mul_hi_u32 s21, s61, s64
	s_mul_hi_u32 s59, s61, s65
	s_wait_alu 0xfffe
	s_add_co_u32 s22, s66, s22
	s_add_co_ci_u32 s24, s67, s21
	s_mul_i32 s64, s61, s65
	s_add_co_ci_u32 s65, s59, 0
	s_wait_alu 0xfffe
	s_add_nc_u64 s[64:65], s[24:25], s[64:65]
	s_wait_alu 0xfffe
	s_add_co_u32 s60, s60, s64
	s_cselect_b32 s21, -1, 0
	s_wait_alu 0xfffe
	s_cmp_lg_u32 s21, 0
	s_add_co_ci_u32 s61, s61, s65
	s_wait_alu 0xfffe
	s_mul_u64 s[62:63], s[62:63], s[60:61]
	s_wait_alu 0xfffe
	s_mul_hi_u32 s65, s60, s63
	s_mul_i32 s64, s60, s63
	s_mul_hi_u32 s24, s60, s62
	s_mul_i32 s22, s61, s62
	s_wait_alu 0xfffe
	s_add_nc_u64 s[64:65], s[24:25], s[64:65]
	s_mul_hi_u32 s21, s61, s62
	s_mul_hi_u32 s59, s61, s63
	s_wait_alu 0xfffe
	s_add_co_u32 s22, s64, s22
	s_add_co_ci_u32 s24, s65, s21
	s_mul_i32 s62, s61, s63
	s_add_co_ci_u32 s63, s59, 0
	s_wait_alu 0xfffe
	s_add_nc_u64 s[62:63], s[24:25], s[62:63]
	s_wait_alu 0xfffe
	s_add_co_u32 s21, s60, s62
	s_cselect_b32 s22, -1, 0
	s_delay_alu instid0(SALU_CYCLE_1)
	s_cmp_lg_u32 s22, 0
	s_add_co_ci_u32 s22, s61, s63
	s_ashr_i32 s60, s13, 31
	s_wait_alu 0xfffe
	s_mov_b32 s61, s60
	s_wait_alu 0xfffe
	s_add_nc_u64 s[62:63], s[12:13], s[60:61]
	s_wait_alu 0xfffe
	s_xor_b64 s[62:63], s[62:63], s[60:61]
	s_wait_alu 0xfffe
	s_mul_hi_u32 s65, s62, s22
	s_mul_i32 s64, s62, s22
	s_mul_hi_u32 s24, s62, s21
	s_mul_hi_u32 s67, s63, s21
	s_mul_i32 s21, s63, s21
	s_wait_alu 0xfffe
	s_add_nc_u64 s[64:65], s[24:25], s[64:65]
	s_mul_hi_u32 s59, s63, s22
	s_wait_alu 0xfffe
	s_add_co_u32 s21, s64, s21
	s_add_co_ci_u32 s24, s65, s67
	s_mul_i32 s66, s63, s22
	s_add_co_ci_u32 s67, s59, 0
	s_wait_alu 0xfffe
	s_add_nc_u64 s[64:65], s[24:25], s[66:67]
	s_wait_alu 0xfffe
	s_mul_u64 s[64:65], s[14:15], s[64:65]
	s_wait_alu 0xfffe
	s_sub_co_u32 s21, s62, s64
	s_cselect_b32 s22, -1, 0
	s_sub_co_i32 s24, s63, s65
	s_cmp_lg_u32 s22, 0
	s_wait_alu 0xfffe
	s_sub_co_ci_u32 s24, s24, s15
	s_sub_co_u32 s59, s21, s14
	s_cselect_b32 s62, -1, 0
	s_wait_alu 0xfffe
	s_cmp_lg_u32 s62, 0
	s_sub_co_ci_u32 s64, s24, 0
	s_wait_alu 0xfffe
	s_cmp_ge_u32 s64, s15
	s_cselect_b32 s66, -1, 0
	s_cmp_ge_u32 s59, s14
	s_cselect_b32 s67, -1, 0
	s_cmp_eq_u32 s64, s15
	s_wait_alu 0xfffe
	s_cselect_b32 s66, s67, s66
	s_cmp_lg_u32 s62, 0
	s_sub_co_ci_u32 s24, s24, s15
	s_sub_co_u32 s62, s59, s14
	s_cselect_b32 s67, -1, 0
	s_wait_alu 0xfffe
	s_cmp_lg_u32 s67, 0
	s_sub_co_ci_u32 s24, s24, 0
	s_cmp_lg_u32 s66, 0
	s_cselect_b32 s59, s62, s59
	s_wait_alu 0xfffe
	s_cselect_b32 s24, s24, s64
	s_cmp_lg_u32 s22, 0
	s_sub_co_ci_u32 s22, s63, s65
	s_delay_alu instid0(SALU_CYCLE_1)
	s_cmp_ge_u32 s22, s15
	s_cselect_b32 s62, -1, 0
	s_cmp_ge_u32 s21, s14
	s_cselect_b32 s14, -1, 0
	s_cmp_eq_u32 s22, s15
	s_wait_alu 0xfffe
	s_cselect_b32 s14, s14, s62
	s_delay_alu instid0(SALU_CYCLE_1) | instskip(SKIP_2) | instid1(SALU_CYCLE_1)
	s_cmp_lg_u32 s14, 0
	s_cselect_b32 s15, s24, s22
	s_cselect_b32 s14, s59, s21
	s_xor_b64 s[14:15], s[14:15], s[60:61]
	s_delay_alu instid0(SALU_CYCLE_1)
	s_sub_nc_u64 s[14:15], s[14:15], s[60:61]
	s_cbranch_execnz .LBB20_141
.LBB20_140:                             ;   in Loop: Header=BB20_7 Depth=1
	v_cvt_f32_u32_e32 v2, s44
	s_sub_co_i32 s15, 0, s44
	s_delay_alu instid0(VALU_DEP_1) | instskip(NEXT) | instid1(TRANS32_DEP_1)
	v_rcp_iflag_f32_e32 v2, v2
	v_mul_f32_e32 v2, 0x4f7ffffe, v2
	s_delay_alu instid0(VALU_DEP_1) | instskip(NEXT) | instid1(VALU_DEP_1)
	v_cvt_u32_f32_e32 v2, v2
	v_readfirstlane_b32 s14, v2
	s_mul_i32 s15, s15, s14
	s_delay_alu instid0(SALU_CYCLE_1) | instskip(NEXT) | instid1(SALU_CYCLE_1)
	s_mul_hi_u32 s15, s14, s15
	s_add_co_i32 s14, s14, s15
	s_delay_alu instid0(SALU_CYCLE_1) | instskip(NEXT) | instid1(SALU_CYCLE_1)
	s_mul_hi_u32 s14, s12, s14
	s_mul_i32 s14, s14, s44
	s_delay_alu instid0(SALU_CYCLE_1) | instskip(NEXT) | instid1(SALU_CYCLE_1)
	s_sub_co_i32 s14, s12, s14
	s_sub_co_i32 s15, s14, s44
	s_cmp_ge_u32 s14, s44
	s_cselect_b32 s14, s15, s14
	s_delay_alu instid0(SALU_CYCLE_1)
	s_sub_co_i32 s15, s14, s44
	s_cmp_ge_u32 s14, s44
	s_cselect_b32 s24, s15, s14
	s_wait_alu 0xfffe
	s_mov_b64 s[14:15], s[24:25]
.LBB20_141:                             ;   in Loop: Header=BB20_7 Depth=1
	s_delay_alu instid0(SALU_CYCLE_1)
	s_sub_nc_u64 s[12:13], s[12:13], s[14:15]
	s_mov_b32 s14, exec_lo
                                        ; implicit-def: $vgpr25
	s_wait_alu 0xfffe
	v_cmpx_gt_i64_e64 s[12:13], v[0:1]
	s_cbranch_execz .LBB20_150
; %bb.142:                              ;   in Loop: Header=BB20_7 Depth=1
	v_dual_mov_b32 v8, v14 :: v_dual_mov_b32 v3, v1
	v_mov_b32_e32 v2, v0
	s_mov_b32 s15, 0
                                        ; implicit-def: $sgpr21
	s_branch .LBB20_145
.LBB20_143:                             ;   in Loop: Header=BB20_145 Depth=2
	s_or_b32 exec_lo, exec_lo, s22
	s_wait_loadcnt_dscnt 0x0
	s_barrier_signal -1
	s_barrier_wait -1
	global_inv scope:SCOPE_SE
	ds_load_b64 v[24:25], v13 offset:3072
	s_mov_b32 s22, -1
	s_mov_b32 s24, -1
	s_wait_loadcnt_dscnt 0x0
	s_barrier_signal -1
	s_barrier_wait -1
	global_inv scope:SCOPE_SE
	v_cmp_eq_u32_e32 vcc_lo, 0, v24
	s_cbranch_vccnz .LBB20_148
.LBB20_144:                             ;   in Loop: Header=BB20_145 Depth=2
	s_and_b32 s22, exec_lo, s22
	s_delay_alu instid0(SALU_CYCLE_1)
	s_or_b32 s15, s22, s15
	s_wait_alu 0xfffe
	s_and_not1_b32 s21, s21, exec_lo
	s_and_b32 s22, s24, exec_lo
	s_wait_alu 0xfffe
	s_or_b32 s21, s21, s22
	s_and_not1_b32 exec_lo, exec_lo, s15
	s_cbranch_execz .LBB20_149
.LBB20_145:                             ;   Parent Loop BB20_7 Depth=1
                                        ; =>  This Inner Loop Header: Depth=2
	s_mov_b32 s22, exec_lo
	s_delay_alu instid0(VALU_DEP_1)
	v_cmpx_gt_u64_e64 s[10:11], v[2:3]
	s_cbranch_execz .LBB20_143
; %bb.146:                              ;   in Loop: Header=BB20_145 Depth=2
	ds_load_b32 v24, v8
	s_wait_dscnt 0x0
	v_xor_b32_e32 v9, 0x80000000, v24
	s_delay_alu instid0(VALU_DEP_1) | instskip(NEXT) | instid1(VALU_DEP_1)
	v_and_b32_e32 v9, v9, v43
	v_cmp_eq_u32_e32 vcc_lo, v9, v19
	s_and_b32 exec_lo, exec_lo, vcc_lo
	s_cbranch_execz .LBB20_143
; %bb.147:                              ;   in Loop: Header=BB20_145 Depth=2
	ds_store_b64 v13, v[23:24] offset:3072
	s_branch .LBB20_143
.LBB20_148:                             ;   in Loop: Header=BB20_145 Depth=2
	v_add_co_u32 v2, vcc_lo, v2, s44
	s_wait_alu 0xfffd
	v_add_co_ci_u32_e64 v3, null, 0, v3, vcc_lo
	v_add_nc_u32_e32 v8, s86, v8
	s_mov_b32 s24, 0
	s_delay_alu instid0(VALU_DEP_2)
	v_cmp_le_i64_e32 vcc_lo, s[12:13], v[2:3]
	s_or_not1_b32 s22, vcc_lo, exec_lo
	s_branch .LBB20_144
.LBB20_149:                             ;   in Loop: Header=BB20_7 Depth=1
	s_or_b32 exec_lo, exec_lo, s15
	s_delay_alu instid0(SALU_CYCLE_1)
	s_and_not1_b32 s5, s5, exec_lo
	s_wait_alu 0xfffe
	s_and_b32 s10, s21, exec_lo
	s_wait_alu 0xfffe
	s_or_b32 s5, s5, s10
.LBB20_150:                             ;   in Loop: Header=BB20_7 Depth=1
	s_or_b32 exec_lo, exec_lo, s14
	s_mov_b32 s21, 0
	s_mov_b32 s22, -1
.LBB20_151:                             ;   in Loop: Header=BB20_7 Depth=1
	s_wait_alu 0xfffe
	s_or_not1_b32 s5, s5, exec_lo
.LBB20_152:                             ;   in Loop: Header=BB20_7 Depth=1
	s_or_b32 exec_lo, exec_lo, s23
	s_mov_b32 s10, 0
	s_wait_alu 0xfffe
	s_and_saveexec_b32 s23, s5
	s_cbranch_execz .LBB20_258
; %bb.153:                              ;   in Loop: Header=BB20_7 Depth=1
	v_mov_b32_e32 v2, 1
	v_dual_mov_b32 v3, 0 :: v_dual_mov_b32 v12, 1
	s_xor_b32 s11, s58, -1
	s_wait_alu 0xfffe
	s_and_saveexec_b32 s5, s11
	s_cbranch_execz .LBB20_163
; %bb.154:                              ;   in Loop: Header=BB20_7 Depth=1
	s_mov_b32 s10, exec_lo
	v_cmpx_le_i64_e64 v[6:7], v[4:5]
	s_wait_alu 0xfffe
	s_xor_b32 s10, exec_lo, s10
	s_cbranch_execz .LBB20_160
; %bb.155:                              ;   in Loop: Header=BB20_7 Depth=1
	ds_load_b64 v[2:3], v13 offset:5120
	s_lshl_b32 s11, 1, s87
	v_or_b32_e32 v43, s16, v43
	s_wait_alu 0xfffe
	v_and_or_b32 v19, v19, s20, s11
	s_wait_dscnt 0x0
	v_cmp_ne_u64_e32 vcc_lo, 0, v[2:3]
	s_cbranch_vccnz .LBB20_159
; %bb.156:                              ;   in Loop: Header=BB20_7 Depth=1
	s_and_saveexec_b32 s11, s2
; %bb.157:                              ;   in Loop: Header=BB20_7 Depth=1
	ds_store_b64 v13, v[4:5] offset:5128
; %bb.158:                              ;   in Loop: Header=BB20_7 Depth=1
	s_wait_alu 0xfffe
	s_or_b32 exec_lo, exec_lo, s11
	s_wait_loadcnt_dscnt 0x0
	s_barrier_signal -1
	s_barrier_wait -1
	global_inv scope:SCOPE_SE
.LBB20_159:                             ;   in Loop: Header=BB20_7 Depth=1
                                        ; implicit-def: $vgpr2_vgpr3_vgpr4_vgpr5
.LBB20_160:                             ;   in Loop: Header=BB20_7 Depth=1
	s_wait_alu 0xfffe
	s_or_saveexec_b32 s10, s10
	v_mov_b32_e32 v12, 8
	s_mov_b32 s11, 0
	s_wait_alu 0xfffe
	s_xor_b32 exec_lo, exec_lo, s10
; %bb.161:                              ;   in Loop: Header=BB20_7 Depth=1
	v_sub_co_u32 v6, vcc_lo, v6, v4
	s_wait_alu 0xfffd
	v_sub_co_ci_u32_e64 v7, null, v7, v5, vcc_lo
	v_mov_b32_e32 v12, 0
	s_mov_b32 s11, exec_lo
; %bb.162:                              ;   in Loop: Header=BB20_7 Depth=1
	s_or_b32 exec_lo, exec_lo, s10
	s_delay_alu instid0(VALU_DEP_2)
	v_dual_mov_b32 v2, v6 :: v_dual_mov_b32 v3, v7
	s_wait_alu 0xfffe
	s_and_b32 s10, s11, exec_lo
.LBB20_163:                             ;   in Loop: Header=BB20_7 Depth=1
	s_wait_alu 0xfffe
	s_or_b32 exec_lo, exec_lo, s5
	s_mov_b32 s5, -1
                                        ; implicit-def: $sgpr14
                                        ; implicit-def: $sgpr15
	s_and_saveexec_b32 s58, s10
	s_cbranch_execz .LBB20_257
; %bb.164:                              ;   in Loop: Header=BB20_7 Depth=1
	v_cmp_eq_u64_e32 vcc_lo, 1, v[2:3]
	s_cmp_eq_u64 s[8:9], 1
                                        ; implicit-def: $sgpr15
                                        ; implicit-def: $sgpr14
	s_cselect_b32 s5, -1, 0
	s_wait_alu 0xfffe
	s_and_b32 s60, s5, vcc_lo
	s_mov_b32 s5, -1
	s_wait_alu 0xfffe
	s_and_saveexec_b32 s59, s60
	s_cbranch_execz .LBB20_198
; %bb.165:                              ;   in Loop: Header=BB20_7 Depth=1
	ds_load_b64 v[4:5], v13 offset:5120
	s_wait_loadcnt_dscnt 0x0
	s_barrier_signal -1
	s_barrier_wait -1
	global_inv scope:SCOPE_SE
	v_readfirstlane_b32 s10, v4
	v_readfirstlane_b32 s11, v5
	s_and_saveexec_b32 s5, s3
; %bb.166:                              ;   in Loop: Header=BB20_7 Depth=1
	ds_store_b32 v33, v13
; %bb.167:                              ;   in Loop: Header=BB20_7 Depth=1
	s_wait_alu 0xfffe
	s_or_b32 exec_lo, exec_lo, s5
	s_lshl_b32 s5, 2, s87
	v_or_b32_e32 v43, s16, v43
	s_wait_alu 0xfffe
	v_and_or_b32 v19, v19, s20, s5
	v_cmp_gt_i64_e64 s5, s[10:11], 0
	s_mov_b32 s14, -1
	s_mov_b32 s15, 0
	s_mov_b32 s24, -1
	s_wait_loadcnt_dscnt 0x0
	s_barrier_signal -1
	s_and_b32 vcc_lo, exec_lo, s5
	s_mov_b32 s5, 0
	s_barrier_wait -1
	global_inv scope:SCOPE_SE
                                        ; implicit-def: $vgpr25
	s_wait_alu 0xfffe
	s_cbranch_vccnz .LBB20_183
; %bb.168:                              ;   in Loop: Header=BB20_7 Depth=1
	s_mov_b32 s12, s25
	s_mov_b32 s13, s53
	s_wait_alu 0xfffe
	s_cmp_lg_u64 s[12:13], 0
	s_cbranch_scc0 .LBB20_224
; %bb.169:                              ;   in Loop: Header=BB20_7 Depth=1
	s_add_nc_u64 s[12:13], s[44:45], 0
	s_wait_alu 0xfffe
	s_xor_b64 s[12:13], s[12:13], 0
	s_wait_alu 0xfffe
	s_cvt_f32_u32 s5, s12
	s_cvt_f32_u32 s24, s13
	s_sub_nc_u64 s[64:65], 0, s[12:13]
	s_wait_alu 0xfffe
	s_delay_alu instid0(SALU_CYCLE_1) | instskip(SKIP_1) | instid1(SALU_CYCLE_2)
	s_fmamk_f32 s5, s24, 0x4f800000, s5
	s_wait_alu 0xfffe
	v_s_rcp_f32 s5, s5
	s_delay_alu instid0(TRANS32_DEP_1) | instskip(SKIP_1) | instid1(SALU_CYCLE_2)
	s_mul_f32 s5, s5, 0x5f7ffffc
	s_wait_alu 0xfffe
	s_mul_f32 s24, s5, 0x2f800000
	s_wait_alu 0xfffe
	s_delay_alu instid0(SALU_CYCLE_2) | instskip(SKIP_1) | instid1(SALU_CYCLE_2)
	s_trunc_f32 s24, s24
	s_wait_alu 0xfffe
	s_fmamk_f32 s5, s24, 0xcf800000, s5
	s_cvt_u32_f32 s63, s24
	s_wait_alu 0xfffe
	s_delay_alu instid0(SALU_CYCLE_1) | instskip(SKIP_1) | instid1(SALU_CYCLE_2)
	s_cvt_u32_f32 s62, s5
	s_wait_alu 0xfffe
	s_mul_u64 s[66:67], s[64:65], s[62:63]
	s_wait_alu 0xfffe
	s_mul_hi_u32 s69, s62, s67
	s_mul_i32 s68, s62, s67
	s_mul_hi_u32 s24, s62, s66
	s_mul_i32 s61, s63, s66
	s_wait_alu 0xfffe
	s_add_nc_u64 s[68:69], s[24:25], s[68:69]
	s_mul_hi_u32 s5, s63, s66
	s_mul_hi_u32 s70, s63, s67
	s_wait_alu 0xfffe
	s_add_co_u32 s24, s68, s61
	s_add_co_ci_u32 s24, s69, s5
	s_mul_i32 s66, s63, s67
	s_add_co_ci_u32 s67, s70, 0
	s_wait_alu 0xfffe
	s_add_nc_u64 s[66:67], s[24:25], s[66:67]
	s_wait_alu 0xfffe
	s_add_co_u32 s62, s62, s66
	s_cselect_b32 s5, -1, 0
	s_wait_alu 0xfffe
	s_cmp_lg_u32 s5, 0
	s_add_co_ci_u32 s63, s63, s67
	s_wait_alu 0xfffe
	s_mul_u64 s[64:65], s[64:65], s[62:63]
	s_wait_alu 0xfffe
	s_mul_hi_u32 s67, s62, s65
	s_mul_i32 s66, s62, s65
	s_mul_hi_u32 s24, s62, s64
	s_mul_i32 s61, s63, s64
	s_wait_alu 0xfffe
	s_add_nc_u64 s[66:67], s[24:25], s[66:67]
	s_mul_hi_u32 s5, s63, s64
	s_mul_hi_u32 s68, s63, s65
	s_wait_alu 0xfffe
	s_add_co_u32 s24, s66, s61
	s_add_co_ci_u32 s24, s67, s5
	s_mul_i32 s64, s63, s65
	s_add_co_ci_u32 s65, s68, 0
	s_wait_alu 0xfffe
	s_add_nc_u64 s[64:65], s[24:25], s[64:65]
	s_wait_alu 0xfffe
	s_add_co_u32 s5, s62, s64
	s_cselect_b32 s24, -1, 0
	s_wait_alu 0xfffe
	s_cmp_lg_u32 s24, 0
	s_add_co_ci_u32 s61, s63, s65
	s_ashr_i32 s62, s53, 31
	s_wait_alu 0xfffe
	s_mov_b32 s63, s62
	s_wait_alu 0xfffe
	s_add_nc_u64 s[64:65], s[52:53], s[62:63]
	s_wait_alu 0xfffe
	s_xor_b64 s[64:65], s[64:65], s[62:63]
	s_wait_alu 0xfffe
	s_mul_hi_u32 s67, s64, s61
	s_mul_i32 s66, s64, s61
	s_mul_hi_u32 s24, s64, s5
	s_mul_hi_u32 s70, s65, s5
	s_mul_i32 s5, s65, s5
	s_wait_alu 0xfffe
	s_add_nc_u64 s[66:67], s[24:25], s[66:67]
	s_mul_hi_u32 s69, s65, s61
	s_wait_alu 0xfffe
	s_add_co_u32 s5, s66, s5
	s_add_co_ci_u32 s24, s67, s70
	s_mul_i32 s68, s65, s61
	s_add_co_ci_u32 s69, s69, 0
	s_wait_alu 0xfffe
	s_add_nc_u64 s[66:67], s[24:25], s[68:69]
	s_wait_alu 0xfffe
	s_mul_u64 s[66:67], s[12:13], s[66:67]
	s_wait_alu 0xfffe
	s_sub_co_u32 s5, s64, s66
	s_cselect_b32 s24, -1, 0
	s_sub_co_i32 s61, s65, s67
	s_wait_alu 0xfffe
	s_cmp_lg_u32 s24, 0
	s_sub_co_ci_u32 s61, s61, s13
	s_sub_co_u32 s64, s5, s12
	s_cselect_b32 s66, -1, 0
	s_wait_alu 0xfffe
	s_cmp_lg_u32 s66, 0
	s_sub_co_ci_u32 s68, s61, 0
	s_wait_alu 0xfffe
	s_cmp_ge_u32 s68, s13
	s_cselect_b32 s69, -1, 0
	s_cmp_ge_u32 s64, s12
	s_cselect_b32 s70, -1, 0
	s_cmp_eq_u32 s68, s13
	s_wait_alu 0xfffe
	s_cselect_b32 s69, s70, s69
	s_cmp_lg_u32 s66, 0
	s_sub_co_ci_u32 s61, s61, s13
	s_sub_co_u32 s66, s64, s12
	s_cselect_b32 s70, -1, 0
	s_wait_alu 0xfffe
	s_cmp_lg_u32 s70, 0
	s_sub_co_ci_u32 s61, s61, 0
	s_cmp_lg_u32 s69, 0
	s_cselect_b32 s64, s66, s64
	s_wait_alu 0xfffe
	s_cselect_b32 s61, s61, s68
	s_cmp_lg_u32 s24, 0
	s_sub_co_ci_u32 s24, s65, s67
	s_wait_alu 0xfffe
	s_cmp_ge_u32 s24, s13
	s_cselect_b32 s65, -1, 0
	s_cmp_ge_u32 s5, s12
	s_cselect_b32 s12, -1, 0
	s_cmp_eq_u32 s24, s13
	s_wait_alu 0xfffe
	s_cselect_b32 s12, s12, s65
	s_wait_alu 0xfffe
	s_cmp_lg_u32 s12, 0
	s_cselect_b32 s13, s61, s24
	s_cselect_b32 s12, s64, s5
	s_wait_alu 0xfffe
	s_xor_b64 s[12:13], s[12:13], s[62:63]
	s_wait_alu 0xfffe
	s_sub_nc_u64 s[12:13], s[12:13], s[62:63]
	s_cbranch_execnz .LBB20_171
.LBB20_170:                             ;   in Loop: Header=BB20_7 Depth=1
	v_cvt_f32_u32_e32 v4, s44
	s_sub_co_i32 s12, 0, s44
	s_delay_alu instid0(VALU_DEP_1) | instskip(NEXT) | instid1(TRANS32_DEP_1)
	v_rcp_iflag_f32_e32 v4, v4
	v_mul_f32_e32 v4, 0x4f7ffffe, v4
	s_delay_alu instid0(VALU_DEP_1) | instskip(NEXT) | instid1(VALU_DEP_1)
	v_cvt_u32_f32_e32 v4, v4
	v_readfirstlane_b32 s5, v4
	s_wait_alu 0xfffe
	s_mul_i32 s12, s12, s5
	s_wait_alu 0xfffe
	s_mul_hi_u32 s12, s5, s12
	s_wait_alu 0xfffe
	s_add_co_i32 s5, s5, s12
	s_wait_alu 0xfffe
	s_mul_hi_u32 s5, s52, s5
	s_wait_alu 0xfffe
	s_mul_i32 s5, s5, s44
	s_wait_alu 0xfffe
	s_sub_co_i32 s5, s52, s5
	s_wait_alu 0xfffe
	s_sub_co_i32 s12, s5, s44
	s_cmp_ge_u32 s5, s44
	s_wait_alu 0xfffe
	s_cselect_b32 s5, s12, s5
	s_wait_alu 0xfffe
	s_sub_co_i32 s12, s5, s44
	s_cmp_ge_u32 s5, s44
	s_wait_alu 0xfffe
	s_cselect_b32 s24, s12, s5
	s_wait_alu 0xfffe
	s_mov_b64 s[12:13], s[24:25]
.LBB20_171:                             ;   in Loop: Header=BB20_7 Depth=1
	s_wait_alu 0xfffe
	s_sub_nc_u64 s[12:13], s[52:53], s[12:13]
	s_mov_b32 s24, 0
	s_mov_b32 s5, 0
	s_mov_b32 s61, exec_lo
                                        ; implicit-def: $vgpr25
	s_wait_alu 0xfffe
	v_cmpx_gt_i64_e64 s[12:13], v[0:1]
	s_cbranch_execz .LBB20_182
; %bb.172:                              ;   in Loop: Header=BB20_7 Depth=1
	v_dual_mov_b32 v4, v10 :: v_dual_mov_b32 v5, v11
	v_dual_mov_b32 v7, v1 :: v_dual_mov_b32 v6, v0
	s_mov_b32 s62, 0
                                        ; implicit-def: $sgpr63
	s_branch .LBB20_175
.LBB20_173:                             ;   in Loop: Header=BB20_175 Depth=2
	s_wait_alu 0xfffe
	s_or_b32 exec_lo, exec_lo, s5
	s_wait_loadcnt_dscnt 0x0
	s_barrier_signal -1
	s_barrier_wait -1
	global_inv scope:SCOPE_SE
	ds_load_b64 v[24:25], v13 offset:3072
	s_mov_b32 s5, -1
	s_mov_b32 s64, -1
	s_wait_loadcnt_dscnt 0x0
	s_barrier_signal -1
	s_barrier_wait -1
	global_inv scope:SCOPE_SE
	v_cmp_ne_u32_e32 vcc_lo, 0, v24
	s_cbranch_vccz .LBB20_178
.LBB20_174:                             ;   in Loop: Header=BB20_175 Depth=2
	s_wait_alu 0xfffe
	s_and_b32 s5, exec_lo, s5
	s_wait_alu 0xfffe
	s_or_b32 s62, s5, s62
	s_and_not1_b32 s5, s63, exec_lo
	s_and_b32 s63, s64, exec_lo
	s_wait_alu 0xfffe
	s_or_b32 s63, s5, s63
	s_and_not1_b32 exec_lo, exec_lo, s62
	s_cbranch_execz .LBB20_181
.LBB20_175:                             ;   Parent Loop BB20_7 Depth=1
                                        ; =>  This Inner Loop Header: Depth=2
	s_mov_b32 s5, exec_lo
	s_delay_alu instid0(VALU_DEP_1)
	v_cmpx_gt_i64_e64 s[36:37], v[6:7]
	s_cbranch_execz .LBB20_173
; %bb.176:                              ;   in Loop: Header=BB20_175 Depth=2
	global_load_b32 v24, v[4:5], off
	s_wait_loadcnt 0x0
	v_xor_b32_e32 v8, 0x80000000, v24
	s_delay_alu instid0(VALU_DEP_1) | instskip(NEXT) | instid1(VALU_DEP_1)
	v_and_b32_e32 v8, v8, v43
	v_cmp_eq_u32_e32 vcc_lo, v8, v19
	s_and_b32 exec_lo, exec_lo, vcc_lo
	s_cbranch_execz .LBB20_173
; %bb.177:                              ;   in Loop: Header=BB20_175 Depth=2
	ds_store_b64 v13, v[23:24] offset:3072
	s_branch .LBB20_173
.LBB20_178:                             ;   in Loop: Header=BB20_175 Depth=2
	v_add_co_u32 v6, vcc_lo, v6, s44
	s_wait_alu 0xfffd
	v_add_co_ci_u32_e64 v7, null, 0, v7, vcc_lo
	v_add_co_u32 v4, s5, v4, s46
	s_wait_alu 0xf1fe
	v_add_co_ci_u32_e64 v5, null, s47, v5, s5
	s_delay_alu instid0(VALU_DEP_3)
	v_cmp_le_i64_e32 vcc_lo, s[12:13], v[6:7]
	s_mov_b32 s64, 0
	s_or_not1_b32 s5, vcc_lo, exec_lo
	s_branch .LBB20_174
.LBB20_179:                             ;   in Loop: Header=BB20_7 Depth=1
                                        ; implicit-def: $sgpr12_sgpr13
	s_branch .LBB20_124
.LBB20_180:                             ;   in Loop: Header=BB20_7 Depth=1
                                        ; implicit-def: $sgpr14_sgpr15
	s_branch .LBB20_140
.LBB20_181:                             ;   in Loop: Header=BB20_7 Depth=1
	s_or_b32 exec_lo, exec_lo, s62
	s_wait_alu 0xfffe
	s_and_b32 s5, s63, exec_lo
.LBB20_182:                             ;   in Loop: Header=BB20_7 Depth=1
	s_or_b32 exec_lo, exec_lo, s61
.LBB20_183:                             ;   in Loop: Header=BB20_7 Depth=1
	s_delay_alu instid0(SALU_CYCLE_1)
	s_and_b32 vcc_lo, exec_lo, s24
	s_wait_alu 0xfffe
	s_cbranch_vccz .LBB20_197
; %bb.184:                              ;   in Loop: Header=BB20_7 Depth=1
	s_add_nc_u64 s[12:13], s[10:11], s[50:51]
	s_mov_b32 s14, s25
	s_wait_alu 0xfffe
	s_mov_b32 s15, s13
	s_delay_alu instid0(SALU_CYCLE_1)
	s_cmp_lg_u64 s[14:15], 0
	s_cbranch_scc0 .LBB20_225
; %bb.185:                              ;   in Loop: Header=BB20_7 Depth=1
	s_add_nc_u64 s[14:15], s[44:45], 0
	s_delay_alu instid0(SALU_CYCLE_1) | instskip(NEXT) | instid1(SALU_CYCLE_1)
	s_xor_b64 s[14:15], s[14:15], 0
	s_cvt_f32_u32 s24, s14
	s_cvt_f32_u32 s61, s15
	s_sub_nc_u64 s[64:65], 0, s[14:15]
	s_wait_alu 0xfffe
	s_delay_alu instid0(SALU_CYCLE_1) | instskip(SKIP_1) | instid1(SALU_CYCLE_2)
	s_fmamk_f32 s24, s61, 0x4f800000, s24
	s_wait_alu 0xfffe
	v_s_rcp_f32 s24, s24
	s_delay_alu instid0(TRANS32_DEP_1) | instskip(SKIP_1) | instid1(SALU_CYCLE_2)
	s_mul_f32 s24, s24, 0x5f7ffffc
	s_wait_alu 0xfffe
	s_mul_f32 s61, s24, 0x2f800000
	s_wait_alu 0xfffe
	s_delay_alu instid0(SALU_CYCLE_2) | instskip(SKIP_1) | instid1(SALU_CYCLE_2)
	s_trunc_f32 s61, s61
	s_wait_alu 0xfffe
	s_fmamk_f32 s24, s61, 0xcf800000, s24
	s_cvt_u32_f32 s63, s61
	s_wait_alu 0xfffe
	s_delay_alu instid0(SALU_CYCLE_1) | instskip(SKIP_1) | instid1(SALU_CYCLE_2)
	s_cvt_u32_f32 s62, s24
	s_wait_alu 0xfffe
	s_mul_u64 s[66:67], s[64:65], s[62:63]
	s_wait_alu 0xfffe
	s_mul_hi_u32 s69, s62, s67
	s_mul_i32 s68, s62, s67
	s_mul_hi_u32 s24, s62, s66
	s_mul_i32 s70, s63, s66
	s_wait_alu 0xfffe
	s_add_nc_u64 s[68:69], s[24:25], s[68:69]
	s_mul_hi_u32 s61, s63, s66
	s_mul_hi_u32 s71, s63, s67
	s_wait_alu 0xfffe
	s_add_co_u32 s24, s68, s70
	s_add_co_ci_u32 s24, s69, s61
	s_mul_i32 s66, s63, s67
	s_add_co_ci_u32 s67, s71, 0
	s_wait_alu 0xfffe
	s_add_nc_u64 s[66:67], s[24:25], s[66:67]
	s_wait_alu 0xfffe
	s_add_co_u32 s62, s62, s66
	s_cselect_b32 s24, -1, 0
	s_wait_alu 0xfffe
	s_cmp_lg_u32 s24, 0
	s_add_co_ci_u32 s63, s63, s67
	s_wait_alu 0xfffe
	s_mul_u64 s[64:65], s[64:65], s[62:63]
	s_wait_alu 0xfffe
	s_mul_hi_u32 s67, s62, s65
	s_mul_i32 s66, s62, s65
	s_mul_hi_u32 s24, s62, s64
	s_mul_i32 s68, s63, s64
	s_wait_alu 0xfffe
	s_add_nc_u64 s[66:67], s[24:25], s[66:67]
	s_mul_hi_u32 s61, s63, s64
	s_mul_hi_u32 s69, s63, s65
	s_wait_alu 0xfffe
	s_add_co_u32 s24, s66, s68
	s_add_co_ci_u32 s24, s67, s61
	s_mul_i32 s64, s63, s65
	s_add_co_ci_u32 s65, s69, 0
	s_wait_alu 0xfffe
	s_add_nc_u64 s[64:65], s[24:25], s[64:65]
	s_wait_alu 0xfffe
	s_add_co_u32 s61, s62, s64
	s_cselect_b32 s24, -1, 0
	s_wait_alu 0xfffe
	s_cmp_lg_u32 s24, 0
	s_add_co_ci_u32 s68, s63, s65
	s_ashr_i32 s62, s13, 31
	s_wait_alu 0xfffe
	s_mov_b32 s63, s62
	s_wait_alu 0xfffe
	s_add_nc_u64 s[64:65], s[12:13], s[62:63]
	s_wait_alu 0xfffe
	s_xor_b64 s[64:65], s[64:65], s[62:63]
	s_wait_alu 0xfffe
	s_mul_hi_u32 s67, s64, s68
	s_mul_i32 s66, s64, s68
	s_mul_hi_u32 s24, s64, s61
	s_mul_hi_u32 s70, s65, s61
	s_mul_i32 s61, s65, s61
	s_wait_alu 0xfffe
	s_add_nc_u64 s[66:67], s[24:25], s[66:67]
	s_mul_hi_u32 s69, s65, s68
	s_wait_alu 0xfffe
	s_add_co_u32 s24, s66, s61
	s_add_co_ci_u32 s24, s67, s70
	s_mul_i32 s68, s65, s68
	s_add_co_ci_u32 s69, s69, 0
	s_wait_alu 0xfffe
	s_add_nc_u64 s[66:67], s[24:25], s[68:69]
	s_wait_alu 0xfffe
	s_mul_u64 s[66:67], s[14:15], s[66:67]
	s_wait_alu 0xfffe
	s_sub_co_u32 s24, s64, s66
	s_cselect_b32 s61, -1, 0
	s_sub_co_i32 s64, s65, s67
	s_wait_alu 0xfffe
	s_cmp_lg_u32 s61, 0
	s_sub_co_ci_u32 s64, s64, s15
	s_sub_co_u32 s66, s24, s14
	s_cselect_b32 s68, -1, 0
	s_wait_alu 0xfffe
	s_cmp_lg_u32 s68, 0
	s_sub_co_ci_u32 s69, s64, 0
	s_wait_alu 0xfffe
	s_cmp_ge_u32 s69, s15
	s_cselect_b32 s70, -1, 0
	s_cmp_ge_u32 s66, s14
	s_cselect_b32 s71, -1, 0
	s_cmp_eq_u32 s69, s15
	s_wait_alu 0xfffe
	s_cselect_b32 s70, s71, s70
	s_cmp_lg_u32 s68, 0
	s_sub_co_ci_u32 s64, s64, s15
	s_sub_co_u32 s68, s66, s14
	s_cselect_b32 s71, -1, 0
	s_wait_alu 0xfffe
	s_cmp_lg_u32 s71, 0
	s_sub_co_ci_u32 s64, s64, 0
	s_cmp_lg_u32 s70, 0
	s_cselect_b32 s66, s68, s66
	s_wait_alu 0xfffe
	s_cselect_b32 s64, s64, s69
	s_cmp_lg_u32 s61, 0
	s_sub_co_ci_u32 s61, s65, s67
	s_wait_alu 0xfffe
	s_cmp_ge_u32 s61, s15
	s_cselect_b32 s65, -1, 0
	s_cmp_ge_u32 s24, s14
	s_cselect_b32 s14, -1, 0
	s_cmp_eq_u32 s61, s15
	s_wait_alu 0xfffe
	s_cselect_b32 s14, s14, s65
	s_delay_alu instid0(SALU_CYCLE_1) | instskip(SKIP_2) | instid1(SALU_CYCLE_1)
	s_cmp_lg_u32 s14, 0
	s_cselect_b32 s15, s64, s61
	s_cselect_b32 s14, s66, s24
	s_xor_b64 s[14:15], s[14:15], s[62:63]
	s_delay_alu instid0(SALU_CYCLE_1)
	s_sub_nc_u64 s[14:15], s[14:15], s[62:63]
	s_cbranch_execnz .LBB20_187
.LBB20_186:                             ;   in Loop: Header=BB20_7 Depth=1
	v_cvt_f32_u32_e32 v4, s44
	s_sub_co_i32 s15, 0, s44
	s_delay_alu instid0(VALU_DEP_1) | instskip(NEXT) | instid1(TRANS32_DEP_1)
	v_rcp_iflag_f32_e32 v4, v4
	v_mul_f32_e32 v4, 0x4f7ffffe, v4
	s_delay_alu instid0(VALU_DEP_1) | instskip(NEXT) | instid1(VALU_DEP_1)
	v_cvt_u32_f32_e32 v4, v4
	v_readfirstlane_b32 s14, v4
	s_mul_i32 s15, s15, s14
	s_delay_alu instid0(SALU_CYCLE_1) | instskip(NEXT) | instid1(SALU_CYCLE_1)
	s_mul_hi_u32 s15, s14, s15
	s_add_co_i32 s14, s14, s15
	s_delay_alu instid0(SALU_CYCLE_1) | instskip(NEXT) | instid1(SALU_CYCLE_1)
	s_mul_hi_u32 s14, s12, s14
	s_mul_i32 s14, s14, s44
	s_delay_alu instid0(SALU_CYCLE_1) | instskip(NEXT) | instid1(SALU_CYCLE_1)
	s_sub_co_i32 s14, s12, s14
	s_sub_co_i32 s15, s14, s44
	s_cmp_ge_u32 s14, s44
	s_cselect_b32 s14, s15, s14
	s_delay_alu instid0(SALU_CYCLE_1)
	s_sub_co_i32 s15, s14, s44
	s_cmp_ge_u32 s14, s44
	s_cselect_b32 s24, s15, s14
	s_wait_alu 0xfffe
	s_mov_b64 s[14:15], s[24:25]
.LBB20_187:                             ;   in Loop: Header=BB20_7 Depth=1
	s_delay_alu instid0(SALU_CYCLE_1)
	s_sub_nc_u64 s[12:13], s[12:13], s[14:15]
	s_mov_b32 s14, exec_lo
                                        ; implicit-def: $vgpr25
	s_wait_alu 0xfffe
	v_cmpx_gt_i64_e64 s[12:13], v[0:1]
	s_cbranch_execz .LBB20_196
; %bb.188:                              ;   in Loop: Header=BB20_7 Depth=1
	v_dual_mov_b32 v6, v14 :: v_dual_mov_b32 v5, v1
	v_mov_b32_e32 v4, v0
	s_mov_b32 s15, 0
                                        ; implicit-def: $sgpr24
	s_branch .LBB20_191
.LBB20_189:                             ;   in Loop: Header=BB20_191 Depth=2
	s_wait_alu 0xfffe
	s_or_b32 exec_lo, exec_lo, s61
	s_wait_loadcnt_dscnt 0x0
	s_barrier_signal -1
	s_barrier_wait -1
	global_inv scope:SCOPE_SE
	ds_load_b64 v[24:25], v13 offset:3072
	s_mov_b32 s61, -1
	s_mov_b32 s62, -1
	s_wait_loadcnt_dscnt 0x0
	s_barrier_signal -1
	s_barrier_wait -1
	global_inv scope:SCOPE_SE
	v_cmp_eq_u32_e32 vcc_lo, 0, v24
	s_cbranch_vccnz .LBB20_194
.LBB20_190:                             ;   in Loop: Header=BB20_191 Depth=2
	s_wait_alu 0xfffe
	s_and_b32 s61, exec_lo, s61
	s_wait_alu 0xfffe
	s_or_b32 s15, s61, s15
	s_and_not1_b32 s24, s24, exec_lo
	s_and_b32 s61, s62, exec_lo
	s_wait_alu 0xfffe
	s_or_b32 s24, s24, s61
	s_and_not1_b32 exec_lo, exec_lo, s15
	s_cbranch_execz .LBB20_195
.LBB20_191:                             ;   Parent Loop BB20_7 Depth=1
                                        ; =>  This Inner Loop Header: Depth=2
	s_mov_b32 s61, exec_lo
	s_delay_alu instid0(VALU_DEP_1)
	v_cmpx_gt_u64_e64 s[10:11], v[4:5]
	s_cbranch_execz .LBB20_189
; %bb.192:                              ;   in Loop: Header=BB20_191 Depth=2
	ds_load_b32 v24, v6
	s_wait_dscnt 0x0
	v_xor_b32_e32 v7, 0x80000000, v24
	s_delay_alu instid0(VALU_DEP_1) | instskip(NEXT) | instid1(VALU_DEP_1)
	v_and_b32_e32 v7, v7, v43
	v_cmp_eq_u32_e32 vcc_lo, v7, v19
	s_and_b32 exec_lo, exec_lo, vcc_lo
	s_cbranch_execz .LBB20_189
; %bb.193:                              ;   in Loop: Header=BB20_191 Depth=2
	ds_store_b64 v13, v[23:24] offset:3072
	s_branch .LBB20_189
.LBB20_194:                             ;   in Loop: Header=BB20_191 Depth=2
	v_add_co_u32 v4, vcc_lo, v4, s44
	s_wait_alu 0xfffd
	v_add_co_ci_u32_e64 v5, null, 0, v5, vcc_lo
	v_add_nc_u32_e32 v6, s86, v6
	s_mov_b32 s62, 0
	s_delay_alu instid0(VALU_DEP_2)
	v_cmp_le_i64_e32 vcc_lo, s[12:13], v[4:5]
	s_or_not1_b32 s61, vcc_lo, exec_lo
	s_branch .LBB20_190
.LBB20_195:                             ;   in Loop: Header=BB20_7 Depth=1
	s_or_b32 exec_lo, exec_lo, s15
	s_delay_alu instid0(SALU_CYCLE_1)
	s_and_not1_b32 s5, s5, exec_lo
	s_wait_alu 0xfffe
	s_and_b32 s10, s24, exec_lo
	s_wait_alu 0xfffe
	s_or_b32 s5, s5, s10
.LBB20_196:                             ;   in Loop: Header=BB20_7 Depth=1
	s_or_b32 exec_lo, exec_lo, s14
	s_mov_b32 s14, 0
	s_mov_b32 s15, -1
.LBB20_197:                             ;   in Loop: Header=BB20_7 Depth=1
	s_wait_alu 0xfffe
	s_or_not1_b32 s5, s5, exec_lo
.LBB20_198:                             ;   in Loop: Header=BB20_7 Depth=1
	s_wait_alu 0xfffe
	s_or_b32 exec_lo, exec_lo, s59
	s_mov_b32 s10, 0
	s_and_saveexec_b32 s59, s5
	s_cbranch_execz .LBB20_256
; %bb.199:                              ;   in Loop: Header=BB20_7 Depth=1
	v_mov_b32_e32 v4, 1
	v_dual_mov_b32 v5, 0 :: v_dual_mov_b32 v12, 1
	s_xor_b32 s11, s60, -1
	s_wait_alu 0xfffe
	s_and_saveexec_b32 s5, s11
	s_cbranch_execz .LBB20_208
; %bb.200:                              ;   in Loop: Header=BB20_7 Depth=1
	s_mov_b32 s10, exec_lo
	v_cmpx_ge_i64_e64 s[8:9], v[2:3]
	s_wait_alu 0xfffe
	s_xor_b32 s10, exec_lo, s10
	s_cbranch_execz .LBB20_205
; %bb.201:                              ;   in Loop: Header=BB20_7 Depth=1
	ds_load_b64 v[4:5], v13 offset:5120
	s_lshl_b32 s11, 2, s87
	v_or_b32_e32 v43, s16, v43
	s_wait_alu 0xfffe
	v_and_or_b32 v19, v19, s20, s11
	s_wait_dscnt 0x0
	v_cmp_ne_u64_e32 vcc_lo, 0, v[4:5]
	s_cbranch_vccnz .LBB20_205
; %bb.202:                              ;   in Loop: Header=BB20_7 Depth=1
	s_and_saveexec_b32 s11, s2
; %bb.203:                              ;   in Loop: Header=BB20_7 Depth=1
	v_dual_mov_b32 v4, s8 :: v_dual_mov_b32 v5, s9
	ds_store_b64 v13, v[4:5] offset:5128
; %bb.204:                              ;   in Loop: Header=BB20_7 Depth=1
	s_wait_alu 0xfffe
	s_or_b32 exec_lo, exec_lo, s11
	s_wait_loadcnt_dscnt 0x0
	s_barrier_signal -1
	s_barrier_wait -1
	global_inv scope:SCOPE_SE
.LBB20_205:                             ;   in Loop: Header=BB20_7 Depth=1
	s_wait_alu 0xfffe
	s_or_saveexec_b32 s10, s10
	v_mov_b32_e32 v12, 8
	s_mov_b32 s11, 0
	s_wait_alu 0xfffe
	s_xor_b32 exec_lo, exec_lo, s10
; %bb.206:                              ;   in Loop: Header=BB20_7 Depth=1
	v_sub_co_u32 v2, vcc_lo, v2, s8
	s_wait_alu 0xfffd
	v_subrev_co_ci_u32_e64 v3, null, s9, v3, vcc_lo
	v_mov_b32_e32 v12, 0
	s_mov_b32 s11, exec_lo
; %bb.207:                              ;   in Loop: Header=BB20_7 Depth=1
	s_or_b32 exec_lo, exec_lo, s10
	s_delay_alu instid0(VALU_DEP_2)
	v_dual_mov_b32 v5, v3 :: v_dual_mov_b32 v4, v2
	s_wait_alu 0xfffe
	s_and_b32 s10, s11, exec_lo
.LBB20_208:                             ;   in Loop: Header=BB20_7 Depth=1
	s_wait_alu 0xfffe
	s_or_b32 exec_lo, exec_lo, s5
	s_mov_b32 s5, -1
                                        ; implicit-def: $sgpr13
                                        ; implicit-def: $sgpr12
	s_and_saveexec_b32 s20, s10
	s_cbranch_execz .LBB20_255
; %bb.209:                              ;   in Loop: Header=BB20_7 Depth=1
	v_cmp_eq_u64_e32 vcc_lo, 1, v[4:5]
	s_cmp_eq_u64 s[6:7], 1
	s_mov_b32 s8, -1
	s_cselect_b32 s5, -1, 0
                                        ; implicit-def: $sgpr13
                                        ; implicit-def: $sgpr12
	s_wait_alu 0xfffe
	s_and_b32 s60, s5, vcc_lo
	s_wait_alu 0xfffe
	s_and_saveexec_b32 s61, s60
	s_cbranch_execz .LBB20_243
; %bb.210:                              ;   in Loop: Header=BB20_7 Depth=1
	ds_load_b64 v[2:3], v13 offset:5120
	s_wait_loadcnt_dscnt 0x0
	s_barrier_signal -1
	s_barrier_wait -1
	global_inv scope:SCOPE_SE
	v_readfirstlane_b32 s8, v2
	v_readfirstlane_b32 s9, v3
	s_and_saveexec_b32 s5, s3
; %bb.211:                              ;   in Loop: Header=BB20_7 Depth=1
	ds_store_b32 v33, v13
; %bb.212:                              ;   in Loop: Header=BB20_7 Depth=1
	s_wait_alu 0xfffe
	s_or_b32 exec_lo, exec_lo, s5
	v_cmp_gt_i64_e64 s5, s[8:9], 0
	v_or_b32_e32 v19, s16, v19
	v_or_b32_e32 v43, s16, v43
	s_mov_b32 s12, -1
	s_mov_b32 s13, 0
	s_mov_b32 s24, -1
	s_and_b32 vcc_lo, exec_lo, s5
	s_mov_b32 s5, 0
	s_wait_loadcnt_dscnt 0x0
	s_barrier_signal -1
	s_barrier_wait -1
	global_inv scope:SCOPE_SE
                                        ; implicit-def: $vgpr25
	s_wait_alu 0xfffe
	s_cbranch_vccnz .LBB20_228
; %bb.213:                              ;   in Loop: Header=BB20_7 Depth=1
	s_mov_b32 s10, s25
	s_mov_b32 s11, s53
	s_wait_alu 0xfffe
	s_cmp_lg_u64 s[10:11], 0
	s_cbranch_scc0 .LBB20_262
; %bb.214:                              ;   in Loop: Header=BB20_7 Depth=1
	s_add_nc_u64 s[10:11], s[44:45], 0
	s_wait_alu 0xfffe
	s_xor_b64 s[10:11], s[10:11], 0
	s_wait_alu 0xfffe
	s_cvt_f32_u32 s5, s10
	s_cvt_f32_u32 s24, s11
	s_sub_nc_u64 s[64:65], 0, s[10:11]
	s_wait_alu 0xfffe
	s_delay_alu instid0(SALU_CYCLE_1) | instskip(SKIP_1) | instid1(SALU_CYCLE_2)
	s_fmamk_f32 s5, s24, 0x4f800000, s5
	s_wait_alu 0xfffe
	v_s_rcp_f32 s5, s5
	s_delay_alu instid0(TRANS32_DEP_1) | instskip(SKIP_1) | instid1(SALU_CYCLE_2)
	s_mul_f32 s5, s5, 0x5f7ffffc
	s_wait_alu 0xfffe
	s_mul_f32 s24, s5, 0x2f800000
	s_wait_alu 0xfffe
	s_delay_alu instid0(SALU_CYCLE_2) | instskip(SKIP_1) | instid1(SALU_CYCLE_2)
	s_trunc_f32 s24, s24
	s_wait_alu 0xfffe
	s_fmamk_f32 s5, s24, 0xcf800000, s5
	s_cvt_u32_f32 s63, s24
	s_wait_alu 0xfffe
	s_delay_alu instid0(SALU_CYCLE_1) | instskip(SKIP_1) | instid1(SALU_CYCLE_2)
	s_cvt_u32_f32 s62, s5
	s_wait_alu 0xfffe
	s_mul_u64 s[66:67], s[64:65], s[62:63]
	s_wait_alu 0xfffe
	s_mul_hi_u32 s69, s62, s67
	s_mul_i32 s68, s62, s67
	s_mul_hi_u32 s24, s62, s66
	s_mul_i32 s70, s63, s66
	s_wait_alu 0xfffe
	s_add_nc_u64 s[68:69], s[24:25], s[68:69]
	s_mul_hi_u32 s5, s63, s66
	s_mul_hi_u32 s71, s63, s67
	s_wait_alu 0xfffe
	s_add_co_u32 s24, s68, s70
	s_add_co_ci_u32 s24, s69, s5
	s_mul_i32 s66, s63, s67
	s_add_co_ci_u32 s67, s71, 0
	s_wait_alu 0xfffe
	s_add_nc_u64 s[66:67], s[24:25], s[66:67]
	s_wait_alu 0xfffe
	s_add_co_u32 s62, s62, s66
	s_cselect_b32 s5, -1, 0
	s_wait_alu 0xfffe
	s_cmp_lg_u32 s5, 0
	s_add_co_ci_u32 s63, s63, s67
	s_wait_alu 0xfffe
	s_mul_u64 s[64:65], s[64:65], s[62:63]
	s_wait_alu 0xfffe
	s_mul_hi_u32 s67, s62, s65
	s_mul_i32 s66, s62, s65
	s_mul_hi_u32 s24, s62, s64
	s_mul_i32 s68, s63, s64
	s_wait_alu 0xfffe
	s_add_nc_u64 s[66:67], s[24:25], s[66:67]
	s_mul_hi_u32 s5, s63, s64
	s_mul_hi_u32 s69, s63, s65
	s_wait_alu 0xfffe
	s_add_co_u32 s24, s66, s68
	s_add_co_ci_u32 s24, s67, s5
	s_mul_i32 s64, s63, s65
	s_add_co_ci_u32 s65, s69, 0
	s_wait_alu 0xfffe
	s_add_nc_u64 s[64:65], s[24:25], s[64:65]
	s_wait_alu 0xfffe
	s_add_co_u32 s5, s62, s64
	s_cselect_b32 s24, -1, 0
	s_wait_alu 0xfffe
	s_cmp_lg_u32 s24, 0
	s_add_co_ci_u32 s68, s63, s65
	s_ashr_i32 s62, s53, 31
	s_wait_alu 0xfffe
	s_mov_b32 s63, s62
	s_wait_alu 0xfffe
	s_add_nc_u64 s[64:65], s[52:53], s[62:63]
	s_wait_alu 0xfffe
	s_xor_b64 s[64:65], s[64:65], s[62:63]
	s_wait_alu 0xfffe
	s_mul_hi_u32 s67, s64, s68
	s_mul_i32 s66, s64, s68
	s_mul_hi_u32 s24, s64, s5
	s_mul_hi_u32 s70, s65, s5
	s_mul_i32 s5, s65, s5
	s_wait_alu 0xfffe
	s_add_nc_u64 s[66:67], s[24:25], s[66:67]
	s_mul_hi_u32 s69, s65, s68
	s_wait_alu 0xfffe
	s_add_co_u32 s5, s66, s5
	s_add_co_ci_u32 s24, s67, s70
	s_mul_i32 s68, s65, s68
	s_add_co_ci_u32 s69, s69, 0
	s_wait_alu 0xfffe
	s_add_nc_u64 s[66:67], s[24:25], s[68:69]
	s_wait_alu 0xfffe
	s_mul_u64 s[66:67], s[10:11], s[66:67]
	s_wait_alu 0xfffe
	s_sub_co_u32 s5, s64, s66
	s_cselect_b32 s24, -1, 0
	s_sub_co_i32 s64, s65, s67
	s_wait_alu 0xfffe
	s_cmp_lg_u32 s24, 0
	s_sub_co_ci_u32 s64, s64, s11
	s_sub_co_u32 s66, s5, s10
	s_cselect_b32 s68, -1, 0
	s_wait_alu 0xfffe
	s_cmp_lg_u32 s68, 0
	s_sub_co_ci_u32 s69, s64, 0
	s_wait_alu 0xfffe
	s_cmp_ge_u32 s69, s11
	s_cselect_b32 s70, -1, 0
	s_cmp_ge_u32 s66, s10
	s_cselect_b32 s71, -1, 0
	s_cmp_eq_u32 s69, s11
	s_wait_alu 0xfffe
	s_cselect_b32 s70, s71, s70
	s_cmp_lg_u32 s68, 0
	s_sub_co_ci_u32 s64, s64, s11
	s_sub_co_u32 s68, s66, s10
	s_cselect_b32 s71, -1, 0
	s_wait_alu 0xfffe
	s_cmp_lg_u32 s71, 0
	s_sub_co_ci_u32 s64, s64, 0
	s_cmp_lg_u32 s70, 0
	s_cselect_b32 s66, s68, s66
	s_wait_alu 0xfffe
	s_cselect_b32 s64, s64, s69
	s_cmp_lg_u32 s24, 0
	s_sub_co_ci_u32 s24, s65, s67
	s_wait_alu 0xfffe
	s_cmp_ge_u32 s24, s11
	s_cselect_b32 s65, -1, 0
	s_cmp_ge_u32 s5, s10
	s_cselect_b32 s10, -1, 0
	s_cmp_eq_u32 s24, s11
	s_wait_alu 0xfffe
	s_cselect_b32 s10, s10, s65
	s_wait_alu 0xfffe
	s_cmp_lg_u32 s10, 0
	s_cselect_b32 s11, s64, s24
	s_cselect_b32 s10, s66, s5
	s_wait_alu 0xfffe
	s_xor_b64 s[10:11], s[10:11], s[62:63]
	s_wait_alu 0xfffe
	s_sub_nc_u64 s[10:11], s[10:11], s[62:63]
	s_cbranch_execnz .LBB20_216
.LBB20_215:                             ;   in Loop: Header=BB20_7 Depth=1
	v_cvt_f32_u32_e32 v2, s44
	s_sub_co_i32 s10, 0, s44
	s_delay_alu instid0(VALU_DEP_1) | instskip(NEXT) | instid1(TRANS32_DEP_1)
	v_rcp_iflag_f32_e32 v2, v2
	v_mul_f32_e32 v2, 0x4f7ffffe, v2
	s_delay_alu instid0(VALU_DEP_1) | instskip(NEXT) | instid1(VALU_DEP_1)
	v_cvt_u32_f32_e32 v2, v2
	v_readfirstlane_b32 s5, v2
	s_wait_alu 0xfffe
	s_mul_i32 s10, s10, s5
	s_wait_alu 0xfffe
	s_mul_hi_u32 s10, s5, s10
	s_wait_alu 0xfffe
	s_add_co_i32 s5, s5, s10
	s_wait_alu 0xfffe
	s_mul_hi_u32 s5, s52, s5
	s_wait_alu 0xfffe
	s_mul_i32 s5, s5, s44
	s_wait_alu 0xfffe
	s_sub_co_i32 s5, s52, s5
	s_wait_alu 0xfffe
	s_sub_co_i32 s10, s5, s44
	s_cmp_ge_u32 s5, s44
	s_wait_alu 0xfffe
	s_cselect_b32 s5, s10, s5
	s_wait_alu 0xfffe
	s_sub_co_i32 s10, s5, s44
	s_cmp_ge_u32 s5, s44
	s_wait_alu 0xfffe
	s_cselect_b32 s24, s10, s5
	s_wait_alu 0xfffe
	s_mov_b64 s[10:11], s[24:25]
.LBB20_216:                             ;   in Loop: Header=BB20_7 Depth=1
	s_wait_alu 0xfffe
	s_sub_nc_u64 s[10:11], s[52:53], s[10:11]
	s_mov_b32 s24, 0
	s_mov_b32 s5, 0
	s_mov_b32 s62, exec_lo
                                        ; implicit-def: $vgpr25
	s_wait_alu 0xfffe
	v_cmpx_gt_i64_e64 s[10:11], v[0:1]
	s_cbranch_execz .LBB20_227
; %bb.217:                              ;   in Loop: Header=BB20_7 Depth=1
	v_dual_mov_b32 v2, v10 :: v_dual_mov_b32 v3, v11
	v_dual_mov_b32 v7, v1 :: v_dual_mov_b32 v6, v0
	s_mov_b32 s63, 0
                                        ; implicit-def: $sgpr64
	s_branch .LBB20_220
.LBB20_218:                             ;   in Loop: Header=BB20_220 Depth=2
	s_wait_alu 0xfffe
	s_or_b32 exec_lo, exec_lo, s5
	s_wait_loadcnt_dscnt 0x0
	s_barrier_signal -1
	s_barrier_wait -1
	global_inv scope:SCOPE_SE
	ds_load_b64 v[24:25], v13 offset:3072
	s_mov_b32 s5, -1
	s_mov_b32 s65, -1
	s_wait_loadcnt_dscnt 0x0
	s_barrier_signal -1
	s_barrier_wait -1
	global_inv scope:SCOPE_SE
	v_cmp_ne_u32_e32 vcc_lo, 0, v24
	s_cbranch_vccz .LBB20_223
.LBB20_219:                             ;   in Loop: Header=BB20_220 Depth=2
	s_wait_alu 0xfffe
	s_and_b32 s5, exec_lo, s5
	s_wait_alu 0xfffe
	s_or_b32 s63, s5, s63
	s_and_not1_b32 s5, s64, exec_lo
	s_and_b32 s64, s65, exec_lo
	s_wait_alu 0xfffe
	s_or_b32 s64, s5, s64
	s_and_not1_b32 exec_lo, exec_lo, s63
	s_cbranch_execz .LBB20_226
.LBB20_220:                             ;   Parent Loop BB20_7 Depth=1
                                        ; =>  This Inner Loop Header: Depth=2
	s_mov_b32 s5, exec_lo
	s_delay_alu instid0(VALU_DEP_1)
	v_cmpx_gt_i64_e64 s[36:37], v[6:7]
	s_cbranch_execz .LBB20_218
; %bb.221:                              ;   in Loop: Header=BB20_220 Depth=2
	global_load_b32 v24, v[2:3], off
	s_wait_loadcnt 0x0
	v_xor_b32_e32 v8, 0x80000000, v24
	s_delay_alu instid0(VALU_DEP_1) | instskip(NEXT) | instid1(VALU_DEP_1)
	v_and_b32_e32 v8, v8, v43
	v_cmp_eq_u32_e32 vcc_lo, v8, v19
	s_and_b32 exec_lo, exec_lo, vcc_lo
	s_cbranch_execz .LBB20_218
; %bb.222:                              ;   in Loop: Header=BB20_220 Depth=2
	ds_store_b64 v13, v[23:24] offset:3072
	s_branch .LBB20_218
.LBB20_223:                             ;   in Loop: Header=BB20_220 Depth=2
	v_add_co_u32 v6, vcc_lo, v6, s44
	s_wait_alu 0xfffd
	v_add_co_ci_u32_e64 v7, null, 0, v7, vcc_lo
	v_add_co_u32 v2, s5, v2, s46
	s_wait_alu 0xf1fe
	v_add_co_ci_u32_e64 v3, null, s47, v3, s5
	s_delay_alu instid0(VALU_DEP_3)
	v_cmp_le_i64_e32 vcc_lo, s[10:11], v[6:7]
	s_mov_b32 s65, 0
	s_or_not1_b32 s5, vcc_lo, exec_lo
	s_branch .LBB20_219
.LBB20_224:                             ;   in Loop: Header=BB20_7 Depth=1
                                        ; implicit-def: $sgpr12_sgpr13
	s_branch .LBB20_170
.LBB20_225:                             ;   in Loop: Header=BB20_7 Depth=1
                                        ; implicit-def: $sgpr14_sgpr15
	s_branch .LBB20_186
.LBB20_226:                             ;   in Loop: Header=BB20_7 Depth=1
	s_or_b32 exec_lo, exec_lo, s63
	s_wait_alu 0xfffe
	s_and_b32 s5, s64, exec_lo
.LBB20_227:                             ;   in Loop: Header=BB20_7 Depth=1
	s_or_b32 exec_lo, exec_lo, s62
.LBB20_228:                             ;   in Loop: Header=BB20_7 Depth=1
	s_delay_alu instid0(SALU_CYCLE_1)
	s_and_b32 vcc_lo, exec_lo, s24
	s_wait_alu 0xfffe
	s_cbranch_vccz .LBB20_242
; %bb.229:                              ;   in Loop: Header=BB20_7 Depth=1
	s_add_nc_u64 s[10:11], s[8:9], s[50:51]
	s_mov_b32 s12, s25
	s_wait_alu 0xfffe
	s_mov_b32 s13, s11
	s_wait_alu 0xfffe
	s_cmp_lg_u64 s[12:13], 0
	s_cbranch_scc0 .LBB20_263
; %bb.230:                              ;   in Loop: Header=BB20_7 Depth=1
	s_add_nc_u64 s[12:13], s[44:45], 0
	s_wait_alu 0xfffe
	s_xor_b64 s[12:13], s[12:13], 0
	s_wait_alu 0xfffe
	s_cvt_f32_u32 s24, s12
	s_cvt_f32_u32 s62, s13
	s_sub_nc_u64 s[64:65], 0, s[12:13]
	s_wait_alu 0xfffe
	s_delay_alu instid0(SALU_CYCLE_1) | instskip(SKIP_1) | instid1(SALU_CYCLE_2)
	s_fmamk_f32 s24, s62, 0x4f800000, s24
	s_wait_alu 0xfffe
	v_s_rcp_f32 s24, s24
	s_delay_alu instid0(TRANS32_DEP_1) | instskip(SKIP_1) | instid1(SALU_CYCLE_2)
	s_mul_f32 s24, s24, 0x5f7ffffc
	s_wait_alu 0xfffe
	s_mul_f32 s62, s24, 0x2f800000
	s_wait_alu 0xfffe
	s_delay_alu instid0(SALU_CYCLE_2) | instskip(SKIP_1) | instid1(SALU_CYCLE_2)
	s_trunc_f32 s62, s62
	s_wait_alu 0xfffe
	s_fmamk_f32 s24, s62, 0xcf800000, s24
	s_cvt_u32_f32 s63, s62
	s_wait_alu 0xfffe
	s_delay_alu instid0(SALU_CYCLE_1) | instskip(SKIP_1) | instid1(SALU_CYCLE_2)
	s_cvt_u32_f32 s62, s24
	s_wait_alu 0xfffe
	s_mul_u64 s[66:67], s[64:65], s[62:63]
	s_wait_alu 0xfffe
	s_mul_hi_u32 s69, s62, s67
	s_mul_i32 s68, s62, s67
	s_mul_hi_u32 s24, s62, s66
	s_mul_i32 s71, s63, s66
	s_wait_alu 0xfffe
	s_add_nc_u64 s[68:69], s[24:25], s[68:69]
	s_mul_hi_u32 s70, s63, s66
	s_mul_hi_u32 s72, s63, s67
	s_wait_alu 0xfffe
	s_add_co_u32 s24, s68, s71
	s_add_co_ci_u32 s24, s69, s70
	s_mul_i32 s66, s63, s67
	s_add_co_ci_u32 s67, s72, 0
	s_wait_alu 0xfffe
	s_add_nc_u64 s[66:67], s[24:25], s[66:67]
	s_wait_alu 0xfffe
	s_add_co_u32 s62, s62, s66
	s_cselect_b32 s24, -1, 0
	s_wait_alu 0xfffe
	s_cmp_lg_u32 s24, 0
	s_add_co_ci_u32 s63, s63, s67
	s_wait_alu 0xfffe
	s_mul_u64 s[64:65], s[64:65], s[62:63]
	s_wait_alu 0xfffe
	s_mul_hi_u32 s67, s62, s65
	s_mul_i32 s66, s62, s65
	s_mul_hi_u32 s24, s62, s64
	s_mul_i32 s69, s63, s64
	s_wait_alu 0xfffe
	s_add_nc_u64 s[66:67], s[24:25], s[66:67]
	s_mul_hi_u32 s68, s63, s64
	s_mul_hi_u32 s70, s63, s65
	s_wait_alu 0xfffe
	s_add_co_u32 s24, s66, s69
	s_add_co_ci_u32 s24, s67, s68
	s_mul_i32 s64, s63, s65
	s_add_co_ci_u32 s65, s70, 0
	s_wait_alu 0xfffe
	s_add_nc_u64 s[64:65], s[24:25], s[64:65]
	s_wait_alu 0xfffe
	s_add_co_u32 s68, s62, s64
	s_cselect_b32 s24, -1, 0
	s_wait_alu 0xfffe
	s_cmp_lg_u32 s24, 0
	s_add_co_ci_u32 s69, s63, s65
	s_ashr_i32 s62, s11, 31
	s_wait_alu 0xfffe
	s_mov_b32 s63, s62
	s_wait_alu 0xfffe
	s_add_nc_u64 s[64:65], s[10:11], s[62:63]
	s_wait_alu 0xfffe
	s_xor_b64 s[64:65], s[64:65], s[62:63]
	s_wait_alu 0xfffe
	s_mul_hi_u32 s67, s64, s69
	s_mul_i32 s66, s64, s69
	s_mul_hi_u32 s24, s64, s68
	s_mul_i32 s72, s65, s68
	s_wait_alu 0xfffe
	s_add_nc_u64 s[66:67], s[24:25], s[66:67]
	s_mul_hi_u32 s71, s65, s68
	s_mul_hi_u32 s70, s65, s69
	s_wait_alu 0xfffe
	s_add_co_u32 s24, s66, s72
	s_add_co_ci_u32 s24, s67, s71
	s_mul_i32 s68, s65, s69
	s_add_co_ci_u32 s69, s70, 0
	s_wait_alu 0xfffe
	s_add_nc_u64 s[66:67], s[24:25], s[68:69]
	s_wait_alu 0xfffe
	s_mul_u64 s[66:67], s[12:13], s[66:67]
	s_wait_alu 0xfffe
	s_sub_co_u32 s24, s64, s66
	s_cselect_b32 s64, -1, 0
	s_sub_co_i32 s66, s65, s67
	s_wait_alu 0xfffe
	s_cmp_lg_u32 s64, 0
	s_sub_co_ci_u32 s66, s66, s13
	s_sub_co_u32 s68, s24, s12
	s_cselect_b32 s69, -1, 0
	s_wait_alu 0xfffe
	s_cmp_lg_u32 s69, 0
	s_sub_co_ci_u32 s70, s66, 0
	s_wait_alu 0xfffe
	s_cmp_ge_u32 s70, s13
	s_cselect_b32 s71, -1, 0
	s_cmp_ge_u32 s68, s12
	s_cselect_b32 s72, -1, 0
	s_cmp_eq_u32 s70, s13
	s_wait_alu 0xfffe
	s_cselect_b32 s71, s72, s71
	s_cmp_lg_u32 s69, 0
	s_sub_co_ci_u32 s66, s66, s13
	s_sub_co_u32 s69, s68, s12
	s_cselect_b32 s72, -1, 0
	s_wait_alu 0xfffe
	s_cmp_lg_u32 s72, 0
	s_sub_co_ci_u32 s66, s66, 0
	s_cmp_lg_u32 s71, 0
	s_cselect_b32 s68, s69, s68
	s_wait_alu 0xfffe
	s_cselect_b32 s66, s66, s70
	s_cmp_lg_u32 s64, 0
	s_sub_co_ci_u32 s64, s65, s67
	s_wait_alu 0xfffe
	s_cmp_ge_u32 s64, s13
	s_cselect_b32 s65, -1, 0
	s_cmp_ge_u32 s24, s12
	s_cselect_b32 s12, -1, 0
	s_cmp_eq_u32 s64, s13
	s_wait_alu 0xfffe
	s_cselect_b32 s12, s12, s65
	s_wait_alu 0xfffe
	s_cmp_lg_u32 s12, 0
	s_cselect_b32 s13, s66, s64
	s_cselect_b32 s12, s68, s24
	s_wait_alu 0xfffe
	s_xor_b64 s[12:13], s[12:13], s[62:63]
	s_wait_alu 0xfffe
	s_sub_nc_u64 s[12:13], s[12:13], s[62:63]
	s_cbranch_execnz .LBB20_232
.LBB20_231:                             ;   in Loop: Header=BB20_7 Depth=1
	v_cvt_f32_u32_e32 v2, s44
	s_sub_co_i32 s13, 0, s44
	s_delay_alu instid0(VALU_DEP_1) | instskip(NEXT) | instid1(TRANS32_DEP_1)
	v_rcp_iflag_f32_e32 v2, v2
	v_mul_f32_e32 v2, 0x4f7ffffe, v2
	s_delay_alu instid0(VALU_DEP_1) | instskip(NEXT) | instid1(VALU_DEP_1)
	v_cvt_u32_f32_e32 v2, v2
	v_readfirstlane_b32 s12, v2
	s_wait_alu 0xfffe
	s_mul_i32 s13, s13, s12
	s_wait_alu 0xfffe
	s_mul_hi_u32 s13, s12, s13
	s_wait_alu 0xfffe
	s_add_co_i32 s12, s12, s13
	s_wait_alu 0xfffe
	s_mul_hi_u32 s12, s10, s12
	s_wait_alu 0xfffe
	s_mul_i32 s12, s12, s44
	s_wait_alu 0xfffe
	s_sub_co_i32 s12, s10, s12
	s_wait_alu 0xfffe
	s_sub_co_i32 s13, s12, s44
	s_cmp_ge_u32 s12, s44
	s_wait_alu 0xfffe
	s_cselect_b32 s12, s13, s12
	s_wait_alu 0xfffe
	s_sub_co_i32 s13, s12, s44
	s_cmp_ge_u32 s12, s44
	s_wait_alu 0xfffe
	s_cselect_b32 s24, s13, s12
	s_wait_alu 0xfffe
	s_mov_b64 s[12:13], s[24:25]
.LBB20_232:                             ;   in Loop: Header=BB20_7 Depth=1
	s_wait_alu 0xfffe
	s_sub_nc_u64 s[10:11], s[10:11], s[12:13]
	s_mov_b32 s12, exec_lo
                                        ; implicit-def: $vgpr25
	s_wait_alu 0xfffe
	v_cmpx_gt_i64_e64 s[10:11], v[0:1]
	s_cbranch_execz .LBB20_241
; %bb.233:                              ;   in Loop: Header=BB20_7 Depth=1
	v_dual_mov_b32 v6, v14 :: v_dual_mov_b32 v3, v1
	v_mov_b32_e32 v2, v0
	s_mov_b32 s13, 0
                                        ; implicit-def: $sgpr24
	s_branch .LBB20_236
.LBB20_234:                             ;   in Loop: Header=BB20_236 Depth=2
	s_wait_alu 0xfffe
	s_or_b32 exec_lo, exec_lo, s62
	s_wait_loadcnt_dscnt 0x0
	s_barrier_signal -1
	s_barrier_wait -1
	global_inv scope:SCOPE_SE
	ds_load_b64 v[24:25], v13 offset:3072
	s_mov_b32 s62, -1
	s_mov_b32 s63, -1
	s_wait_loadcnt_dscnt 0x0
	s_barrier_signal -1
	s_barrier_wait -1
	global_inv scope:SCOPE_SE
	v_cmp_eq_u32_e32 vcc_lo, 0, v24
	s_cbranch_vccnz .LBB20_239
.LBB20_235:                             ;   in Loop: Header=BB20_236 Depth=2
	s_wait_alu 0xfffe
	s_and_b32 s62, exec_lo, s62
	s_wait_alu 0xfffe
	s_or_b32 s13, s62, s13
	s_and_not1_b32 s24, s24, exec_lo
	s_and_b32 s62, s63, exec_lo
	s_wait_alu 0xfffe
	s_or_b32 s24, s24, s62
	s_and_not1_b32 exec_lo, exec_lo, s13
	s_cbranch_execz .LBB20_240
.LBB20_236:                             ;   Parent Loop BB20_7 Depth=1
                                        ; =>  This Inner Loop Header: Depth=2
	s_mov_b32 s62, exec_lo
	s_delay_alu instid0(VALU_DEP_1)
	v_cmpx_gt_u64_e64 s[8:9], v[2:3]
	s_cbranch_execz .LBB20_234
; %bb.237:                              ;   in Loop: Header=BB20_236 Depth=2
	ds_load_b32 v24, v6
	s_wait_dscnt 0x0
	v_xor_b32_e32 v7, 0x80000000, v24
	s_delay_alu instid0(VALU_DEP_1) | instskip(NEXT) | instid1(VALU_DEP_1)
	v_and_b32_e32 v7, v7, v43
	v_cmp_eq_u32_e32 vcc_lo, v7, v19
	s_and_b32 exec_lo, exec_lo, vcc_lo
	s_cbranch_execz .LBB20_234
; %bb.238:                              ;   in Loop: Header=BB20_236 Depth=2
	ds_store_b64 v13, v[23:24] offset:3072
	s_branch .LBB20_234
.LBB20_239:                             ;   in Loop: Header=BB20_236 Depth=2
	v_add_co_u32 v2, vcc_lo, v2, s44
	s_wait_alu 0xfffd
	v_add_co_ci_u32_e64 v3, null, 0, v3, vcc_lo
	v_add_nc_u32_e32 v6, s86, v6
	s_mov_b32 s63, 0
	s_delay_alu instid0(VALU_DEP_2)
	v_cmp_le_i64_e32 vcc_lo, s[10:11], v[2:3]
	s_or_not1_b32 s62, vcc_lo, exec_lo
	s_branch .LBB20_235
.LBB20_240:                             ;   in Loop: Header=BB20_7 Depth=1
	s_or_b32 exec_lo, exec_lo, s13
	s_delay_alu instid0(SALU_CYCLE_1)
	s_and_not1_b32 s5, s5, exec_lo
	s_wait_alu 0xfffe
	s_and_b32 s8, s24, exec_lo
	s_wait_alu 0xfffe
	s_or_b32 s5, s5, s8
.LBB20_241:                             ;   in Loop: Header=BB20_7 Depth=1
	s_or_b32 exec_lo, exec_lo, s12
	s_mov_b32 s12, 0
	s_mov_b32 s13, -1
.LBB20_242:                             ;   in Loop: Header=BB20_7 Depth=1
	s_wait_alu 0xfffe
	s_or_not1_b32 s8, s5, exec_lo
.LBB20_243:                             ;   in Loop: Header=BB20_7 Depth=1
	s_wait_alu 0xfffe
	s_or_b32 exec_lo, exec_lo, s61
	s_mov_b32 s9, 0
	s_and_saveexec_b32 s5, s8
	s_cbranch_execz .LBB20_254
; %bb.244:                              ;   in Loop: Header=BB20_7 Depth=1
	v_mov_b32_e32 v2, 1
	v_dual_mov_b32 v3, 0 :: v_dual_mov_b32 v12, 1
	s_xor_b32 s9, s60, -1
	s_wait_alu 0xfffe
	s_and_saveexec_b32 s8, s9
	s_cbranch_execz .LBB20_253
; %bb.245:                              ;   in Loop: Header=BB20_7 Depth=1
	s_mov_b32 s9, exec_lo
	v_cmpx_ge_i64_e64 s[6:7], v[4:5]
	s_wait_alu 0xfffe
	s_xor_b32 s9, exec_lo, s9
	s_cbranch_execz .LBB20_250
; %bb.246:                              ;   in Loop: Header=BB20_7 Depth=1
	ds_load_b64 v[2:3], v13 offset:5120
	v_or_b32_e32 v19, s16, v19
	v_or_b32_e32 v43, s16, v43
	s_wait_dscnt 0x0
	v_cmp_ne_u64_e32 vcc_lo, 0, v[2:3]
	s_cbranch_vccnz .LBB20_250
; %bb.247:                              ;   in Loop: Header=BB20_7 Depth=1
	s_and_saveexec_b32 s10, s2
; %bb.248:                              ;   in Loop: Header=BB20_7 Depth=1
	v_dual_mov_b32 v2, s6 :: v_dual_mov_b32 v3, s7
	ds_store_b64 v13, v[2:3] offset:5128
; %bb.249:                              ;   in Loop: Header=BB20_7 Depth=1
	s_wait_alu 0xfffe
	s_or_b32 exec_lo, exec_lo, s10
	s_wait_loadcnt_dscnt 0x0
	s_barrier_signal -1
	s_barrier_wait -1
	global_inv scope:SCOPE_SE
.LBB20_250:                             ;   in Loop: Header=BB20_7 Depth=1
	s_wait_alu 0xfffe
	s_and_not1_saveexec_b32 s9, s9
; %bb.251:                              ;   in Loop: Header=BB20_7 Depth=1
	v_sub_co_u32 v4, vcc_lo, v4, s6
	s_wait_alu 0xfffd
	v_subrev_co_ci_u32_e64 v5, null, s7, v5, vcc_lo
; %bb.252:                              ;   in Loop: Header=BB20_7 Depth=1
	s_wait_alu 0xfffe
	s_or_b32 exec_lo, exec_lo, s9
	v_mov_b32_e32 v2, v4
	s_delay_alu instid0(VALU_DEP_2)
	v_dual_mov_b32 v12, 8 :: v_dual_mov_b32 v3, v5
.LBB20_253:                             ;   in Loop: Header=BB20_7 Depth=1
	s_wait_alu 0xfffe
	s_or_b32 exec_lo, exec_lo, s8
	s_delay_alu instid0(VALU_DEP_1)
	v_dual_mov_b32 v5, v3 :: v_dual_mov_b32 v4, v2
	s_mov_b32 s9, exec_lo
.LBB20_254:                             ;   in Loop: Header=BB20_7 Depth=1
	s_wait_alu 0xfffe
	s_or_b32 exec_lo, exec_lo, s5
	s_delay_alu instid0(SALU_CYCLE_1)
	s_or_not1_b32 s5, s9, exec_lo
.LBB20_255:                             ;   in Loop: Header=BB20_7 Depth=1
	s_wait_alu 0xfffe
	s_or_b32 exec_lo, exec_lo, s20
	v_dual_mov_b32 v2, v4 :: v_dual_mov_b32 v3, v5
	s_and_not1_b32 s6, s15, exec_lo
	s_and_b32 s7, s13, exec_lo
	s_and_not1_b32 s8, s14, exec_lo
	s_and_b32 s9, s12, exec_lo
	s_wait_alu 0xfffe
	s_or_b32 s15, s6, s7
	s_or_b32 s14, s8, s9
	s_and_b32 s10, s5, exec_lo
.LBB20_256:                             ;   in Loop: Header=BB20_7 Depth=1
	s_wait_alu 0xfffe
	s_or_b32 exec_lo, exec_lo, s59
	s_delay_alu instid0(SALU_CYCLE_1)
	s_or_not1_b32 s5, s10, exec_lo
.LBB20_257:                             ;   in Loop: Header=BB20_7 Depth=1
	s_wait_alu 0xfffe
	s_or_b32 exec_lo, exec_lo, s58
	v_dual_mov_b32 v7, v3 :: v_dual_mov_b32 v6, v2
	s_and_not1_b32 s6, s22, exec_lo
	s_and_b32 s7, s15, exec_lo
	s_and_not1_b32 s8, s21, exec_lo
	s_and_b32 s9, s14, exec_lo
	s_wait_alu 0xfffe
	s_or_b32 s22, s6, s7
	s_or_b32 s21, s8, s9
	s_and_b32 s10, s5, exec_lo
.LBB20_258:                             ;   in Loop: Header=BB20_7 Depth=1
	s_or_b32 exec_lo, exec_lo, s23
	s_wait_alu 0xfffe
	s_or_not1_b32 s5, s10, exec_lo
.LBB20_259:                             ;   in Loop: Header=BB20_7 Depth=1
	s_or_b32 exec_lo, exec_lo, s19
	s_mov_b32 s6, 0
	s_wait_alu 0xfffe
	s_and_saveexec_b32 s7, s5
	s_wait_alu 0xfffe
	s_xor_b32 s5, exec_lo, s7
	s_cbranch_execz .LBB20_5
; %bb.260:                              ;   in Loop: Header=BB20_7 Depth=1
	v_and_b32_e32 v2, 7, v12
	s_mov_b32 s7, -1
	s_mov_b32 s6, -1
	s_mov_b32 s8, exec_lo
	s_delay_alu instid0(VALU_DEP_1)
	v_cmpx_eq_u32_e32 0, v2
	s_cbranch_execz .LBB20_4
; %bb.261:                              ;   in Loop: Header=BB20_7 Depth=1
	s_xor_b32 s89, s89, 1
	s_add_co_i32 s9, s87, -2
	s_cmp_eq_u32 s87, 0
	s_wait_alu 0xfffe
	s_mov_b32 s87, s9
	s_cselect_b32 s7, -1, 0
	s_xor_b32 s6, exec_lo, -1
	s_wait_alu 0xfffe
	s_or_not1_b32 s7, s7, exec_lo
	s_branch .LBB20_4
.LBB20_262:                             ;   in Loop: Header=BB20_7 Depth=1
                                        ; implicit-def: $sgpr10_sgpr11
	s_branch .LBB20_215
.LBB20_263:                             ;   in Loop: Header=BB20_7 Depth=1
                                        ; implicit-def: $sgpr12_sgpr13
	s_branch .LBB20_231
.LBB20_264:
	s_or_b32 exec_lo, exec_lo, s88
	s_xor_b32 s5, s95, -1
	s_xor_b32 s1, s93, -1
	;; [unrolled: 1-line block ×3, first 2 shown]
	s_mov_b32 s3, 0
	s_and_saveexec_b32 s6, s1
	s_wait_alu 0xfffe
	s_xor_b32 s1, exec_lo, s6
	s_cbranch_execnz .LBB20_269
; %bb.265:
	s_and_not1_saveexec_b32 s0, s1
	s_cbranch_execnz .LBB20_291
.LBB20_266:
	s_wait_alu 0xfffe
	s_or_b32 exec_lo, exec_lo, s0
	s_and_saveexec_b32 s0, s3
.LBB20_267:
	; divergent unreachable
.LBB20_268:
	s_endpgm
.LBB20_269:
	s_and_saveexec_b32 s3, s5
	s_delay_alu instid0(SALU_CYCLE_1)
	s_xor_b32 s3, exec_lo, s3
	s_cbranch_execz .LBB20_289
; %bb.270:
	s_and_saveexec_b32 s5, s4
	s_wait_alu 0xfffe
	s_xor_b32 s4, exec_lo, s5
; %bb.271:
	v_xor_b32_e32 v25, 0x80000000, v19
; %bb.272:
	s_wait_alu 0xfffe
	s_or_b32 exec_lo, exec_lo, s4
	s_and_saveexec_b32 s4, s2
; %bb.273:
	v_dual_mov_b32 v2, 0 :: v_dual_mov_b32 v3, s36
	ds_store_b32 v2, v3 offset:5140
; %bb.274:
	s_wait_alu 0xfffe
	s_or_b32 exec_lo, exec_lo, s4
	s_wait_loadcnt_dscnt 0x0
	s_barrier_signal -1
	s_barrier_wait -1
	global_inv scope:SCOPE_SE
	s_and_saveexec_b32 s4, s0
	s_cbranch_execz .LBB20_286
; %bb.275:
	v_mov_b32_e32 v2, 0
	s_mov_b32 s5, 0
                                        ; implicit-def: $sgpr6
                                        ; implicit-def: $sgpr7
                                        ; implicit-def: $sgpr8
	ds_load_b32 v4, v2 offset:5140
	s_wait_dscnt 0x0
	v_ashrrev_i32_e32 v5, 31, v4
	s_branch .LBB20_278
.LBB20_276:                             ;   in Loop: Header=BB20_278 Depth=1
	s_wait_alu 0xfffe
	s_or_b32 exec_lo, exec_lo, s11
	s_delay_alu instid0(SALU_CYCLE_1)
	s_and_not1_b32 s8, s8, exec_lo
	s_and_b32 s10, s10, exec_lo
	s_and_not1_b32 s7, s7, exec_lo
	s_and_b32 s0, s0, exec_lo
	s_wait_alu 0xfffe
	s_or_b32 s8, s8, s10
	s_or_b32 s7, s7, s0
.LBB20_277:                             ;   in Loop: Header=BB20_278 Depth=1
	s_wait_alu 0xfffe
	s_or_b32 exec_lo, exec_lo, s9
	s_delay_alu instid0(SALU_CYCLE_1)
	s_and_b32 s0, exec_lo, s7
	s_wait_alu 0xfffe
	s_or_b32 s5, s0, s5
	s_and_not1_b32 s0, s6, exec_lo
	s_and_b32 s6, s8, exec_lo
	s_wait_alu 0xfffe
	s_or_b32 s6, s0, s6
	s_and_not1_b32 exec_lo, exec_lo, s5
	s_cbranch_execz .LBB20_281
.LBB20_278:                             ; =>This Inner Loop Header: Depth=1
	v_dual_mov_b32 v3, v1 :: v_dual_mov_b32 v2, v0
	s_or_b32 s8, s8, exec_lo
	s_or_b32 s7, s7, exec_lo
	s_mov_b32 s9, exec_lo
                                        ; implicit-def: $vgpr0_vgpr1
	s_delay_alu instid0(VALU_DEP_1)
	v_cmpx_lt_i64_e64 v[2:3], v[4:5]
	s_cbranch_execz .LBB20_277
; %bb.279:                              ;   in Loop: Header=BB20_278 Depth=1
	global_load_b32 v0, v[10:11], off
	s_mov_b32 s0, -1
	s_mov_b32 s10, 0
	s_wait_loadcnt 0x0
	v_cmp_ne_u32_e32 vcc_lo, v0, v25
                                        ; implicit-def: $vgpr0_vgpr1
	s_and_saveexec_b32 s11, vcc_lo
	s_cbranch_execz .LBB20_276
; %bb.280:                              ;   in Loop: Header=BB20_278 Depth=1
	v_add_co_u32 v0, vcc_lo, v2, s44
	s_wait_alu 0xfffd
	v_add_co_ci_u32_e64 v1, null, 0, v3, vcc_lo
	v_add_co_u32 v10, s0, v10, s46
	s_wait_alu 0xf1fe
	v_add_co_ci_u32_e64 v11, null, s47, v11, s0
	s_delay_alu instid0(VALU_DEP_3)
	v_cmp_le_i64_e32 vcc_lo, s[36:37], v[0:1]
	s_mov_b32 s10, exec_lo
	s_or_not1_b32 s0, vcc_lo, exec_lo
	s_branch .LBB20_276
.LBB20_281:
	s_or_b32 exec_lo, exec_lo, s5
	s_wait_alu 0xfffe
	s_xor_b32 s0, s6, -1
	s_wait_alu 0xfffe
	s_and_saveexec_b32 s5, s0
	s_wait_alu 0xfffe
	s_xor_b32 s5, exec_lo, s5
	s_cbranch_execz .LBB20_286
; %bb.282:
	s_mov_b32 s5, exec_lo
	s_brev_b32 s0, -2
.LBB20_283:                             ; =>This Inner Loop Header: Depth=1
	s_wait_alu 0xfffe
	s_ctz_i32_b32 s6, s5
	s_wait_alu 0xfffe
	v_readlane_b32 s7, v2, s6
	s_lshl_b32 s6, 1, s6
	s_wait_alu 0xfffe
	s_and_not1_b32 s5, s5, s6
	s_min_i32 s0, s0, s7
	s_wait_alu 0xfffe
	s_cmp_lg_u32 s5, 0
	s_cbranch_scc1 .LBB20_283
; %bb.284:
	v_mbcnt_lo_u32_b32 v0, exec_lo, 0
	s_mov_b32 s5, exec_lo
	s_delay_alu instid0(VALU_DEP_1)
	v_cmpx_eq_u32_e32 0, v0
	s_wait_alu 0xfffe
	s_xor_b32 s5, exec_lo, s5
; %bb.285:
	v_dual_mov_b32 v0, 0 :: v_dual_mov_b32 v1, s0
	ds_min_i32 v0, v1 offset:5140
.LBB20_286:
	s_wait_alu 0xfffe
	s_or_b32 exec_lo, exec_lo, s4
	s_wait_loadcnt_dscnt 0x0
	s_barrier_signal -1
	s_barrier_wait -1
	global_inv scope:SCOPE_SE
	s_and_saveexec_b32 s0, s2
	s_cbranch_execz .LBB20_288
; %bb.287:
	v_mov_b32_e32 v2, 0
	s_mul_u64 s[6:7], s[34:35], s[26:27]
	s_mul_u64 s[4:5], s[40:41], s[26:27]
	s_wait_alu 0xfffe
	s_lshl_b64 s[6:7], s[6:7], 3
	s_lshl_b64 s[4:5], s[4:5], 2
	ds_load_b32 v0, v2 offset:5140
	s_wait_alu 0xfffe
	s_add_nc_u64 s[6:7], s[28:29], s[6:7]
	s_add_nc_u64 s[4:5], s[30:31], s[4:5]
	s_wait_dscnt 0x0
	v_ashrrev_i32_e32 v1, 31, v0
	s_clause 0x1
	global_store_b64 v2, v[0:1], s[6:7]
	global_store_b32 v2, v25, s[4:5]
.LBB20_288:
	s_wait_alu 0xfffe
	s_or_b32 exec_lo, exec_lo, s0
.LBB20_289:
	s_or_saveexec_b32 s0, s3
	s_mov_b32 s2, 0
	s_wait_alu 0xfffe
	s_xor_b32 exec_lo, exec_lo, s0
	s_cbranch_execnz .LBB20_292
.LBB20_290:
	s_or_b32 exec_lo, exec_lo, s0
	s_delay_alu instid0(SALU_CYCLE_1)
	s_and_b32 s3, s2, exec_lo
	s_and_not1_saveexec_b32 s0, s1
	s_cbranch_execz .LBB20_266
.LBB20_291:
	s_or_b32 s3, s3, exec_lo
	s_trap 2
	s_wait_alu 0xfffe
	s_or_b32 exec_lo, exec_lo, s0
	s_and_saveexec_b32 s0, s3
	s_cbranch_execnz .LBB20_267
	s_branch .LBB20_268
.LBB20_292:
	s_mov_b32 s2, exec_lo
	s_trap 2
	s_branch .LBB20_290
	.section	.rodata,"a",@progbits
	.p2align	6, 0x0
	.amdhsa_kernel _ZN2at6native12_GLOBAL__N_114gatherKthValueIilLi1EEEvNS_4cuda6detail10TensorInfoIKT_T0_EES8_S8_S8_S8_NS5_IS6_S8_EENS5_IlS8_EE
		.amdhsa_group_segment_fixed_size 5144
		.amdhsa_private_segment_fixed_size 0
		.amdhsa_kernarg_size 1536
		.amdhsa_user_sgpr_count 2
		.amdhsa_user_sgpr_dispatch_ptr 0
		.amdhsa_user_sgpr_queue_ptr 0
		.amdhsa_user_sgpr_kernarg_segment_ptr 1
		.amdhsa_user_sgpr_dispatch_id 0
		.amdhsa_user_sgpr_private_segment_size 0
		.amdhsa_wavefront_size32 1
		.amdhsa_uses_dynamic_stack 0
		.amdhsa_enable_private_segment 0
		.amdhsa_system_sgpr_workgroup_id_x 1
		.amdhsa_system_sgpr_workgroup_id_y 1
		.amdhsa_system_sgpr_workgroup_id_z 1
		.amdhsa_system_sgpr_workgroup_info 0
		.amdhsa_system_vgpr_workitem_id 0
		.amdhsa_next_free_vgpr 52
		.amdhsa_next_free_sgpr 96
		.amdhsa_reserve_vcc 1
		.amdhsa_float_round_mode_32 0
		.amdhsa_float_round_mode_16_64 0
		.amdhsa_float_denorm_mode_32 3
		.amdhsa_float_denorm_mode_16_64 3
		.amdhsa_fp16_overflow 0
		.amdhsa_workgroup_processor_mode 1
		.amdhsa_memory_ordered 1
		.amdhsa_forward_progress 1
		.amdhsa_inst_pref_size 143
		.amdhsa_round_robin_scheduling 0
		.amdhsa_exception_fp_ieee_invalid_op 0
		.amdhsa_exception_fp_denorm_src 0
		.amdhsa_exception_fp_ieee_div_zero 0
		.amdhsa_exception_fp_ieee_overflow 0
		.amdhsa_exception_fp_ieee_underflow 0
		.amdhsa_exception_fp_ieee_inexact 0
		.amdhsa_exception_int_div_zero 0
	.end_amdhsa_kernel
	.section	.text._ZN2at6native12_GLOBAL__N_114gatherKthValueIilLi1EEEvNS_4cuda6detail10TensorInfoIKT_T0_EES8_S8_S8_S8_NS5_IS6_S8_EENS5_IlS8_EE,"axG",@progbits,_ZN2at6native12_GLOBAL__N_114gatherKthValueIilLi1EEEvNS_4cuda6detail10TensorInfoIKT_T0_EES8_S8_S8_S8_NS5_IS6_S8_EENS5_IlS8_EE,comdat
.Lfunc_end20:
	.size	_ZN2at6native12_GLOBAL__N_114gatherKthValueIilLi1EEEvNS_4cuda6detail10TensorInfoIKT_T0_EES8_S8_S8_S8_NS5_IS6_S8_EENS5_IlS8_EE, .Lfunc_end20-_ZN2at6native12_GLOBAL__N_114gatherKthValueIilLi1EEEvNS_4cuda6detail10TensorInfoIKT_T0_EES8_S8_S8_S8_NS5_IS6_S8_EENS5_IlS8_EE
                                        ; -- End function
	.set _ZN2at6native12_GLOBAL__N_114gatherKthValueIilLi1EEEvNS_4cuda6detail10TensorInfoIKT_T0_EES8_S8_S8_S8_NS5_IS6_S8_EENS5_IlS8_EE.num_vgpr, 52
	.set _ZN2at6native12_GLOBAL__N_114gatherKthValueIilLi1EEEvNS_4cuda6detail10TensorInfoIKT_T0_EES8_S8_S8_S8_NS5_IS6_S8_EENS5_IlS8_EE.num_agpr, 0
	.set _ZN2at6native12_GLOBAL__N_114gatherKthValueIilLi1EEEvNS_4cuda6detail10TensorInfoIKT_T0_EES8_S8_S8_S8_NS5_IS6_S8_EENS5_IlS8_EE.numbered_sgpr, 96
	.set _ZN2at6native12_GLOBAL__N_114gatherKthValueIilLi1EEEvNS_4cuda6detail10TensorInfoIKT_T0_EES8_S8_S8_S8_NS5_IS6_S8_EENS5_IlS8_EE.num_named_barrier, 0
	.set _ZN2at6native12_GLOBAL__N_114gatherKthValueIilLi1EEEvNS_4cuda6detail10TensorInfoIKT_T0_EES8_S8_S8_S8_NS5_IS6_S8_EENS5_IlS8_EE.private_seg_size, 0
	.set _ZN2at6native12_GLOBAL__N_114gatherKthValueIilLi1EEEvNS_4cuda6detail10TensorInfoIKT_T0_EES8_S8_S8_S8_NS5_IS6_S8_EENS5_IlS8_EE.uses_vcc, 1
	.set _ZN2at6native12_GLOBAL__N_114gatherKthValueIilLi1EEEvNS_4cuda6detail10TensorInfoIKT_T0_EES8_S8_S8_S8_NS5_IS6_S8_EENS5_IlS8_EE.uses_flat_scratch, 0
	.set _ZN2at6native12_GLOBAL__N_114gatherKthValueIilLi1EEEvNS_4cuda6detail10TensorInfoIKT_T0_EES8_S8_S8_S8_NS5_IS6_S8_EENS5_IlS8_EE.has_dyn_sized_stack, 0
	.set _ZN2at6native12_GLOBAL__N_114gatherKthValueIilLi1EEEvNS_4cuda6detail10TensorInfoIKT_T0_EES8_S8_S8_S8_NS5_IS6_S8_EENS5_IlS8_EE.has_recursion, 0
	.set _ZN2at6native12_GLOBAL__N_114gatherKthValueIilLi1EEEvNS_4cuda6detail10TensorInfoIKT_T0_EES8_S8_S8_S8_NS5_IS6_S8_EENS5_IlS8_EE.has_indirect_call, 0
	.section	.AMDGPU.csdata,"",@progbits
; Kernel info:
; codeLenInByte = 18188
; TotalNumSgprs: 98
; NumVgprs: 52
; ScratchSize: 0
; MemoryBound: 0
; FloatMode: 240
; IeeeMode: 1
; LDSByteSize: 5144 bytes/workgroup (compile time only)
; SGPRBlocks: 0
; VGPRBlocks: 6
; NumSGPRsForWavesPerEU: 98
; NumVGPRsForWavesPerEU: 52
; Occupancy: 16
; WaveLimiterHint : 1
; COMPUTE_PGM_RSRC2:SCRATCH_EN: 0
; COMPUTE_PGM_RSRC2:USER_SGPR: 2
; COMPUTE_PGM_RSRC2:TRAP_HANDLER: 0
; COMPUTE_PGM_RSRC2:TGID_X_EN: 1
; COMPUTE_PGM_RSRC2:TGID_Y_EN: 1
; COMPUTE_PGM_RSRC2:TGID_Z_EN: 1
; COMPUTE_PGM_RSRC2:TIDIG_COMP_CNT: 0
	.section	.text._ZN2at6native12_GLOBAL__N_114gatherKthValueIilLi2EEEvNS_4cuda6detail10TensorInfoIKT_T0_EES8_S8_S8_S8_NS5_IS6_S8_EENS5_IlS8_EE,"axG",@progbits,_ZN2at6native12_GLOBAL__N_114gatherKthValueIilLi2EEEvNS_4cuda6detail10TensorInfoIKT_T0_EES8_S8_S8_S8_NS5_IS6_S8_EENS5_IlS8_EE,comdat
	.globl	_ZN2at6native12_GLOBAL__N_114gatherKthValueIilLi2EEEvNS_4cuda6detail10TensorInfoIKT_T0_EES8_S8_S8_S8_NS5_IS6_S8_EENS5_IlS8_EE ; -- Begin function _ZN2at6native12_GLOBAL__N_114gatherKthValueIilLi2EEEvNS_4cuda6detail10TensorInfoIKT_T0_EES8_S8_S8_S8_NS5_IS6_S8_EENS5_IlS8_EE
	.p2align	8
	.type	_ZN2at6native12_GLOBAL__N_114gatherKthValueIilLi2EEEvNS_4cuda6detail10TensorInfoIKT_T0_EES8_S8_S8_S8_NS5_IS6_S8_EENS5_IlS8_EE,@function
_ZN2at6native12_GLOBAL__N_114gatherKthValueIilLi2EEEvNS_4cuda6detail10TensorInfoIKT_T0_EES8_S8_S8_S8_NS5_IS6_S8_EENS5_IlS8_EE: ; @_ZN2at6native12_GLOBAL__N_114gatherKthValueIilLi2EEEvNS_4cuda6detail10TensorInfoIKT_T0_EES8_S8_S8_S8_NS5_IS6_S8_EENS5_IlS8_EE
; %bb.0:
	s_clause 0x1
	s_load_b64 s[8:9], s[0:1], 0x500
	s_load_b256 s[36:43], s[0:1], 0x1a0
	s_lshr_b32 s2, ttmp7, 16
	s_and_b32 s3, ttmp7, 0xffff
	s_mov_b32 s27, 0
	s_wait_kmcnt 0x0
	s_mul_i32 s2, s9, s2
	s_delay_alu instid0(SALU_CYCLE_1) | instskip(NEXT) | instid1(SALU_CYCLE_1)
	s_add_co_i32 s2, s2, s3
	s_mul_i32 s2, s2, s8
	s_delay_alu instid0(SALU_CYCLE_1) | instskip(NEXT) | instid1(SALU_CYCLE_1)
	s_add_co_i32 s26, s2, ttmp9
	v_cmp_le_i64_e64 s2, s[40:41], s[26:27]
	s_and_b32 vcc_lo, exec_lo, s2
	s_cbranch_vccnz .LBB21_277
; %bb.1:
	s_clause 0x1
	s_load_b64 s[10:11], s[0:1], 0x10
	s_load_b64 s[34:35], s[0:1], 0x1d0
	s_mov_b32 s2, s27
	s_wait_kmcnt 0x0
	s_mov_b32 s3, s11
	s_delay_alu instid0(SALU_CYCLE_1)
	s_cmp_lg_u64 s[2:3], 0
	s_add_nc_u64 s[2:3], s[26:27], 0
	s_cbranch_scc0 .LBB21_290
; %bb.2:
	s_ashr_i32 s4, s11, 31
	s_mov_b32 s15, 0
	s_mov_b32 s5, s4
	s_delay_alu instid0(SALU_CYCLE_1) | instskip(NEXT) | instid1(SALU_CYCLE_1)
	s_add_nc_u64 s[6:7], s[10:11], s[4:5]
	s_xor_b64 s[6:7], s[6:7], s[4:5]
	s_delay_alu instid0(SALU_CYCLE_1) | instskip(SKIP_2) | instid1(SALU_CYCLE_2)
	s_cvt_f32_u32 s9, s6
	s_cvt_f32_u32 s12, s7
	s_sub_nc_u64 s[16:17], 0, s[6:7]
	s_fmamk_f32 s9, s12, 0x4f800000, s9
	s_delay_alu instid0(SALU_CYCLE_3) | instskip(NEXT) | instid1(TRANS32_DEP_1)
	v_s_rcp_f32 s9, s9
	s_mul_f32 s9, s9, 0x5f7ffffc
	s_wait_alu 0xfffe
	s_delay_alu instid0(SALU_CYCLE_2) | instskip(NEXT) | instid1(SALU_CYCLE_3)
	s_mul_f32 s12, s9, 0x2f800000
	s_trunc_f32 s12, s12
	s_delay_alu instid0(SALU_CYCLE_3) | instskip(SKIP_2) | instid1(SALU_CYCLE_1)
	s_fmamk_f32 s9, s12, 0xcf800000, s9
	s_cvt_u32_f32 s13, s12
	s_wait_alu 0xfffe
	s_cvt_u32_f32 s12, s9
	s_delay_alu instid0(SALU_CYCLE_3) | instskip(NEXT) | instid1(SALU_CYCLE_1)
	s_mul_u64 s[18:19], s[16:17], s[12:13]
	s_mul_hi_u32 s21, s12, s19
	s_mul_i32 s20, s12, s19
	s_mul_hi_u32 s14, s12, s18
	s_mul_i32 s22, s13, s18
	s_add_nc_u64 s[20:21], s[14:15], s[20:21]
	s_mul_hi_u32 s9, s13, s18
	s_mul_hi_u32 s23, s13, s19
	s_add_co_u32 s14, s20, s22
	s_wait_alu 0xfffe
	s_add_co_ci_u32 s14, s21, s9
	s_mul_i32 s18, s13, s19
	s_add_co_ci_u32 s19, s23, 0
	s_delay_alu instid0(SALU_CYCLE_1) | instskip(NEXT) | instid1(SALU_CYCLE_1)
	s_add_nc_u64 s[18:19], s[14:15], s[18:19]
	s_add_co_u32 s12, s12, s18
	s_cselect_b32 s9, -1, 0
	s_wait_alu 0xfffe
	s_cmp_lg_u32 s9, 0
	s_add_co_ci_u32 s13, s13, s19
	s_delay_alu instid0(SALU_CYCLE_1) | instskip(NEXT) | instid1(SALU_CYCLE_1)
	s_mul_u64 s[16:17], s[16:17], s[12:13]
	s_mul_hi_u32 s19, s12, s17
	s_mul_i32 s18, s12, s17
	s_mul_hi_u32 s14, s12, s16
	s_mul_i32 s20, s13, s16
	s_add_nc_u64 s[18:19], s[14:15], s[18:19]
	s_mul_hi_u32 s9, s13, s16
	s_mul_hi_u32 s21, s13, s17
	s_add_co_u32 s14, s18, s20
	s_wait_alu 0xfffe
	s_add_co_ci_u32 s14, s19, s9
	s_mul_i32 s16, s13, s17
	s_add_co_ci_u32 s17, s21, 0
	s_delay_alu instid0(SALU_CYCLE_1) | instskip(NEXT) | instid1(SALU_CYCLE_1)
	s_add_nc_u64 s[16:17], s[14:15], s[16:17]
	s_add_co_u32 s9, s12, s16
	s_cselect_b32 s12, -1, 0
	s_delay_alu instid0(SALU_CYCLE_1) | instskip(SKIP_2) | instid1(SALU_CYCLE_1)
	s_cmp_lg_u32 s12, 0
	s_add_co_ci_u32 s18, s13, s17
	s_xor_b64 s[12:13], s[2:3], 0
	s_mul_hi_u32 s17, s12, s18
	s_mul_i32 s16, s12, s18
	s_wait_alu 0xfffe
	s_mul_hi_u32 s14, s12, s9
	s_mul_hi_u32 s20, s13, s9
	s_mul_i32 s9, s13, s9
	s_add_nc_u64 s[16:17], s[14:15], s[16:17]
	s_mul_hi_u32 s19, s13, s18
	s_wait_alu 0xfffe
	s_add_co_u32 s9, s16, s9
	s_add_co_ci_u32 s14, s17, s20
	s_mul_i32 s18, s13, s18
	s_add_co_ci_u32 s19, s19, 0
	s_delay_alu instid0(SALU_CYCLE_1) | instskip(NEXT) | instid1(SALU_CYCLE_1)
	s_add_nc_u64 s[16:17], s[14:15], s[18:19]
	s_mul_u64 s[18:19], s[6:7], s[16:17]
	s_delay_alu instid0(SALU_CYCLE_1)
	s_sub_co_u32 s9, s12, s18
	s_cselect_b32 s12, -1, 0
	s_sub_co_i32 s14, s13, s19
	s_cmp_lg_u32 s12, 0
	s_sub_co_ci_u32 s14, s14, s7
	s_wait_alu 0xfffe
	s_sub_co_u32 s18, s9, s6
	s_cselect_b32 s20, -1, 0
	s_delay_alu instid0(SALU_CYCLE_1) | instskip(SKIP_2) | instid1(SALU_CYCLE_1)
	s_cmp_lg_u32 s20, 0
	s_add_nc_u64 s[20:21], s[16:17], 1
	s_sub_co_ci_u32 s14, s14, 0
	s_cmp_ge_u32 s14, s7
	s_cselect_b32 s22, -1, 0
	s_cmp_ge_u32 s18, s6
	s_cselect_b32 s18, -1, 0
	s_cmp_eq_u32 s14, s7
	s_cselect_b32 s14, s18, s22
	s_add_nc_u64 s[22:23], s[16:17], 2
	s_cmp_lg_u32 s14, 0
	s_cselect_b32 s14, s22, s20
	s_cselect_b32 s18, s23, s21
	s_cmp_lg_u32 s12, 0
	s_sub_co_ci_u32 s12, s13, s19
	s_delay_alu instid0(SALU_CYCLE_1)
	s_cmp_ge_u32 s12, s7
	s_cselect_b32 s13, -1, 0
	s_cmp_ge_u32 s9, s6
	s_cselect_b32 s6, -1, 0
	s_cmp_eq_u32 s12, s7
	s_cselect_b32 s6, s6, s13
	s_delay_alu instid0(SALU_CYCLE_1) | instskip(SKIP_3) | instid1(SALU_CYCLE_1)
	s_cmp_lg_u32 s6, 0
	s_cselect_b32 s7, s18, s17
	s_cselect_b32 s6, s14, s16
	s_xor_b64 s[4:5], 0, s[4:5]
	s_xor_b64 s[6:7], s[6:7], s[4:5]
	s_delay_alu instid0(SALU_CYCLE_1)
	s_sub_nc_u64 s[12:13], s[6:7], s[4:5]
	s_cbranch_execnz .LBB21_4
.LBB21_3:
	v_cvt_f32_u32_e32 v1, s10
	s_sub_co_i32 s5, 0, s10
	s_mov_b32 s13, 0
	s_delay_alu instid0(VALU_DEP_1) | instskip(NEXT) | instid1(TRANS32_DEP_1)
	v_rcp_iflag_f32_e32 v1, v1
	v_mul_f32_e32 v1, 0x4f7ffffe, v1
	s_delay_alu instid0(VALU_DEP_1) | instskip(NEXT) | instid1(VALU_DEP_1)
	v_cvt_u32_f32_e32 v1, v1
	v_readfirstlane_b32 s4, v1
	s_mul_i32 s5, s5, s4
	s_delay_alu instid0(SALU_CYCLE_1) | instskip(NEXT) | instid1(SALU_CYCLE_1)
	s_mul_hi_u32 s5, s4, s5
	s_add_co_i32 s4, s4, s5
	s_delay_alu instid0(SALU_CYCLE_1) | instskip(NEXT) | instid1(SALU_CYCLE_1)
	s_mul_hi_u32 s4, s26, s4
	s_mul_i32 s5, s4, s10
	s_add_co_i32 s6, s4, 1
	s_sub_co_i32 s5, s26, s5
	s_delay_alu instid0(SALU_CYCLE_1)
	s_sub_co_i32 s7, s5, s10
	s_cmp_ge_u32 s5, s10
	s_cselect_b32 s4, s6, s4
	s_cselect_b32 s5, s7, s5
	s_add_co_i32 s6, s4, 1
	s_cmp_ge_u32 s5, s10
	s_cselect_b32 s12, s6, s4
.LBB21_4:
	s_load_b64 s[40:41], s[0:1], 0x370
	s_mov_b32 s4, 0
	s_mov_b32 s5, s35
	s_delay_alu instid0(SALU_CYCLE_1)
	s_cmp_lg_u64 s[4:5], 0
	s_cbranch_scc0 .LBB21_291
; %bb.5:
	s_ashr_i32 s6, s35, 31
	s_mov_b32 s21, s4
	s_mov_b32 s7, s6
	;; [unrolled: 1-line block ×3, first 2 shown]
	s_add_nc_u64 s[14:15], s[34:35], s[6:7]
	s_delay_alu instid0(SALU_CYCLE_1) | instskip(NEXT) | instid1(SALU_CYCLE_1)
	s_xor_b64 s[14:15], s[14:15], s[6:7]
	s_cvt_f32_u32 s5, s14
	s_cvt_f32_u32 s9, s15
	s_sub_nc_u64 s[18:19], 0, s[14:15]
	s_wait_alu 0xfffe
	s_delay_alu instid0(SALU_CYCLE_1) | instskip(NEXT) | instid1(SALU_CYCLE_3)
	s_fmamk_f32 s5, s9, 0x4f800000, s5
	v_s_rcp_f32 s5, s5
	s_delay_alu instid0(TRANS32_DEP_1) | instskip(SKIP_1) | instid1(SALU_CYCLE_2)
	s_mul_f32 s5, s5, 0x5f7ffffc
	s_wait_alu 0xfffe
	s_mul_f32 s9, s5, 0x2f800000
	s_wait_alu 0xfffe
	s_delay_alu instid0(SALU_CYCLE_2) | instskip(SKIP_1) | instid1(SALU_CYCLE_2)
	s_trunc_f32 s9, s9
	s_wait_alu 0xfffe
	s_fmamk_f32 s5, s9, 0xcf800000, s5
	s_cvt_u32_f32 s17, s9
	s_wait_alu 0xfffe
	s_delay_alu instid0(SALU_CYCLE_1) | instskip(NEXT) | instid1(SALU_CYCLE_3)
	s_cvt_u32_f32 s16, s5
	s_mul_u64 s[22:23], s[18:19], s[16:17]
	s_delay_alu instid0(SALU_CYCLE_1)
	s_mul_hi_u32 s29, s16, s23
	s_mul_i32 s28, s16, s23
	s_mul_hi_u32 s20, s16, s22
	s_mul_i32 s9, s17, s22
	s_add_nc_u64 s[20:21], s[20:21], s[28:29]
	s_mul_hi_u32 s5, s17, s22
	s_mul_hi_u32 s30, s17, s23
	s_wait_alu 0xfffe
	s_add_co_u32 s9, s20, s9
	s_add_co_ci_u32 s24, s21, s5
	s_mul_i32 s22, s17, s23
	s_add_co_ci_u32 s23, s30, 0
	s_delay_alu instid0(SALU_CYCLE_1)
	s_add_nc_u64 s[20:21], s[24:25], s[22:23]
	s_mov_b32 s23, s4
	s_add_co_u32 s16, s16, s20
	s_cselect_b32 s5, -1, 0
	s_wait_alu 0xfffe
	s_cmp_lg_u32 s5, 0
	s_add_co_ci_u32 s17, s17, s21
	s_mov_b32 s21, s4
	s_mul_u64 s[18:19], s[18:19], s[16:17]
	s_delay_alu instid0(SALU_CYCLE_1)
	s_mul_hi_u32 s25, s16, s19
	s_mul_i32 s24, s16, s19
	s_mul_hi_u32 s20, s16, s18
	s_mul_i32 s9, s17, s18
	s_add_nc_u64 s[20:21], s[20:21], s[24:25]
	s_mul_hi_u32 s5, s17, s18
	s_mul_hi_u32 s28, s17, s19
	s_wait_alu 0xfffe
	s_add_co_u32 s9, s20, s9
	s_add_co_ci_u32 s22, s21, s5
	s_mul_i32 s18, s17, s19
	s_add_co_ci_u32 s19, s28, 0
	s_mov_b32 s21, s4
	s_add_nc_u64 s[18:19], s[22:23], s[18:19]
	s_delay_alu instid0(SALU_CYCLE_1)
	s_add_co_u32 s5, s16, s18
	s_cselect_b32 s9, -1, 0
	s_wait_alu 0xfffe
	s_cmp_lg_u32 s9, 0
	s_add_co_ci_u32 s9, s17, s19
	s_xor_b64 s[16:17], s[2:3], 0
	s_mov_b32 s19, s4
	s_wait_alu 0xfffe
	s_mul_hi_u32 s23, s16, s9
	s_mul_i32 s22, s16, s9
	s_mul_hi_u32 s20, s16, s5
	s_mul_hi_u32 s18, s17, s5
	s_mul_i32 s5, s17, s5
	s_add_nc_u64 s[20:21], s[20:21], s[22:23]
	s_mul_hi_u32 s24, s17, s9
	s_wait_alu 0xfffe
	s_add_co_u32 s5, s20, s5
	s_add_co_ci_u32 s18, s21, s18
	s_mul_i32 s22, s17, s9
	s_add_co_ci_u32 s23, s24, 0
	s_delay_alu instid0(SALU_CYCLE_1) | instskip(NEXT) | instid1(SALU_CYCLE_1)
	s_add_nc_u64 s[18:19], s[18:19], s[22:23]
	s_mul_u64 s[20:21], s[14:15], s[18:19]
	s_delay_alu instid0(SALU_CYCLE_1)
	s_sub_co_u32 s5, s16, s20
	s_cselect_b32 s9, -1, 0
	s_sub_co_i32 s16, s17, s21
	s_wait_alu 0xfffe
	s_cmp_lg_u32 s9, 0
	s_sub_co_ci_u32 s16, s16, s15
	s_sub_co_u32 s20, s5, s14
	s_cselect_b32 s22, -1, 0
	s_delay_alu instid0(SALU_CYCLE_1) | instskip(SKIP_2) | instid1(SALU_CYCLE_1)
	s_cmp_lg_u32 s22, 0
	s_add_nc_u64 s[22:23], s[18:19], 1
	s_sub_co_ci_u32 s16, s16, 0
	s_cmp_ge_u32 s16, s15
	s_cselect_b32 s24, -1, 0
	s_cmp_ge_u32 s20, s14
	s_cselect_b32 s20, -1, 0
	s_cmp_eq_u32 s16, s15
	s_cselect_b32 s16, s20, s24
	s_add_nc_u64 s[24:25], s[18:19], 2
	s_cmp_lg_u32 s16, 0
	s_cselect_b32 s16, s24, s22
	s_cselect_b32 s20, s25, s23
	s_cmp_lg_u32 s9, 0
	s_sub_co_ci_u32 s9, s17, s21
	s_wait_alu 0xfffe
	s_cmp_ge_u32 s9, s15
	s_cselect_b32 s17, -1, 0
	s_cmp_ge_u32 s5, s14
	s_cselect_b32 s5, -1, 0
	s_cmp_eq_u32 s9, s15
	s_wait_alu 0xfffe
	s_cselect_b32 s5, s5, s17
	s_wait_alu 0xfffe
	s_cmp_lg_u32 s5, 0
	s_cselect_b32 s15, s20, s19
	s_cselect_b32 s14, s16, s18
	s_xor_b64 s[6:7], 0, s[6:7]
	s_delay_alu instid0(SALU_CYCLE_1) | instskip(NEXT) | instid1(SALU_CYCLE_1)
	s_xor_b64 s[14:15], s[14:15], s[6:7]
	s_sub_nc_u64 s[48:49], s[14:15], s[6:7]
	s_and_not1_b32 vcc_lo, exec_lo, s4
	s_cbranch_vccnz .LBB21_7
.LBB21_6:
	v_cvt_f32_u32_e32 v1, s34
	s_sub_co_i32 s5, 0, s34
	s_mov_b32 s49, 0
	s_delay_alu instid0(VALU_DEP_1) | instskip(NEXT) | instid1(TRANS32_DEP_1)
	v_rcp_iflag_f32_e32 v1, v1
	v_mul_f32_e32 v1, 0x4f7ffffe, v1
	s_delay_alu instid0(VALU_DEP_1) | instskip(NEXT) | instid1(VALU_DEP_1)
	v_cvt_u32_f32_e32 v1, v1
	v_readfirstlane_b32 s4, v1
	s_wait_alu 0xfffe
	s_mul_i32 s5, s5, s4
	s_wait_alu 0xfffe
	s_mul_hi_u32 s5, s4, s5
	s_wait_alu 0xfffe
	s_add_co_i32 s4, s4, s5
	s_wait_alu 0xfffe
	s_mul_hi_u32 s4, s26, s4
	s_wait_alu 0xfffe
	s_mul_i32 s5, s4, s34
	s_add_co_i32 s6, s4, 1
	s_wait_alu 0xfffe
	s_sub_co_i32 s5, s26, s5
	s_wait_alu 0xfffe
	s_sub_co_i32 s7, s5, s34
	s_cmp_ge_u32 s5, s34
	s_cselect_b32 s4, s6, s4
	s_cselect_b32 s5, s7, s5
	s_wait_alu 0xfffe
	s_add_co_i32 s6, s4, 1
	s_cmp_ge_u32 s5, s34
	s_cselect_b32 s48, s6, s4
.LBB21_7:
	s_mov_b32 s4, 0
	s_wait_kmcnt 0x0
	s_mov_b32 s5, s41
	s_wait_alu 0xfffe
	s_cmp_lg_u64 s[4:5], 0
	s_cbranch_scc0 .LBB21_292
; %bb.8:
	s_ashr_i32 s6, s41, 31
	s_mov_b32 s21, s4
	s_mov_b32 s7, s6
	;; [unrolled: 1-line block ×3, first 2 shown]
	s_add_nc_u64 s[14:15], s[40:41], s[6:7]
	s_delay_alu instid0(SALU_CYCLE_1) | instskip(NEXT) | instid1(SALU_CYCLE_1)
	s_xor_b64 s[14:15], s[14:15], s[6:7]
	s_cvt_f32_u32 s5, s14
	s_cvt_f32_u32 s9, s15
	s_sub_nc_u64 s[18:19], 0, s[14:15]
	s_wait_alu 0xfffe
	s_delay_alu instid0(SALU_CYCLE_1) | instskip(SKIP_1) | instid1(SALU_CYCLE_2)
	s_fmamk_f32 s5, s9, 0x4f800000, s5
	s_wait_alu 0xfffe
	v_s_rcp_f32 s5, s5
	s_delay_alu instid0(TRANS32_DEP_1) | instskip(SKIP_1) | instid1(SALU_CYCLE_2)
	s_mul_f32 s5, s5, 0x5f7ffffc
	s_wait_alu 0xfffe
	s_mul_f32 s9, s5, 0x2f800000
	s_wait_alu 0xfffe
	s_delay_alu instid0(SALU_CYCLE_2) | instskip(SKIP_1) | instid1(SALU_CYCLE_2)
	s_trunc_f32 s9, s9
	s_wait_alu 0xfffe
	s_fmamk_f32 s5, s9, 0xcf800000, s5
	s_cvt_u32_f32 s17, s9
	s_wait_alu 0xfffe
	s_delay_alu instid0(SALU_CYCLE_1) | instskip(NEXT) | instid1(SALU_CYCLE_3)
	s_cvt_u32_f32 s16, s5
	s_mul_u64 s[22:23], s[18:19], s[16:17]
	s_delay_alu instid0(SALU_CYCLE_1)
	s_mul_hi_u32 s29, s16, s23
	s_mul_i32 s28, s16, s23
	s_mul_hi_u32 s20, s16, s22
	s_mul_i32 s9, s17, s22
	s_add_nc_u64 s[20:21], s[20:21], s[28:29]
	s_mul_hi_u32 s5, s17, s22
	s_mul_hi_u32 s30, s17, s23
	s_wait_alu 0xfffe
	s_add_co_u32 s9, s20, s9
	s_add_co_ci_u32 s24, s21, s5
	s_mul_i32 s22, s17, s23
	s_add_co_ci_u32 s23, s30, 0
	s_delay_alu instid0(SALU_CYCLE_1)
	s_add_nc_u64 s[20:21], s[24:25], s[22:23]
	s_mov_b32 s23, s4
	s_add_co_u32 s16, s16, s20
	s_cselect_b32 s5, -1, 0
	s_wait_alu 0xfffe
	s_cmp_lg_u32 s5, 0
	s_add_co_ci_u32 s17, s17, s21
	s_mov_b32 s21, s4
	s_mul_u64 s[18:19], s[18:19], s[16:17]
	s_delay_alu instid0(SALU_CYCLE_1)
	s_mul_hi_u32 s25, s16, s19
	s_mul_i32 s24, s16, s19
	s_mul_hi_u32 s20, s16, s18
	s_mul_i32 s9, s17, s18
	s_add_nc_u64 s[20:21], s[20:21], s[24:25]
	s_mul_hi_u32 s5, s17, s18
	s_mul_hi_u32 s28, s17, s19
	s_wait_alu 0xfffe
	s_add_co_u32 s9, s20, s9
	s_add_co_ci_u32 s22, s21, s5
	s_mul_i32 s18, s17, s19
	s_add_co_ci_u32 s19, s28, 0
	s_mov_b32 s21, s4
	s_add_nc_u64 s[18:19], s[22:23], s[18:19]
	s_delay_alu instid0(SALU_CYCLE_1)
	s_add_co_u32 s5, s16, s18
	s_cselect_b32 s9, -1, 0
	s_wait_alu 0xfffe
	s_cmp_lg_u32 s9, 0
	s_add_co_ci_u32 s9, s17, s19
	s_xor_b64 s[2:3], s[2:3], 0
	s_mov_b32 s17, s4
	s_wait_alu 0xfffe
	s_mul_hi_u32 s19, s2, s9
	s_mul_i32 s18, s2, s9
	s_mul_hi_u32 s20, s2, s5
	s_mul_hi_u32 s16, s3, s5
	s_mul_i32 s5, s3, s5
	s_add_nc_u64 s[18:19], s[20:21], s[18:19]
	s_mul_hi_u32 s22, s3, s9
	s_wait_alu 0xfffe
	s_add_co_u32 s5, s18, s5
	s_add_co_ci_u32 s16, s19, s16
	s_mul_i32 s20, s3, s9
	s_add_co_ci_u32 s21, s22, 0
	s_delay_alu instid0(SALU_CYCLE_1) | instskip(NEXT) | instid1(SALU_CYCLE_1)
	s_add_nc_u64 s[16:17], s[16:17], s[20:21]
	s_mul_u64 s[18:19], s[14:15], s[16:17]
	s_delay_alu instid0(SALU_CYCLE_1)
	s_sub_co_u32 s2, s2, s18
	s_cselect_b32 s5, -1, 0
	s_sub_co_i32 s9, s3, s19
	s_wait_alu 0xfffe
	s_cmp_lg_u32 s5, 0
	s_sub_co_ci_u32 s9, s9, s15
	s_sub_co_u32 s18, s2, s14
	s_cselect_b32 s20, -1, 0
	s_delay_alu instid0(SALU_CYCLE_1)
	s_cmp_lg_u32 s20, 0
	s_add_nc_u64 s[20:21], s[16:17], 1
	s_wait_alu 0xfffe
	s_sub_co_ci_u32 s9, s9, 0
	s_wait_alu 0xfffe
	s_cmp_ge_u32 s9, s15
	s_cselect_b32 s22, -1, 0
	s_cmp_ge_u32 s18, s14
	s_cselect_b32 s18, -1, 0
	s_cmp_eq_u32 s9, s15
	s_cselect_b32 s9, s18, s22
	s_add_nc_u64 s[22:23], s[16:17], 2
	s_wait_alu 0xfffe
	s_cmp_lg_u32 s9, 0
	s_cselect_b32 s9, s22, s20
	s_cselect_b32 s18, s23, s21
	s_cmp_lg_u32 s5, 0
	s_sub_co_ci_u32 s3, s3, s19
	s_delay_alu instid0(SALU_CYCLE_1)
	s_cmp_ge_u32 s3, s15
	s_cselect_b32 s5, -1, 0
	s_cmp_ge_u32 s2, s14
	s_cselect_b32 s2, -1, 0
	s_cmp_eq_u32 s3, s15
	s_wait_alu 0xfffe
	s_cselect_b32 s2, s2, s5
	s_delay_alu instid0(SALU_CYCLE_1) | instskip(SKIP_3) | instid1(SALU_CYCLE_1)
	s_cmp_lg_u32 s2, 0
	s_cselect_b32 s3, s18, s17
	s_cselect_b32 s2, s9, s16
	s_xor_b64 s[6:7], 0, s[6:7]
	s_xor_b64 s[2:3], s[2:3], s[6:7]
	s_delay_alu instid0(SALU_CYCLE_1)
	s_sub_nc_u64 s[50:51], s[2:3], s[6:7]
	s_and_not1_b32 vcc_lo, exec_lo, s4
	s_cbranch_vccnz .LBB21_10
.LBB21_9:
	v_cvt_f32_u32_e32 v1, s40
	s_sub_co_i32 s3, 0, s40
	s_mov_b32 s51, 0
	s_delay_alu instid0(VALU_DEP_1) | instskip(NEXT) | instid1(TRANS32_DEP_1)
	v_rcp_iflag_f32_e32 v1, v1
	v_mul_f32_e32 v1, 0x4f7ffffe, v1
	s_delay_alu instid0(VALU_DEP_1) | instskip(NEXT) | instid1(VALU_DEP_1)
	v_cvt_u32_f32_e32 v1, v1
	v_readfirstlane_b32 s2, v1
	s_mul_i32 s3, s3, s2
	s_delay_alu instid0(SALU_CYCLE_1) | instskip(NEXT) | instid1(SALU_CYCLE_1)
	s_mul_hi_u32 s3, s2, s3
	s_add_co_i32 s2, s2, s3
	s_delay_alu instid0(SALU_CYCLE_1) | instskip(NEXT) | instid1(SALU_CYCLE_1)
	s_mul_hi_u32 s2, s26, s2
	s_mul_i32 s3, s2, s40
	s_add_co_i32 s4, s2, 1
	s_sub_co_i32 s3, s26, s3
	s_delay_alu instid0(SALU_CYCLE_1)
	s_sub_co_i32 s5, s3, s40
	s_cmp_ge_u32 s3, s40
	s_wait_alu 0xfffe
	s_cselect_b32 s2, s4, s2
	s_cselect_b32 s3, s5, s3
	s_add_co_i32 s4, s2, 1
	s_cmp_ge_u32 s3, s40
	s_wait_alu 0xfffe
	s_cselect_b32 s50, s4, s2
.LBB21_10:
	s_clause 0x1
	s_load_b128 s[4:7], s[0:1], 0xd0
	s_load_b64 s[16:17], s[0:1], 0x0
	v_cmp_eq_u32_e64 s2, 0, v0
	s_add_nc_u64 s[14:15], s[0:1], 0x500
	s_mov_b32 s25, 0
	s_and_saveexec_b32 s3, s2
	s_cbranch_execz .LBB21_12
; %bb.11:
	v_dual_mov_b32 v1, 0 :: v_dual_mov_b32 v4, s37
	s_delay_alu instid0(VALU_DEP_1)
	v_dual_mov_b32 v3, s36 :: v_dual_mov_b32 v2, v1
	ds_store_b32 v1, v1 offset:5136
	ds_store_b128 v1, v[1:4] offset:5120
.LBB21_12:
	s_or_b32 exec_lo, exec_lo, s3
	s_mul_u64 s[10:11], s[12:13], s[10:11]
	s_wait_kmcnt 0x0
	s_mul_u64 s[4:5], s[12:13], s[4:5]
	s_wait_alu 0xfffe
	s_sub_nc_u64 s[18:19], s[26:27], s[10:11]
	s_lshl_b64 s[10:11], s[4:5], 2
	s_mul_u64 s[4:5], s[18:19], s[6:7]
	s_clause 0x1
	s_load_b128 s[28:31], s[0:1], 0x430
	s_load_b64 s[52:53], s[0:1], 0x360
	s_lshl_b64 s[6:7], s[4:5], 2
	s_clause 0x1
	s_load_b128 s[44:47], s[0:1], 0x290
	s_load_b64 s[54:55], s[0:1], 0x1c0
	s_wait_dscnt 0x0
	s_barrier_signal -1
	s_barrier_wait -1
	global_inv scope:SCOPE_SE
	s_load_b32 s5, s[14:15], 0xc
	v_dual_mov_b32 v46, 0 :: v_dual_lshlrev_b32 v37, 4, v0
	v_mbcnt_lo_u32_b32 v34, -1, 0
	v_mad_co_u64_u32 v[2:3], null, s42, v0, 0
	s_delay_alu instid0(VALU_DEP_3) | instskip(SKIP_1) | instid1(VALU_DEP_4)
	v_or_b32_e32 v9, 12, v37
	v_or_b32_e32 v11, 8, v37
	v_lshlrev_b64_e64 v[6:7], v34, -1
	v_or_b32_e32 v12, 4, v37
	v_cmp_gt_u32_e32 vcc_lo, 32, v0
	v_mad_co_u64_u32 v[18:19], null, s42, v9, 0
	v_mad_co_u64_u32 v[20:21], null, s42, v11, 0
	v_cmp_gt_i32_e64 s0, 4, v34
	v_dual_mov_b32 v1, v3 :: v_dual_lshlrev_b32 v14, 2, v0
	v_mad_co_u64_u32 v[22:23], null, s42, v12, 0
	v_mov_b32_e32 v13, 0
	v_not_b32_e32 v36, v6
	v_dual_mov_b32 v6, v19 :: v_dual_mov_b32 v7, v21
	s_wait_kmcnt 0x0
	s_and_b32 s56, s5, 0xffff
	s_and_b32 s33, vcc_lo, s0
	s_bfe_u32 s5, s5, 0xb0005
	v_mad_co_u64_u32 v[3:4], null, s43, v0, v[1:2]
	s_cmp_gt_u32 s56, 31
	v_mad_co_u64_u32 v[9:10], null, s43, v9, v[6:7]
	s_cselect_b32 s89, -1, 0
	s_cmp_lt_u32 ttmp9, s8
	v_dual_mov_b32 v1, v13 :: v_dual_mov_b32 v8, v23
	s_cselect_b32 s24, 12, 18
	s_wait_alu 0xfffe
	s_add_co_i32 s9, s5, -1
	s_bfe_u32 s90, s56, 0x30005
	s_wait_alu 0xfffe
	s_and_b32 s9, s9, 0xffff
	v_lshlrev_b64_e32 v[4:5], 2, v[2:3]
	s_wait_alu 0xfffe
	s_cmp_gt_u32 s9, 6
	v_mad_co_u64_u32 v[6:7], null, s43, v11, v[7:8]
	s_add_nc_u64 s[12:13], s[16:17], s[10:11]
	s_cselect_b32 s91, -1, 0
	s_and_b32 s92, s5, 0x7f8
	v_mad_co_u64_u32 v[7:8], null, s43, v12, v[8:9]
	s_cmp_lg_u32 s90, 0
	s_add_nc_u64 s[60:61], s[12:13], s[6:7]
	s_add_nc_u64 s[6:7], s[10:11], s[6:7]
	s_cselect_b32 s93, -1, 0
	s_lshl_b64 s[68:69], s[42:43], 2
	s_lshl_b64 s[70:71], s[42:43], 4
	v_add_co_u32 v16, vcc_lo, s60, v4
	s_add_nc_u64 s[66:67], s[16:17], s[6:7]
	v_mul_lo_u32 v44, 0, s68
	v_mul_lo_u32 v45, 0, s70
	v_add_co_ci_u32_e64 v17, null, s61, v5, vcc_lo
	s_movk_i32 s8, 0x3e0
	v_add_co_u32 v41, s5, s36, v0
	v_add_co_u32 v10, vcc_lo, s66, v4
	v_dual_mov_b32 v28, s38 :: v_dual_add_nc_u32 v35, 0xc00, v14
	v_cmp_lt_i64_e64 s88, 0x300, s[36:37]
	v_cmp_gt_u64_e64 s4, s[36:37], v[0:1]
	v_cmp_gt_i64_e64 s0, s[36:37], v[0:1]
	s_mov_b32 s57, s25
	v_lshlrev_b64_e32 v[23:24], 4, v[2:3]
	v_cmp_eq_u32_e64 s1, 0, v34
	v_cmp_gt_u32_e64 s3, 2, v0
	v_dual_mov_b32 v15, v13 :: v_dual_mov_b32 v40, 0
	s_wait_alu 0xfffe
	v_and_or_b32 v38, v0, s8, 0xc00
	v_mov_b32_e32 v19, v9
	v_mov_b32_e32 v21, v6
	;; [unrolled: 1-line block ×3, first 2 shown]
	s_wait_alu 0xf1ff
	v_add_co_ci_u32_e64 v42, null, s37, 0, s5
	v_lshl_or_b32 v43, v34, 3, 0xc00
	s_wait_alu 0xfffd
	v_add_co_ci_u32_e64 v11, null, s67, v5, vcc_lo
	v_mov_b32_e32 v29, s39
	v_mov_b32_e32 v25, 1
	v_mov_b32_e32 v27, 0
	s_add_nc_u64 s[62:63], s[56:57], -1
	s_mul_u64 s[6:7], s[42:43], s[56:57]
	s_add_nc_u64 s[64:65], s[62:63], s[36:37]
	s_lshl_b64 s[58:59], s[6:7], 2
	s_lshl_b32 s94, s56, 2
	s_mov_b32 s95, 30
	s_add_nc_u64 s[38:39], s[14:15], s[24:25]
	s_mov_b32 s96, 0
	s_mov_b32 s97, 0
                                        ; implicit-def: $sgpr101
                                        ; implicit-def: $sgpr103
                                        ; implicit-def: $sgpr98
                                        ; implicit-def: $sgpr100
                                        ; implicit-def: $sgpr102
                                        ; implicit-def: $sgpr99
	s_branch .LBB21_16
.LBB21_13:                              ;   in Loop: Header=BB21_16 Depth=1
	s_wait_alu 0xfffe
	s_or_b32 exec_lo, exec_lo, s8
	s_delay_alu instid0(SALU_CYCLE_1)
	s_and_b32 s6, s6, exec_lo
	s_and_not1_b32 s22, s22, exec_lo
	s_and_not1_b32 s21, s21, exec_lo
	s_or_not1_b32 s18, s7, exec_lo
.LBB21_14:                              ;   in Loop: Header=BB21_16 Depth=1
	s_wait_alu 0xfffe
	s_or_b32 exec_lo, exec_lo, s5
	s_delay_alu instid0(SALU_CYCLE_1)
	s_and_not1_b32 s5, s99, exec_lo
	s_and_b32 s6, s6, exec_lo
	s_and_not1_b32 s7, s100, exec_lo
	s_wait_alu 0xfffe
	s_or_b32 s99, s5, s6
	s_and_not1_b32 s5, s102, exec_lo
	s_and_b32 s6, s22, exec_lo
	s_and_b32 s8, s21, exec_lo
	s_wait_alu 0xfffe
	s_or_b32 s102, s5, s6
	s_or_b32 s100, s7, s8
	s_or_not1_b32 s18, s18, exec_lo
.LBB21_15:                              ;   in Loop: Header=BB21_16 Depth=1
	s_wait_alu 0xfffe
	s_or_b32 exec_lo, exec_lo, s17
	s_delay_alu instid0(SALU_CYCLE_1)
	s_and_b32 s5, exec_lo, s18
	v_dual_mov_b32 v29, v7 :: v_dual_mov_b32 v28, v6
	s_wait_alu 0xfffe
	s_or_b32 s96, s5, s96
	s_and_not1_b32 s5, s98, exec_lo
	s_and_b32 s6, s99, exec_lo
	s_and_not1_b32 s7, s103, exec_lo
	s_wait_alu 0xfffe
	s_or_b32 s98, s5, s6
	s_and_b32 s5, s102, exec_lo
	s_and_not1_b32 s6, s101, exec_lo
	s_and_b32 s8, s100, exec_lo
	s_wait_alu 0xfffe
	s_or_b32 s103, s7, s5
	s_or_b32 s101, s6, s8
	s_and_not1_b32 exec_lo, exec_lo, s96
	s_cbranch_execz .LBB21_273
.LBB21_16:                              ; =>This Loop Header: Depth=1
                                        ;     Child Loop BB21_22 Depth 2
                                        ;     Child Loop BB21_35 Depth 2
	;; [unrolled: 1-line block ×16, first 2 shown]
	ds_load_b128 v[2:5], v13 offset:5120
	s_wait_dscnt 0x0
	v_readfirstlane_b32 s73, v3
	v_readfirstlane_b32 s72, v2
	s_wait_alu 0xf1ff
	s_delay_alu instid0(VALU_DEP_1)
	v_cmp_gt_i64_e64 s5, s[72:73], 0
	s_and_b32 vcc_lo, exec_lo, s5
	s_wait_alu 0xfffe
	s_cbranch_vccnz .LBB21_43
; %bb.17:                               ;   in Loop: Header=BB21_16 Depth=1
	s_and_b32 vcc_lo, exec_lo, s88
	s_wait_alu 0xfffe
	s_cbranch_vccz .LBB21_30
; %bb.18:                               ;   in Loop: Header=BB21_16 Depth=1
	v_cmp_gt_i64_e32 vcc_lo, 0x301, v[4:5]
	s_mov_b32 s7, 0
	s_mov_b32 s5, 0
	s_cbranch_vccz .LBB21_31
; %bb.19:                               ;   in Loop: Header=BB21_16 Depth=1
	s_and_saveexec_b32 s8, s4
	s_cbranch_execz .LBB21_77
; %bb.20:                               ;   in Loop: Header=BB21_16 Depth=1
	global_load_u16 v2, v13, s[38:39]
	global_load_b32 v7, v[16:17], off
	s_mov_b32 s9, 0
	s_wait_loadcnt 0x1
	v_and_b32_e32 v6, 0xffff, v2
	s_delay_alu instid0(VALU_DEP_1) | instskip(SKIP_2) | instid1(VALU_DEP_3)
	v_add_nc_u32_e32 v4, v0, v6
	v_mul_lo_u32 v5, v6, s69
	v_mul_hi_u32 v9, v6, s68
	v_mad_co_u64_u32 v[2:3], null, s68, v4, s[66:67]
	s_delay_alu instid0(VALU_DEP_1) | instskip(NEXT) | instid1(VALU_DEP_4)
	v_mad_co_u64_u32 v[3:4], null, s69, v4, v[3:4]
	v_add_nc_u32_e32 v4, v5, v44
	s_delay_alu instid0(VALU_DEP_1)
	v_add_nc_u32_e32 v9, v4, v9
	v_mov_b32_e32 v5, v1
	v_mul_lo_u32 v8, v6, s68
	v_mov_b32_e32 v4, v0
	s_branch .LBB21_22
.LBB21_21:                              ;   in Loop: Header=BB21_22 Depth=2
	s_wait_alu 0xfffe
	s_or_b32 exec_lo, exec_lo, s6
	v_add_co_u32 v2, vcc_lo, v2, v8
	s_wait_alu 0xfffd
	v_add_co_ci_u32_e64 v3, null, v3, v9, vcc_lo
	v_mov_b32_e32 v7, v12
	s_and_not1_b32 exec_lo, exec_lo, s9
	s_cbranch_execz .LBB21_77
.LBB21_22:                              ;   Parent Loop BB21_16 Depth=1
                                        ; =>  This Inner Loop Header: Depth=2
	s_delay_alu instid0(VALU_DEP_1)
	v_add_co_u32 v4, vcc_lo, v4, v6
	s_wait_alu 0xfffd
	v_add_co_ci_u32_e64 v5, null, 0, v5, vcc_lo
	s_wait_dscnt 0x0
	v_mov_b32_e32 v26, 0
	v_mov_b32_e32 v12, 0
	s_mov_b32 s6, exec_lo
	v_cmp_le_i64_e32 vcc_lo, s[36:37], v[4:5]
	v_cmpx_gt_i64_e64 s[36:37], v[4:5]
	s_cbranch_execz .LBB21_24
; %bb.23:                               ;   in Loop: Header=BB21_22 Depth=2
	global_load_b32 v12, v[2:3], off
.LBB21_24:                              ;   in Loop: Header=BB21_22 Depth=2
	s_wait_alu 0xfffe
	s_or_b32 exec_lo, exec_lo, s6
	s_wait_loadcnt 0x0
	v_xor_b32_e32 v30, 0x80000000, v7
	s_delay_alu instid0(VALU_DEP_1) | instskip(NEXT) | instid1(VALU_DEP_1)
	v_and_b32_e32 v30, v30, v46
	v_cmp_eq_u32_e64 s5, v30, v40
	s_cmp_lg_u32 s5, 0
	s_cselect_b32 s6, -1, 0
	s_wait_alu 0xfffe
	s_and_b32 s6, s1, s6
	s_wait_alu 0xfffe
	s_and_saveexec_b32 s10, s6
	s_cbranch_execz .LBB21_28
; %bb.25:                               ;   in Loop: Header=BB21_22 Depth=2
	s_mov_b32 s13, exec_lo
	s_bcnt1_i32_b32 s11, s5
	s_wait_alu 0xfffe
	v_mbcnt_lo_u32_b32 v26, s13, 0
	s_mov_b32 s12, exec_lo
                                        ; implicit-def: $vgpr30
	s_delay_alu instid0(VALU_DEP_1)
	v_cmpx_eq_u32_e32 0, v26
; %bb.26:                               ;   in Loop: Header=BB21_22 Depth=2
	s_bcnt1_i32_b32 s6, s13
	s_wait_alu 0xfffe
	s_mul_i32 s6, s11, s6
	s_wait_alu 0xfffe
	v_mov_b32_e32 v30, s6
	ds_add_rtn_u32 v30, v13, v30 offset:5136
; %bb.27:                               ;   in Loop: Header=BB21_22 Depth=2
	s_or_b32 exec_lo, exec_lo, s12
	s_wait_dscnt 0x0
	v_readfirstlane_b32 s6, v30
	s_wait_alu 0xf1ff
	s_delay_alu instid0(VALU_DEP_1)
	v_mad_u32_u24 v26, s11, v26, s6
.LBB21_28:                              ;   in Loop: Header=BB21_22 Depth=2
	s_wait_alu 0xfffe
	s_or_b32 exec_lo, exec_lo, s10
	ds_bpermute_b32 v26, v13, v26
	s_and_b32 s6, exec_lo, vcc_lo
	s_wait_alu 0xfffe
	s_or_b32 s9, s6, s9
	s_and_saveexec_b32 s6, s5
	s_cbranch_execz .LBB21_21
; %bb.29:                               ;   in Loop: Header=BB21_22 Depth=2
	v_and_b32_e32 v30, s5, v36
	s_delay_alu instid0(VALU_DEP_1) | instskip(NEXT) | instid1(VALU_DEP_1)
	v_bcnt_u32_b32 v30, v30, 0
	v_lshlrev_b32_e32 v30, 2, v30
	s_wait_dscnt 0x0
	s_delay_alu instid0(VALU_DEP_1)
	v_lshl_add_u32 v26, v26, 2, v30
	ds_store_b32 v26, v7
	s_branch .LBB21_21
.LBB21_30:                              ;   in Loop: Header=BB21_16 Depth=1
	s_mov_b32 s7, -1
	s_mov_b32 s5, 0
.LBB21_31:                              ;   in Loop: Header=BB21_16 Depth=1
	s_wait_alu 0xfffe
	s_and_b32 vcc_lo, exec_lo, s7
	s_wait_alu 0xfffe
	s_cbranch_vccz .LBB21_41
.LBB21_32:                              ;   in Loop: Header=BB21_16 Depth=1
	s_and_saveexec_b32 s6, s0
	s_cbranch_execz .LBB21_38
; %bb.33:                               ;   in Loop: Header=BB21_16 Depth=1
	global_load_u16 v2, v13, s[38:39]
	global_load_b32 v8, v[16:17], off
	s_mov_b32 s7, exec_lo
	s_wait_loadcnt 0x1
	v_dual_mov_b32 v2, v0 :: v_dual_and_b32 v9, 0xffff, v2
	s_delay_alu instid0(VALU_DEP_1) | instskip(NEXT) | instid1(VALU_DEP_1)
	v_add_nc_u32_e32 v12, v9, v0
	v_cmpx_gt_i64_e64 s[36:37], v[12:13]
	s_cbranch_execz .LBB21_37
; %bb.34:                               ;   in Loop: Header=BB21_16 Depth=1
	v_mul_lo_u32 v5, v9, s69
	v_mad_co_u64_u32 v[2:3], null, s68, v12, s[66:67]
	v_mul_hi_u32 v6, v9, s68
	v_mul_lo_u32 v26, v9, s68
	s_mov_b32 s8, 0
	s_delay_alu instid0(VALU_DEP_4) | instskip(NEXT) | instid1(VALU_DEP_4)
	v_add_nc_u32_e32 v7, v5, v44
	v_mad_co_u64_u32 v[3:4], null, s69, v12, v[3:4]
	v_dual_mov_b32 v4, v12 :: v_dual_mov_b32 v5, v13
	s_delay_alu instid0(VALU_DEP_3)
	v_dual_mov_b32 v7, v1 :: v_dual_add_nc_u32 v12, v7, v6
	v_mov_b32_e32 v6, v0
.LBB21_35:                              ;   Parent Loop BB21_16 Depth=1
                                        ; =>  This Inner Loop Header: Depth=2
	global_load_b32 v30, v[2:3], off
	v_dual_mov_b32 v32, v5 :: v_dual_mov_b32 v31, v4
	v_lshlrev_b32_e32 v6, 2, v6
	s_delay_alu instid0(VALU_DEP_2) | instskip(SKIP_1) | instid1(VALU_DEP_3)
	v_add_co_u32 v4, vcc_lo, v31, v9
	s_wait_alu 0xfffd
	v_add_co_ci_u32_e64 v5, null, 0, v32, vcc_lo
	v_add_co_u32 v2, vcc_lo, v2, v26
	s_wait_alu 0xfffd
	v_add_co_ci_u32_e64 v3, null, v3, v12, vcc_lo
	s_delay_alu instid0(VALU_DEP_3)
	v_cmp_le_i64_e64 s5, s[36:37], v[4:5]
	s_wait_loadcnt 0x1
	ds_store_b32 v6, v8
	v_dual_mov_b32 v6, v31 :: v_dual_mov_b32 v7, v32
	s_wait_alu 0xfffe
	s_or_b32 s8, s5, s8
	s_wait_loadcnt 0x0
	v_mov_b32_e32 v8, v30
	s_wait_alu 0xfffe
	s_and_not1_b32 exec_lo, exec_lo, s8
	s_cbranch_execnz .LBB21_35
; %bb.36:                               ;   in Loop: Header=BB21_16 Depth=1
	s_or_b32 exec_lo, exec_lo, s8
	v_sub_nc_u32_e32 v2, v4, v9
	v_mov_b32_e32 v8, v30
.LBB21_37:                              ;   in Loop: Header=BB21_16 Depth=1
	s_wait_alu 0xfffe
	s_or_b32 exec_lo, exec_lo, s7
	s_delay_alu instid0(VALU_DEP_2)
	v_lshlrev_b32_e32 v2, 2, v2
	s_wait_loadcnt 0x0
	ds_store_b32 v2, v8
.LBB21_38:                              ;   in Loop: Header=BB21_16 Depth=1
	s_wait_alu 0xfffe
	s_or_b32 exec_lo, exec_lo, s6
	s_wait_loadcnt_dscnt 0x0
	s_barrier_signal -1
	s_barrier_wait -1
	global_inv scope:SCOPE_SE
	s_and_saveexec_b32 s5, s2
; %bb.39:                               ;   in Loop: Header=BB21_16 Depth=1
	v_dual_mov_b32 v2, s36 :: v_dual_mov_b32 v3, s37
	ds_store_b64 v13, v[2:3] offset:5120
; %bb.40:                               ;   in Loop: Header=BB21_16 Depth=1
	s_wait_alu 0xfffe
	s_or_b32 exec_lo, exec_lo, s5
	s_mov_b32 s5, -1
	s_wait_loadcnt_dscnt 0x0
	s_barrier_signal -1
	s_barrier_wait -1
.LBB21_41:                              ;   in Loop: Header=BB21_16 Depth=1
	s_wait_alu 0xfffe
	s_and_b32 vcc_lo, exec_lo, s5
	s_wait_alu 0xfffe
	s_cbranch_vccz .LBB21_43
; %bb.42:                               ;   in Loop: Header=BB21_16 Depth=1
	s_wait_loadcnt 0x0
	global_inv scope:SCOPE_SE
	ds_load_b64 v[2:3], v13 offset:5120
	s_wait_dscnt 0x0
	v_readfirstlane_b32 s72, v2
.LBB21_43:                              ;   in Loop: Header=BB21_16 Depth=1
	s_delay_alu instid0(VALU_DEP_1)
	s_cmp_lt_i32 s72, 1
	s_mov_b32 s5, -1
                                        ; implicit-def: $vgpr2_vgpr3
                                        ; implicit-def: $vgpr6_vgpr7
	s_cbranch_scc1 .LBB21_53
; %bb.44:                               ;   in Loop: Header=BB21_16 Depth=1
	s_wait_alu 0xfffe
	s_and_b32 vcc_lo, exec_lo, s5
	s_wait_alu 0xfffe
	s_cbranch_vccnz .LBB21_67
.LBB21_45:                              ;   in Loop: Header=BB21_16 Depth=1
	s_lshl_b32 s5, s97, 7
	s_and_saveexec_b32 s6, s1
	s_cbranch_execz .LBB21_47
.LBB21_46:                              ;   in Loop: Header=BB21_16 Depth=1
	s_wait_alu 0xfffe
	v_lshl_add_u32 v12, s5, 3, v38
	ds_store_b128 v12, v[2:5]
	ds_store_b128 v12, v[6:9] offset:16
.LBB21_47:                              ;   in Loop: Header=BB21_16 Depth=1
	s_wait_alu 0xfffe
	s_or_b32 exec_lo, exec_lo, s6
	s_wait_loadcnt_dscnt 0x0
	s_barrier_signal -1
	s_barrier_wait -1
	global_inv scope:SCOPE_SE
	s_and_saveexec_b32 s6, s33
	s_cbranch_execz .LBB21_84
; %bb.48:                               ;   in Loop: Header=BB21_16 Depth=1
	v_mov_b32_e32 v2, 0
	v_mov_b32_e32 v3, 0
	s_and_not1_b32 vcc_lo, exec_lo, s89
	s_wait_alu 0xfffe
	s_cbranch_vccnz .LBB21_83
; %bb.49:                               ;   in Loop: Header=BB21_16 Depth=1
	v_mov_b32_e32 v2, 0
	v_mov_b32_e32 v3, 0
	s_and_not1_b32 vcc_lo, exec_lo, s91
	s_wait_alu 0xfffe
	s_cbranch_vccnz .LBB21_80
; %bb.50:                               ;   in Loop: Header=BB21_16 Depth=1
	v_lshl_add_u32 v4, s97, 10, v43
	s_mov_b32 s7, 0
.LBB21_51:                              ;   Parent Loop BB21_16 Depth=1
                                        ; =>  This Inner Loop Header: Depth=2
	ds_load_2addr_b64 v[5:8], v4 offset1:4
	ds_load_2addr_b64 v[30:33], v4 offset0:8 offset1:12
	ds_load_2addr_b64 v[47:50], v4 offset0:16 offset1:20
	s_wait_alu 0xfffe
	s_add_co_i32 s7, s7, 8
	s_wait_alu 0xfffe
	s_cmp_eq_u32 s92, s7
	s_wait_dscnt 0x2
	v_add_co_u32 v2, vcc_lo, v5, v2
	s_wait_alu 0xfffd
	v_add_co_ci_u32_e64 v3, null, v6, v3, vcc_lo
	s_delay_alu instid0(VALU_DEP_2) | instskip(SKIP_1) | instid1(VALU_DEP_2)
	v_add_co_u32 v2, vcc_lo, v7, v2
	s_wait_alu 0xfffd
	v_add_co_ci_u32_e64 v3, null, v8, v3, vcc_lo
	ds_load_2addr_b64 v[5:8], v4 offset0:24 offset1:28
	s_wait_dscnt 0x2
	v_add_co_u32 v2, vcc_lo, v30, v2
	s_wait_alu 0xfffd
	v_add_co_ci_u32_e64 v3, null, v31, v3, vcc_lo
	v_add_nc_u32_e32 v4, 0x100, v4
	s_delay_alu instid0(VALU_DEP_3) | instskip(SKIP_1) | instid1(VALU_DEP_3)
	v_add_co_u32 v2, vcc_lo, v32, v2
	s_wait_alu 0xfffd
	v_add_co_ci_u32_e64 v3, null, v33, v3, vcc_lo
	s_wait_dscnt 0x1
	s_delay_alu instid0(VALU_DEP_2) | instskip(SKIP_1) | instid1(VALU_DEP_2)
	v_add_co_u32 v2, vcc_lo, v47, v2
	s_wait_alu 0xfffd
	v_add_co_ci_u32_e64 v3, null, v48, v3, vcc_lo
	s_delay_alu instid0(VALU_DEP_2) | instskip(SKIP_1) | instid1(VALU_DEP_2)
	v_add_co_u32 v2, vcc_lo, v49, v2
	s_wait_alu 0xfffd
	v_add_co_ci_u32_e64 v3, null, v50, v3, vcc_lo
	s_wait_dscnt 0x0
	s_delay_alu instid0(VALU_DEP_2) | instskip(SKIP_1) | instid1(VALU_DEP_2)
	v_add_co_u32 v2, vcc_lo, v5, v2
	s_wait_alu 0xfffd
	v_add_co_ci_u32_e64 v3, null, v6, v3, vcc_lo
	s_delay_alu instid0(VALU_DEP_2) | instskip(SKIP_1) | instid1(VALU_DEP_2)
	v_add_co_u32 v2, vcc_lo, v7, v2
	s_wait_alu 0xfffd
	v_add_co_ci_u32_e64 v3, null, v8, v3, vcc_lo
	s_cbranch_scc0 .LBB21_51
; %bb.52:                               ;   in Loop: Header=BB21_16 Depth=1
	s_mov_b32 s7, s92
	s_and_not1_b32 vcc_lo, exec_lo, s93
	s_wait_alu 0xfffe
	s_cbranch_vccz .LBB21_81
	s_branch .LBB21_83
.LBB21_53:                              ;   in Loop: Header=BB21_16 Depth=1
	global_load_u16 v12, v13, s[38:39]
	s_mov_b32 s6, s25
	s_mov_b32 s7, s37
	s_wait_loadcnt 0x0
	v_readfirstlane_b32 s5, v12
	s_wait_alu 0xfffe
	s_and_b32 s5, 0xffff, s5
	s_wait_alu 0xfffe
	s_lshl_b32 s74, s5, 2
	s_cmp_lg_u64 s[6:7], 0
	s_cbranch_scc0 .LBB21_76
; %bb.54:                               ;   in Loop: Header=BB21_16 Depth=1
	s_mov_b32 s75, s25
	s_wait_alu 0xfffe
	s_add_nc_u64 s[6:7], s[74:75], 0
	s_wait_alu 0xfffe
	s_xor_b64 s[6:7], s[6:7], 0
	s_wait_alu 0xfffe
	s_cvt_f32_u32 s5, s6
	s_cvt_f32_u32 s8, s7
	s_sub_nc_u64 s[10:11], 0, s[6:7]
	s_wait_alu 0xfffe
	s_delay_alu instid0(SALU_CYCLE_1) | instskip(SKIP_1) | instid1(SALU_CYCLE_2)
	s_fmamk_f32 s5, s8, 0x4f800000, s5
	s_wait_alu 0xfffe
	v_s_rcp_f32 s5, s5
	s_delay_alu instid0(TRANS32_DEP_1) | instskip(SKIP_1) | instid1(SALU_CYCLE_2)
	s_mul_f32 s5, s5, 0x5f7ffffc
	s_wait_alu 0xfffe
	s_mul_f32 s8, s5, 0x2f800000
	s_wait_alu 0xfffe
	s_delay_alu instid0(SALU_CYCLE_2) | instskip(SKIP_1) | instid1(SALU_CYCLE_2)
	s_trunc_f32 s8, s8
	s_wait_alu 0xfffe
	s_fmamk_f32 s5, s8, 0xcf800000, s5
	s_cvt_u32_f32 s9, s8
	s_wait_alu 0xfffe
	s_delay_alu instid0(SALU_CYCLE_1) | instskip(SKIP_1) | instid1(SALU_CYCLE_2)
	s_cvt_u32_f32 s8, s5
	s_wait_alu 0xfffe
	s_mul_u64 s[12:13], s[10:11], s[8:9]
	s_wait_alu 0xfffe
	s_mul_hi_u32 s15, s8, s13
	s_mul_i32 s14, s8, s13
	s_mul_hi_u32 s24, s8, s12
	s_mul_i32 s16, s9, s12
	s_wait_alu 0xfffe
	s_add_nc_u64 s[14:15], s[24:25], s[14:15]
	s_mul_hi_u32 s5, s9, s12
	s_mul_hi_u32 s17, s9, s13
	s_mul_i32 s12, s9, s13
	s_add_co_u32 s13, s14, s16
	s_wait_alu 0xfffe
	s_add_co_ci_u32 s24, s15, s5
	s_add_co_ci_u32 s13, s17, 0
	s_wait_alu 0xfffe
	s_add_nc_u64 s[12:13], s[24:25], s[12:13]
	s_wait_alu 0xfffe
	s_add_co_u32 s8, s8, s12
	s_cselect_b32 s5, -1, 0
	s_wait_alu 0xfffe
	s_cmp_lg_u32 s5, 0
	s_add_co_ci_u32 s9, s9, s13
	s_wait_alu 0xfffe
	s_mul_u64 s[10:11], s[10:11], s[8:9]
	s_wait_alu 0xfffe
	s_mul_hi_u32 s13, s8, s11
	s_mul_i32 s12, s8, s11
	s_mul_hi_u32 s24, s8, s10
	s_mul_i32 s14, s9, s10
	s_wait_alu 0xfffe
	s_add_nc_u64 s[12:13], s[24:25], s[12:13]
	s_mul_hi_u32 s5, s9, s10
	s_mul_hi_u32 s15, s9, s11
	s_mul_i32 s10, s9, s11
	s_wait_alu 0xfffe
	s_add_co_u32 s11, s12, s14
	s_add_co_ci_u32 s24, s13, s5
	s_add_co_ci_u32 s11, s15, 0
	s_wait_alu 0xfffe
	s_add_nc_u64 s[10:11], s[24:25], s[10:11]
	s_wait_alu 0xfffe
	s_add_co_u32 s5, s8, s10
	s_cselect_b32 s8, -1, 0
	s_wait_alu 0xfffe
	s_cmp_lg_u32 s8, 0
	s_add_co_ci_u32 s14, s9, s11
	s_ashr_i32 s8, s37, 31
	s_wait_alu 0xfffe
	s_mov_b32 s9, s8
	s_wait_alu 0xfffe
	s_add_nc_u64 s[10:11], s[36:37], s[8:9]
	s_wait_alu 0xfffe
	s_xor_b64 s[10:11], s[10:11], s[8:9]
	s_wait_alu 0xfffe
	s_mul_hi_u32 s13, s10, s14
	s_mul_i32 s12, s10, s14
	s_mul_hi_u32 s24, s10, s5
	s_mul_hi_u32 s16, s11, s5
	s_mul_i32 s5, s11, s5
	s_wait_alu 0xfffe
	s_add_nc_u64 s[12:13], s[24:25], s[12:13]
	s_mul_hi_u32 s15, s11, s14
	s_wait_alu 0xfffe
	s_add_co_u32 s5, s12, s5
	s_add_co_ci_u32 s24, s13, s16
	s_mul_i32 s14, s11, s14
	s_add_co_ci_u32 s15, s15, 0
	s_wait_alu 0xfffe
	s_add_nc_u64 s[12:13], s[24:25], s[14:15]
	s_wait_alu 0xfffe
	s_mul_u64 s[12:13], s[6:7], s[12:13]
	s_wait_alu 0xfffe
	s_sub_co_u32 s5, s10, s12
	s_cselect_b32 s10, -1, 0
	s_sub_co_i32 s12, s11, s13
	s_wait_alu 0xfffe
	s_cmp_lg_u32 s10, 0
	s_sub_co_ci_u32 s12, s12, s7
	s_sub_co_u32 s14, s5, s6
	s_cselect_b32 s15, -1, 0
	s_delay_alu instid0(SALU_CYCLE_1)
	s_cmp_lg_u32 s15, 0
	s_wait_alu 0xfffe
	s_sub_co_ci_u32 s16, s12, 0
	s_wait_alu 0xfffe
	s_cmp_ge_u32 s16, s7
	s_cselect_b32 s17, -1, 0
	s_cmp_ge_u32 s14, s6
	s_cselect_b32 s18, -1, 0
	s_cmp_eq_u32 s16, s7
	s_wait_alu 0xfffe
	s_cselect_b32 s17, s18, s17
	s_cmp_lg_u32 s15, 0
	s_sub_co_ci_u32 s12, s12, s7
	s_sub_co_u32 s15, s14, s6
	s_cselect_b32 s18, -1, 0
	s_delay_alu instid0(SALU_CYCLE_1)
	s_cmp_lg_u32 s18, 0
	s_wait_alu 0xfffe
	s_sub_co_ci_u32 s12, s12, 0
	s_cmp_lg_u32 s17, 0
	s_cselect_b32 s14, s15, s14
	s_wait_alu 0xfffe
	s_cselect_b32 s12, s12, s16
	s_cmp_lg_u32 s10, 0
	s_sub_co_ci_u32 s10, s11, s13
	s_wait_alu 0xfffe
	s_cmp_ge_u32 s10, s7
	s_cselect_b32 s11, -1, 0
	s_cmp_ge_u32 s5, s6
	s_cselect_b32 s6, -1, 0
	s_cmp_eq_u32 s10, s7
	s_wait_alu 0xfffe
	s_cselect_b32 s6, s6, s11
	s_wait_alu 0xfffe
	s_cmp_lg_u32 s6, 0
	s_cselect_b32 s7, s12, s10
	s_cselect_b32 s6, s14, s5
	s_wait_alu 0xfffe
	s_xor_b64 s[6:7], s[6:7], s[8:9]
	s_wait_alu 0xfffe
	s_sub_nc_u64 s[76:77], s[6:7], s[8:9]
	s_cbranch_execnz .LBB21_56
.LBB21_55:                              ;   in Loop: Header=BB21_16 Depth=1
	s_wait_alu 0xfffe
	v_cvt_f32_u32_e32 v2, s74
	s_sub_co_i32 s6, 0, s74
	s_delay_alu instid0(VALU_DEP_1) | instskip(NEXT) | instid1(TRANS32_DEP_1)
	v_rcp_iflag_f32_e32 v2, v2
	v_mul_f32_e32 v2, 0x4f7ffffe, v2
	s_delay_alu instid0(VALU_DEP_1) | instskip(NEXT) | instid1(VALU_DEP_1)
	v_cvt_u32_f32_e32 v2, v2
	v_readfirstlane_b32 s5, v2
	s_wait_alu 0xfffe
	s_mul_i32 s6, s6, s5
	s_wait_alu 0xfffe
	s_mul_hi_u32 s6, s5, s6
	s_wait_alu 0xfffe
	s_add_co_i32 s5, s5, s6
	s_wait_alu 0xfffe
	s_mul_hi_u32 s5, s36, s5
	s_wait_alu 0xfffe
	s_mul_i32 s5, s5, s74
	s_wait_alu 0xfffe
	s_sub_co_i32 s5, s36, s5
	s_wait_alu 0xfffe
	s_sub_co_i32 s6, s5, s74
	s_cmp_ge_u32 s5, s74
	s_wait_alu 0xfffe
	s_cselect_b32 s5, s6, s5
	s_wait_alu 0xfffe
	s_sub_co_i32 s6, s5, s74
	s_cmp_ge_u32 s5, s74
	s_wait_alu 0xfffe
	s_cselect_b32 s24, s6, s5
	s_wait_alu 0xfffe
	s_mov_b64 s[76:77], s[24:25]
.LBB21_56:                              ;   in Loop: Header=BB21_16 Depth=1
	v_mov_b32_e32 v2, 0
	v_dual_mov_b32 v6, 0 :: v_dual_mov_b32 v3, 0
	v_dual_mov_b32 v4, 0 :: v_dual_mov_b32 v7, 0
	;; [unrolled: 1-line block ×3, first 2 shown]
	v_dual_mov_b32 v9, 0 :: v_dual_and_b32 v12, 0xffff, v12
	s_wait_alu 0xfffe
	s_sub_nc_u64 s[78:79], s[36:37], s[76:77]
	s_mov_b32 s73, exec_lo
	s_wait_alu 0xfffe
	v_cmpx_gt_i64_e64 s[78:79], v[14:15]
	s_cbranch_execz .LBB21_60
; %bb.57:                               ;   in Loop: Header=BB21_16 Depth=1
	v_mul_lo_u32 v2, v12, s71
	v_mul_hi_u32 v3, v12, s70
	v_mul_lo_u32 v26, v12, s70
	v_dual_mov_b32 v33, v15 :: v_dual_mov_b32 v32, v14
	s_mov_b64 s[80:81], 0
	s_mov_b32 s75, 0
	s_mov_b64 s[82:83], 0
	s_delay_alu instid0(VALU_DEP_4) | instskip(SKIP_3) | instid1(VALU_DEP_2)
	v_add_nc_u32_e32 v2, v2, v45
	v_dual_mov_b32 v30, s60 :: v_dual_mov_b32 v31, s61
	s_mov_b64 s[84:85], 0
	s_mov_b64 s[86:87], 0
	v_add_nc_u32_e32 v47, v2, v3
.LBB21_58:                              ;   Parent Loop BB21_16 Depth=1
                                        ; =>  This Inner Loop Header: Depth=2
	s_delay_alu instid0(VALU_DEP_2)
	v_add_co_u32 v2, vcc_lo, v30, v23
	s_wait_alu 0xfffd
	v_add_co_ci_u32_e64 v3, null, v31, v24, vcc_lo
	v_add_co_u32 v4, vcc_lo, v30, v22
	s_wait_alu 0xfffd
	v_add_co_ci_u32_e64 v5, null, v31, v39, vcc_lo
	;; [unrolled: 3-line block ×4, first 2 shown]
	s_clause 0x3
	global_load_b32 v2, v[2:3], off
	global_load_b32 v3, v[4:5], off
	;; [unrolled: 1-line block ×4, first 2 shown]
	v_add_co_u32 v32, vcc_lo, v32, s74
	s_wait_alu 0xfffd
	v_add_co_ci_u32_e64 v33, null, 0, v33, vcc_lo
	v_add_co_u32 v30, vcc_lo, v30, v26
	s_wait_alu 0xfffd
	v_add_co_ci_u32_e64 v31, null, v31, v47, vcc_lo
	s_delay_alu instid0(VALU_DEP_3)
	v_cmp_le_i64_e32 vcc_lo, s[78:79], v[32:33]
	s_wait_loadcnt 0x3
	v_xor_b32_e32 v2, 0x80000000, v2
	s_wait_loadcnt 0x2
	v_xor_b32_e32 v3, 0x80000000, v3
	;; [unrolled: 2-line block ×4, first 2 shown]
	v_and_b32_e32 v6, v2, v46
	v_bfe_u32 v2, v2, s95, 2
	v_and_b32_e32 v7, v3, v46
	v_bfe_u32 v3, v3, s95, 2
	;; [unrolled: 2-line block ×3, first 2 shown]
	v_cmp_eq_u32_e64 s5, v6, v40
	v_cmp_eq_u32_e64 s9, 0, v2
	v_and_b32_e32 v9, v5, v46
	v_bfe_u32 v5, v5, s95, 2
	v_cmp_eq_u32_e64 s6, v7, v40
	v_cmp_eq_u32_e64 s10, 0, v3
	v_cmp_eq_u32_e64 s7, v8, v40
	v_cmp_eq_u32_e64 s11, 0, v4
	s_and_b32 s9, s5, s9
	v_cmp_eq_u32_e64 s8, v9, v40
	v_cmp_eq_u32_e64 s12, 0, v5
	;; [unrolled: 1-line block ×5, first 2 shown]
	s_wait_alu 0xfffe
	v_cndmask_b32_e64 v2, 0, 1, s9
	s_and_b32 s9, s6, s10
	v_cmp_eq_u32_e64 s14, 1, v3
	v_cmp_eq_u32_e64 s18, 2, v3
	v_cmp_eq_u32_e64 s22, 3, v3
	s_wait_alu 0xfffe
	v_cndmask_b32_e64 v3, 0, 1, s9
	s_and_b32 s9, s7, s11
	v_cmp_eq_u32_e64 s15, 1, v4
	v_cmp_eq_u32_e64 s19, 2, v4
	v_cmp_eq_u32_e64 s23, 3, v4
	;; [unrolled: 6-line block ×3, first 2 shown]
	s_wait_alu 0xfffe
	v_cndmask_b32_e64 v5, 0, 1, s9
	s_and_b32 s9, s5, s13
	s_wait_alu 0xfffe
	v_cndmask_b32_e64 v6, 0, 1, s9
	s_and_b32 s9, s6, s14
	;; [unrolled: 3-line block ×4, first 2 shown]
	v_cmp_ne_u32_e64 s10, 0, v7
	s_wait_alu 0xfffe
	v_cndmask_b32_e64 v9, 0, 1, s9
	s_and_b32 s9, s5, s17
	s_and_b32 s5, s5, s21
	s_wait_alu 0xfffe
	v_cndmask_b32_e64 v48, 0, 1, s9
	v_cndmask_b32_e64 v52, 0, 1, s5
	s_and_b32 s5, s6, s22
	s_and_b32 s9, s6, s18
	s_wait_alu 0xfffe
	v_cndmask_b32_e64 v53, 0, 1, s5
	s_and_b32 s5, s7, s23
	v_cndmask_b32_e64 v49, 0, 1, s9
	s_and_b32 s9, s7, s19
	s_wait_alu 0xfffe
	v_cndmask_b32_e64 v54, 0, 1, s5
	s_and_b32 s5, s8, s24
	v_cndmask_b32_e64 v50, 0, 1, s9
	s_and_b32 s9, s8, s20
	s_wait_alu 0xfffe
	v_cndmask_b32_e64 v55, 0, 1, s5
	v_cmp_ne_u32_e64 s5, 0, v2
	v_cmp_ne_u32_e64 s6, 0, v3
	v_cndmask_b32_e64 v51, 0, 1, s9
	v_cmp_ne_u32_e64 s7, 0, v4
	v_cmp_ne_u32_e64 s9, 0, v6
	;; [unrolled: 1-line block ×6, first 2 shown]
	s_bcnt1_i32_b32 s5, s5
	s_bcnt1_i32_b32 s6, s6
	v_cmp_ne_u32_e64 s12, 0, v9
	v_cmp_ne_u32_e64 s15, 0, v50
	;; [unrolled: 1-line block ×4, first 2 shown]
	s_bcnt1_i32_b32 s7, s7
	s_bcnt1_i32_b32 s9, s9
	;; [unrolled: 1-line block ×3, first 2 shown]
	s_wait_alu 0xfffe
	s_add_co_i32 s5, s6, s5
	v_cmp_ne_u32_e64 s16, 0, v51
	v_cmp_ne_u32_e64 s19, 0, v54
	s_bcnt1_i32_b32 s8, s8
	s_bcnt1_i32_b32 s11, s11
	s_bcnt1_i32_b32 s13, s13
	s_bcnt1_i32_b32 s14, s14
	s_add_co_i32 s6, s10, s9
	s_wait_alu 0xfffe
	s_add_co_i32 s5, s5, s7
	v_cmp_ne_u32_e64 s20, 0, v55
	s_bcnt1_i32_b32 s12, s12
	s_bcnt1_i32_b32 s15, s15
	s_bcnt1_i32_b32 s17, s17
	s_bcnt1_i32_b32 s18, s18
	s_add_co_i32 s9, s14, s13
	s_add_co_i32 s6, s6, s11
	s_wait_alu 0xfffe
	s_add_co_i32 s24, s5, s8
	s_bcnt1_i32_b32 s16, s16
	s_bcnt1_i32_b32 s19, s19
	s_add_co_i32 s10, s18, s17
	s_add_co_i32 s7, s9, s15
	s_wait_alu 0xfffe
	s_add_nc_u64 s[86:87], s[86:87], s[24:25]
	s_add_co_i32 s24, s6, s12
	s_bcnt1_i32_b32 s20, s20
	s_add_co_i32 s9, s10, s19
	s_wait_alu 0xfffe
	s_add_nc_u64 s[84:85], s[84:85], s[24:25]
	s_add_co_i32 s24, s7, s16
	v_mov_b32_e32 v2, s86
	s_wait_alu 0xfffe
	s_add_nc_u64 s[82:83], s[82:83], s[24:25]
	s_add_co_i32 s24, s9, s20
	v_mov_b32_e32 v4, s84
	s_wait_alu 0xfffe
	s_add_nc_u64 s[80:81], s[80:81], s[24:25]
	v_mov_b32_e32 v3, s87
	v_dual_mov_b32 v5, s85 :: v_dual_mov_b32 v6, s82
	s_wait_alu 0xfffe
	v_dual_mov_b32 v7, s83 :: v_dual_mov_b32 v8, s80
	v_mov_b32_e32 v9, s81
	s_or_b32 s75, vcc_lo, s75
	s_wait_alu 0xfffe
	s_and_not1_b32 exec_lo, exec_lo, s75
	s_cbranch_execnz .LBB21_58
; %bb.59:                               ;   in Loop: Header=BB21_16 Depth=1
	s_or_b32 exec_lo, exec_lo, s75
.LBB21_60:                              ;   in Loop: Header=BB21_16 Depth=1
	s_wait_alu 0xfffe
	s_or_b32 exec_lo, exec_lo, s73
	v_add_co_u32 v30, s5, s78, v0
	s_wait_alu 0xf1ff
	v_add_co_ci_u32_e64 v31, null, s79, 0, s5
	s_mov_b32 s8, exec_lo
	v_cmpx_gt_i64_e64 s[36:37], v[30:31]
	s_cbranch_execz .LBB21_66
; %bb.61:                               ;   in Loop: Header=BB21_16 Depth=1
	v_mul_lo_u32 v26, v31, s42
	v_mul_lo_u32 v47, v30, s43
	v_mad_co_u64_u32 v[32:33], null, v30, s42, 0
	v_mul_hi_u32 v51, v12, s68
	s_mov_b32 s9, 0
	s_delay_alu instid0(VALU_DEP_2) | instskip(SKIP_1) | instid1(VALU_DEP_2)
	v_add3_u32 v33, v33, v47, v26
	v_mul_lo_u32 v47, v12, s69
	v_lshlrev_b64_e32 v[32:33], 2, v[32:33]
	s_delay_alu instid0(VALU_DEP_2) | instskip(NEXT) | instid1(VALU_DEP_2)
	v_add_nc_u32_e32 v47, v47, v44
	v_add_co_u32 v32, vcc_lo, s60, v32
	s_wait_alu 0xfffd
	s_delay_alu instid0(VALU_DEP_3)
	v_add_co_ci_u32_e64 v33, null, s61, v33, vcc_lo
	v_add_co_u32 v26, vcc_lo, v41, v12
	v_add_nc_u32_e32 v47, v47, v51
	global_load_b32 v49, v[32:33], off
	s_wait_alu 0xfffd
	v_add_co_ci_u32_e64 v32, null, 0, v42, vcc_lo
	v_sub_co_u32 v26, vcc_lo, v26, s76
	s_wait_alu 0xfffd
	s_delay_alu instid0(VALU_DEP_2) | instskip(NEXT) | instid1(VALU_DEP_2)
	v_subrev_co_ci_u32_e64 v32, null, s77, v32, vcc_lo
	v_mul_lo_u32 v50, s69, v26
	s_delay_alu instid0(VALU_DEP_2) | instskip(SKIP_2) | instid1(VALU_DEP_2)
	v_mul_lo_u32 v48, s68, v32
	v_mad_co_u64_u32 v[32:33], null, s68, v26, s[66:67]
	v_mul_lo_u32 v26, v12, s68
	v_add3_u32 v33, v50, v33, v48
	s_branch .LBB21_63
.LBB21_62:                              ;   in Loop: Header=BB21_63 Depth=2
	s_wait_alu 0xfffe
	s_or_b32 exec_lo, exec_lo, s6
	s_wait_loadcnt 0x0
	v_xor_b32_e32 v49, 0x80000000, v49
	s_and_b32 s7, exec_lo, vcc_lo
	s_wait_alu 0xfffe
	s_or_b32 s9, s7, s9
	s_delay_alu instid0(VALU_DEP_1) | instskip(SKIP_1) | instid1(VALU_DEP_2)
	v_and_b32_e32 v50, v49, v46
	v_bfe_u32 v49, v49, s95, 2
	v_cmp_eq_u32_e64 s5, v50, v40
	s_delay_alu instid0(VALU_DEP_2)
	v_cmp_eq_u32_e64 s6, 0, v49
	v_cmp_eq_u32_e32 vcc_lo, 1, v49
	v_cmp_eq_u32_e64 s7, 2, v49
	s_and_b32 s6, s5, s6
	s_wait_alu 0xfffe
	v_cndmask_b32_e64 v50, 0, 1, s6
	s_and_b32 s6, s5, vcc_lo
	v_cmp_eq_u32_e32 vcc_lo, 3, v49
	s_wait_alu 0xfffe
	v_cndmask_b32_e64 v51, 0, 1, s6
	s_and_b32 s6, s5, s7
	s_wait_alu 0xfffe
	v_cndmask_b32_e64 v49, 0, 1, s6
	v_cmp_ne_u32_e64 s6, 0, v50
	v_cmp_ne_u32_e64 s7, 0, v51
	s_and_b32 s5, s5, vcc_lo
	s_wait_alu 0xfffe
	v_cndmask_b32_e64 v50, 0, 1, s5
	s_bcnt1_i32_b32 s5, s6
	v_cmp_ne_u32_e32 vcc_lo, 0, v49
	s_bcnt1_i32_b32 s6, s7
	s_wait_alu 0xfffe
	v_add_co_u32 v2, s5, v2, s5
	s_wait_alu 0xf1ff
	v_add_co_ci_u32_e64 v3, null, 0, v3, s5
	v_add_co_u32 v4, s5, v4, s6
	s_wait_alu 0xf1ff
	v_add_co_ci_u32_e64 v5, null, 0, v5, s5
	s_bcnt1_i32_b32 s5, vcc_lo
	v_cmp_ne_u32_e32 vcc_lo, 0, v50
	s_wait_alu 0xfffe
	v_add_co_u32 v6, s5, v6, s5
	s_wait_alu 0xf1ff
	v_add_co_ci_u32_e64 v7, null, 0, v7, s5
	s_bcnt1_i32_b32 s5, vcc_lo
	v_mov_b32_e32 v49, v48
	s_wait_alu 0xfffe
	v_add_co_u32 v8, vcc_lo, v8, s5
	s_wait_alu 0xfffd
	v_add_co_ci_u32_e64 v9, null, 0, v9, vcc_lo
	v_add_co_u32 v32, vcc_lo, v32, v26
	s_wait_alu 0xfffd
	v_add_co_ci_u32_e64 v33, null, v33, v47, vcc_lo
	s_and_not1_b32 exec_lo, exec_lo, s9
	s_cbranch_execz .LBB21_65
.LBB21_63:                              ;   Parent Loop BB21_16 Depth=1
                                        ; =>  This Inner Loop Header: Depth=2
	v_add_co_u32 v30, vcc_lo, v30, v12
	s_wait_alu 0xfffd
	v_add_co_ci_u32_e64 v31, null, 0, v31, vcc_lo
	v_mov_b32_e32 v48, 0
	s_mov_b32 s6, exec_lo
	s_delay_alu instid0(VALU_DEP_2)
	v_cmp_le_i64_e32 vcc_lo, s[36:37], v[30:31]
	v_cmpx_gt_i64_e64 s[36:37], v[30:31]
	s_cbranch_execz .LBB21_62
; %bb.64:                               ;   in Loop: Header=BB21_63 Depth=2
	global_load_b32 v48, v[32:33], off
	s_branch .LBB21_62
.LBB21_65:                              ;   in Loop: Header=BB21_16 Depth=1
	s_or_b32 exec_lo, exec_lo, s9
.LBB21_66:                              ;   in Loop: Header=BB21_16 Depth=1
	s_wait_alu 0xfffe
	s_or_b32 exec_lo, exec_lo, s8
	s_branch .LBB21_45
.LBB21_67:                              ;   in Loop: Header=BB21_16 Depth=1
	global_load_u16 v2, v13, s[38:39]
	v_mov_b32_e32 v4, 0
	v_mov_b32_e32 v6, 0
	v_dual_mov_b32 v8, 0 :: v_dual_mov_b32 v7, 0
	v_mov_b32_e32 v9, 0
	s_mov_b32 s84, exec_lo
	v_mov_b32_e32 v5, 0
	s_wait_loadcnt 0x0
	v_readfirstlane_b32 s5, v2
	v_and_b32_e32 v12, 0xffff, v2
	s_and_b32 s82, 0xffff, s5
	s_wait_alu 0xfffe
	s_lshl_b32 s73, s82, 2
	s_wait_alu 0xfffe
	s_cvt_f32_u32 s5, s73
	s_sub_co_i32 s6, 0, s73
	s_wait_alu 0xfffe
	s_delay_alu instid0(SALU_CYCLE_1) | instskip(NEXT) | instid1(TRANS32_DEP_1)
	v_rcp_iflag_f32_e32 v3, s5
	v_readfirstlane_b32 s5, v3
	s_mul_f32 s5, s5, 0x4f7ffffe
	s_wait_alu 0xfffe
	s_delay_alu instid0(SALU_CYCLE_2) | instskip(SKIP_1) | instid1(SALU_CYCLE_2)
	s_cvt_u32_f32 s5, s5
	s_wait_alu 0xfffe
	s_mul_i32 s6, s6, s5
	s_wait_alu 0xfffe
	s_mul_hi_u32 s6, s5, s6
	s_wait_alu 0xfffe
	s_add_co_i32 s5, s5, s6
	s_wait_alu 0xfffe
	s_mul_hi_u32 s5, s72, s5
	s_wait_alu 0xfffe
	s_mul_i32 s6, s5, s73
	s_add_co_i32 s7, s5, 1
	s_wait_alu 0xfffe
	s_sub_co_i32 s6, s72, s6
	s_wait_alu 0xfffe
	s_sub_co_i32 s8, s6, s73
	s_cmp_ge_u32 s6, s73
	s_cselect_b32 s5, s7, s5
	s_wait_alu 0xfffe
	s_cselect_b32 s6, s8, s6
	s_add_co_i32 s7, s5, 1
	s_wait_alu 0xfffe
	s_cmp_ge_u32 s6, s73
	s_cselect_b32 s83, s7, s5
	s_wait_alu 0xfffe
	v_mul_hi_u32 v3, s83, v12
	v_mul_lo_u32 v2, s83, v12
	s_delay_alu instid0(VALU_DEP_1) | instskip(SKIP_2) | instid1(VALU_DEP_3)
	v_lshlrev_b64_e32 v[30:31], 2, v[2:3]
	v_mov_b32_e32 v2, 0
	v_mov_b32_e32 v3, 0
	v_cmpx_gt_u64_e64 v[30:31], v[14:15]
	s_cbranch_execz .LBB21_71
; %bb.68:                               ;   in Loop: Header=BB21_16 Depth=1
	v_dual_mov_b32 v26, v37 :: v_dual_mov_b32 v33, v15
	v_mov_b32_e32 v32, v14
	s_lshl_b32 s85, s82, 4
	s_mov_b64 s[74:75], 0
	s_mov_b32 s86, 0
	s_mov_b64 s[76:77], 0
	s_mov_b64 s[78:79], 0
	s_mov_b64 s[80:81], 0
.LBB21_69:                              ;   Parent Loop BB21_16 Depth=1
                                        ; =>  This Inner Loop Header: Depth=2
	ds_load_b128 v[2:5], v26
	v_add_co_u32 v32, vcc_lo, v32, s73
	s_wait_alu 0xfffd
	v_add_co_ci_u32_e64 v33, null, 0, v33, vcc_lo
	s_delay_alu instid0(VALU_DEP_1)
	v_cmp_ge_u64_e32 vcc_lo, v[32:33], v[30:31]
	s_wait_dscnt 0x0
	v_xor_b32_e32 v2, 0x80000000, v2
	v_xor_b32_e32 v3, 0x80000000, v3
	;; [unrolled: 1-line block ×4, first 2 shown]
	s_delay_alu instid0(VALU_DEP_4)
	v_and_b32_e32 v6, v2, v46
	v_bfe_u32 v2, v2, s95, 2
	v_and_b32_e32 v7, v3, v46
	v_bfe_u32 v3, v3, s95, 2
	v_and_b32_e32 v8, v4, v46
	v_bfe_u32 v4, v4, s95, 2
	v_cmp_eq_u32_e64 s5, v6, v40
	v_cmp_eq_u32_e64 s9, 0, v2
	v_and_b32_e32 v9, v5, v46
	v_bfe_u32 v5, v5, s95, 2
	v_cmp_eq_u32_e64 s6, v7, v40
	v_cmp_eq_u32_e64 s10, 0, v3
	;; [unrolled: 1-line block ×4, first 2 shown]
	s_and_b32 s9, s5, s9
	v_cmp_eq_u32_e64 s8, v9, v40
	v_cmp_eq_u32_e64 s12, 0, v5
	;; [unrolled: 1-line block ×5, first 2 shown]
	s_wait_alu 0xfffe
	v_cndmask_b32_e64 v2, 0, 1, s9
	s_and_b32 s9, s6, s10
	v_cmp_eq_u32_e64 s14, 1, v3
	v_cmp_eq_u32_e64 s18, 2, v3
	v_cmp_eq_u32_e64 s22, 3, v3
	s_wait_alu 0xfffe
	v_cndmask_b32_e64 v3, 0, 1, s9
	s_and_b32 s9, s7, s11
	v_cmp_eq_u32_e64 s15, 1, v4
	v_cmp_eq_u32_e64 s19, 2, v4
	v_cmp_eq_u32_e64 s23, 3, v4
	;; [unrolled: 6-line block ×3, first 2 shown]
	s_wait_alu 0xfffe
	v_cndmask_b32_e64 v5, 0, 1, s9
	s_and_b32 s9, s5, s13
	s_wait_alu 0xfffe
	v_cndmask_b32_e64 v6, 0, 1, s9
	s_and_b32 s9, s6, s14
	;; [unrolled: 3-line block ×4, first 2 shown]
	v_cmp_ne_u32_e64 s10, 0, v7
	s_wait_alu 0xfffe
	v_cndmask_b32_e64 v9, 0, 1, s9
	s_and_b32 s9, s5, s17
	s_and_b32 s5, s5, s21
	s_wait_alu 0xfffe
	v_cndmask_b32_e64 v47, 0, 1, s9
	v_cndmask_b32_e64 v51, 0, 1, s5
	s_and_b32 s5, s6, s22
	s_and_b32 s9, s6, s18
	s_wait_alu 0xfffe
	v_cndmask_b32_e64 v52, 0, 1, s5
	s_and_b32 s5, s7, s23
	v_cndmask_b32_e64 v48, 0, 1, s9
	s_and_b32 s9, s7, s19
	s_wait_alu 0xfffe
	v_cndmask_b32_e64 v53, 0, 1, s5
	s_and_b32 s5, s8, s24
	v_cndmask_b32_e64 v49, 0, 1, s9
	s_and_b32 s9, s8, s20
	s_wait_alu 0xfffe
	v_cndmask_b32_e64 v54, 0, 1, s5
	v_cmp_ne_u32_e64 s5, 0, v2
	v_cmp_ne_u32_e64 s6, 0, v3
	v_cndmask_b32_e64 v50, 0, 1, s9
	v_cmp_ne_u32_e64 s7, 0, v4
	v_cmp_ne_u32_e64 s9, 0, v6
	;; [unrolled: 1-line block ×6, first 2 shown]
	s_bcnt1_i32_b32 s5, s5
	s_bcnt1_i32_b32 s6, s6
	v_cmp_ne_u32_e64 s12, 0, v9
	v_cmp_ne_u32_e64 s15, 0, v49
	v_cmp_ne_u32_e64 s17, 0, v51
	v_cmp_ne_u32_e64 s18, 0, v52
	s_bcnt1_i32_b32 s7, s7
	s_bcnt1_i32_b32 s9, s9
	;; [unrolled: 1-line block ×3, first 2 shown]
	s_wait_alu 0xfffe
	s_add_co_i32 s5, s6, s5
	v_cmp_ne_u32_e64 s16, 0, v50
	v_cmp_ne_u32_e64 s19, 0, v53
	s_bcnt1_i32_b32 s8, s8
	s_bcnt1_i32_b32 s11, s11
	;; [unrolled: 1-line block ×4, first 2 shown]
	s_add_co_i32 s6, s10, s9
	s_wait_alu 0xfffe
	s_add_co_i32 s5, s5, s7
	v_cmp_ne_u32_e64 s20, 0, v54
	s_bcnt1_i32_b32 s12, s12
	s_bcnt1_i32_b32 s15, s15
	;; [unrolled: 1-line block ×4, first 2 shown]
	s_add_co_i32 s9, s14, s13
	s_add_co_i32 s6, s6, s11
	s_wait_alu 0xfffe
	s_add_co_i32 s24, s5, s8
	s_bcnt1_i32_b32 s16, s16
	s_bcnt1_i32_b32 s19, s19
	s_add_co_i32 s10, s18, s17
	s_add_co_i32 s7, s9, s15
	s_wait_alu 0xfffe
	s_add_nc_u64 s[80:81], s[80:81], s[24:25]
	s_add_co_i32 s24, s6, s12
	s_bcnt1_i32_b32 s20, s20
	s_add_co_i32 s9, s10, s19
	s_wait_alu 0xfffe
	s_add_nc_u64 s[78:79], s[78:79], s[24:25]
	s_add_co_i32 s24, s7, s16
	v_mov_b32_e32 v2, s80
	s_wait_alu 0xfffe
	s_add_nc_u64 s[76:77], s[76:77], s[24:25]
	s_add_co_i32 s24, s9, s20
	v_mov_b32_e32 v4, s78
	s_wait_alu 0xfffe
	s_add_nc_u64 s[74:75], s[74:75], s[24:25]
	v_mov_b32_e32 v6, s76
	s_wait_alu 0xfffe
	v_mov_b32_e32 v8, s74
	v_dual_mov_b32 v3, s81 :: v_dual_add_nc_u32 v26, s85, v26
	v_mov_b32_e32 v5, s79
	v_mov_b32_e32 v7, s77
	;; [unrolled: 1-line block ×3, first 2 shown]
	s_or_b32 s86, vcc_lo, s86
	s_wait_alu 0xfffe
	s_and_not1_b32 exec_lo, exec_lo, s86
	s_cbranch_execnz .LBB21_69
; %bb.70:                               ;   in Loop: Header=BB21_16 Depth=1
	s_or_b32 exec_lo, exec_lo, s86
.LBB21_71:                              ;   in Loop: Header=BB21_16 Depth=1
	s_delay_alu instid0(SALU_CYCLE_1)
	s_or_b32 exec_lo, exec_lo, s84
	v_add_co_u32 v30, vcc_lo, v30, v0
	s_wait_alu 0xfffd
	v_add_co_ci_u32_e64 v31, null, 0, v31, vcc_lo
	s_and_b32 s24, s72, 0x7fffffff
	s_mov_b32 s10, exec_lo
	s_wait_alu 0xfffe
	v_cmpx_gt_u64_e64 s[24:25], v[30:31]
	s_cbranch_execz .LBB21_75
; %bb.72:                               ;   in Loop: Header=BB21_16 Depth=1
	s_mul_i32 s83, s83, s82
	s_mov_b32 s11, 0
	s_wait_alu 0xfffe
	v_lshl_add_u32 v26, s83, 4, v14
.LBB21_73:                              ;   Parent Loop BB21_16 Depth=1
                                        ; =>  This Inner Loop Header: Depth=2
	ds_load_b32 v32, v26
	v_add_co_u32 v30, vcc_lo, v30, v12
	s_wait_alu 0xfffd
	v_add_co_ci_u32_e64 v31, null, 0, v31, vcc_lo
	v_add_nc_u32_e32 v26, s73, v26
	s_delay_alu instid0(VALU_DEP_2) | instskip(SKIP_2) | instid1(VALU_DEP_1)
	v_cmp_le_u64_e32 vcc_lo, s[24:25], v[30:31]
	s_wait_dscnt 0x0
	v_xor_b32_e32 v32, 0x80000000, v32
	v_and_b32_e32 v33, v32, v46
	v_bfe_u32 v32, v32, s95, 2
	s_delay_alu instid0(VALU_DEP_2) | instskip(NEXT) | instid1(VALU_DEP_2)
	v_cmp_eq_u32_e64 s5, v33, v40
	v_cmp_eq_u32_e64 s6, 0, v32
	;; [unrolled: 1-line block ×5, first 2 shown]
	s_and_b32 s6, s5, s6
	s_wait_alu 0xfffe
	v_cndmask_b32_e64 v32, 0, 1, s6
	s_and_b32 s6, s5, s7
	s_wait_alu 0xfffe
	v_cndmask_b32_e64 v33, 0, 1, s6
	s_and_b32 s6, s5, s8
	s_and_b32 s5, s5, s9
	s_wait_alu 0xfffe
	v_cndmask_b32_e64 v47, 0, 1, s6
	v_cndmask_b32_e64 v48, 0, 1, s5
	v_cmp_ne_u32_e64 s5, 0, v32
	v_cmp_ne_u32_e64 s6, 0, v33
	s_delay_alu instid0(VALU_DEP_4) | instskip(NEXT) | instid1(VALU_DEP_4)
	v_cmp_ne_u32_e64 s7, 0, v47
	v_cmp_ne_u32_e64 s8, 0, v48
	s_bcnt1_i32_b32 s5, s5
	s_bcnt1_i32_b32 s6, s6
	s_wait_alu 0xfffe
	v_add_co_u32 v2, s5, v2, s5
	s_bcnt1_i32_b32 s7, s7
	v_add_co_ci_u32_e64 v3, null, 0, v3, s5
	v_add_co_u32 v4, s5, v4, s6
	s_bcnt1_i32_b32 s8, s8
	v_add_co_ci_u32_e64 v5, null, 0, v5, s5
	s_wait_alu 0xfffe
	v_add_co_u32 v6, s5, v6, s7
	s_wait_alu 0xf1ff
	v_add_co_ci_u32_e64 v7, null, 0, v7, s5
	v_add_co_u32 v8, s5, v8, s8
	s_wait_alu 0xf1ff
	v_add_co_ci_u32_e64 v9, null, 0, v9, s5
	s_or_b32 s11, vcc_lo, s11
	s_wait_alu 0xfffe
	s_and_not1_b32 exec_lo, exec_lo, s11
	s_cbranch_execnz .LBB21_73
; %bb.74:                               ;   in Loop: Header=BB21_16 Depth=1
	s_or_b32 exec_lo, exec_lo, s11
.LBB21_75:                              ;   in Loop: Header=BB21_16 Depth=1
	s_wait_alu 0xfffe
	s_or_b32 exec_lo, exec_lo, s10
	s_lshl_b32 s5, s97, 7
	s_and_saveexec_b32 s6, s1
	s_cbranch_execnz .LBB21_46
	s_branch .LBB21_47
.LBB21_76:                              ;   in Loop: Header=BB21_16 Depth=1
                                        ; implicit-def: $sgpr76_sgpr77
	s_branch .LBB21_55
.LBB21_77:                              ;   in Loop: Header=BB21_16 Depth=1
	s_wait_alu 0xfffe
	s_or_b32 exec_lo, exec_lo, s8
	s_wait_loadcnt_dscnt 0x0
	s_barrier_signal -1
	s_barrier_wait -1
	global_inv scope:SCOPE_SE
	s_and_saveexec_b32 s5, s2
	s_cbranch_execz .LBB21_79
; %bb.78:                               ;   in Loop: Header=BB21_16 Depth=1
	ds_load_b32 v2, v13 offset:5136
	s_wait_dscnt 0x0
	v_ashrrev_i32_e32 v3, 31, v2
	ds_store_b64 v13, v[2:3] offset:5120
.LBB21_79:                              ;   in Loop: Header=BB21_16 Depth=1
	s_wait_alu 0xfffe
	s_or_b32 exec_lo, exec_lo, s5
	s_wait_loadcnt_dscnt 0x0
	s_barrier_signal -1
	s_mov_b32 s5, -1
	s_barrier_wait -1
	s_and_b32 vcc_lo, exec_lo, s7
	s_wait_alu 0xfffe
	s_cbranch_vccnz .LBB21_32
	s_branch .LBB21_41
.LBB21_80:                              ;   in Loop: Header=BB21_16 Depth=1
	s_mov_b32 s7, 0
	s_and_not1_b32 vcc_lo, exec_lo, s93
	s_wait_alu 0xfffe
	s_cbranch_vccnz .LBB21_83
.LBB21_81:                              ;   in Loop: Header=BB21_16 Depth=1
	s_lshl_b32 s8, s97, 10
	s_lshl_b32 s7, s7, 5
	s_wait_alu 0xfffe
	v_add3_u32 v4, s8, s7, v43
	s_mov_b32 s7, s90
.LBB21_82:                              ;   Parent Loop BB21_16 Depth=1
                                        ; =>  This Inner Loop Header: Depth=2
	ds_load_b64 v[5:6], v4
	v_add_nc_u32_e32 v4, 32, v4
	s_wait_alu 0xfffe
	s_add_co_i32 s7, s7, -1
	s_wait_alu 0xfffe
	s_cmp_lg_u32 s7, 0
	s_wait_dscnt 0x0
	v_add_co_u32 v2, vcc_lo, v5, v2
	s_wait_alu 0xfffd
	v_add_co_ci_u32_e64 v3, null, v6, v3, vcc_lo
	s_cbranch_scc1 .LBB21_82
.LBB21_83:                              ;   in Loop: Header=BB21_16 Depth=1
	v_add_lshl_u32 v4, s5, v34, 3
	ds_store_b64 v4, v[2:3] offset:3072
.LBB21_84:                              ;   in Loop: Header=BB21_16 Depth=1
	s_wait_alu 0xfffe
	s_or_b32 exec_lo, exec_lo, s6
	s_lshl_b32 s5, s5, 3
	s_wait_loadcnt_dscnt 0x0
	s_wait_alu 0xfffe
	v_mov_b32_e32 v6, s5
	s_barrier_signal -1
	s_barrier_wait -1
	global_inv scope:SCOPE_SE
	v_cmp_eq_u64_e32 vcc_lo, 1, v[28:29]
	ds_load_b128 v[2:5], v6 offset:3072
	ds_load_b128 v[6:9], v6 offset:3088
	s_lshl_b32 s16, 3, s95
	s_mov_b32 s18, -1
	s_wait_alu 0xfffe
	s_not_b32 s20, s16
                                        ; implicit-def: $sgpr15
                                        ; implicit-def: $sgpr14
	s_wait_dscnt 0x1
	v_cmp_eq_u64_e64 s5, 1, v[2:3]
	s_wait_dscnt 0x0
	v_readfirstlane_b32 s8, v6
	v_readfirstlane_b32 s9, v7
	v_readfirstlane_b32 s6, v8
	v_readfirstlane_b32 s7, v9
	s_and_b32 s19, s5, vcc_lo
	s_mov_b32 s5, -1
	s_and_saveexec_b32 s17, s19
	s_cbranch_execz .LBB21_116
; %bb.85:                               ;   in Loop: Header=BB21_16 Depth=1
	ds_load_b64 v[6:7], v13 offset:5120
	s_wait_loadcnt_dscnt 0x0
	s_barrier_signal -1
	s_barrier_wait -1
	global_inv scope:SCOPE_SE
	v_readfirstlane_b32 s10, v6
	v_readfirstlane_b32 s11, v7
	s_and_saveexec_b32 s5, s3
; %bb.86:                               ;   in Loop: Header=BB21_16 Depth=1
	ds_store_b32 v35, v13
; %bb.87:                               ;   in Loop: Header=BB21_16 Depth=1
	s_wait_alu 0xfffe
	s_or_b32 exec_lo, exec_lo, s5
	v_cmp_lt_i64_e64 s5, s[10:11], 1
	v_and_b32_e32 v40, s20, v40
	v_or_b32_e32 v46, s16, v46
	s_mov_b32 s14, -1
	s_mov_b32 s15, 0
	s_mov_b32 s21, -1
	s_and_b32 vcc_lo, exec_lo, s5
	s_mov_b32 s5, 0
	s_wait_loadcnt_dscnt 0x0
	s_barrier_signal -1
	s_barrier_wait -1
	global_inv scope:SCOPE_SE
                                        ; implicit-def: $vgpr27
	s_wait_alu 0xfffe
	s_cbranch_vccz .LBB21_101
; %bb.88:                               ;   in Loop: Header=BB21_16 Depth=1
	s_mov_b32 s12, s25
	s_mov_b32 s13, s65
	s_wait_alu 0xfffe
	s_cmp_lg_u64 s[12:13], 0
	s_cbranch_scc0 .LBB21_142
; %bb.89:                               ;   in Loop: Header=BB21_16 Depth=1
	s_add_nc_u64 s[12:13], s[56:57], 0
	s_wait_alu 0xfffe
	s_xor_b64 s[12:13], s[12:13], 0
	s_wait_alu 0xfffe
	s_cvt_f32_u32 s5, s12
	s_cvt_f32_u32 s21, s13
	s_sub_nc_u64 s[72:73], 0, s[12:13]
	s_wait_alu 0xfffe
	s_delay_alu instid0(SALU_CYCLE_1) | instskip(SKIP_1) | instid1(SALU_CYCLE_2)
	s_fmamk_f32 s5, s21, 0x4f800000, s5
	s_wait_alu 0xfffe
	v_s_rcp_f32 s5, s5
	s_delay_alu instid0(TRANS32_DEP_1) | instskip(SKIP_1) | instid1(SALU_CYCLE_2)
	s_mul_f32 s5, s5, 0x5f7ffffc
	s_wait_alu 0xfffe
	s_mul_f32 s21, s5, 0x2f800000
	s_wait_alu 0xfffe
	s_delay_alu instid0(SALU_CYCLE_2) | instskip(SKIP_1) | instid1(SALU_CYCLE_2)
	s_trunc_f32 s21, s21
	s_wait_alu 0xfffe
	s_fmamk_f32 s5, s21, 0xcf800000, s5
	s_cvt_u32_f32 s23, s21
	s_wait_alu 0xfffe
	s_delay_alu instid0(SALU_CYCLE_1) | instskip(NEXT) | instid1(SALU_CYCLE_3)
	s_cvt_u32_f32 s22, s5
	s_mul_u64 s[74:75], s[72:73], s[22:23]
	s_wait_alu 0xfffe
	s_mul_hi_u32 s77, s22, s75
	s_mul_i32 s76, s22, s75
	s_mul_hi_u32 s24, s22, s74
	s_mul_i32 s21, s23, s74
	s_wait_alu 0xfffe
	s_add_nc_u64 s[76:77], s[24:25], s[76:77]
	s_mul_hi_u32 s5, s23, s74
	s_mul_hi_u32 s78, s23, s75
	s_wait_alu 0xfffe
	s_add_co_u32 s21, s76, s21
	s_add_co_ci_u32 s24, s77, s5
	s_mul_i32 s74, s23, s75
	s_add_co_ci_u32 s75, s78, 0
	s_wait_alu 0xfffe
	s_add_nc_u64 s[74:75], s[24:25], s[74:75]
	s_wait_alu 0xfffe
	s_add_co_u32 s22, s22, s74
	s_cselect_b32 s5, -1, 0
	s_wait_alu 0xfffe
	s_cmp_lg_u32 s5, 0
	s_add_co_ci_u32 s23, s23, s75
	s_delay_alu instid0(SALU_CYCLE_1)
	s_mul_u64 s[72:73], s[72:73], s[22:23]
	s_wait_alu 0xfffe
	s_mul_hi_u32 s75, s22, s73
	s_mul_i32 s74, s22, s73
	s_mul_hi_u32 s24, s22, s72
	s_mul_i32 s21, s23, s72
	s_wait_alu 0xfffe
	s_add_nc_u64 s[74:75], s[24:25], s[74:75]
	s_mul_hi_u32 s5, s23, s72
	s_mul_hi_u32 s76, s23, s73
	s_wait_alu 0xfffe
	s_add_co_u32 s21, s74, s21
	s_add_co_ci_u32 s24, s75, s5
	s_mul_i32 s72, s23, s73
	s_add_co_ci_u32 s73, s76, 0
	s_wait_alu 0xfffe
	s_add_nc_u64 s[72:73], s[24:25], s[72:73]
	s_wait_alu 0xfffe
	s_add_co_u32 s5, s22, s72
	s_cselect_b32 s21, -1, 0
	s_wait_alu 0xfffe
	s_cmp_lg_u32 s21, 0
	s_add_co_ci_u32 s21, s23, s73
	s_ashr_i32 s22, s65, 31
	s_delay_alu instid0(SALU_CYCLE_1) | instskip(NEXT) | instid1(SALU_CYCLE_1)
	s_mov_b32 s23, s22
	s_add_nc_u64 s[72:73], s[64:65], s[22:23]
	s_wait_alu 0xfffe
	s_xor_b64 s[72:73], s[72:73], s[22:23]
	s_wait_alu 0xfffe
	s_mul_hi_u32 s75, s72, s21
	s_mul_i32 s74, s72, s21
	s_mul_hi_u32 s24, s72, s5
	s_mul_hi_u32 s78, s73, s5
	s_mul_i32 s5, s73, s5
	s_wait_alu 0xfffe
	s_add_nc_u64 s[74:75], s[24:25], s[74:75]
	s_mul_hi_u32 s77, s73, s21
	s_wait_alu 0xfffe
	s_add_co_u32 s5, s74, s5
	s_add_co_ci_u32 s24, s75, s78
	s_mul_i32 s76, s73, s21
	s_add_co_ci_u32 s77, s77, 0
	s_wait_alu 0xfffe
	s_add_nc_u64 s[74:75], s[24:25], s[76:77]
	s_wait_alu 0xfffe
	s_mul_u64 s[74:75], s[12:13], s[74:75]
	s_wait_alu 0xfffe
	s_sub_co_u32 s5, s72, s74
	s_cselect_b32 s21, -1, 0
	s_sub_co_i32 s24, s73, s75
	s_wait_alu 0xfffe
	s_cmp_lg_u32 s21, 0
	s_sub_co_ci_u32 s24, s24, s13
	s_sub_co_u32 s72, s5, s12
	s_cselect_b32 s74, -1, 0
	s_wait_alu 0xfffe
	s_cmp_lg_u32 s74, 0
	s_sub_co_ci_u32 s76, s24, 0
	s_wait_alu 0xfffe
	s_cmp_ge_u32 s76, s13
	s_cselect_b32 s77, -1, 0
	s_cmp_ge_u32 s72, s12
	s_cselect_b32 s78, -1, 0
	s_cmp_eq_u32 s76, s13
	s_wait_alu 0xfffe
	s_cselect_b32 s77, s78, s77
	s_cmp_lg_u32 s74, 0
	s_sub_co_ci_u32 s24, s24, s13
	s_sub_co_u32 s74, s72, s12
	s_cselect_b32 s78, -1, 0
	s_wait_alu 0xfffe
	s_cmp_lg_u32 s78, 0
	s_sub_co_ci_u32 s24, s24, 0
	s_cmp_lg_u32 s77, 0
	s_cselect_b32 s72, s74, s72
	s_wait_alu 0xfffe
	s_cselect_b32 s24, s24, s76
	s_cmp_lg_u32 s21, 0
	s_sub_co_ci_u32 s21, s73, s75
	s_wait_alu 0xfffe
	s_cmp_ge_u32 s21, s13
	s_cselect_b32 s73, -1, 0
	s_cmp_ge_u32 s5, s12
	s_cselect_b32 s12, -1, 0
	s_cmp_eq_u32 s21, s13
	s_wait_alu 0xfffe
	s_cselect_b32 s12, s12, s73
	s_wait_alu 0xfffe
	s_cmp_lg_u32 s12, 0
	s_cselect_b32 s13, s24, s21
	s_cselect_b32 s12, s72, s5
	s_wait_alu 0xfffe
	s_xor_b64 s[12:13], s[12:13], s[22:23]
	s_wait_alu 0xfffe
	s_sub_nc_u64 s[12:13], s[12:13], s[22:23]
	s_cbranch_execnz .LBB21_91
.LBB21_90:                              ;   in Loop: Header=BB21_16 Depth=1
	v_cvt_f32_u32_e32 v6, s56
	s_sub_co_i32 s12, 0, s56
	s_delay_alu instid0(VALU_DEP_1) | instskip(NEXT) | instid1(TRANS32_DEP_1)
	v_rcp_iflag_f32_e32 v6, v6
	v_mul_f32_e32 v6, 0x4f7ffffe, v6
	s_delay_alu instid0(VALU_DEP_1) | instskip(NEXT) | instid1(VALU_DEP_1)
	v_cvt_u32_f32_e32 v6, v6
	v_readfirstlane_b32 s5, v6
	s_wait_alu 0xfffe
	s_mul_i32 s12, s12, s5
	s_wait_alu 0xfffe
	s_mul_hi_u32 s12, s5, s12
	s_wait_alu 0xfffe
	s_add_co_i32 s5, s5, s12
	s_wait_alu 0xfffe
	s_mul_hi_u32 s5, s64, s5
	s_wait_alu 0xfffe
	s_mul_i32 s5, s5, s56
	s_wait_alu 0xfffe
	s_sub_co_i32 s5, s64, s5
	s_wait_alu 0xfffe
	s_sub_co_i32 s12, s5, s56
	s_cmp_ge_u32 s5, s56
	s_wait_alu 0xfffe
	s_cselect_b32 s5, s12, s5
	s_wait_alu 0xfffe
	s_sub_co_i32 s12, s5, s56
	s_cmp_ge_u32 s5, s56
	s_wait_alu 0xfffe
	s_cselect_b32 s24, s12, s5
	s_wait_alu 0xfffe
	s_mov_b64 s[12:13], s[24:25]
.LBB21_91:                              ;   in Loop: Header=BB21_16 Depth=1
	s_wait_alu 0xfffe
	s_sub_nc_u64 s[12:13], s[64:65], s[12:13]
	s_mov_b32 s21, 0
	s_mov_b32 s5, 0
	s_mov_b32 s22, exec_lo
                                        ; implicit-def: $vgpr27
	s_wait_alu 0xfffe
	v_cmpx_gt_i64_e64 s[12:13], v[0:1]
	s_cbranch_execz .LBB21_100
; %bb.92:                               ;   in Loop: Header=BB21_16 Depth=1
	v_dual_mov_b32 v6, v10 :: v_dual_mov_b32 v7, v11
	v_dual_mov_b32 v9, v1 :: v_dual_mov_b32 v8, v0
	s_mov_b32 s23, 0
                                        ; implicit-def: $sgpr24
	s_branch .LBB21_95
.LBB21_93:                              ;   in Loop: Header=BB21_95 Depth=2
	s_wait_alu 0xfffe
	s_or_b32 exec_lo, exec_lo, s5
	s_wait_loadcnt_dscnt 0x0
	s_barrier_signal -1
	s_barrier_wait -1
	global_inv scope:SCOPE_SE
	ds_load_b64 v[26:27], v13 offset:3072
	s_mov_b32 s5, -1
	s_mov_b32 s72, -1
	s_wait_loadcnt_dscnt 0x0
	s_barrier_signal -1
	s_barrier_wait -1
	global_inv scope:SCOPE_SE
	v_cmp_ne_u32_e32 vcc_lo, 0, v26
	s_cbranch_vccz .LBB21_98
.LBB21_94:                              ;   in Loop: Header=BB21_95 Depth=2
	s_wait_alu 0xfffe
	s_and_b32 s5, exec_lo, s5
	s_wait_alu 0xfffe
	s_or_b32 s23, s5, s23
	s_and_not1_b32 s5, s24, exec_lo
	s_and_b32 s24, s72, exec_lo
	s_wait_alu 0xfffe
	s_or_b32 s24, s5, s24
	s_and_not1_b32 exec_lo, exec_lo, s23
	s_cbranch_execz .LBB21_99
.LBB21_95:                              ;   Parent Loop BB21_16 Depth=1
                                        ; =>  This Inner Loop Header: Depth=2
	s_mov_b32 s5, exec_lo
	s_delay_alu instid0(VALU_DEP_1)
	v_cmpx_gt_i64_e64 s[36:37], v[8:9]
	s_cbranch_execz .LBB21_93
; %bb.96:                               ;   in Loop: Header=BB21_95 Depth=2
	global_load_b32 v26, v[6:7], off
	s_wait_loadcnt 0x0
	v_xor_b32_e32 v12, 0x80000000, v26
	s_delay_alu instid0(VALU_DEP_1) | instskip(NEXT) | instid1(VALU_DEP_1)
	v_and_b32_e32 v12, v12, v46
	v_cmp_eq_u32_e32 vcc_lo, v12, v40
	s_and_b32 exec_lo, exec_lo, vcc_lo
	s_cbranch_execz .LBB21_93
; %bb.97:                               ;   in Loop: Header=BB21_95 Depth=2
	ds_store_b64 v13, v[25:26] offset:3072
	s_branch .LBB21_93
.LBB21_98:                              ;   in Loop: Header=BB21_95 Depth=2
	v_add_co_u32 v8, vcc_lo, v8, s56
	s_wait_alu 0xfffd
	v_add_co_ci_u32_e64 v9, null, 0, v9, vcc_lo
	v_add_co_u32 v6, s5, v6, s58
	s_wait_alu 0xf1fe
	v_add_co_ci_u32_e64 v7, null, s59, v7, s5
	s_delay_alu instid0(VALU_DEP_3)
	v_cmp_le_i64_e32 vcc_lo, s[12:13], v[8:9]
	s_mov_b32 s72, 0
	s_or_not1_b32 s5, vcc_lo, exec_lo
	s_branch .LBB21_94
.LBB21_99:                              ;   in Loop: Header=BB21_16 Depth=1
	s_or_b32 exec_lo, exec_lo, s23
	s_wait_alu 0xfffe
	s_and_b32 s5, s24, exec_lo
.LBB21_100:                             ;   in Loop: Header=BB21_16 Depth=1
	s_or_b32 exec_lo, exec_lo, s22
.LBB21_101:                             ;   in Loop: Header=BB21_16 Depth=1
	s_delay_alu instid0(SALU_CYCLE_1)
	s_and_b32 vcc_lo, exec_lo, s21
	s_wait_alu 0xfffe
	s_cbranch_vccz .LBB21_115
; %bb.102:                              ;   in Loop: Header=BB21_16 Depth=1
	s_add_nc_u64 s[12:13], s[10:11], s[62:63]
	s_mov_b32 s14, s25
	s_wait_alu 0xfffe
	s_mov_b32 s15, s13
	s_delay_alu instid0(SALU_CYCLE_1)
	s_cmp_lg_u64 s[14:15], 0
	s_cbranch_scc0 .LBB21_143
; %bb.103:                              ;   in Loop: Header=BB21_16 Depth=1
	s_add_nc_u64 s[14:15], s[56:57], 0
	s_delay_alu instid0(SALU_CYCLE_1) | instskip(NEXT) | instid1(SALU_CYCLE_1)
	s_xor_b64 s[14:15], s[14:15], 0
	s_cvt_f32_u32 s21, s14
	s_cvt_f32_u32 s22, s15
	s_sub_nc_u64 s[72:73], 0, s[14:15]
	s_wait_alu 0xfffe
	s_delay_alu instid0(SALU_CYCLE_1) | instskip(SKIP_1) | instid1(SALU_CYCLE_2)
	s_fmamk_f32 s21, s22, 0x4f800000, s21
	s_wait_alu 0xfffe
	v_s_rcp_f32 s21, s21
	s_delay_alu instid0(TRANS32_DEP_1) | instskip(SKIP_1) | instid1(SALU_CYCLE_2)
	s_mul_f32 s21, s21, 0x5f7ffffc
	s_wait_alu 0xfffe
	s_mul_f32 s22, s21, 0x2f800000
	s_delay_alu instid0(SALU_CYCLE_3) | instskip(NEXT) | instid1(SALU_CYCLE_3)
	s_trunc_f32 s22, s22
	s_fmamk_f32 s21, s22, 0xcf800000, s21
	s_cvt_u32_f32 s23, s22
	s_wait_alu 0xfffe
	s_delay_alu instid0(SALU_CYCLE_1) | instskip(NEXT) | instid1(SALU_CYCLE_3)
	s_cvt_u32_f32 s22, s21
	s_mul_u64 s[74:75], s[72:73], s[22:23]
	s_wait_alu 0xfffe
	s_mul_hi_u32 s77, s22, s75
	s_mul_i32 s76, s22, s75
	s_mul_hi_u32 s24, s22, s74
	s_mul_i32 s78, s23, s74
	s_wait_alu 0xfffe
	s_add_nc_u64 s[76:77], s[24:25], s[76:77]
	s_mul_hi_u32 s21, s23, s74
	s_mul_hi_u32 s79, s23, s75
	s_wait_alu 0xfffe
	s_add_co_u32 s24, s76, s78
	s_add_co_ci_u32 s24, s77, s21
	s_mul_i32 s74, s23, s75
	s_add_co_ci_u32 s75, s79, 0
	s_wait_alu 0xfffe
	s_add_nc_u64 s[74:75], s[24:25], s[74:75]
	s_wait_alu 0xfffe
	s_add_co_u32 s22, s22, s74
	s_cselect_b32 s21, -1, 0
	s_wait_alu 0xfffe
	s_cmp_lg_u32 s21, 0
	s_add_co_ci_u32 s23, s23, s75
	s_delay_alu instid0(SALU_CYCLE_1)
	s_mul_u64 s[72:73], s[72:73], s[22:23]
	s_wait_alu 0xfffe
	s_mul_hi_u32 s75, s22, s73
	s_mul_i32 s74, s22, s73
	s_mul_hi_u32 s24, s22, s72
	s_mul_i32 s76, s23, s72
	s_wait_alu 0xfffe
	s_add_nc_u64 s[74:75], s[24:25], s[74:75]
	s_mul_hi_u32 s21, s23, s72
	s_mul_hi_u32 s77, s23, s73
	s_wait_alu 0xfffe
	s_add_co_u32 s24, s74, s76
	s_add_co_ci_u32 s24, s75, s21
	s_mul_i32 s72, s23, s73
	s_add_co_ci_u32 s73, s77, 0
	s_wait_alu 0xfffe
	s_add_nc_u64 s[72:73], s[24:25], s[72:73]
	s_wait_alu 0xfffe
	s_add_co_u32 s21, s22, s72
	s_cselect_b32 s22, -1, 0
	s_delay_alu instid0(SALU_CYCLE_1) | instskip(SKIP_2) | instid1(SALU_CYCLE_1)
	s_cmp_lg_u32 s22, 0
	s_add_co_ci_u32 s76, s23, s73
	s_ashr_i32 s22, s13, 31
	s_mov_b32 s23, s22
	s_delay_alu instid0(SALU_CYCLE_1)
	s_add_nc_u64 s[72:73], s[12:13], s[22:23]
	s_wait_alu 0xfffe
	s_xor_b64 s[72:73], s[72:73], s[22:23]
	s_wait_alu 0xfffe
	s_mul_hi_u32 s75, s72, s76
	s_mul_i32 s74, s72, s76
	s_mul_hi_u32 s24, s72, s21
	s_mul_hi_u32 s78, s73, s21
	s_mul_i32 s21, s73, s21
	s_wait_alu 0xfffe
	s_add_nc_u64 s[74:75], s[24:25], s[74:75]
	s_mul_hi_u32 s77, s73, s76
	s_wait_alu 0xfffe
	s_add_co_u32 s21, s74, s21
	s_add_co_ci_u32 s24, s75, s78
	s_mul_i32 s76, s73, s76
	s_add_co_ci_u32 s77, s77, 0
	s_wait_alu 0xfffe
	s_add_nc_u64 s[74:75], s[24:25], s[76:77]
	s_wait_alu 0xfffe
	s_mul_u64 s[74:75], s[14:15], s[74:75]
	s_wait_alu 0xfffe
	s_sub_co_u32 s21, s72, s74
	s_cselect_b32 s24, -1, 0
	s_sub_co_i32 s72, s73, s75
	s_wait_alu 0xfffe
	s_cmp_lg_u32 s24, 0
	s_sub_co_ci_u32 s72, s72, s15
	s_sub_co_u32 s74, s21, s14
	s_cselect_b32 s76, -1, 0
	s_wait_alu 0xfffe
	s_cmp_lg_u32 s76, 0
	s_sub_co_ci_u32 s77, s72, 0
	s_wait_alu 0xfffe
	s_cmp_ge_u32 s77, s15
	s_cselect_b32 s78, -1, 0
	s_cmp_ge_u32 s74, s14
	s_cselect_b32 s79, -1, 0
	s_cmp_eq_u32 s77, s15
	s_wait_alu 0xfffe
	s_cselect_b32 s78, s79, s78
	s_cmp_lg_u32 s76, 0
	s_sub_co_ci_u32 s72, s72, s15
	s_sub_co_u32 s76, s74, s14
	s_cselect_b32 s79, -1, 0
	s_wait_alu 0xfffe
	s_cmp_lg_u32 s79, 0
	s_sub_co_ci_u32 s72, s72, 0
	s_cmp_lg_u32 s78, 0
	s_cselect_b32 s74, s76, s74
	s_wait_alu 0xfffe
	s_cselect_b32 s72, s72, s77
	s_cmp_lg_u32 s24, 0
	s_sub_co_ci_u32 s24, s73, s75
	s_wait_alu 0xfffe
	s_cmp_ge_u32 s24, s15
	s_cselect_b32 s73, -1, 0
	s_cmp_ge_u32 s21, s14
	s_cselect_b32 s14, -1, 0
	s_cmp_eq_u32 s24, s15
	s_wait_alu 0xfffe
	s_cselect_b32 s14, s14, s73
	s_delay_alu instid0(SALU_CYCLE_1) | instskip(SKIP_2) | instid1(SALU_CYCLE_1)
	s_cmp_lg_u32 s14, 0
	s_cselect_b32 s15, s72, s24
	s_cselect_b32 s14, s74, s21
	s_xor_b64 s[14:15], s[14:15], s[22:23]
	s_delay_alu instid0(SALU_CYCLE_1)
	s_sub_nc_u64 s[14:15], s[14:15], s[22:23]
	s_cbranch_execnz .LBB21_105
.LBB21_104:                             ;   in Loop: Header=BB21_16 Depth=1
	v_cvt_f32_u32_e32 v6, s56
	s_sub_co_i32 s15, 0, s56
	s_delay_alu instid0(VALU_DEP_1) | instskip(NEXT) | instid1(TRANS32_DEP_1)
	v_rcp_iflag_f32_e32 v6, v6
	v_mul_f32_e32 v6, 0x4f7ffffe, v6
	s_delay_alu instid0(VALU_DEP_1) | instskip(NEXT) | instid1(VALU_DEP_1)
	v_cvt_u32_f32_e32 v6, v6
	v_readfirstlane_b32 s14, v6
	s_mul_i32 s15, s15, s14
	s_delay_alu instid0(SALU_CYCLE_1) | instskip(NEXT) | instid1(SALU_CYCLE_1)
	s_mul_hi_u32 s15, s14, s15
	s_add_co_i32 s14, s14, s15
	s_delay_alu instid0(SALU_CYCLE_1) | instskip(NEXT) | instid1(SALU_CYCLE_1)
	s_mul_hi_u32 s14, s12, s14
	s_mul_i32 s14, s14, s56
	s_delay_alu instid0(SALU_CYCLE_1) | instskip(NEXT) | instid1(SALU_CYCLE_1)
	s_sub_co_i32 s14, s12, s14
	s_sub_co_i32 s15, s14, s56
	s_cmp_ge_u32 s14, s56
	s_cselect_b32 s14, s15, s14
	s_delay_alu instid0(SALU_CYCLE_1)
	s_sub_co_i32 s15, s14, s56
	s_cmp_ge_u32 s14, s56
	s_cselect_b32 s24, s15, s14
	s_wait_alu 0xfffe
	s_mov_b64 s[14:15], s[24:25]
.LBB21_105:                             ;   in Loop: Header=BB21_16 Depth=1
	s_delay_alu instid0(SALU_CYCLE_1)
	s_sub_nc_u64 s[12:13], s[12:13], s[14:15]
	s_mov_b32 s14, exec_lo
                                        ; implicit-def: $vgpr27
	s_wait_alu 0xfffe
	v_cmpx_gt_i64_e64 s[12:13], v[0:1]
	s_cbranch_execz .LBB21_114
; %bb.106:                              ;   in Loop: Header=BB21_16 Depth=1
	v_dual_mov_b32 v8, v14 :: v_dual_mov_b32 v7, v1
	v_mov_b32_e32 v6, v0
	s_mov_b32 s15, 0
                                        ; implicit-def: $sgpr21
	s_branch .LBB21_109
.LBB21_107:                             ;   in Loop: Header=BB21_109 Depth=2
	s_or_b32 exec_lo, exec_lo, s22
	s_wait_loadcnt_dscnt 0x0
	s_barrier_signal -1
	s_barrier_wait -1
	global_inv scope:SCOPE_SE
	ds_load_b64 v[26:27], v13 offset:3072
	s_mov_b32 s22, -1
	s_mov_b32 s23, -1
	s_wait_loadcnt_dscnt 0x0
	s_barrier_signal -1
	s_barrier_wait -1
	global_inv scope:SCOPE_SE
	v_cmp_ne_u32_e32 vcc_lo, 0, v26
	s_cbranch_vccz .LBB21_112
.LBB21_108:                             ;   in Loop: Header=BB21_109 Depth=2
	s_and_b32 s22, exec_lo, s22
	s_delay_alu instid0(SALU_CYCLE_1)
	s_or_b32 s15, s22, s15
	s_wait_alu 0xfffe
	s_and_not1_b32 s21, s21, exec_lo
	s_and_b32 s22, s23, exec_lo
	s_wait_alu 0xfffe
	s_or_b32 s21, s21, s22
	s_and_not1_b32 exec_lo, exec_lo, s15
	s_cbranch_execz .LBB21_113
.LBB21_109:                             ;   Parent Loop BB21_16 Depth=1
                                        ; =>  This Inner Loop Header: Depth=2
	s_mov_b32 s22, exec_lo
	s_delay_alu instid0(VALU_DEP_1)
	v_cmpx_gt_u64_e64 s[10:11], v[6:7]
	s_cbranch_execz .LBB21_107
; %bb.110:                              ;   in Loop: Header=BB21_109 Depth=2
	ds_load_b32 v26, v8
	s_wait_dscnt 0x0
	v_xor_b32_e32 v9, 0x80000000, v26
	s_delay_alu instid0(VALU_DEP_1) | instskip(NEXT) | instid1(VALU_DEP_1)
	v_and_b32_e32 v9, v9, v46
	v_cmp_eq_u32_e32 vcc_lo, v9, v40
	s_and_b32 exec_lo, exec_lo, vcc_lo
	s_cbranch_execz .LBB21_107
; %bb.111:                              ;   in Loop: Header=BB21_109 Depth=2
	ds_store_b64 v13, v[25:26] offset:3072
	s_branch .LBB21_107
.LBB21_112:                             ;   in Loop: Header=BB21_109 Depth=2
	v_add_co_u32 v6, vcc_lo, v6, s56
	s_wait_alu 0xfffd
	v_add_co_ci_u32_e64 v7, null, 0, v7, vcc_lo
	v_add_nc_u32_e32 v8, s94, v8
	s_mov_b32 s23, 0
	s_delay_alu instid0(VALU_DEP_2)
	v_cmp_le_i64_e32 vcc_lo, s[12:13], v[6:7]
	s_or_not1_b32 s22, vcc_lo, exec_lo
	s_branch .LBB21_108
.LBB21_113:                             ;   in Loop: Header=BB21_16 Depth=1
	s_or_b32 exec_lo, exec_lo, s15
	s_delay_alu instid0(SALU_CYCLE_1)
	s_and_not1_b32 s5, s5, exec_lo
	s_wait_alu 0xfffe
	s_and_b32 s10, s21, exec_lo
	s_wait_alu 0xfffe
	s_or_b32 s5, s5, s10
.LBB21_114:                             ;   in Loop: Header=BB21_16 Depth=1
	s_or_b32 exec_lo, exec_lo, s14
	s_mov_b32 s14, 0
	s_mov_b32 s15, -1
.LBB21_115:                             ;   in Loop: Header=BB21_16 Depth=1
	s_wait_alu 0xfffe
	s_or_not1_b32 s5, s5, exec_lo
.LBB21_116:                             ;   in Loop: Header=BB21_16 Depth=1
	s_wait_alu 0xfffe
	s_or_b32 exec_lo, exec_lo, s17
	s_delay_alu instid0(SALU_CYCLE_1)
	s_and_not1_b32 s10, s102, exec_lo
	s_and_b32 s11, s15, exec_lo
	s_and_not1_b32 s12, s100, exec_lo
	s_and_b32 s13, s14, exec_lo
	s_and_not1_b32 s99, s99, exec_lo
	s_wait_alu 0xfffe
	s_or_b32 s102, s10, s11
	s_or_b32 s100, s12, s13
                                        ; implicit-def: $vgpr6_vgpr7
	s_and_saveexec_b32 s17, s5
	s_cbranch_execz .LBB21_15
; %bb.117:                              ;   in Loop: Header=BB21_16 Depth=1
	v_mov_b32_e32 v6, 1
	v_dual_mov_b32 v7, 0 :: v_dual_mov_b32 v12, 1
	s_xor_b32 s11, s19, -1
	s_mov_b32 s10, 0
	s_wait_alu 0xfffe
	s_and_saveexec_b32 s5, s11
	s_cbranch_execz .LBB21_126
; %bb.118:                              ;   in Loop: Header=BB21_16 Depth=1
	s_mov_b32 s10, exec_lo
	v_cmpx_le_i64_e64 v[28:29], v[2:3]
	s_wait_alu 0xfffe
	s_xor_b32 s10, exec_lo, s10
	s_cbranch_execz .LBB21_123
; %bb.119:                              ;   in Loop: Header=BB21_16 Depth=1
	ds_load_b64 v[6:7], v13 offset:5120
	v_and_b32_e32 v40, s20, v40
	v_or_b32_e32 v46, s16, v46
	s_wait_dscnt 0x0
	v_cmp_ne_u64_e32 vcc_lo, 0, v[6:7]
	s_cbranch_vccnz .LBB21_123
; %bb.120:                              ;   in Loop: Header=BB21_16 Depth=1
	s_and_saveexec_b32 s11, s2
; %bb.121:                              ;   in Loop: Header=BB21_16 Depth=1
	ds_store_b64 v13, v[2:3] offset:5128
; %bb.122:                              ;   in Loop: Header=BB21_16 Depth=1
	s_wait_alu 0xfffe
	s_or_b32 exec_lo, exec_lo, s11
	s_wait_loadcnt_dscnt 0x0
	s_barrier_signal -1
	s_barrier_wait -1
	global_inv scope:SCOPE_SE
.LBB21_123:                             ;   in Loop: Header=BB21_16 Depth=1
	s_wait_alu 0xfffe
	s_or_saveexec_b32 s10, s10
	v_mov_b32_e32 v12, 8
	s_mov_b32 s11, 0
	s_wait_alu 0xfffe
	s_xor_b32 exec_lo, exec_lo, s10
; %bb.124:                              ;   in Loop: Header=BB21_16 Depth=1
	v_sub_co_u32 v28, vcc_lo, v28, v2
	s_wait_alu 0xfffd
	v_sub_co_ci_u32_e64 v29, null, v29, v3, vcc_lo
	v_mov_b32_e32 v12, 0
	s_mov_b32 s11, exec_lo
; %bb.125:                              ;   in Loop: Header=BB21_16 Depth=1
	s_or_b32 exec_lo, exec_lo, s10
	s_delay_alu instid0(VALU_DEP_2)
	v_dual_mov_b32 v6, v28 :: v_dual_mov_b32 v7, v29
	s_wait_alu 0xfffe
	s_and_b32 s10, s11, exec_lo
.LBB21_126:                             ;   in Loop: Header=BB21_16 Depth=1
	s_wait_alu 0xfffe
	s_or_b32 exec_lo, exec_lo, s5
	s_mov_b32 s18, -1
	s_mov_b32 s5, -1
                                        ; implicit-def: $sgpr21
                                        ; implicit-def: $sgpr22
	s_and_saveexec_b32 s11, s10
	s_wait_alu 0xfffe
	s_xor_b32 s19, exec_lo, s11
	s_cbranch_execz .LBB21_268
; %bb.127:                              ;   in Loop: Header=BB21_16 Depth=1
	v_cmp_eq_u64_e32 vcc_lo, 1, v[4:5]
	v_cmp_eq_u64_e64 s5, 1, v[6:7]
                                        ; implicit-def: $sgpr22
                                        ; implicit-def: $sgpr21
	s_and_b32 s72, vcc_lo, s5
	s_mov_b32 s5, -1
	s_wait_alu 0xfffe
	s_and_saveexec_b32 s23, s72
	s_cbranch_execz .LBB21_161
; %bb.128:                              ;   in Loop: Header=BB21_16 Depth=1
	ds_load_b64 v[2:3], v13 offset:5120
	s_wait_loadcnt_dscnt 0x0
	s_barrier_signal -1
	s_barrier_wait -1
	global_inv scope:SCOPE_SE
	v_readfirstlane_b32 s10, v2
	v_readfirstlane_b32 s11, v3
	s_and_saveexec_b32 s5, s3
; %bb.129:                              ;   in Loop: Header=BB21_16 Depth=1
	ds_store_b32 v35, v13
; %bb.130:                              ;   in Loop: Header=BB21_16 Depth=1
	s_wait_alu 0xfffe
	s_or_b32 exec_lo, exec_lo, s5
	s_lshl_b32 s5, 1, s95
	v_or_b32_e32 v46, s16, v46
	s_wait_alu 0xfffe
	v_and_or_b32 v40, v40, s20, s5
	v_cmp_gt_i64_e64 s5, s[10:11], 0
	s_mov_b32 s21, -1
	s_mov_b32 s22, 0
	s_mov_b32 s14, -1
	s_wait_loadcnt_dscnt 0x0
	s_barrier_signal -1
	s_and_b32 vcc_lo, exec_lo, s5
	s_mov_b32 s5, 0
	s_barrier_wait -1
	global_inv scope:SCOPE_SE
                                        ; implicit-def: $vgpr27
	s_wait_alu 0xfffe
	s_cbranch_vccnz .LBB21_146
; %bb.131:                              ;   in Loop: Header=BB21_16 Depth=1
	s_mov_b32 s12, s25
	s_mov_b32 s13, s65
	s_wait_alu 0xfffe
	s_cmp_lg_u64 s[12:13], 0
	s_cbranch_scc0 .LBB21_188
; %bb.132:                              ;   in Loop: Header=BB21_16 Depth=1
	s_add_nc_u64 s[12:13], s[56:57], 0
	s_wait_alu 0xfffe
	s_xor_b64 s[12:13], s[12:13], 0
	s_wait_alu 0xfffe
	s_cvt_f32_u32 s5, s12
	s_cvt_f32_u32 s14, s13
	s_sub_nc_u64 s[74:75], 0, s[12:13]
	s_wait_alu 0xfffe
	s_delay_alu instid0(SALU_CYCLE_1) | instskip(SKIP_1) | instid1(SALU_CYCLE_2)
	s_fmamk_f32 s5, s14, 0x4f800000, s5
	s_wait_alu 0xfffe
	v_s_rcp_f32 s5, s5
	s_delay_alu instid0(TRANS32_DEP_1) | instskip(SKIP_1) | instid1(SALU_CYCLE_2)
	s_mul_f32 s5, s5, 0x5f7ffffc
	s_wait_alu 0xfffe
	s_mul_f32 s14, s5, 0x2f800000
	s_delay_alu instid0(SALU_CYCLE_3) | instskip(NEXT) | instid1(SALU_CYCLE_3)
	s_trunc_f32 s14, s14
	s_fmamk_f32 s5, s14, 0xcf800000, s5
	s_cvt_u32_f32 s15, s14
	s_wait_alu 0xfffe
	s_delay_alu instid0(SALU_CYCLE_1) | instskip(NEXT) | instid1(SALU_CYCLE_3)
	s_cvt_u32_f32 s14, s5
	s_mul_u64 s[76:77], s[74:75], s[14:15]
	s_wait_alu 0xfffe
	s_mul_hi_u32 s79, s14, s77
	s_mul_i32 s78, s14, s77
	s_mul_hi_u32 s24, s14, s76
	s_mul_i32 s73, s15, s76
	s_wait_alu 0xfffe
	s_add_nc_u64 s[78:79], s[24:25], s[78:79]
	s_mul_hi_u32 s5, s15, s76
	s_mul_hi_u32 s80, s15, s77
	s_wait_alu 0xfffe
	s_add_co_u32 s24, s78, s73
	s_add_co_ci_u32 s24, s79, s5
	s_mul_i32 s76, s15, s77
	s_add_co_ci_u32 s77, s80, 0
	s_wait_alu 0xfffe
	s_add_nc_u64 s[76:77], s[24:25], s[76:77]
	s_wait_alu 0xfffe
	s_add_co_u32 s14, s14, s76
	s_cselect_b32 s5, -1, 0
	s_wait_alu 0xfffe
	s_cmp_lg_u32 s5, 0
	s_add_co_ci_u32 s15, s15, s77
	s_delay_alu instid0(SALU_CYCLE_1)
	s_mul_u64 s[74:75], s[74:75], s[14:15]
	s_wait_alu 0xfffe
	s_mul_hi_u32 s77, s14, s75
	s_mul_i32 s76, s14, s75
	s_mul_hi_u32 s24, s14, s74
	s_mul_i32 s73, s15, s74
	s_wait_alu 0xfffe
	s_add_nc_u64 s[76:77], s[24:25], s[76:77]
	s_mul_hi_u32 s5, s15, s74
	s_mul_hi_u32 s78, s15, s75
	s_wait_alu 0xfffe
	s_add_co_u32 s24, s76, s73
	s_add_co_ci_u32 s24, s77, s5
	s_mul_i32 s74, s15, s75
	s_add_co_ci_u32 s75, s78, 0
	s_wait_alu 0xfffe
	s_add_nc_u64 s[74:75], s[24:25], s[74:75]
	s_wait_alu 0xfffe
	s_add_co_u32 s5, s14, s74
	s_cselect_b32 s14, -1, 0
	s_delay_alu instid0(SALU_CYCLE_1) | instskip(SKIP_2) | instid1(SALU_CYCLE_1)
	s_cmp_lg_u32 s14, 0
	s_add_co_ci_u32 s73, s15, s75
	s_ashr_i32 s14, s65, 31
	s_mov_b32 s15, s14
	s_delay_alu instid0(SALU_CYCLE_1)
	s_add_nc_u64 s[74:75], s[64:65], s[14:15]
	s_wait_alu 0xfffe
	s_xor_b64 s[74:75], s[74:75], s[14:15]
	s_wait_alu 0xfffe
	s_mul_hi_u32 s77, s74, s73
	s_mul_i32 s76, s74, s73
	s_mul_hi_u32 s24, s74, s5
	s_mul_hi_u32 s80, s75, s5
	s_mul_i32 s5, s75, s5
	s_wait_alu 0xfffe
	s_add_nc_u64 s[76:77], s[24:25], s[76:77]
	s_mul_hi_u32 s79, s75, s73
	s_wait_alu 0xfffe
	s_add_co_u32 s5, s76, s5
	s_add_co_ci_u32 s24, s77, s80
	s_mul_i32 s78, s75, s73
	s_add_co_ci_u32 s79, s79, 0
	s_wait_alu 0xfffe
	s_add_nc_u64 s[76:77], s[24:25], s[78:79]
	s_wait_alu 0xfffe
	s_mul_u64 s[76:77], s[12:13], s[76:77]
	s_wait_alu 0xfffe
	s_sub_co_u32 s5, s74, s76
	s_cselect_b32 s24, -1, 0
	s_sub_co_i32 s73, s75, s77
	s_wait_alu 0xfffe
	s_cmp_lg_u32 s24, 0
	s_sub_co_ci_u32 s73, s73, s13
	s_sub_co_u32 s74, s5, s12
	s_cselect_b32 s76, -1, 0
	s_wait_alu 0xfffe
	s_cmp_lg_u32 s76, 0
	s_sub_co_ci_u32 s78, s73, 0
	s_wait_alu 0xfffe
	s_cmp_ge_u32 s78, s13
	s_cselect_b32 s79, -1, 0
	s_cmp_ge_u32 s74, s12
	s_cselect_b32 s80, -1, 0
	s_cmp_eq_u32 s78, s13
	s_wait_alu 0xfffe
	s_cselect_b32 s79, s80, s79
	s_cmp_lg_u32 s76, 0
	s_sub_co_ci_u32 s73, s73, s13
	s_sub_co_u32 s76, s74, s12
	s_cselect_b32 s80, -1, 0
	s_wait_alu 0xfffe
	s_cmp_lg_u32 s80, 0
	s_sub_co_ci_u32 s73, s73, 0
	s_cmp_lg_u32 s79, 0
	s_cselect_b32 s74, s76, s74
	s_wait_alu 0xfffe
	s_cselect_b32 s73, s73, s78
	s_cmp_lg_u32 s24, 0
	s_sub_co_ci_u32 s24, s75, s77
	s_wait_alu 0xfffe
	s_cmp_ge_u32 s24, s13
	s_cselect_b32 s75, -1, 0
	s_cmp_ge_u32 s5, s12
	s_cselect_b32 s12, -1, 0
	s_cmp_eq_u32 s24, s13
	s_wait_alu 0xfffe
	s_cselect_b32 s12, s12, s75
	s_wait_alu 0xfffe
	s_cmp_lg_u32 s12, 0
	s_cselect_b32 s13, s73, s24
	s_cselect_b32 s12, s74, s5
	s_wait_alu 0xfffe
	s_xor_b64 s[12:13], s[12:13], s[14:15]
	s_wait_alu 0xfffe
	s_sub_nc_u64 s[12:13], s[12:13], s[14:15]
	s_cbranch_execnz .LBB21_134
.LBB21_133:                             ;   in Loop: Header=BB21_16 Depth=1
	v_cvt_f32_u32_e32 v2, s56
	s_sub_co_i32 s12, 0, s56
	s_delay_alu instid0(VALU_DEP_1) | instskip(NEXT) | instid1(TRANS32_DEP_1)
	v_rcp_iflag_f32_e32 v2, v2
	v_mul_f32_e32 v2, 0x4f7ffffe, v2
	s_delay_alu instid0(VALU_DEP_1) | instskip(NEXT) | instid1(VALU_DEP_1)
	v_cvt_u32_f32_e32 v2, v2
	v_readfirstlane_b32 s5, v2
	s_wait_alu 0xfffe
	s_mul_i32 s12, s12, s5
	s_wait_alu 0xfffe
	s_mul_hi_u32 s12, s5, s12
	s_wait_alu 0xfffe
	s_add_co_i32 s5, s5, s12
	s_wait_alu 0xfffe
	s_mul_hi_u32 s5, s64, s5
	s_wait_alu 0xfffe
	s_mul_i32 s5, s5, s56
	s_wait_alu 0xfffe
	s_sub_co_i32 s5, s64, s5
	s_wait_alu 0xfffe
	s_sub_co_i32 s12, s5, s56
	s_cmp_ge_u32 s5, s56
	s_wait_alu 0xfffe
	s_cselect_b32 s5, s12, s5
	s_wait_alu 0xfffe
	s_sub_co_i32 s12, s5, s56
	s_cmp_ge_u32 s5, s56
	s_wait_alu 0xfffe
	s_cselect_b32 s24, s12, s5
	s_wait_alu 0xfffe
	s_mov_b64 s[12:13], s[24:25]
.LBB21_134:                             ;   in Loop: Header=BB21_16 Depth=1
	s_wait_alu 0xfffe
	s_sub_nc_u64 s[12:13], s[64:65], s[12:13]
	s_mov_b32 s14, 0
	s_mov_b32 s5, 0
	s_mov_b32 s15, exec_lo
                                        ; implicit-def: $vgpr27
	s_wait_alu 0xfffe
	v_cmpx_gt_i64_e64 s[12:13], v[0:1]
	s_cbranch_execz .LBB21_145
; %bb.135:                              ;   in Loop: Header=BB21_16 Depth=1
	v_dual_mov_b32 v2, v10 :: v_dual_mov_b32 v3, v11
	v_dual_mov_b32 v9, v1 :: v_dual_mov_b32 v8, v0
	s_mov_b32 s24, 0
                                        ; implicit-def: $sgpr73
	s_branch .LBB21_138
.LBB21_136:                             ;   in Loop: Header=BB21_138 Depth=2
	s_wait_alu 0xfffe
	s_or_b32 exec_lo, exec_lo, s5
	s_wait_loadcnt_dscnt 0x0
	s_barrier_signal -1
	s_barrier_wait -1
	global_inv scope:SCOPE_SE
	ds_load_b64 v[26:27], v13 offset:3072
	s_mov_b32 s5, -1
	s_mov_b32 s74, -1
	s_wait_loadcnt_dscnt 0x0
	s_barrier_signal -1
	s_barrier_wait -1
	global_inv scope:SCOPE_SE
	v_cmp_ne_u32_e32 vcc_lo, 0, v26
	s_cbranch_vccz .LBB21_141
.LBB21_137:                             ;   in Loop: Header=BB21_138 Depth=2
	s_wait_alu 0xfffe
	s_and_b32 s5, exec_lo, s5
	s_wait_alu 0xfffe
	s_or_b32 s24, s5, s24
	s_and_not1_b32 s5, s73, exec_lo
	s_and_b32 s73, s74, exec_lo
	s_wait_alu 0xfffe
	s_or_b32 s73, s5, s73
	s_and_not1_b32 exec_lo, exec_lo, s24
	s_cbranch_execz .LBB21_144
.LBB21_138:                             ;   Parent Loop BB21_16 Depth=1
                                        ; =>  This Inner Loop Header: Depth=2
	s_mov_b32 s5, exec_lo
	s_delay_alu instid0(VALU_DEP_1)
	v_cmpx_gt_i64_e64 s[36:37], v[8:9]
	s_cbranch_execz .LBB21_136
; %bb.139:                              ;   in Loop: Header=BB21_138 Depth=2
	global_load_b32 v26, v[2:3], off
	s_wait_loadcnt 0x0
	v_xor_b32_e32 v27, 0x80000000, v26
	s_delay_alu instid0(VALU_DEP_1) | instskip(NEXT) | instid1(VALU_DEP_1)
	v_and_b32_e32 v27, v27, v46
	v_cmp_eq_u32_e32 vcc_lo, v27, v40
	s_and_b32 exec_lo, exec_lo, vcc_lo
	s_cbranch_execz .LBB21_136
; %bb.140:                              ;   in Loop: Header=BB21_138 Depth=2
	ds_store_b64 v13, v[25:26] offset:3072
	s_branch .LBB21_136
.LBB21_141:                             ;   in Loop: Header=BB21_138 Depth=2
	v_add_co_u32 v8, vcc_lo, v8, s56
	s_wait_alu 0xfffd
	v_add_co_ci_u32_e64 v9, null, 0, v9, vcc_lo
	v_add_co_u32 v2, s5, v2, s58
	s_wait_alu 0xf1fe
	v_add_co_ci_u32_e64 v3, null, s59, v3, s5
	s_delay_alu instid0(VALU_DEP_3)
	v_cmp_le_i64_e32 vcc_lo, s[12:13], v[8:9]
	s_mov_b32 s74, 0
	s_or_not1_b32 s5, vcc_lo, exec_lo
	s_branch .LBB21_137
.LBB21_142:                             ;   in Loop: Header=BB21_16 Depth=1
                                        ; implicit-def: $sgpr12_sgpr13
	s_branch .LBB21_90
.LBB21_143:                             ;   in Loop: Header=BB21_16 Depth=1
                                        ; implicit-def: $sgpr14_sgpr15
	s_branch .LBB21_104
.LBB21_144:                             ;   in Loop: Header=BB21_16 Depth=1
	s_or_b32 exec_lo, exec_lo, s24
	s_wait_alu 0xfffe
	s_and_b32 s5, s73, exec_lo
.LBB21_145:                             ;   in Loop: Header=BB21_16 Depth=1
	s_or_b32 exec_lo, exec_lo, s15
.LBB21_146:                             ;   in Loop: Header=BB21_16 Depth=1
	s_delay_alu instid0(SALU_CYCLE_1)
	s_and_b32 vcc_lo, exec_lo, s14
	s_wait_alu 0xfffe
	s_cbranch_vccz .LBB21_160
; %bb.147:                              ;   in Loop: Header=BB21_16 Depth=1
	s_add_nc_u64 s[12:13], s[10:11], s[62:63]
	s_mov_b32 s14, s25
	s_wait_alu 0xfffe
	s_mov_b32 s15, s13
	s_delay_alu instid0(SALU_CYCLE_1)
	s_cmp_lg_u64 s[14:15], 0
	s_cbranch_scc0 .LBB21_189
; %bb.148:                              ;   in Loop: Header=BB21_16 Depth=1
	s_add_nc_u64 s[14:15], s[56:57], 0
	s_delay_alu instid0(SALU_CYCLE_1) | instskip(NEXT) | instid1(SALU_CYCLE_1)
	s_xor_b64 s[14:15], s[14:15], 0
	s_cvt_f32_u32 s21, s14
	s_cvt_f32_u32 s22, s15
	s_sub_nc_u64 s[76:77], 0, s[14:15]
	s_wait_alu 0xfffe
	s_delay_alu instid0(SALU_CYCLE_1) | instskip(SKIP_1) | instid1(SALU_CYCLE_2)
	s_fmamk_f32 s21, s22, 0x4f800000, s21
	s_wait_alu 0xfffe
	v_s_rcp_f32 s21, s21
	s_delay_alu instid0(TRANS32_DEP_1) | instskip(SKIP_1) | instid1(SALU_CYCLE_2)
	s_mul_f32 s21, s21, 0x5f7ffffc
	s_wait_alu 0xfffe
	s_mul_f32 s22, s21, 0x2f800000
	s_delay_alu instid0(SALU_CYCLE_3) | instskip(NEXT) | instid1(SALU_CYCLE_3)
	s_trunc_f32 s22, s22
	s_fmamk_f32 s21, s22, 0xcf800000, s21
	s_cvt_u32_f32 s75, s22
	s_wait_alu 0xfffe
	s_delay_alu instid0(SALU_CYCLE_1) | instskip(SKIP_1) | instid1(SALU_CYCLE_2)
	s_cvt_u32_f32 s74, s21
	s_wait_alu 0xfffe
	s_mul_u64 s[78:79], s[76:77], s[74:75]
	s_wait_alu 0xfffe
	s_mul_hi_u32 s81, s74, s79
	s_mul_i32 s80, s74, s79
	s_mul_hi_u32 s24, s74, s78
	s_mul_i32 s22, s75, s78
	s_wait_alu 0xfffe
	s_add_nc_u64 s[80:81], s[24:25], s[80:81]
	s_mul_hi_u32 s21, s75, s78
	s_mul_hi_u32 s73, s75, s79
	s_wait_alu 0xfffe
	s_add_co_u32 s22, s80, s22
	s_add_co_ci_u32 s24, s81, s21
	s_mul_i32 s78, s75, s79
	s_add_co_ci_u32 s79, s73, 0
	s_wait_alu 0xfffe
	s_add_nc_u64 s[78:79], s[24:25], s[78:79]
	s_wait_alu 0xfffe
	s_add_co_u32 s74, s74, s78
	s_cselect_b32 s21, -1, 0
	s_wait_alu 0xfffe
	s_cmp_lg_u32 s21, 0
	s_add_co_ci_u32 s75, s75, s79
	s_wait_alu 0xfffe
	s_mul_u64 s[76:77], s[76:77], s[74:75]
	s_wait_alu 0xfffe
	s_mul_hi_u32 s79, s74, s77
	s_mul_i32 s78, s74, s77
	s_mul_hi_u32 s24, s74, s76
	s_mul_i32 s22, s75, s76
	s_wait_alu 0xfffe
	s_add_nc_u64 s[78:79], s[24:25], s[78:79]
	s_mul_hi_u32 s21, s75, s76
	s_mul_hi_u32 s73, s75, s77
	s_wait_alu 0xfffe
	s_add_co_u32 s22, s78, s22
	s_add_co_ci_u32 s24, s79, s21
	s_mul_i32 s76, s75, s77
	s_add_co_ci_u32 s77, s73, 0
	s_wait_alu 0xfffe
	s_add_nc_u64 s[76:77], s[24:25], s[76:77]
	s_wait_alu 0xfffe
	s_add_co_u32 s21, s74, s76
	s_cselect_b32 s22, -1, 0
	s_delay_alu instid0(SALU_CYCLE_1)
	s_cmp_lg_u32 s22, 0
	s_add_co_ci_u32 s22, s75, s77
	s_ashr_i32 s74, s13, 31
	s_wait_alu 0xfffe
	s_mov_b32 s75, s74
	s_wait_alu 0xfffe
	s_add_nc_u64 s[76:77], s[12:13], s[74:75]
	s_wait_alu 0xfffe
	s_xor_b64 s[76:77], s[76:77], s[74:75]
	s_wait_alu 0xfffe
	s_mul_hi_u32 s79, s76, s22
	s_mul_i32 s78, s76, s22
	s_mul_hi_u32 s24, s76, s21
	s_mul_hi_u32 s81, s77, s21
	s_mul_i32 s21, s77, s21
	s_wait_alu 0xfffe
	s_add_nc_u64 s[78:79], s[24:25], s[78:79]
	s_mul_hi_u32 s73, s77, s22
	s_wait_alu 0xfffe
	s_add_co_u32 s21, s78, s21
	s_add_co_ci_u32 s24, s79, s81
	s_mul_i32 s80, s77, s22
	s_add_co_ci_u32 s81, s73, 0
	s_wait_alu 0xfffe
	s_add_nc_u64 s[78:79], s[24:25], s[80:81]
	s_wait_alu 0xfffe
	s_mul_u64 s[78:79], s[14:15], s[78:79]
	s_wait_alu 0xfffe
	s_sub_co_u32 s21, s76, s78
	s_cselect_b32 s22, -1, 0
	s_sub_co_i32 s24, s77, s79
	s_cmp_lg_u32 s22, 0
	s_wait_alu 0xfffe
	s_sub_co_ci_u32 s24, s24, s15
	s_sub_co_u32 s73, s21, s14
	s_cselect_b32 s76, -1, 0
	s_wait_alu 0xfffe
	s_cmp_lg_u32 s76, 0
	s_sub_co_ci_u32 s78, s24, 0
	s_wait_alu 0xfffe
	s_cmp_ge_u32 s78, s15
	s_cselect_b32 s80, -1, 0
	s_cmp_ge_u32 s73, s14
	s_cselect_b32 s81, -1, 0
	s_cmp_eq_u32 s78, s15
	s_wait_alu 0xfffe
	s_cselect_b32 s80, s81, s80
	s_cmp_lg_u32 s76, 0
	s_sub_co_ci_u32 s24, s24, s15
	s_sub_co_u32 s76, s73, s14
	s_cselect_b32 s81, -1, 0
	s_wait_alu 0xfffe
	s_cmp_lg_u32 s81, 0
	s_sub_co_ci_u32 s24, s24, 0
	s_cmp_lg_u32 s80, 0
	s_cselect_b32 s73, s76, s73
	s_wait_alu 0xfffe
	s_cselect_b32 s24, s24, s78
	s_cmp_lg_u32 s22, 0
	s_sub_co_ci_u32 s22, s77, s79
	s_delay_alu instid0(SALU_CYCLE_1)
	s_cmp_ge_u32 s22, s15
	s_cselect_b32 s76, -1, 0
	s_cmp_ge_u32 s21, s14
	s_cselect_b32 s14, -1, 0
	s_cmp_eq_u32 s22, s15
	s_wait_alu 0xfffe
	s_cselect_b32 s14, s14, s76
	s_delay_alu instid0(SALU_CYCLE_1) | instskip(SKIP_2) | instid1(SALU_CYCLE_1)
	s_cmp_lg_u32 s14, 0
	s_cselect_b32 s15, s24, s22
	s_cselect_b32 s14, s73, s21
	s_xor_b64 s[14:15], s[14:15], s[74:75]
	s_delay_alu instid0(SALU_CYCLE_1)
	s_sub_nc_u64 s[14:15], s[14:15], s[74:75]
	s_cbranch_execnz .LBB21_150
.LBB21_149:                             ;   in Loop: Header=BB21_16 Depth=1
	v_cvt_f32_u32_e32 v2, s56
	s_sub_co_i32 s15, 0, s56
	s_delay_alu instid0(VALU_DEP_1) | instskip(NEXT) | instid1(TRANS32_DEP_1)
	v_rcp_iflag_f32_e32 v2, v2
	v_mul_f32_e32 v2, 0x4f7ffffe, v2
	s_delay_alu instid0(VALU_DEP_1) | instskip(NEXT) | instid1(VALU_DEP_1)
	v_cvt_u32_f32_e32 v2, v2
	v_readfirstlane_b32 s14, v2
	s_mul_i32 s15, s15, s14
	s_delay_alu instid0(SALU_CYCLE_1) | instskip(NEXT) | instid1(SALU_CYCLE_1)
	s_mul_hi_u32 s15, s14, s15
	s_add_co_i32 s14, s14, s15
	s_delay_alu instid0(SALU_CYCLE_1) | instskip(NEXT) | instid1(SALU_CYCLE_1)
	s_mul_hi_u32 s14, s12, s14
	s_mul_i32 s14, s14, s56
	s_delay_alu instid0(SALU_CYCLE_1) | instskip(NEXT) | instid1(SALU_CYCLE_1)
	s_sub_co_i32 s14, s12, s14
	s_sub_co_i32 s15, s14, s56
	s_cmp_ge_u32 s14, s56
	s_cselect_b32 s14, s15, s14
	s_delay_alu instid0(SALU_CYCLE_1)
	s_sub_co_i32 s15, s14, s56
	s_cmp_ge_u32 s14, s56
	s_cselect_b32 s24, s15, s14
	s_wait_alu 0xfffe
	s_mov_b64 s[14:15], s[24:25]
.LBB21_150:                             ;   in Loop: Header=BB21_16 Depth=1
	s_delay_alu instid0(SALU_CYCLE_1)
	s_sub_nc_u64 s[12:13], s[12:13], s[14:15]
	s_mov_b32 s14, exec_lo
                                        ; implicit-def: $vgpr27
	s_wait_alu 0xfffe
	v_cmpx_gt_i64_e64 s[12:13], v[0:1]
	s_cbranch_execz .LBB21_159
; %bb.151:                              ;   in Loop: Header=BB21_16 Depth=1
	v_dual_mov_b32 v8, v14 :: v_dual_mov_b32 v3, v1
	v_mov_b32_e32 v2, v0
	s_mov_b32 s15, 0
                                        ; implicit-def: $sgpr21
	s_branch .LBB21_154
.LBB21_152:                             ;   in Loop: Header=BB21_154 Depth=2
	s_or_b32 exec_lo, exec_lo, s22
	s_wait_loadcnt_dscnt 0x0
	s_barrier_signal -1
	s_barrier_wait -1
	global_inv scope:SCOPE_SE
	ds_load_b64 v[26:27], v13 offset:3072
	s_mov_b32 s22, -1
	s_mov_b32 s24, -1
	s_wait_loadcnt_dscnt 0x0
	s_barrier_signal -1
	s_barrier_wait -1
	global_inv scope:SCOPE_SE
	v_cmp_eq_u32_e32 vcc_lo, 0, v26
	s_cbranch_vccnz .LBB21_157
.LBB21_153:                             ;   in Loop: Header=BB21_154 Depth=2
	s_and_b32 s22, exec_lo, s22
	s_delay_alu instid0(SALU_CYCLE_1)
	s_or_b32 s15, s22, s15
	s_wait_alu 0xfffe
	s_and_not1_b32 s21, s21, exec_lo
	s_and_b32 s22, s24, exec_lo
	s_wait_alu 0xfffe
	s_or_b32 s21, s21, s22
	s_and_not1_b32 exec_lo, exec_lo, s15
	s_cbranch_execz .LBB21_158
.LBB21_154:                             ;   Parent Loop BB21_16 Depth=1
                                        ; =>  This Inner Loop Header: Depth=2
	s_mov_b32 s22, exec_lo
	s_delay_alu instid0(VALU_DEP_1)
	v_cmpx_gt_u64_e64 s[10:11], v[2:3]
	s_cbranch_execz .LBB21_152
; %bb.155:                              ;   in Loop: Header=BB21_154 Depth=2
	ds_load_b32 v26, v8
	s_wait_dscnt 0x0
	v_xor_b32_e32 v9, 0x80000000, v26
	s_delay_alu instid0(VALU_DEP_1) | instskip(NEXT) | instid1(VALU_DEP_1)
	v_and_b32_e32 v9, v9, v46
	v_cmp_eq_u32_e32 vcc_lo, v9, v40
	s_and_b32 exec_lo, exec_lo, vcc_lo
	s_cbranch_execz .LBB21_152
; %bb.156:                              ;   in Loop: Header=BB21_154 Depth=2
	ds_store_b64 v13, v[25:26] offset:3072
	s_branch .LBB21_152
.LBB21_157:                             ;   in Loop: Header=BB21_154 Depth=2
	v_add_co_u32 v2, vcc_lo, v2, s56
	s_wait_alu 0xfffd
	v_add_co_ci_u32_e64 v3, null, 0, v3, vcc_lo
	v_add_nc_u32_e32 v8, s94, v8
	s_mov_b32 s24, 0
	s_delay_alu instid0(VALU_DEP_2)
	v_cmp_le_i64_e32 vcc_lo, s[12:13], v[2:3]
	s_or_not1_b32 s22, vcc_lo, exec_lo
	s_branch .LBB21_153
.LBB21_158:                             ;   in Loop: Header=BB21_16 Depth=1
	s_or_b32 exec_lo, exec_lo, s15
	s_delay_alu instid0(SALU_CYCLE_1)
	s_and_not1_b32 s5, s5, exec_lo
	s_wait_alu 0xfffe
	s_and_b32 s10, s21, exec_lo
	s_wait_alu 0xfffe
	s_or_b32 s5, s5, s10
.LBB21_159:                             ;   in Loop: Header=BB21_16 Depth=1
	s_or_b32 exec_lo, exec_lo, s14
	s_mov_b32 s21, 0
	s_mov_b32 s22, -1
.LBB21_160:                             ;   in Loop: Header=BB21_16 Depth=1
	s_wait_alu 0xfffe
	s_or_not1_b32 s5, s5, exec_lo
.LBB21_161:                             ;   in Loop: Header=BB21_16 Depth=1
	s_or_b32 exec_lo, exec_lo, s23
	s_mov_b32 s10, 0
	s_wait_alu 0xfffe
	s_and_saveexec_b32 s23, s5
	s_cbranch_execz .LBB21_267
; %bb.162:                              ;   in Loop: Header=BB21_16 Depth=1
	v_mov_b32_e32 v2, 1
	v_dual_mov_b32 v3, 0 :: v_dual_mov_b32 v12, 1
	s_xor_b32 s11, s72, -1
	s_wait_alu 0xfffe
	s_and_saveexec_b32 s5, s11
	s_cbranch_execz .LBB21_172
; %bb.163:                              ;   in Loop: Header=BB21_16 Depth=1
	s_mov_b32 s10, exec_lo
	v_cmpx_le_i64_e64 v[6:7], v[4:5]
	s_wait_alu 0xfffe
	s_xor_b32 s10, exec_lo, s10
	s_cbranch_execz .LBB21_169
; %bb.164:                              ;   in Loop: Header=BB21_16 Depth=1
	ds_load_b64 v[2:3], v13 offset:5120
	s_lshl_b32 s11, 1, s95
	v_or_b32_e32 v46, s16, v46
	s_wait_alu 0xfffe
	v_and_or_b32 v40, v40, s20, s11
	s_wait_dscnt 0x0
	v_cmp_ne_u64_e32 vcc_lo, 0, v[2:3]
	s_cbranch_vccnz .LBB21_168
; %bb.165:                              ;   in Loop: Header=BB21_16 Depth=1
	s_and_saveexec_b32 s11, s2
; %bb.166:                              ;   in Loop: Header=BB21_16 Depth=1
	ds_store_b64 v13, v[4:5] offset:5128
; %bb.167:                              ;   in Loop: Header=BB21_16 Depth=1
	s_wait_alu 0xfffe
	s_or_b32 exec_lo, exec_lo, s11
	s_wait_loadcnt_dscnt 0x0
	s_barrier_signal -1
	s_barrier_wait -1
	global_inv scope:SCOPE_SE
.LBB21_168:                             ;   in Loop: Header=BB21_16 Depth=1
                                        ; implicit-def: $vgpr2_vgpr3_vgpr4_vgpr5
.LBB21_169:                             ;   in Loop: Header=BB21_16 Depth=1
	s_wait_alu 0xfffe
	s_or_saveexec_b32 s10, s10
	v_mov_b32_e32 v12, 8
	s_mov_b32 s11, 0
	s_wait_alu 0xfffe
	s_xor_b32 exec_lo, exec_lo, s10
; %bb.170:                              ;   in Loop: Header=BB21_16 Depth=1
	v_sub_co_u32 v6, vcc_lo, v6, v4
	s_wait_alu 0xfffd
	v_sub_co_ci_u32_e64 v7, null, v7, v5, vcc_lo
	v_mov_b32_e32 v12, 0
	s_mov_b32 s11, exec_lo
; %bb.171:                              ;   in Loop: Header=BB21_16 Depth=1
	s_or_b32 exec_lo, exec_lo, s10
	s_delay_alu instid0(VALU_DEP_2)
	v_dual_mov_b32 v2, v6 :: v_dual_mov_b32 v3, v7
	s_wait_alu 0xfffe
	s_and_b32 s10, s11, exec_lo
.LBB21_172:                             ;   in Loop: Header=BB21_16 Depth=1
	s_wait_alu 0xfffe
	s_or_b32 exec_lo, exec_lo, s5
	s_mov_b32 s5, -1
                                        ; implicit-def: $sgpr14
                                        ; implicit-def: $sgpr15
	s_and_saveexec_b32 s72, s10
	s_cbranch_execz .LBB21_266
; %bb.173:                              ;   in Loop: Header=BB21_16 Depth=1
	v_cmp_eq_u64_e32 vcc_lo, 1, v[2:3]
	s_cmp_eq_u64 s[8:9], 1
                                        ; implicit-def: $sgpr15
                                        ; implicit-def: $sgpr14
	s_cselect_b32 s5, -1, 0
	s_wait_alu 0xfffe
	s_and_b32 s74, s5, vcc_lo
	s_mov_b32 s5, -1
	s_wait_alu 0xfffe
	s_and_saveexec_b32 s73, s74
	s_cbranch_execz .LBB21_207
; %bb.174:                              ;   in Loop: Header=BB21_16 Depth=1
	ds_load_b64 v[4:5], v13 offset:5120
	s_wait_loadcnt_dscnt 0x0
	s_barrier_signal -1
	s_barrier_wait -1
	global_inv scope:SCOPE_SE
	v_readfirstlane_b32 s10, v4
	v_readfirstlane_b32 s11, v5
	s_and_saveexec_b32 s5, s3
; %bb.175:                              ;   in Loop: Header=BB21_16 Depth=1
	ds_store_b32 v35, v13
; %bb.176:                              ;   in Loop: Header=BB21_16 Depth=1
	s_wait_alu 0xfffe
	s_or_b32 exec_lo, exec_lo, s5
	s_lshl_b32 s5, 2, s95
	v_or_b32_e32 v46, s16, v46
	s_wait_alu 0xfffe
	v_and_or_b32 v40, v40, s20, s5
	v_cmp_gt_i64_e64 s5, s[10:11], 0
	s_mov_b32 s14, -1
	s_mov_b32 s15, 0
	s_mov_b32 s24, -1
	s_wait_loadcnt_dscnt 0x0
	s_barrier_signal -1
	s_and_b32 vcc_lo, exec_lo, s5
	s_mov_b32 s5, 0
	s_barrier_wait -1
	global_inv scope:SCOPE_SE
                                        ; implicit-def: $vgpr27
	s_wait_alu 0xfffe
	s_cbranch_vccnz .LBB21_192
; %bb.177:                              ;   in Loop: Header=BB21_16 Depth=1
	s_mov_b32 s12, s25
	s_mov_b32 s13, s65
	s_wait_alu 0xfffe
	s_cmp_lg_u64 s[12:13], 0
	s_cbranch_scc0 .LBB21_233
; %bb.178:                              ;   in Loop: Header=BB21_16 Depth=1
	s_add_nc_u64 s[12:13], s[56:57], 0
	s_wait_alu 0xfffe
	s_xor_b64 s[12:13], s[12:13], 0
	s_wait_alu 0xfffe
	s_cvt_f32_u32 s5, s12
	s_cvt_f32_u32 s24, s13
	s_sub_nc_u64 s[78:79], 0, s[12:13]
	s_wait_alu 0xfffe
	s_delay_alu instid0(SALU_CYCLE_1) | instskip(SKIP_1) | instid1(SALU_CYCLE_2)
	s_fmamk_f32 s5, s24, 0x4f800000, s5
	s_wait_alu 0xfffe
	v_s_rcp_f32 s5, s5
	s_delay_alu instid0(TRANS32_DEP_1) | instskip(SKIP_1) | instid1(SALU_CYCLE_2)
	s_mul_f32 s5, s5, 0x5f7ffffc
	s_wait_alu 0xfffe
	s_mul_f32 s24, s5, 0x2f800000
	s_wait_alu 0xfffe
	s_delay_alu instid0(SALU_CYCLE_2) | instskip(SKIP_1) | instid1(SALU_CYCLE_2)
	s_trunc_f32 s24, s24
	s_wait_alu 0xfffe
	s_fmamk_f32 s5, s24, 0xcf800000, s5
	s_cvt_u32_f32 s77, s24
	s_wait_alu 0xfffe
	s_delay_alu instid0(SALU_CYCLE_1) | instskip(SKIP_1) | instid1(SALU_CYCLE_2)
	s_cvt_u32_f32 s76, s5
	s_wait_alu 0xfffe
	s_mul_u64 s[80:81], s[78:79], s[76:77]
	s_wait_alu 0xfffe
	s_mul_hi_u32 s83, s76, s81
	s_mul_i32 s82, s76, s81
	s_mul_hi_u32 s24, s76, s80
	s_mul_i32 s75, s77, s80
	s_wait_alu 0xfffe
	s_add_nc_u64 s[82:83], s[24:25], s[82:83]
	s_mul_hi_u32 s5, s77, s80
	s_mul_hi_u32 s84, s77, s81
	s_wait_alu 0xfffe
	s_add_co_u32 s24, s82, s75
	s_add_co_ci_u32 s24, s83, s5
	s_mul_i32 s80, s77, s81
	s_add_co_ci_u32 s81, s84, 0
	s_wait_alu 0xfffe
	s_add_nc_u64 s[80:81], s[24:25], s[80:81]
	s_wait_alu 0xfffe
	s_add_co_u32 s76, s76, s80
	s_cselect_b32 s5, -1, 0
	s_wait_alu 0xfffe
	s_cmp_lg_u32 s5, 0
	s_add_co_ci_u32 s77, s77, s81
	s_wait_alu 0xfffe
	s_mul_u64 s[78:79], s[78:79], s[76:77]
	s_wait_alu 0xfffe
	s_mul_hi_u32 s81, s76, s79
	s_mul_i32 s80, s76, s79
	s_mul_hi_u32 s24, s76, s78
	s_mul_i32 s75, s77, s78
	s_wait_alu 0xfffe
	s_add_nc_u64 s[80:81], s[24:25], s[80:81]
	s_mul_hi_u32 s5, s77, s78
	s_mul_hi_u32 s82, s77, s79
	s_wait_alu 0xfffe
	s_add_co_u32 s24, s80, s75
	s_add_co_ci_u32 s24, s81, s5
	s_mul_i32 s78, s77, s79
	s_add_co_ci_u32 s79, s82, 0
	s_wait_alu 0xfffe
	s_add_nc_u64 s[78:79], s[24:25], s[78:79]
	s_wait_alu 0xfffe
	s_add_co_u32 s5, s76, s78
	s_cselect_b32 s24, -1, 0
	s_wait_alu 0xfffe
	s_cmp_lg_u32 s24, 0
	s_add_co_ci_u32 s75, s77, s79
	s_ashr_i32 s76, s65, 31
	s_wait_alu 0xfffe
	s_mov_b32 s77, s76
	s_wait_alu 0xfffe
	s_add_nc_u64 s[78:79], s[64:65], s[76:77]
	s_wait_alu 0xfffe
	s_xor_b64 s[78:79], s[78:79], s[76:77]
	s_wait_alu 0xfffe
	s_mul_hi_u32 s81, s78, s75
	s_mul_i32 s80, s78, s75
	s_mul_hi_u32 s24, s78, s5
	s_mul_hi_u32 s84, s79, s5
	s_mul_i32 s5, s79, s5
	s_wait_alu 0xfffe
	s_add_nc_u64 s[80:81], s[24:25], s[80:81]
	s_mul_hi_u32 s83, s79, s75
	s_wait_alu 0xfffe
	s_add_co_u32 s5, s80, s5
	s_add_co_ci_u32 s24, s81, s84
	s_mul_i32 s82, s79, s75
	s_add_co_ci_u32 s83, s83, 0
	s_wait_alu 0xfffe
	s_add_nc_u64 s[80:81], s[24:25], s[82:83]
	s_wait_alu 0xfffe
	s_mul_u64 s[80:81], s[12:13], s[80:81]
	s_wait_alu 0xfffe
	s_sub_co_u32 s5, s78, s80
	s_cselect_b32 s24, -1, 0
	s_sub_co_i32 s75, s79, s81
	s_wait_alu 0xfffe
	s_cmp_lg_u32 s24, 0
	s_sub_co_ci_u32 s75, s75, s13
	s_sub_co_u32 s78, s5, s12
	s_cselect_b32 s80, -1, 0
	s_wait_alu 0xfffe
	s_cmp_lg_u32 s80, 0
	s_sub_co_ci_u32 s82, s75, 0
	s_wait_alu 0xfffe
	s_cmp_ge_u32 s82, s13
	s_cselect_b32 s83, -1, 0
	s_cmp_ge_u32 s78, s12
	s_cselect_b32 s84, -1, 0
	s_cmp_eq_u32 s82, s13
	s_wait_alu 0xfffe
	s_cselect_b32 s83, s84, s83
	s_cmp_lg_u32 s80, 0
	s_sub_co_ci_u32 s75, s75, s13
	s_sub_co_u32 s80, s78, s12
	s_cselect_b32 s84, -1, 0
	s_wait_alu 0xfffe
	s_cmp_lg_u32 s84, 0
	s_sub_co_ci_u32 s75, s75, 0
	s_cmp_lg_u32 s83, 0
	s_cselect_b32 s78, s80, s78
	s_wait_alu 0xfffe
	s_cselect_b32 s75, s75, s82
	s_cmp_lg_u32 s24, 0
	s_sub_co_ci_u32 s24, s79, s81
	s_wait_alu 0xfffe
	s_cmp_ge_u32 s24, s13
	s_cselect_b32 s79, -1, 0
	s_cmp_ge_u32 s5, s12
	s_cselect_b32 s12, -1, 0
	s_cmp_eq_u32 s24, s13
	s_wait_alu 0xfffe
	s_cselect_b32 s12, s12, s79
	s_wait_alu 0xfffe
	s_cmp_lg_u32 s12, 0
	s_cselect_b32 s13, s75, s24
	s_cselect_b32 s12, s78, s5
	s_wait_alu 0xfffe
	s_xor_b64 s[12:13], s[12:13], s[76:77]
	s_wait_alu 0xfffe
	s_sub_nc_u64 s[12:13], s[12:13], s[76:77]
	s_cbranch_execnz .LBB21_180
.LBB21_179:                             ;   in Loop: Header=BB21_16 Depth=1
	v_cvt_f32_u32_e32 v4, s56
	s_sub_co_i32 s12, 0, s56
	s_delay_alu instid0(VALU_DEP_1) | instskip(NEXT) | instid1(TRANS32_DEP_1)
	v_rcp_iflag_f32_e32 v4, v4
	v_mul_f32_e32 v4, 0x4f7ffffe, v4
	s_delay_alu instid0(VALU_DEP_1) | instskip(NEXT) | instid1(VALU_DEP_1)
	v_cvt_u32_f32_e32 v4, v4
	v_readfirstlane_b32 s5, v4
	s_wait_alu 0xfffe
	s_mul_i32 s12, s12, s5
	s_wait_alu 0xfffe
	s_mul_hi_u32 s12, s5, s12
	s_wait_alu 0xfffe
	s_add_co_i32 s5, s5, s12
	s_wait_alu 0xfffe
	s_mul_hi_u32 s5, s64, s5
	s_wait_alu 0xfffe
	s_mul_i32 s5, s5, s56
	s_wait_alu 0xfffe
	s_sub_co_i32 s5, s64, s5
	s_wait_alu 0xfffe
	s_sub_co_i32 s12, s5, s56
	s_cmp_ge_u32 s5, s56
	s_wait_alu 0xfffe
	s_cselect_b32 s5, s12, s5
	s_wait_alu 0xfffe
	s_sub_co_i32 s12, s5, s56
	s_cmp_ge_u32 s5, s56
	s_wait_alu 0xfffe
	s_cselect_b32 s24, s12, s5
	s_wait_alu 0xfffe
	s_mov_b64 s[12:13], s[24:25]
.LBB21_180:                             ;   in Loop: Header=BB21_16 Depth=1
	s_wait_alu 0xfffe
	s_sub_nc_u64 s[12:13], s[64:65], s[12:13]
	s_mov_b32 s24, 0
	s_mov_b32 s5, 0
	s_mov_b32 s75, exec_lo
                                        ; implicit-def: $vgpr27
	s_wait_alu 0xfffe
	v_cmpx_gt_i64_e64 s[12:13], v[0:1]
	s_cbranch_execz .LBB21_191
; %bb.181:                              ;   in Loop: Header=BB21_16 Depth=1
	v_dual_mov_b32 v4, v10 :: v_dual_mov_b32 v5, v11
	v_dual_mov_b32 v7, v1 :: v_dual_mov_b32 v6, v0
	s_mov_b32 s76, 0
                                        ; implicit-def: $sgpr77
	s_branch .LBB21_184
.LBB21_182:                             ;   in Loop: Header=BB21_184 Depth=2
	s_wait_alu 0xfffe
	s_or_b32 exec_lo, exec_lo, s5
	s_wait_loadcnt_dscnt 0x0
	s_barrier_signal -1
	s_barrier_wait -1
	global_inv scope:SCOPE_SE
	ds_load_b64 v[26:27], v13 offset:3072
	s_mov_b32 s5, -1
	s_mov_b32 s78, -1
	s_wait_loadcnt_dscnt 0x0
	s_barrier_signal -1
	s_barrier_wait -1
	global_inv scope:SCOPE_SE
	v_cmp_ne_u32_e32 vcc_lo, 0, v26
	s_cbranch_vccz .LBB21_187
.LBB21_183:                             ;   in Loop: Header=BB21_184 Depth=2
	s_wait_alu 0xfffe
	s_and_b32 s5, exec_lo, s5
	s_wait_alu 0xfffe
	s_or_b32 s76, s5, s76
	s_and_not1_b32 s5, s77, exec_lo
	s_and_b32 s77, s78, exec_lo
	s_wait_alu 0xfffe
	s_or_b32 s77, s5, s77
	s_and_not1_b32 exec_lo, exec_lo, s76
	s_cbranch_execz .LBB21_190
.LBB21_184:                             ;   Parent Loop BB21_16 Depth=1
                                        ; =>  This Inner Loop Header: Depth=2
	s_mov_b32 s5, exec_lo
	s_delay_alu instid0(VALU_DEP_1)
	v_cmpx_gt_i64_e64 s[36:37], v[6:7]
	s_cbranch_execz .LBB21_182
; %bb.185:                              ;   in Loop: Header=BB21_184 Depth=2
	global_load_b32 v26, v[4:5], off
	s_wait_loadcnt 0x0
	v_xor_b32_e32 v8, 0x80000000, v26
	s_delay_alu instid0(VALU_DEP_1) | instskip(NEXT) | instid1(VALU_DEP_1)
	v_and_b32_e32 v8, v8, v46
	v_cmp_eq_u32_e32 vcc_lo, v8, v40
	s_and_b32 exec_lo, exec_lo, vcc_lo
	s_cbranch_execz .LBB21_182
; %bb.186:                              ;   in Loop: Header=BB21_184 Depth=2
	ds_store_b64 v13, v[25:26] offset:3072
	s_branch .LBB21_182
.LBB21_187:                             ;   in Loop: Header=BB21_184 Depth=2
	v_add_co_u32 v6, vcc_lo, v6, s56
	s_wait_alu 0xfffd
	v_add_co_ci_u32_e64 v7, null, 0, v7, vcc_lo
	v_add_co_u32 v4, s5, v4, s58
	s_wait_alu 0xf1fe
	v_add_co_ci_u32_e64 v5, null, s59, v5, s5
	s_delay_alu instid0(VALU_DEP_3)
	v_cmp_le_i64_e32 vcc_lo, s[12:13], v[6:7]
	s_mov_b32 s78, 0
	s_or_not1_b32 s5, vcc_lo, exec_lo
	s_branch .LBB21_183
.LBB21_188:                             ;   in Loop: Header=BB21_16 Depth=1
                                        ; implicit-def: $sgpr12_sgpr13
	s_branch .LBB21_133
.LBB21_189:                             ;   in Loop: Header=BB21_16 Depth=1
                                        ; implicit-def: $sgpr14_sgpr15
	s_branch .LBB21_149
.LBB21_190:                             ;   in Loop: Header=BB21_16 Depth=1
	s_or_b32 exec_lo, exec_lo, s76
	s_wait_alu 0xfffe
	s_and_b32 s5, s77, exec_lo
.LBB21_191:                             ;   in Loop: Header=BB21_16 Depth=1
	s_or_b32 exec_lo, exec_lo, s75
.LBB21_192:                             ;   in Loop: Header=BB21_16 Depth=1
	s_delay_alu instid0(SALU_CYCLE_1)
	s_and_b32 vcc_lo, exec_lo, s24
	s_wait_alu 0xfffe
	s_cbranch_vccz .LBB21_206
; %bb.193:                              ;   in Loop: Header=BB21_16 Depth=1
	s_add_nc_u64 s[12:13], s[10:11], s[62:63]
	s_mov_b32 s14, s25
	s_wait_alu 0xfffe
	s_mov_b32 s15, s13
	s_delay_alu instid0(SALU_CYCLE_1)
	s_cmp_lg_u64 s[14:15], 0
	s_cbranch_scc0 .LBB21_234
; %bb.194:                              ;   in Loop: Header=BB21_16 Depth=1
	s_add_nc_u64 s[14:15], s[56:57], 0
	s_delay_alu instid0(SALU_CYCLE_1) | instskip(NEXT) | instid1(SALU_CYCLE_1)
	s_xor_b64 s[14:15], s[14:15], 0
	s_cvt_f32_u32 s24, s14
	s_cvt_f32_u32 s75, s15
	s_sub_nc_u64 s[78:79], 0, s[14:15]
	s_wait_alu 0xfffe
	s_delay_alu instid0(SALU_CYCLE_1) | instskip(SKIP_1) | instid1(SALU_CYCLE_2)
	s_fmamk_f32 s24, s75, 0x4f800000, s24
	s_wait_alu 0xfffe
	v_s_rcp_f32 s24, s24
	s_delay_alu instid0(TRANS32_DEP_1) | instskip(SKIP_1) | instid1(SALU_CYCLE_2)
	s_mul_f32 s24, s24, 0x5f7ffffc
	s_wait_alu 0xfffe
	s_mul_f32 s75, s24, 0x2f800000
	s_wait_alu 0xfffe
	s_delay_alu instid0(SALU_CYCLE_2) | instskip(SKIP_1) | instid1(SALU_CYCLE_2)
	s_trunc_f32 s75, s75
	s_wait_alu 0xfffe
	s_fmamk_f32 s24, s75, 0xcf800000, s24
	s_cvt_u32_f32 s77, s75
	s_wait_alu 0xfffe
	s_delay_alu instid0(SALU_CYCLE_1) | instskip(SKIP_1) | instid1(SALU_CYCLE_2)
	s_cvt_u32_f32 s76, s24
	s_wait_alu 0xfffe
	s_mul_u64 s[80:81], s[78:79], s[76:77]
	s_wait_alu 0xfffe
	s_mul_hi_u32 s83, s76, s81
	s_mul_i32 s82, s76, s81
	s_mul_hi_u32 s24, s76, s80
	s_mul_i32 s84, s77, s80
	s_wait_alu 0xfffe
	s_add_nc_u64 s[82:83], s[24:25], s[82:83]
	s_mul_hi_u32 s75, s77, s80
	s_mul_hi_u32 s85, s77, s81
	s_wait_alu 0xfffe
	s_add_co_u32 s24, s82, s84
	s_add_co_ci_u32 s24, s83, s75
	s_mul_i32 s80, s77, s81
	s_add_co_ci_u32 s81, s85, 0
	s_wait_alu 0xfffe
	s_add_nc_u64 s[80:81], s[24:25], s[80:81]
	s_wait_alu 0xfffe
	s_add_co_u32 s76, s76, s80
	s_cselect_b32 s24, -1, 0
	s_wait_alu 0xfffe
	s_cmp_lg_u32 s24, 0
	s_add_co_ci_u32 s77, s77, s81
	s_wait_alu 0xfffe
	s_mul_u64 s[78:79], s[78:79], s[76:77]
	s_wait_alu 0xfffe
	s_mul_hi_u32 s81, s76, s79
	s_mul_i32 s80, s76, s79
	s_mul_hi_u32 s24, s76, s78
	s_mul_i32 s82, s77, s78
	s_wait_alu 0xfffe
	s_add_nc_u64 s[80:81], s[24:25], s[80:81]
	s_mul_hi_u32 s75, s77, s78
	s_mul_hi_u32 s83, s77, s79
	s_wait_alu 0xfffe
	s_add_co_u32 s24, s80, s82
	s_add_co_ci_u32 s24, s81, s75
	s_mul_i32 s78, s77, s79
	s_add_co_ci_u32 s79, s83, 0
	s_wait_alu 0xfffe
	s_add_nc_u64 s[78:79], s[24:25], s[78:79]
	s_wait_alu 0xfffe
	s_add_co_u32 s75, s76, s78
	s_cselect_b32 s24, -1, 0
	s_wait_alu 0xfffe
	s_cmp_lg_u32 s24, 0
	s_add_co_ci_u32 s82, s77, s79
	s_ashr_i32 s76, s13, 31
	s_wait_alu 0xfffe
	s_mov_b32 s77, s76
	s_wait_alu 0xfffe
	s_add_nc_u64 s[78:79], s[12:13], s[76:77]
	s_wait_alu 0xfffe
	s_xor_b64 s[78:79], s[78:79], s[76:77]
	s_wait_alu 0xfffe
	s_mul_hi_u32 s81, s78, s82
	s_mul_i32 s80, s78, s82
	s_mul_hi_u32 s24, s78, s75
	s_mul_hi_u32 s84, s79, s75
	s_mul_i32 s75, s79, s75
	s_wait_alu 0xfffe
	s_add_nc_u64 s[80:81], s[24:25], s[80:81]
	s_mul_hi_u32 s83, s79, s82
	s_wait_alu 0xfffe
	s_add_co_u32 s24, s80, s75
	s_add_co_ci_u32 s24, s81, s84
	s_mul_i32 s82, s79, s82
	s_add_co_ci_u32 s83, s83, 0
	s_wait_alu 0xfffe
	s_add_nc_u64 s[80:81], s[24:25], s[82:83]
	s_wait_alu 0xfffe
	s_mul_u64 s[80:81], s[14:15], s[80:81]
	s_wait_alu 0xfffe
	s_sub_co_u32 s24, s78, s80
	s_cselect_b32 s75, -1, 0
	s_sub_co_i32 s78, s79, s81
	s_wait_alu 0xfffe
	s_cmp_lg_u32 s75, 0
	s_sub_co_ci_u32 s78, s78, s15
	s_sub_co_u32 s80, s24, s14
	s_cselect_b32 s82, -1, 0
	s_wait_alu 0xfffe
	s_cmp_lg_u32 s82, 0
	s_sub_co_ci_u32 s83, s78, 0
	s_wait_alu 0xfffe
	s_cmp_ge_u32 s83, s15
	s_cselect_b32 s84, -1, 0
	s_cmp_ge_u32 s80, s14
	s_cselect_b32 s85, -1, 0
	s_cmp_eq_u32 s83, s15
	s_wait_alu 0xfffe
	s_cselect_b32 s84, s85, s84
	s_cmp_lg_u32 s82, 0
	s_sub_co_ci_u32 s78, s78, s15
	s_sub_co_u32 s82, s80, s14
	s_cselect_b32 s85, -1, 0
	s_wait_alu 0xfffe
	s_cmp_lg_u32 s85, 0
	s_sub_co_ci_u32 s78, s78, 0
	s_cmp_lg_u32 s84, 0
	s_cselect_b32 s80, s82, s80
	s_wait_alu 0xfffe
	s_cselect_b32 s78, s78, s83
	s_cmp_lg_u32 s75, 0
	s_sub_co_ci_u32 s75, s79, s81
	s_wait_alu 0xfffe
	s_cmp_ge_u32 s75, s15
	s_cselect_b32 s79, -1, 0
	s_cmp_ge_u32 s24, s14
	s_cselect_b32 s14, -1, 0
	s_cmp_eq_u32 s75, s15
	s_wait_alu 0xfffe
	s_cselect_b32 s14, s14, s79
	s_delay_alu instid0(SALU_CYCLE_1) | instskip(SKIP_2) | instid1(SALU_CYCLE_1)
	s_cmp_lg_u32 s14, 0
	s_cselect_b32 s15, s78, s75
	s_cselect_b32 s14, s80, s24
	s_xor_b64 s[14:15], s[14:15], s[76:77]
	s_delay_alu instid0(SALU_CYCLE_1)
	s_sub_nc_u64 s[14:15], s[14:15], s[76:77]
	s_cbranch_execnz .LBB21_196
.LBB21_195:                             ;   in Loop: Header=BB21_16 Depth=1
	v_cvt_f32_u32_e32 v4, s56
	s_sub_co_i32 s15, 0, s56
	s_delay_alu instid0(VALU_DEP_1) | instskip(NEXT) | instid1(TRANS32_DEP_1)
	v_rcp_iflag_f32_e32 v4, v4
	v_mul_f32_e32 v4, 0x4f7ffffe, v4
	s_delay_alu instid0(VALU_DEP_1) | instskip(NEXT) | instid1(VALU_DEP_1)
	v_cvt_u32_f32_e32 v4, v4
	v_readfirstlane_b32 s14, v4
	s_mul_i32 s15, s15, s14
	s_delay_alu instid0(SALU_CYCLE_1) | instskip(NEXT) | instid1(SALU_CYCLE_1)
	s_mul_hi_u32 s15, s14, s15
	s_add_co_i32 s14, s14, s15
	s_delay_alu instid0(SALU_CYCLE_1) | instskip(NEXT) | instid1(SALU_CYCLE_1)
	s_mul_hi_u32 s14, s12, s14
	s_mul_i32 s14, s14, s56
	s_delay_alu instid0(SALU_CYCLE_1) | instskip(NEXT) | instid1(SALU_CYCLE_1)
	s_sub_co_i32 s14, s12, s14
	s_sub_co_i32 s15, s14, s56
	s_cmp_ge_u32 s14, s56
	s_cselect_b32 s14, s15, s14
	s_delay_alu instid0(SALU_CYCLE_1)
	s_sub_co_i32 s15, s14, s56
	s_cmp_ge_u32 s14, s56
	s_cselect_b32 s24, s15, s14
	s_wait_alu 0xfffe
	s_mov_b64 s[14:15], s[24:25]
.LBB21_196:                             ;   in Loop: Header=BB21_16 Depth=1
	s_delay_alu instid0(SALU_CYCLE_1)
	s_sub_nc_u64 s[12:13], s[12:13], s[14:15]
	s_mov_b32 s14, exec_lo
                                        ; implicit-def: $vgpr27
	s_wait_alu 0xfffe
	v_cmpx_gt_i64_e64 s[12:13], v[0:1]
	s_cbranch_execz .LBB21_205
; %bb.197:                              ;   in Loop: Header=BB21_16 Depth=1
	v_dual_mov_b32 v6, v14 :: v_dual_mov_b32 v5, v1
	v_mov_b32_e32 v4, v0
	s_mov_b32 s15, 0
                                        ; implicit-def: $sgpr24
	s_branch .LBB21_200
.LBB21_198:                             ;   in Loop: Header=BB21_200 Depth=2
	s_wait_alu 0xfffe
	s_or_b32 exec_lo, exec_lo, s75
	s_wait_loadcnt_dscnt 0x0
	s_barrier_signal -1
	s_barrier_wait -1
	global_inv scope:SCOPE_SE
	ds_load_b64 v[26:27], v13 offset:3072
	s_mov_b32 s75, -1
	s_mov_b32 s76, -1
	s_wait_loadcnt_dscnt 0x0
	s_barrier_signal -1
	s_barrier_wait -1
	global_inv scope:SCOPE_SE
	v_cmp_eq_u32_e32 vcc_lo, 0, v26
	s_cbranch_vccnz .LBB21_203
.LBB21_199:                             ;   in Loop: Header=BB21_200 Depth=2
	s_wait_alu 0xfffe
	s_and_b32 s75, exec_lo, s75
	s_wait_alu 0xfffe
	s_or_b32 s15, s75, s15
	s_and_not1_b32 s24, s24, exec_lo
	s_and_b32 s75, s76, exec_lo
	s_wait_alu 0xfffe
	s_or_b32 s24, s24, s75
	s_and_not1_b32 exec_lo, exec_lo, s15
	s_cbranch_execz .LBB21_204
.LBB21_200:                             ;   Parent Loop BB21_16 Depth=1
                                        ; =>  This Inner Loop Header: Depth=2
	s_mov_b32 s75, exec_lo
	s_delay_alu instid0(VALU_DEP_1)
	v_cmpx_gt_u64_e64 s[10:11], v[4:5]
	s_cbranch_execz .LBB21_198
; %bb.201:                              ;   in Loop: Header=BB21_200 Depth=2
	ds_load_b32 v26, v6
	s_wait_dscnt 0x0
	v_xor_b32_e32 v7, 0x80000000, v26
	s_delay_alu instid0(VALU_DEP_1) | instskip(NEXT) | instid1(VALU_DEP_1)
	v_and_b32_e32 v7, v7, v46
	v_cmp_eq_u32_e32 vcc_lo, v7, v40
	s_and_b32 exec_lo, exec_lo, vcc_lo
	s_cbranch_execz .LBB21_198
; %bb.202:                              ;   in Loop: Header=BB21_200 Depth=2
	ds_store_b64 v13, v[25:26] offset:3072
	s_branch .LBB21_198
.LBB21_203:                             ;   in Loop: Header=BB21_200 Depth=2
	v_add_co_u32 v4, vcc_lo, v4, s56
	s_wait_alu 0xfffd
	v_add_co_ci_u32_e64 v5, null, 0, v5, vcc_lo
	v_add_nc_u32_e32 v6, s94, v6
	s_mov_b32 s76, 0
	s_delay_alu instid0(VALU_DEP_2)
	v_cmp_le_i64_e32 vcc_lo, s[12:13], v[4:5]
	s_or_not1_b32 s75, vcc_lo, exec_lo
	s_branch .LBB21_199
.LBB21_204:                             ;   in Loop: Header=BB21_16 Depth=1
	s_or_b32 exec_lo, exec_lo, s15
	s_delay_alu instid0(SALU_CYCLE_1)
	s_and_not1_b32 s5, s5, exec_lo
	s_wait_alu 0xfffe
	s_and_b32 s10, s24, exec_lo
	s_wait_alu 0xfffe
	s_or_b32 s5, s5, s10
.LBB21_205:                             ;   in Loop: Header=BB21_16 Depth=1
	s_or_b32 exec_lo, exec_lo, s14
	s_mov_b32 s14, 0
	s_mov_b32 s15, -1
.LBB21_206:                             ;   in Loop: Header=BB21_16 Depth=1
	s_wait_alu 0xfffe
	s_or_not1_b32 s5, s5, exec_lo
.LBB21_207:                             ;   in Loop: Header=BB21_16 Depth=1
	s_wait_alu 0xfffe
	s_or_b32 exec_lo, exec_lo, s73
	s_mov_b32 s10, 0
	s_and_saveexec_b32 s73, s5
	s_cbranch_execz .LBB21_265
; %bb.208:                              ;   in Loop: Header=BB21_16 Depth=1
	v_mov_b32_e32 v4, 1
	v_dual_mov_b32 v5, 0 :: v_dual_mov_b32 v12, 1
	s_xor_b32 s11, s74, -1
	s_wait_alu 0xfffe
	s_and_saveexec_b32 s5, s11
	s_cbranch_execz .LBB21_217
; %bb.209:                              ;   in Loop: Header=BB21_16 Depth=1
	s_mov_b32 s10, exec_lo
	v_cmpx_ge_i64_e64 s[8:9], v[2:3]
	s_wait_alu 0xfffe
	s_xor_b32 s10, exec_lo, s10
	s_cbranch_execz .LBB21_214
; %bb.210:                              ;   in Loop: Header=BB21_16 Depth=1
	ds_load_b64 v[4:5], v13 offset:5120
	s_lshl_b32 s11, 2, s95
	v_or_b32_e32 v46, s16, v46
	s_wait_alu 0xfffe
	v_and_or_b32 v40, v40, s20, s11
	s_wait_dscnt 0x0
	v_cmp_ne_u64_e32 vcc_lo, 0, v[4:5]
	s_cbranch_vccnz .LBB21_214
; %bb.211:                              ;   in Loop: Header=BB21_16 Depth=1
	s_and_saveexec_b32 s11, s2
; %bb.212:                              ;   in Loop: Header=BB21_16 Depth=1
	v_dual_mov_b32 v4, s8 :: v_dual_mov_b32 v5, s9
	ds_store_b64 v13, v[4:5] offset:5128
; %bb.213:                              ;   in Loop: Header=BB21_16 Depth=1
	s_wait_alu 0xfffe
	s_or_b32 exec_lo, exec_lo, s11
	s_wait_loadcnt_dscnt 0x0
	s_barrier_signal -1
	s_barrier_wait -1
	global_inv scope:SCOPE_SE
.LBB21_214:                             ;   in Loop: Header=BB21_16 Depth=1
	s_wait_alu 0xfffe
	s_or_saveexec_b32 s10, s10
	v_mov_b32_e32 v12, 8
	s_mov_b32 s11, 0
	s_wait_alu 0xfffe
	s_xor_b32 exec_lo, exec_lo, s10
; %bb.215:                              ;   in Loop: Header=BB21_16 Depth=1
	v_sub_co_u32 v2, vcc_lo, v2, s8
	s_wait_alu 0xfffd
	v_subrev_co_ci_u32_e64 v3, null, s9, v3, vcc_lo
	v_mov_b32_e32 v12, 0
	s_mov_b32 s11, exec_lo
; %bb.216:                              ;   in Loop: Header=BB21_16 Depth=1
	s_or_b32 exec_lo, exec_lo, s10
	s_delay_alu instid0(VALU_DEP_2)
	v_dual_mov_b32 v5, v3 :: v_dual_mov_b32 v4, v2
	s_wait_alu 0xfffe
	s_and_b32 s10, s11, exec_lo
.LBB21_217:                             ;   in Loop: Header=BB21_16 Depth=1
	s_wait_alu 0xfffe
	s_or_b32 exec_lo, exec_lo, s5
	s_mov_b32 s5, -1
                                        ; implicit-def: $sgpr13
                                        ; implicit-def: $sgpr12
	s_and_saveexec_b32 s20, s10
	s_cbranch_execz .LBB21_264
; %bb.218:                              ;   in Loop: Header=BB21_16 Depth=1
	v_cmp_eq_u64_e32 vcc_lo, 1, v[4:5]
	s_cmp_eq_u64 s[6:7], 1
	s_mov_b32 s8, -1
	s_cselect_b32 s5, -1, 0
                                        ; implicit-def: $sgpr13
                                        ; implicit-def: $sgpr12
	s_wait_alu 0xfffe
	s_and_b32 s74, s5, vcc_lo
	s_wait_alu 0xfffe
	s_and_saveexec_b32 s75, s74
	s_cbranch_execz .LBB21_252
; %bb.219:                              ;   in Loop: Header=BB21_16 Depth=1
	ds_load_b64 v[2:3], v13 offset:5120
	s_wait_loadcnt_dscnt 0x0
	s_barrier_signal -1
	s_barrier_wait -1
	global_inv scope:SCOPE_SE
	v_readfirstlane_b32 s8, v2
	v_readfirstlane_b32 s9, v3
	s_and_saveexec_b32 s5, s3
; %bb.220:                              ;   in Loop: Header=BB21_16 Depth=1
	ds_store_b32 v35, v13
; %bb.221:                              ;   in Loop: Header=BB21_16 Depth=1
	s_wait_alu 0xfffe
	s_or_b32 exec_lo, exec_lo, s5
	v_cmp_gt_i64_e64 s5, s[8:9], 0
	v_or_b32_e32 v40, s16, v40
	v_or_b32_e32 v46, s16, v46
	s_mov_b32 s12, -1
	s_mov_b32 s13, 0
	s_mov_b32 s24, -1
	s_and_b32 vcc_lo, exec_lo, s5
	s_mov_b32 s5, 0
	s_wait_loadcnt_dscnt 0x0
	s_barrier_signal -1
	s_barrier_wait -1
	global_inv scope:SCOPE_SE
                                        ; implicit-def: $vgpr27
	s_wait_alu 0xfffe
	s_cbranch_vccnz .LBB21_237
; %bb.222:                              ;   in Loop: Header=BB21_16 Depth=1
	s_mov_b32 s10, s25
	s_mov_b32 s11, s65
	s_wait_alu 0xfffe
	s_cmp_lg_u64 s[10:11], 0
	s_cbranch_scc0 .LBB21_271
; %bb.223:                              ;   in Loop: Header=BB21_16 Depth=1
	s_add_nc_u64 s[10:11], s[56:57], 0
	s_wait_alu 0xfffe
	s_xor_b64 s[10:11], s[10:11], 0
	s_wait_alu 0xfffe
	s_cvt_f32_u32 s5, s10
	s_cvt_f32_u32 s24, s11
	s_sub_nc_u64 s[78:79], 0, s[10:11]
	s_wait_alu 0xfffe
	s_delay_alu instid0(SALU_CYCLE_1) | instskip(SKIP_1) | instid1(SALU_CYCLE_2)
	s_fmamk_f32 s5, s24, 0x4f800000, s5
	s_wait_alu 0xfffe
	v_s_rcp_f32 s5, s5
	s_delay_alu instid0(TRANS32_DEP_1) | instskip(SKIP_1) | instid1(SALU_CYCLE_2)
	s_mul_f32 s5, s5, 0x5f7ffffc
	s_wait_alu 0xfffe
	s_mul_f32 s24, s5, 0x2f800000
	s_wait_alu 0xfffe
	s_delay_alu instid0(SALU_CYCLE_2) | instskip(SKIP_1) | instid1(SALU_CYCLE_2)
	s_trunc_f32 s24, s24
	s_wait_alu 0xfffe
	s_fmamk_f32 s5, s24, 0xcf800000, s5
	s_cvt_u32_f32 s77, s24
	s_wait_alu 0xfffe
	s_delay_alu instid0(SALU_CYCLE_1) | instskip(SKIP_1) | instid1(SALU_CYCLE_2)
	s_cvt_u32_f32 s76, s5
	s_wait_alu 0xfffe
	s_mul_u64 s[80:81], s[78:79], s[76:77]
	s_wait_alu 0xfffe
	s_mul_hi_u32 s83, s76, s81
	s_mul_i32 s82, s76, s81
	s_mul_hi_u32 s24, s76, s80
	s_mul_i32 s84, s77, s80
	s_wait_alu 0xfffe
	s_add_nc_u64 s[82:83], s[24:25], s[82:83]
	s_mul_hi_u32 s5, s77, s80
	s_mul_hi_u32 s85, s77, s81
	s_wait_alu 0xfffe
	s_add_co_u32 s24, s82, s84
	s_add_co_ci_u32 s24, s83, s5
	s_mul_i32 s80, s77, s81
	s_add_co_ci_u32 s81, s85, 0
	s_wait_alu 0xfffe
	s_add_nc_u64 s[80:81], s[24:25], s[80:81]
	s_wait_alu 0xfffe
	s_add_co_u32 s76, s76, s80
	s_cselect_b32 s5, -1, 0
	s_wait_alu 0xfffe
	s_cmp_lg_u32 s5, 0
	s_add_co_ci_u32 s77, s77, s81
	s_wait_alu 0xfffe
	s_mul_u64 s[78:79], s[78:79], s[76:77]
	s_wait_alu 0xfffe
	s_mul_hi_u32 s81, s76, s79
	s_mul_i32 s80, s76, s79
	s_mul_hi_u32 s24, s76, s78
	s_mul_i32 s82, s77, s78
	s_wait_alu 0xfffe
	s_add_nc_u64 s[80:81], s[24:25], s[80:81]
	s_mul_hi_u32 s5, s77, s78
	s_mul_hi_u32 s83, s77, s79
	s_wait_alu 0xfffe
	s_add_co_u32 s24, s80, s82
	s_add_co_ci_u32 s24, s81, s5
	s_mul_i32 s78, s77, s79
	s_add_co_ci_u32 s79, s83, 0
	s_wait_alu 0xfffe
	s_add_nc_u64 s[78:79], s[24:25], s[78:79]
	s_wait_alu 0xfffe
	s_add_co_u32 s5, s76, s78
	s_cselect_b32 s24, -1, 0
	s_wait_alu 0xfffe
	s_cmp_lg_u32 s24, 0
	s_add_co_ci_u32 s82, s77, s79
	s_ashr_i32 s76, s65, 31
	s_wait_alu 0xfffe
	s_mov_b32 s77, s76
	s_wait_alu 0xfffe
	s_add_nc_u64 s[78:79], s[64:65], s[76:77]
	s_wait_alu 0xfffe
	s_xor_b64 s[78:79], s[78:79], s[76:77]
	s_wait_alu 0xfffe
	s_mul_hi_u32 s81, s78, s82
	s_mul_i32 s80, s78, s82
	s_mul_hi_u32 s24, s78, s5
	s_mul_hi_u32 s84, s79, s5
	s_mul_i32 s5, s79, s5
	s_wait_alu 0xfffe
	s_add_nc_u64 s[80:81], s[24:25], s[80:81]
	s_mul_hi_u32 s83, s79, s82
	s_wait_alu 0xfffe
	s_add_co_u32 s5, s80, s5
	s_add_co_ci_u32 s24, s81, s84
	s_mul_i32 s82, s79, s82
	s_add_co_ci_u32 s83, s83, 0
	s_wait_alu 0xfffe
	s_add_nc_u64 s[80:81], s[24:25], s[82:83]
	s_wait_alu 0xfffe
	s_mul_u64 s[80:81], s[10:11], s[80:81]
	s_wait_alu 0xfffe
	s_sub_co_u32 s5, s78, s80
	s_cselect_b32 s24, -1, 0
	s_sub_co_i32 s78, s79, s81
	s_wait_alu 0xfffe
	s_cmp_lg_u32 s24, 0
	s_sub_co_ci_u32 s78, s78, s11
	s_sub_co_u32 s80, s5, s10
	s_cselect_b32 s82, -1, 0
	s_wait_alu 0xfffe
	s_cmp_lg_u32 s82, 0
	s_sub_co_ci_u32 s83, s78, 0
	s_wait_alu 0xfffe
	s_cmp_ge_u32 s83, s11
	s_cselect_b32 s84, -1, 0
	s_cmp_ge_u32 s80, s10
	s_cselect_b32 s85, -1, 0
	s_cmp_eq_u32 s83, s11
	s_wait_alu 0xfffe
	s_cselect_b32 s84, s85, s84
	s_cmp_lg_u32 s82, 0
	s_sub_co_ci_u32 s78, s78, s11
	s_sub_co_u32 s82, s80, s10
	s_cselect_b32 s85, -1, 0
	s_wait_alu 0xfffe
	s_cmp_lg_u32 s85, 0
	s_sub_co_ci_u32 s78, s78, 0
	s_cmp_lg_u32 s84, 0
	s_cselect_b32 s80, s82, s80
	s_wait_alu 0xfffe
	s_cselect_b32 s78, s78, s83
	s_cmp_lg_u32 s24, 0
	s_sub_co_ci_u32 s24, s79, s81
	s_wait_alu 0xfffe
	s_cmp_ge_u32 s24, s11
	s_cselect_b32 s79, -1, 0
	s_cmp_ge_u32 s5, s10
	s_cselect_b32 s10, -1, 0
	s_cmp_eq_u32 s24, s11
	s_wait_alu 0xfffe
	s_cselect_b32 s10, s10, s79
	s_wait_alu 0xfffe
	s_cmp_lg_u32 s10, 0
	s_cselect_b32 s11, s78, s24
	s_cselect_b32 s10, s80, s5
	s_wait_alu 0xfffe
	s_xor_b64 s[10:11], s[10:11], s[76:77]
	s_wait_alu 0xfffe
	s_sub_nc_u64 s[10:11], s[10:11], s[76:77]
	s_cbranch_execnz .LBB21_225
.LBB21_224:                             ;   in Loop: Header=BB21_16 Depth=1
	v_cvt_f32_u32_e32 v2, s56
	s_sub_co_i32 s10, 0, s56
	s_delay_alu instid0(VALU_DEP_1) | instskip(NEXT) | instid1(TRANS32_DEP_1)
	v_rcp_iflag_f32_e32 v2, v2
	v_mul_f32_e32 v2, 0x4f7ffffe, v2
	s_delay_alu instid0(VALU_DEP_1) | instskip(NEXT) | instid1(VALU_DEP_1)
	v_cvt_u32_f32_e32 v2, v2
	v_readfirstlane_b32 s5, v2
	s_wait_alu 0xfffe
	s_mul_i32 s10, s10, s5
	s_wait_alu 0xfffe
	s_mul_hi_u32 s10, s5, s10
	s_wait_alu 0xfffe
	s_add_co_i32 s5, s5, s10
	s_wait_alu 0xfffe
	s_mul_hi_u32 s5, s64, s5
	s_wait_alu 0xfffe
	s_mul_i32 s5, s5, s56
	s_wait_alu 0xfffe
	s_sub_co_i32 s5, s64, s5
	s_wait_alu 0xfffe
	s_sub_co_i32 s10, s5, s56
	s_cmp_ge_u32 s5, s56
	s_wait_alu 0xfffe
	s_cselect_b32 s5, s10, s5
	s_wait_alu 0xfffe
	s_sub_co_i32 s10, s5, s56
	s_cmp_ge_u32 s5, s56
	s_wait_alu 0xfffe
	s_cselect_b32 s24, s10, s5
	s_wait_alu 0xfffe
	s_mov_b64 s[10:11], s[24:25]
.LBB21_225:                             ;   in Loop: Header=BB21_16 Depth=1
	s_wait_alu 0xfffe
	s_sub_nc_u64 s[10:11], s[64:65], s[10:11]
	s_mov_b32 s24, 0
	s_mov_b32 s5, 0
	s_mov_b32 s76, exec_lo
                                        ; implicit-def: $vgpr27
	s_wait_alu 0xfffe
	v_cmpx_gt_i64_e64 s[10:11], v[0:1]
	s_cbranch_execz .LBB21_236
; %bb.226:                              ;   in Loop: Header=BB21_16 Depth=1
	v_dual_mov_b32 v2, v10 :: v_dual_mov_b32 v3, v11
	v_dual_mov_b32 v7, v1 :: v_dual_mov_b32 v6, v0
	s_mov_b32 s77, 0
                                        ; implicit-def: $sgpr78
	s_branch .LBB21_229
.LBB21_227:                             ;   in Loop: Header=BB21_229 Depth=2
	s_wait_alu 0xfffe
	s_or_b32 exec_lo, exec_lo, s5
	s_wait_loadcnt_dscnt 0x0
	s_barrier_signal -1
	s_barrier_wait -1
	global_inv scope:SCOPE_SE
	ds_load_b64 v[26:27], v13 offset:3072
	s_mov_b32 s5, -1
	s_mov_b32 s79, -1
	s_wait_loadcnt_dscnt 0x0
	s_barrier_signal -1
	s_barrier_wait -1
	global_inv scope:SCOPE_SE
	v_cmp_ne_u32_e32 vcc_lo, 0, v26
	s_cbranch_vccz .LBB21_232
.LBB21_228:                             ;   in Loop: Header=BB21_229 Depth=2
	s_wait_alu 0xfffe
	s_and_b32 s5, exec_lo, s5
	s_wait_alu 0xfffe
	s_or_b32 s77, s5, s77
	s_and_not1_b32 s5, s78, exec_lo
	s_and_b32 s78, s79, exec_lo
	s_wait_alu 0xfffe
	s_or_b32 s78, s5, s78
	s_and_not1_b32 exec_lo, exec_lo, s77
	s_cbranch_execz .LBB21_235
.LBB21_229:                             ;   Parent Loop BB21_16 Depth=1
                                        ; =>  This Inner Loop Header: Depth=2
	s_mov_b32 s5, exec_lo
	s_delay_alu instid0(VALU_DEP_1)
	v_cmpx_gt_i64_e64 s[36:37], v[6:7]
	s_cbranch_execz .LBB21_227
; %bb.230:                              ;   in Loop: Header=BB21_229 Depth=2
	global_load_b32 v26, v[2:3], off
	s_wait_loadcnt 0x0
	v_xor_b32_e32 v8, 0x80000000, v26
	s_delay_alu instid0(VALU_DEP_1) | instskip(NEXT) | instid1(VALU_DEP_1)
	v_and_b32_e32 v8, v8, v46
	v_cmp_eq_u32_e32 vcc_lo, v8, v40
	s_and_b32 exec_lo, exec_lo, vcc_lo
	s_cbranch_execz .LBB21_227
; %bb.231:                              ;   in Loop: Header=BB21_229 Depth=2
	ds_store_b64 v13, v[25:26] offset:3072
	s_branch .LBB21_227
.LBB21_232:                             ;   in Loop: Header=BB21_229 Depth=2
	v_add_co_u32 v6, vcc_lo, v6, s56
	s_wait_alu 0xfffd
	v_add_co_ci_u32_e64 v7, null, 0, v7, vcc_lo
	v_add_co_u32 v2, s5, v2, s58
	s_wait_alu 0xf1fe
	v_add_co_ci_u32_e64 v3, null, s59, v3, s5
	s_delay_alu instid0(VALU_DEP_3)
	v_cmp_le_i64_e32 vcc_lo, s[10:11], v[6:7]
	s_mov_b32 s79, 0
	s_or_not1_b32 s5, vcc_lo, exec_lo
	s_branch .LBB21_228
.LBB21_233:                             ;   in Loop: Header=BB21_16 Depth=1
                                        ; implicit-def: $sgpr12_sgpr13
	s_branch .LBB21_179
.LBB21_234:                             ;   in Loop: Header=BB21_16 Depth=1
                                        ; implicit-def: $sgpr14_sgpr15
	s_branch .LBB21_195
.LBB21_235:                             ;   in Loop: Header=BB21_16 Depth=1
	s_or_b32 exec_lo, exec_lo, s77
	s_wait_alu 0xfffe
	s_and_b32 s5, s78, exec_lo
.LBB21_236:                             ;   in Loop: Header=BB21_16 Depth=1
	s_or_b32 exec_lo, exec_lo, s76
.LBB21_237:                             ;   in Loop: Header=BB21_16 Depth=1
	s_delay_alu instid0(SALU_CYCLE_1)
	s_and_b32 vcc_lo, exec_lo, s24
	s_wait_alu 0xfffe
	s_cbranch_vccz .LBB21_251
; %bb.238:                              ;   in Loop: Header=BB21_16 Depth=1
	s_add_nc_u64 s[10:11], s[8:9], s[62:63]
	s_mov_b32 s12, s25
	s_wait_alu 0xfffe
	s_mov_b32 s13, s11
	s_wait_alu 0xfffe
	s_cmp_lg_u64 s[12:13], 0
	s_cbranch_scc0 .LBB21_272
; %bb.239:                              ;   in Loop: Header=BB21_16 Depth=1
	s_add_nc_u64 s[12:13], s[56:57], 0
	s_wait_alu 0xfffe
	s_xor_b64 s[12:13], s[12:13], 0
	s_wait_alu 0xfffe
	s_cvt_f32_u32 s24, s12
	s_cvt_f32_u32 s76, s13
	s_sub_nc_u64 s[78:79], 0, s[12:13]
	s_wait_alu 0xfffe
	s_delay_alu instid0(SALU_CYCLE_1) | instskip(SKIP_1) | instid1(SALU_CYCLE_2)
	s_fmamk_f32 s24, s76, 0x4f800000, s24
	s_wait_alu 0xfffe
	v_s_rcp_f32 s24, s24
	s_delay_alu instid0(TRANS32_DEP_1) | instskip(SKIP_1) | instid1(SALU_CYCLE_2)
	s_mul_f32 s24, s24, 0x5f7ffffc
	s_wait_alu 0xfffe
	s_mul_f32 s76, s24, 0x2f800000
	s_wait_alu 0xfffe
	s_delay_alu instid0(SALU_CYCLE_2) | instskip(SKIP_1) | instid1(SALU_CYCLE_2)
	s_trunc_f32 s76, s76
	s_wait_alu 0xfffe
	s_fmamk_f32 s24, s76, 0xcf800000, s24
	s_cvt_u32_f32 s77, s76
	s_wait_alu 0xfffe
	s_delay_alu instid0(SALU_CYCLE_1) | instskip(SKIP_1) | instid1(SALU_CYCLE_2)
	s_cvt_u32_f32 s76, s24
	s_wait_alu 0xfffe
	s_mul_u64 s[80:81], s[78:79], s[76:77]
	s_wait_alu 0xfffe
	s_mul_hi_u32 s83, s76, s81
	s_mul_i32 s82, s76, s81
	s_mul_hi_u32 s24, s76, s80
	s_mul_i32 s85, s77, s80
	s_wait_alu 0xfffe
	s_add_nc_u64 s[82:83], s[24:25], s[82:83]
	s_mul_hi_u32 s84, s77, s80
	s_mul_hi_u32 s86, s77, s81
	s_wait_alu 0xfffe
	s_add_co_u32 s24, s82, s85
	s_add_co_ci_u32 s24, s83, s84
	s_mul_i32 s80, s77, s81
	s_add_co_ci_u32 s81, s86, 0
	s_wait_alu 0xfffe
	s_add_nc_u64 s[80:81], s[24:25], s[80:81]
	s_wait_alu 0xfffe
	s_add_co_u32 s76, s76, s80
	s_cselect_b32 s24, -1, 0
	s_wait_alu 0xfffe
	s_cmp_lg_u32 s24, 0
	s_add_co_ci_u32 s77, s77, s81
	s_wait_alu 0xfffe
	s_mul_u64 s[78:79], s[78:79], s[76:77]
	s_wait_alu 0xfffe
	s_mul_hi_u32 s81, s76, s79
	s_mul_i32 s80, s76, s79
	s_mul_hi_u32 s24, s76, s78
	s_mul_i32 s83, s77, s78
	s_wait_alu 0xfffe
	s_add_nc_u64 s[80:81], s[24:25], s[80:81]
	s_mul_hi_u32 s82, s77, s78
	s_mul_hi_u32 s84, s77, s79
	s_wait_alu 0xfffe
	s_add_co_u32 s24, s80, s83
	s_add_co_ci_u32 s24, s81, s82
	s_mul_i32 s78, s77, s79
	s_add_co_ci_u32 s79, s84, 0
	s_wait_alu 0xfffe
	s_add_nc_u64 s[78:79], s[24:25], s[78:79]
	s_wait_alu 0xfffe
	s_add_co_u32 s82, s76, s78
	s_cselect_b32 s24, -1, 0
	s_wait_alu 0xfffe
	s_cmp_lg_u32 s24, 0
	s_add_co_ci_u32 s83, s77, s79
	s_ashr_i32 s76, s11, 31
	s_wait_alu 0xfffe
	s_mov_b32 s77, s76
	s_wait_alu 0xfffe
	s_add_nc_u64 s[78:79], s[10:11], s[76:77]
	s_wait_alu 0xfffe
	s_xor_b64 s[78:79], s[78:79], s[76:77]
	s_wait_alu 0xfffe
	s_mul_hi_u32 s81, s78, s83
	s_mul_i32 s80, s78, s83
	s_mul_hi_u32 s24, s78, s82
	s_mul_i32 s86, s79, s82
	s_wait_alu 0xfffe
	s_add_nc_u64 s[80:81], s[24:25], s[80:81]
	s_mul_hi_u32 s85, s79, s82
	s_mul_hi_u32 s84, s79, s83
	s_wait_alu 0xfffe
	s_add_co_u32 s24, s80, s86
	s_add_co_ci_u32 s24, s81, s85
	s_mul_i32 s82, s79, s83
	s_add_co_ci_u32 s83, s84, 0
	s_wait_alu 0xfffe
	s_add_nc_u64 s[80:81], s[24:25], s[82:83]
	s_wait_alu 0xfffe
	s_mul_u64 s[80:81], s[12:13], s[80:81]
	s_wait_alu 0xfffe
	s_sub_co_u32 s24, s78, s80
	s_cselect_b32 s78, -1, 0
	s_sub_co_i32 s80, s79, s81
	s_wait_alu 0xfffe
	s_cmp_lg_u32 s78, 0
	s_sub_co_ci_u32 s80, s80, s13
	s_sub_co_u32 s82, s24, s12
	s_cselect_b32 s83, -1, 0
	s_wait_alu 0xfffe
	s_cmp_lg_u32 s83, 0
	s_sub_co_ci_u32 s84, s80, 0
	s_wait_alu 0xfffe
	s_cmp_ge_u32 s84, s13
	s_cselect_b32 s85, -1, 0
	s_cmp_ge_u32 s82, s12
	s_cselect_b32 s86, -1, 0
	s_cmp_eq_u32 s84, s13
	s_wait_alu 0xfffe
	s_cselect_b32 s85, s86, s85
	s_cmp_lg_u32 s83, 0
	s_sub_co_ci_u32 s80, s80, s13
	s_sub_co_u32 s83, s82, s12
	s_cselect_b32 s86, -1, 0
	s_wait_alu 0xfffe
	s_cmp_lg_u32 s86, 0
	s_sub_co_ci_u32 s80, s80, 0
	s_cmp_lg_u32 s85, 0
	s_cselect_b32 s82, s83, s82
	s_wait_alu 0xfffe
	s_cselect_b32 s80, s80, s84
	s_cmp_lg_u32 s78, 0
	s_sub_co_ci_u32 s78, s79, s81
	s_wait_alu 0xfffe
	s_cmp_ge_u32 s78, s13
	s_cselect_b32 s79, -1, 0
	s_cmp_ge_u32 s24, s12
	s_cselect_b32 s12, -1, 0
	s_cmp_eq_u32 s78, s13
	s_wait_alu 0xfffe
	s_cselect_b32 s12, s12, s79
	s_wait_alu 0xfffe
	s_cmp_lg_u32 s12, 0
	s_cselect_b32 s13, s80, s78
	s_cselect_b32 s12, s82, s24
	s_wait_alu 0xfffe
	s_xor_b64 s[12:13], s[12:13], s[76:77]
	s_wait_alu 0xfffe
	s_sub_nc_u64 s[12:13], s[12:13], s[76:77]
	s_cbranch_execnz .LBB21_241
.LBB21_240:                             ;   in Loop: Header=BB21_16 Depth=1
	v_cvt_f32_u32_e32 v2, s56
	s_sub_co_i32 s13, 0, s56
	s_delay_alu instid0(VALU_DEP_1) | instskip(NEXT) | instid1(TRANS32_DEP_1)
	v_rcp_iflag_f32_e32 v2, v2
	v_mul_f32_e32 v2, 0x4f7ffffe, v2
	s_delay_alu instid0(VALU_DEP_1) | instskip(NEXT) | instid1(VALU_DEP_1)
	v_cvt_u32_f32_e32 v2, v2
	v_readfirstlane_b32 s12, v2
	s_wait_alu 0xfffe
	s_mul_i32 s13, s13, s12
	s_wait_alu 0xfffe
	s_mul_hi_u32 s13, s12, s13
	s_wait_alu 0xfffe
	s_add_co_i32 s12, s12, s13
	s_wait_alu 0xfffe
	s_mul_hi_u32 s12, s10, s12
	s_wait_alu 0xfffe
	s_mul_i32 s12, s12, s56
	s_wait_alu 0xfffe
	s_sub_co_i32 s12, s10, s12
	s_wait_alu 0xfffe
	s_sub_co_i32 s13, s12, s56
	s_cmp_ge_u32 s12, s56
	s_wait_alu 0xfffe
	s_cselect_b32 s12, s13, s12
	s_wait_alu 0xfffe
	s_sub_co_i32 s13, s12, s56
	s_cmp_ge_u32 s12, s56
	s_wait_alu 0xfffe
	s_cselect_b32 s24, s13, s12
	s_wait_alu 0xfffe
	s_mov_b64 s[12:13], s[24:25]
.LBB21_241:                             ;   in Loop: Header=BB21_16 Depth=1
	s_wait_alu 0xfffe
	s_sub_nc_u64 s[10:11], s[10:11], s[12:13]
	s_mov_b32 s12, exec_lo
                                        ; implicit-def: $vgpr27
	s_wait_alu 0xfffe
	v_cmpx_gt_i64_e64 s[10:11], v[0:1]
	s_cbranch_execz .LBB21_250
; %bb.242:                              ;   in Loop: Header=BB21_16 Depth=1
	v_dual_mov_b32 v6, v14 :: v_dual_mov_b32 v3, v1
	v_mov_b32_e32 v2, v0
	s_mov_b32 s13, 0
                                        ; implicit-def: $sgpr24
	s_branch .LBB21_245
.LBB21_243:                             ;   in Loop: Header=BB21_245 Depth=2
	s_wait_alu 0xfffe
	s_or_b32 exec_lo, exec_lo, s76
	s_wait_loadcnt_dscnt 0x0
	s_barrier_signal -1
	s_barrier_wait -1
	global_inv scope:SCOPE_SE
	ds_load_b64 v[26:27], v13 offset:3072
	s_mov_b32 s76, -1
	s_mov_b32 s77, -1
	s_wait_loadcnt_dscnt 0x0
	s_barrier_signal -1
	s_barrier_wait -1
	global_inv scope:SCOPE_SE
	v_cmp_eq_u32_e32 vcc_lo, 0, v26
	s_cbranch_vccnz .LBB21_248
.LBB21_244:                             ;   in Loop: Header=BB21_245 Depth=2
	s_wait_alu 0xfffe
	s_and_b32 s76, exec_lo, s76
	s_wait_alu 0xfffe
	s_or_b32 s13, s76, s13
	s_and_not1_b32 s24, s24, exec_lo
	s_and_b32 s76, s77, exec_lo
	s_wait_alu 0xfffe
	s_or_b32 s24, s24, s76
	s_and_not1_b32 exec_lo, exec_lo, s13
	s_cbranch_execz .LBB21_249
.LBB21_245:                             ;   Parent Loop BB21_16 Depth=1
                                        ; =>  This Inner Loop Header: Depth=2
	s_mov_b32 s76, exec_lo
	s_delay_alu instid0(VALU_DEP_1)
	v_cmpx_gt_u64_e64 s[8:9], v[2:3]
	s_cbranch_execz .LBB21_243
; %bb.246:                              ;   in Loop: Header=BB21_245 Depth=2
	ds_load_b32 v26, v6
	s_wait_dscnt 0x0
	v_xor_b32_e32 v7, 0x80000000, v26
	s_delay_alu instid0(VALU_DEP_1) | instskip(NEXT) | instid1(VALU_DEP_1)
	v_and_b32_e32 v7, v7, v46
	v_cmp_eq_u32_e32 vcc_lo, v7, v40
	s_and_b32 exec_lo, exec_lo, vcc_lo
	s_cbranch_execz .LBB21_243
; %bb.247:                              ;   in Loop: Header=BB21_245 Depth=2
	ds_store_b64 v13, v[25:26] offset:3072
	s_branch .LBB21_243
.LBB21_248:                             ;   in Loop: Header=BB21_245 Depth=2
	v_add_co_u32 v2, vcc_lo, v2, s56
	s_wait_alu 0xfffd
	v_add_co_ci_u32_e64 v3, null, 0, v3, vcc_lo
	v_add_nc_u32_e32 v6, s94, v6
	s_mov_b32 s77, 0
	s_delay_alu instid0(VALU_DEP_2)
	v_cmp_le_i64_e32 vcc_lo, s[10:11], v[2:3]
	s_or_not1_b32 s76, vcc_lo, exec_lo
	s_branch .LBB21_244
.LBB21_249:                             ;   in Loop: Header=BB21_16 Depth=1
	s_or_b32 exec_lo, exec_lo, s13
	s_delay_alu instid0(SALU_CYCLE_1)
	s_and_not1_b32 s5, s5, exec_lo
	s_wait_alu 0xfffe
	s_and_b32 s8, s24, exec_lo
	s_wait_alu 0xfffe
	s_or_b32 s5, s5, s8
.LBB21_250:                             ;   in Loop: Header=BB21_16 Depth=1
	s_or_b32 exec_lo, exec_lo, s12
	s_mov_b32 s12, 0
	s_mov_b32 s13, -1
.LBB21_251:                             ;   in Loop: Header=BB21_16 Depth=1
	s_wait_alu 0xfffe
	s_or_not1_b32 s8, s5, exec_lo
.LBB21_252:                             ;   in Loop: Header=BB21_16 Depth=1
	s_wait_alu 0xfffe
	s_or_b32 exec_lo, exec_lo, s75
	s_mov_b32 s9, 0
	s_and_saveexec_b32 s5, s8
	s_cbranch_execz .LBB21_263
; %bb.253:                              ;   in Loop: Header=BB21_16 Depth=1
	v_mov_b32_e32 v2, 1
	v_dual_mov_b32 v3, 0 :: v_dual_mov_b32 v12, 1
	s_xor_b32 s9, s74, -1
	s_wait_alu 0xfffe
	s_and_saveexec_b32 s8, s9
	s_cbranch_execz .LBB21_262
; %bb.254:                              ;   in Loop: Header=BB21_16 Depth=1
	s_mov_b32 s9, exec_lo
	v_cmpx_ge_i64_e64 s[6:7], v[4:5]
	s_wait_alu 0xfffe
	s_xor_b32 s9, exec_lo, s9
	s_cbranch_execz .LBB21_259
; %bb.255:                              ;   in Loop: Header=BB21_16 Depth=1
	ds_load_b64 v[2:3], v13 offset:5120
	v_or_b32_e32 v40, s16, v40
	v_or_b32_e32 v46, s16, v46
	s_wait_dscnt 0x0
	v_cmp_ne_u64_e32 vcc_lo, 0, v[2:3]
	s_cbranch_vccnz .LBB21_259
; %bb.256:                              ;   in Loop: Header=BB21_16 Depth=1
	s_and_saveexec_b32 s10, s2
; %bb.257:                              ;   in Loop: Header=BB21_16 Depth=1
	v_dual_mov_b32 v2, s6 :: v_dual_mov_b32 v3, s7
	ds_store_b64 v13, v[2:3] offset:5128
; %bb.258:                              ;   in Loop: Header=BB21_16 Depth=1
	s_wait_alu 0xfffe
	s_or_b32 exec_lo, exec_lo, s10
	s_wait_loadcnt_dscnt 0x0
	s_barrier_signal -1
	s_barrier_wait -1
	global_inv scope:SCOPE_SE
.LBB21_259:                             ;   in Loop: Header=BB21_16 Depth=1
	s_wait_alu 0xfffe
	s_and_not1_saveexec_b32 s9, s9
; %bb.260:                              ;   in Loop: Header=BB21_16 Depth=1
	v_sub_co_u32 v4, vcc_lo, v4, s6
	s_wait_alu 0xfffd
	v_subrev_co_ci_u32_e64 v5, null, s7, v5, vcc_lo
; %bb.261:                              ;   in Loop: Header=BB21_16 Depth=1
	s_wait_alu 0xfffe
	s_or_b32 exec_lo, exec_lo, s9
	v_mov_b32_e32 v2, v4
	s_delay_alu instid0(VALU_DEP_2)
	v_dual_mov_b32 v12, 8 :: v_dual_mov_b32 v3, v5
.LBB21_262:                             ;   in Loop: Header=BB21_16 Depth=1
	s_wait_alu 0xfffe
	s_or_b32 exec_lo, exec_lo, s8
	s_delay_alu instid0(VALU_DEP_1)
	v_dual_mov_b32 v5, v3 :: v_dual_mov_b32 v4, v2
	s_mov_b32 s9, exec_lo
.LBB21_263:                             ;   in Loop: Header=BB21_16 Depth=1
	s_wait_alu 0xfffe
	s_or_b32 exec_lo, exec_lo, s5
	s_delay_alu instid0(SALU_CYCLE_1)
	s_or_not1_b32 s5, s9, exec_lo
.LBB21_264:                             ;   in Loop: Header=BB21_16 Depth=1
	s_wait_alu 0xfffe
	s_or_b32 exec_lo, exec_lo, s20
	v_dual_mov_b32 v2, v4 :: v_dual_mov_b32 v3, v5
	s_and_not1_b32 s6, s15, exec_lo
	s_and_b32 s7, s13, exec_lo
	s_and_not1_b32 s8, s14, exec_lo
	s_and_b32 s9, s12, exec_lo
	s_wait_alu 0xfffe
	s_or_b32 s15, s6, s7
	s_or_b32 s14, s8, s9
	s_and_b32 s10, s5, exec_lo
.LBB21_265:                             ;   in Loop: Header=BB21_16 Depth=1
	s_wait_alu 0xfffe
	s_or_b32 exec_lo, exec_lo, s73
	s_delay_alu instid0(SALU_CYCLE_1)
	s_or_not1_b32 s5, s10, exec_lo
.LBB21_266:                             ;   in Loop: Header=BB21_16 Depth=1
	s_wait_alu 0xfffe
	s_or_b32 exec_lo, exec_lo, s72
	v_dual_mov_b32 v7, v3 :: v_dual_mov_b32 v6, v2
	s_and_not1_b32 s6, s22, exec_lo
	s_and_b32 s7, s15, exec_lo
	s_and_not1_b32 s8, s21, exec_lo
	s_and_b32 s9, s14, exec_lo
	s_wait_alu 0xfffe
	s_or_b32 s22, s6, s7
	s_or_b32 s21, s8, s9
	s_and_b32 s10, s5, exec_lo
.LBB21_267:                             ;   in Loop: Header=BB21_16 Depth=1
	s_or_b32 exec_lo, exec_lo, s23
	s_wait_alu 0xfffe
	s_or_not1_b32 s5, s10, exec_lo
.LBB21_268:                             ;   in Loop: Header=BB21_16 Depth=1
	s_or_b32 exec_lo, exec_lo, s19
	s_mov_b32 s6, 0
	s_wait_alu 0xfffe
	s_and_saveexec_b32 s7, s5
	s_wait_alu 0xfffe
	s_xor_b32 s5, exec_lo, s7
	s_cbranch_execz .LBB21_14
; %bb.269:                              ;   in Loop: Header=BB21_16 Depth=1
	v_and_b32_e32 v2, 7, v12
	s_mov_b32 s7, -1
	s_mov_b32 s6, -1
	s_mov_b32 s8, exec_lo
	s_delay_alu instid0(VALU_DEP_1)
	v_cmpx_eq_u32_e32 0, v2
	s_cbranch_execz .LBB21_13
; %bb.270:                              ;   in Loop: Header=BB21_16 Depth=1
	s_xor_b32 s97, s97, 1
	s_add_co_i32 s9, s95, -2
	s_cmp_eq_u32 s95, 0
	s_wait_alu 0xfffe
	s_mov_b32 s95, s9
	s_cselect_b32 s7, -1, 0
	s_xor_b32 s6, exec_lo, -1
	s_wait_alu 0xfffe
	s_or_not1_b32 s7, s7, exec_lo
	s_branch .LBB21_13
.LBB21_271:                             ;   in Loop: Header=BB21_16 Depth=1
                                        ; implicit-def: $sgpr10_sgpr11
	s_branch .LBB21_224
.LBB21_272:                             ;   in Loop: Header=BB21_16 Depth=1
                                        ; implicit-def: $sgpr12_sgpr13
	s_branch .LBB21_240
.LBB21_273:
	s_or_b32 exec_lo, exec_lo, s96
	s_xor_b32 s5, s103, -1
	s_xor_b32 s1, s101, -1
	;; [unrolled: 1-line block ×3, first 2 shown]
	s_mov_b32 s3, 0
	s_and_saveexec_b32 s6, s1
	s_wait_alu 0xfffe
	s_xor_b32 s1, exec_lo, s6
	s_cbranch_execnz .LBB21_278
; %bb.274:
	s_and_not1_saveexec_b32 s0, s1
	s_cbranch_execnz .LBB21_303
.LBB21_275:
	s_wait_alu 0xfffe
	s_or_b32 exec_lo, exec_lo, s0
	s_and_saveexec_b32 s0, s3
.LBB21_276:
	; divergent unreachable
.LBB21_277:
	s_endpgm
.LBB21_278:
	s_and_saveexec_b32 s3, s5
	s_delay_alu instid0(SALU_CYCLE_1)
	s_xor_b32 s3, exec_lo, s3
	s_cbranch_execz .LBB21_301
; %bb.279:
	s_and_saveexec_b32 s5, s4
	s_wait_alu 0xfffe
	s_xor_b32 s4, exec_lo, s5
; %bb.280:
	v_xor_b32_e32 v27, 0x80000000, v40
; %bb.281:
	s_wait_alu 0xfffe
	s_or_b32 exec_lo, exec_lo, s4
	s_and_saveexec_b32 s4, s2
; %bb.282:
	v_dual_mov_b32 v2, 0 :: v_dual_mov_b32 v3, s36
	ds_store_b32 v2, v3 offset:5140
; %bb.283:
	s_wait_alu 0xfffe
	s_or_b32 exec_lo, exec_lo, s4
	s_wait_loadcnt_dscnt 0x0
	s_barrier_signal -1
	s_barrier_wait -1
	global_inv scope:SCOPE_SE
	s_and_saveexec_b32 s4, s0
	s_cbranch_execz .LBB21_298
; %bb.284:
	v_mov_b32_e32 v2, 0
	s_mov_b32 s5, 0
                                        ; implicit-def: $sgpr6
                                        ; implicit-def: $sgpr7
                                        ; implicit-def: $sgpr8
	ds_load_b32 v4, v2 offset:5140
	s_wait_dscnt 0x0
	v_ashrrev_i32_e32 v5, 31, v4
	s_branch .LBB21_287
.LBB21_285:                             ;   in Loop: Header=BB21_287 Depth=1
	s_wait_alu 0xfffe
	s_or_b32 exec_lo, exec_lo, s11
	s_delay_alu instid0(SALU_CYCLE_1)
	s_and_not1_b32 s8, s8, exec_lo
	s_and_b32 s10, s10, exec_lo
	s_and_not1_b32 s7, s7, exec_lo
	s_and_b32 s0, s0, exec_lo
	s_wait_alu 0xfffe
	s_or_b32 s8, s8, s10
	s_or_b32 s7, s7, s0
.LBB21_286:                             ;   in Loop: Header=BB21_287 Depth=1
	s_wait_alu 0xfffe
	s_or_b32 exec_lo, exec_lo, s9
	s_delay_alu instid0(SALU_CYCLE_1)
	s_and_b32 s0, exec_lo, s7
	s_wait_alu 0xfffe
	s_or_b32 s5, s0, s5
	s_and_not1_b32 s0, s6, exec_lo
	s_and_b32 s6, s8, exec_lo
	s_wait_alu 0xfffe
	s_or_b32 s6, s0, s6
	s_and_not1_b32 exec_lo, exec_lo, s5
	s_cbranch_execz .LBB21_293
.LBB21_287:                             ; =>This Inner Loop Header: Depth=1
	v_dual_mov_b32 v3, v1 :: v_dual_mov_b32 v2, v0
	s_or_b32 s8, s8, exec_lo
	s_or_b32 s7, s7, exec_lo
	s_mov_b32 s9, exec_lo
                                        ; implicit-def: $vgpr0_vgpr1
	s_delay_alu instid0(VALU_DEP_1)
	v_cmpx_lt_i64_e64 v[2:3], v[4:5]
	s_cbranch_execz .LBB21_286
; %bb.288:                              ;   in Loop: Header=BB21_287 Depth=1
	global_load_b32 v0, v[10:11], off
	s_mov_b32 s0, -1
	s_mov_b32 s10, 0
	s_wait_loadcnt 0x0
	v_cmp_ne_u32_e32 vcc_lo, v0, v27
                                        ; implicit-def: $vgpr0_vgpr1
	s_and_saveexec_b32 s11, vcc_lo
	s_cbranch_execz .LBB21_285
; %bb.289:                              ;   in Loop: Header=BB21_287 Depth=1
	v_add_co_u32 v0, vcc_lo, v2, s56
	s_wait_alu 0xfffd
	v_add_co_ci_u32_e64 v1, null, 0, v3, vcc_lo
	v_add_co_u32 v10, s0, v10, s58
	s_wait_alu 0xf1fe
	v_add_co_ci_u32_e64 v11, null, s59, v11, s0
	s_delay_alu instid0(VALU_DEP_3)
	v_cmp_le_i64_e32 vcc_lo, s[36:37], v[0:1]
	s_mov_b32 s10, exec_lo
	s_or_not1_b32 s0, vcc_lo, exec_lo
	s_branch .LBB21_285
.LBB21_290:
                                        ; implicit-def: $sgpr12_sgpr13
	s_branch .LBB21_3
.LBB21_291:
                                        ; implicit-def: $sgpr48_sgpr49
	s_branch .LBB21_6
.LBB21_292:
                                        ; implicit-def: $sgpr50_sgpr51
	s_branch .LBB21_9
.LBB21_293:
	s_or_b32 exec_lo, exec_lo, s5
	s_wait_alu 0xfffe
	s_xor_b32 s0, s6, -1
	s_wait_alu 0xfffe
	s_and_saveexec_b32 s5, s0
	s_wait_alu 0xfffe
	s_xor_b32 s5, exec_lo, s5
	s_cbranch_execz .LBB21_298
; %bb.294:
	s_mov_b32 s5, exec_lo
	s_brev_b32 s0, -2
.LBB21_295:                             ; =>This Inner Loop Header: Depth=1
	s_wait_alu 0xfffe
	s_ctz_i32_b32 s6, s5
	s_wait_alu 0xfffe
	v_readlane_b32 s7, v2, s6
	s_lshl_b32 s6, 1, s6
	s_wait_alu 0xfffe
	s_and_not1_b32 s5, s5, s6
	s_min_i32 s0, s0, s7
	s_wait_alu 0xfffe
	s_cmp_lg_u32 s5, 0
	s_cbranch_scc1 .LBB21_295
; %bb.296:
	v_mbcnt_lo_u32_b32 v0, exec_lo, 0
	s_mov_b32 s5, exec_lo
	s_delay_alu instid0(VALU_DEP_1)
	v_cmpx_eq_u32_e32 0, v0
	s_wait_alu 0xfffe
	s_xor_b32 s5, exec_lo, s5
; %bb.297:
	v_dual_mov_b32 v0, 0 :: v_dual_mov_b32 v1, s0
	ds_min_i32 v0, v1 offset:5140
.LBB21_298:
	s_wait_alu 0xfffe
	s_or_b32 exec_lo, exec_lo, s4
	s_wait_loadcnt_dscnt 0x0
	s_barrier_signal -1
	s_barrier_wait -1
	global_inv scope:SCOPE_SE
	s_and_saveexec_b32 s0, s2
	s_cbranch_execz .LBB21_300
; %bb.299:
	v_mov_b32_e32 v2, 0
	s_mul_u64 s[8:9], s[50:51], s[40:41]
	s_mul_u64 s[4:5], s[48:49], s[34:35]
	;; [unrolled: 1-line block ×3, first 2 shown]
	s_wait_alu 0xfffe
	s_sub_nc_u64 s[8:9], s[26:27], s[8:9]
	ds_load_b32 v0, v2 offset:5140
	s_mul_u64 s[6:7], s[48:49], s[44:45]
	s_sub_nc_u64 s[4:5], s[26:27], s[4:5]
	s_lshl_b64 s[10:11], s[10:11], 3
	s_wait_alu 0xfffe
	s_mul_u64 s[8:9], s[8:9], s[30:31]
	s_lshl_b64 s[6:7], s[6:7], 2
	s_mul_u64 s[4:5], s[4:5], s[46:47]
	s_add_nc_u64 s[10:11], s[52:53], s[10:11]
	s_wait_alu 0xfffe
	s_lshl_b64 s[8:9], s[8:9], 3
	s_add_nc_u64 s[6:7], s[54:55], s[6:7]
	s_lshl_b64 s[4:5], s[4:5], 2
	s_wait_alu 0xfffe
	s_add_nc_u64 s[8:9], s[10:11], s[8:9]
	s_add_nc_u64 s[4:5], s[6:7], s[4:5]
	s_wait_dscnt 0x0
	v_ashrrev_i32_e32 v1, 31, v0
	s_clause 0x1
	global_store_b64 v2, v[0:1], s[8:9]
	global_store_b32 v2, v27, s[4:5]
.LBB21_300:
	s_wait_alu 0xfffe
	s_or_b32 exec_lo, exec_lo, s0
.LBB21_301:
	s_or_saveexec_b32 s0, s3
	s_mov_b32 s2, 0
	s_wait_alu 0xfffe
	s_xor_b32 exec_lo, exec_lo, s0
	s_cbranch_execnz .LBB21_304
.LBB21_302:
	s_or_b32 exec_lo, exec_lo, s0
	s_delay_alu instid0(SALU_CYCLE_1)
	s_and_b32 s3, s2, exec_lo
	s_and_not1_saveexec_b32 s0, s1
	s_cbranch_execz .LBB21_275
.LBB21_303:
	s_or_b32 s3, s3, exec_lo
	s_trap 2
	s_wait_alu 0xfffe
	s_or_b32 exec_lo, exec_lo, s0
	s_and_saveexec_b32 s0, s3
	s_cbranch_execnz .LBB21_276
	s_branch .LBB21_277
.LBB21_304:
	s_mov_b32 s2, exec_lo
	s_trap 2
	s_branch .LBB21_302
	.section	.rodata,"a",@progbits
	.p2align	6, 0x0
	.amdhsa_kernel _ZN2at6native12_GLOBAL__N_114gatherKthValueIilLi2EEEvNS_4cuda6detail10TensorInfoIKT_T0_EES8_S8_S8_S8_NS5_IS6_S8_EENS5_IlS8_EE
		.amdhsa_group_segment_fixed_size 5144
		.amdhsa_private_segment_fixed_size 0
		.amdhsa_kernarg_size 1536
		.amdhsa_user_sgpr_count 2
		.amdhsa_user_sgpr_dispatch_ptr 0
		.amdhsa_user_sgpr_queue_ptr 0
		.amdhsa_user_sgpr_kernarg_segment_ptr 1
		.amdhsa_user_sgpr_dispatch_id 0
		.amdhsa_user_sgpr_private_segment_size 0
		.amdhsa_wavefront_size32 1
		.amdhsa_uses_dynamic_stack 0
		.amdhsa_enable_private_segment 0
		.amdhsa_system_sgpr_workgroup_id_x 1
		.amdhsa_system_sgpr_workgroup_id_y 1
		.amdhsa_system_sgpr_workgroup_id_z 1
		.amdhsa_system_sgpr_workgroup_info 0
		.amdhsa_system_vgpr_workitem_id 0
		.amdhsa_next_free_vgpr 56
		.amdhsa_next_free_sgpr 104
		.amdhsa_reserve_vcc 1
		.amdhsa_float_round_mode_32 0
		.amdhsa_float_round_mode_16_64 0
		.amdhsa_float_denorm_mode_32 3
		.amdhsa_float_denorm_mode_16_64 3
		.amdhsa_fp16_overflow 0
		.amdhsa_workgroup_processor_mode 1
		.amdhsa_memory_ordered 1
		.amdhsa_forward_progress 1
		.amdhsa_inst_pref_size 161
		.amdhsa_round_robin_scheduling 0
		.amdhsa_exception_fp_ieee_invalid_op 0
		.amdhsa_exception_fp_denorm_src 0
		.amdhsa_exception_fp_ieee_div_zero 0
		.amdhsa_exception_fp_ieee_overflow 0
		.amdhsa_exception_fp_ieee_underflow 0
		.amdhsa_exception_fp_ieee_inexact 0
		.amdhsa_exception_int_div_zero 0
	.end_amdhsa_kernel
	.section	.text._ZN2at6native12_GLOBAL__N_114gatherKthValueIilLi2EEEvNS_4cuda6detail10TensorInfoIKT_T0_EES8_S8_S8_S8_NS5_IS6_S8_EENS5_IlS8_EE,"axG",@progbits,_ZN2at6native12_GLOBAL__N_114gatherKthValueIilLi2EEEvNS_4cuda6detail10TensorInfoIKT_T0_EES8_S8_S8_S8_NS5_IS6_S8_EENS5_IlS8_EE,comdat
.Lfunc_end21:
	.size	_ZN2at6native12_GLOBAL__N_114gatherKthValueIilLi2EEEvNS_4cuda6detail10TensorInfoIKT_T0_EES8_S8_S8_S8_NS5_IS6_S8_EENS5_IlS8_EE, .Lfunc_end21-_ZN2at6native12_GLOBAL__N_114gatherKthValueIilLi2EEEvNS_4cuda6detail10TensorInfoIKT_T0_EES8_S8_S8_S8_NS5_IS6_S8_EENS5_IlS8_EE
                                        ; -- End function
	.set _ZN2at6native12_GLOBAL__N_114gatherKthValueIilLi2EEEvNS_4cuda6detail10TensorInfoIKT_T0_EES8_S8_S8_S8_NS5_IS6_S8_EENS5_IlS8_EE.num_vgpr, 56
	.set _ZN2at6native12_GLOBAL__N_114gatherKthValueIilLi2EEEvNS_4cuda6detail10TensorInfoIKT_T0_EES8_S8_S8_S8_NS5_IS6_S8_EENS5_IlS8_EE.num_agpr, 0
	.set _ZN2at6native12_GLOBAL__N_114gatherKthValueIilLi2EEEvNS_4cuda6detail10TensorInfoIKT_T0_EES8_S8_S8_S8_NS5_IS6_S8_EENS5_IlS8_EE.numbered_sgpr, 104
	.set _ZN2at6native12_GLOBAL__N_114gatherKthValueIilLi2EEEvNS_4cuda6detail10TensorInfoIKT_T0_EES8_S8_S8_S8_NS5_IS6_S8_EENS5_IlS8_EE.num_named_barrier, 0
	.set _ZN2at6native12_GLOBAL__N_114gatherKthValueIilLi2EEEvNS_4cuda6detail10TensorInfoIKT_T0_EES8_S8_S8_S8_NS5_IS6_S8_EENS5_IlS8_EE.private_seg_size, 0
	.set _ZN2at6native12_GLOBAL__N_114gatherKthValueIilLi2EEEvNS_4cuda6detail10TensorInfoIKT_T0_EES8_S8_S8_S8_NS5_IS6_S8_EENS5_IlS8_EE.uses_vcc, 1
	.set _ZN2at6native12_GLOBAL__N_114gatherKthValueIilLi2EEEvNS_4cuda6detail10TensorInfoIKT_T0_EES8_S8_S8_S8_NS5_IS6_S8_EENS5_IlS8_EE.uses_flat_scratch, 0
	.set _ZN2at6native12_GLOBAL__N_114gatherKthValueIilLi2EEEvNS_4cuda6detail10TensorInfoIKT_T0_EES8_S8_S8_S8_NS5_IS6_S8_EENS5_IlS8_EE.has_dyn_sized_stack, 0
	.set _ZN2at6native12_GLOBAL__N_114gatherKthValueIilLi2EEEvNS_4cuda6detail10TensorInfoIKT_T0_EES8_S8_S8_S8_NS5_IS6_S8_EENS5_IlS8_EE.has_recursion, 0
	.set _ZN2at6native12_GLOBAL__N_114gatherKthValueIilLi2EEEvNS_4cuda6detail10TensorInfoIKT_T0_EES8_S8_S8_S8_NS5_IS6_S8_EENS5_IlS8_EE.has_indirect_call, 0
	.section	.AMDGPU.csdata,"",@progbits
; Kernel info:
; codeLenInByte = 20504
; TotalNumSgprs: 106
; NumVgprs: 56
; ScratchSize: 0
; MemoryBound: 0
; FloatMode: 240
; IeeeMode: 1
; LDSByteSize: 5144 bytes/workgroup (compile time only)
; SGPRBlocks: 0
; VGPRBlocks: 6
; NumSGPRsForWavesPerEU: 106
; NumVGPRsForWavesPerEU: 56
; Occupancy: 16
; WaveLimiterHint : 1
; COMPUTE_PGM_RSRC2:SCRATCH_EN: 0
; COMPUTE_PGM_RSRC2:USER_SGPR: 2
; COMPUTE_PGM_RSRC2:TRAP_HANDLER: 0
; COMPUTE_PGM_RSRC2:TGID_X_EN: 1
; COMPUTE_PGM_RSRC2:TGID_Y_EN: 1
; COMPUTE_PGM_RSRC2:TGID_Z_EN: 1
; COMPUTE_PGM_RSRC2:TIDIG_COMP_CNT: 0
	.section	.text._ZN2at6native12_GLOBAL__N_114gatherKthValueIilLi3EEEvNS_4cuda6detail10TensorInfoIKT_T0_EES8_S8_S8_S8_NS5_IS6_S8_EENS5_IlS8_EE,"axG",@progbits,_ZN2at6native12_GLOBAL__N_114gatherKthValueIilLi3EEEvNS_4cuda6detail10TensorInfoIKT_T0_EES8_S8_S8_S8_NS5_IS6_S8_EENS5_IlS8_EE,comdat
	.globl	_ZN2at6native12_GLOBAL__N_114gatherKthValueIilLi3EEEvNS_4cuda6detail10TensorInfoIKT_T0_EES8_S8_S8_S8_NS5_IS6_S8_EENS5_IlS8_EE ; -- Begin function _ZN2at6native12_GLOBAL__N_114gatherKthValueIilLi3EEEvNS_4cuda6detail10TensorInfoIKT_T0_EES8_S8_S8_S8_NS5_IS6_S8_EENS5_IlS8_EE
	.p2align	8
	.type	_ZN2at6native12_GLOBAL__N_114gatherKthValueIilLi3EEEvNS_4cuda6detail10TensorInfoIKT_T0_EES8_S8_S8_S8_NS5_IS6_S8_EENS5_IlS8_EE,@function
_ZN2at6native12_GLOBAL__N_114gatherKthValueIilLi3EEEvNS_4cuda6detail10TensorInfoIKT_T0_EES8_S8_S8_S8_NS5_IS6_S8_EENS5_IlS8_EE: ; @_ZN2at6native12_GLOBAL__N_114gatherKthValueIilLi3EEEvNS_4cuda6detail10TensorInfoIKT_T0_EES8_S8_S8_S8_NS5_IS6_S8_EENS5_IlS8_EE
; %bb.0:
	s_clause 0x1
	s_load_b64 s[12:13], s[0:1], 0x500
	s_load_b256 s[36:43], s[0:1], 0x1a0
	s_lshr_b32 s2, ttmp7, 16
	s_and_b32 s3, ttmp7, 0xffff
	s_mov_b32 s27, 0
	s_wait_kmcnt 0x0
	s_mul_i32 s2, s13, s2
	s_delay_alu instid0(SALU_CYCLE_1) | instskip(NEXT) | instid1(SALU_CYCLE_1)
	s_add_co_i32 s2, s2, s3
	s_mul_i32 s2, s2, s12
	s_delay_alu instid0(SALU_CYCLE_1) | instskip(NEXT) | instid1(SALU_CYCLE_1)
	s_add_co_i32 s26, s2, ttmp9
	v_cmp_le_i64_e64 s2, s[40:41], s[26:27]
	s_and_b32 vcc_lo, exec_lo, s2
	s_cbranch_vccnz .LBB22_293
; %bb.1:
	s_load_b128 s[4:7], s[0:1], 0x10
	s_mov_b32 s2, s27
	s_wait_kmcnt 0x0
	s_mov_b32 s3, s7
	s_delay_alu instid0(SALU_CYCLE_1)
	s_cmp_lg_u64 s[2:3], 0
	s_add_nc_u64 s[2:3], s[26:27], 0
	s_cbranch_scc0 .LBB22_18
; %bb.2:
	s_ashr_i32 s8, s7, 31
	s_mov_b32 s17, 0
	s_mov_b32 s9, s8
	s_delay_alu instid0(SALU_CYCLE_1) | instskip(NEXT) | instid1(SALU_CYCLE_1)
	s_add_nc_u64 s[10:11], s[6:7], s[8:9]
	s_xor_b64 s[10:11], s[10:11], s[8:9]
	s_delay_alu instid0(SALU_CYCLE_1) | instskip(SKIP_2) | instid1(SALU_CYCLE_2)
	s_cvt_f32_u32 s13, s10
	s_cvt_f32_u32 s14, s11
	s_sub_nc_u64 s[18:19], 0, s[10:11]
	s_fmamk_f32 s13, s14, 0x4f800000, s13
	s_delay_alu instid0(SALU_CYCLE_3) | instskip(NEXT) | instid1(TRANS32_DEP_1)
	v_s_rcp_f32 s13, s13
	s_mul_f32 s13, s13, 0x5f7ffffc
	s_wait_alu 0xfffe
	s_delay_alu instid0(SALU_CYCLE_2) | instskip(NEXT) | instid1(SALU_CYCLE_3)
	s_mul_f32 s14, s13, 0x2f800000
	s_trunc_f32 s14, s14
	s_delay_alu instid0(SALU_CYCLE_3) | instskip(SKIP_2) | instid1(SALU_CYCLE_1)
	s_fmamk_f32 s13, s14, 0xcf800000, s13
	s_cvt_u32_f32 s15, s14
	s_wait_alu 0xfffe
	s_cvt_u32_f32 s14, s13
	s_delay_alu instid0(SALU_CYCLE_3) | instskip(NEXT) | instid1(SALU_CYCLE_1)
	s_mul_u64 s[20:21], s[18:19], s[14:15]
	s_mul_hi_u32 s23, s14, s21
	s_mul_i32 s22, s14, s21
	s_mul_hi_u32 s16, s14, s20
	s_mul_i32 s24, s15, s20
	s_add_nc_u64 s[22:23], s[16:17], s[22:23]
	s_mul_hi_u32 s13, s15, s20
	s_mul_hi_u32 s25, s15, s21
	s_add_co_u32 s16, s22, s24
	s_wait_alu 0xfffe
	s_add_co_ci_u32 s16, s23, s13
	s_mul_i32 s20, s15, s21
	s_add_co_ci_u32 s21, s25, 0
	s_delay_alu instid0(SALU_CYCLE_1) | instskip(NEXT) | instid1(SALU_CYCLE_1)
	s_add_nc_u64 s[20:21], s[16:17], s[20:21]
	s_add_co_u32 s14, s14, s20
	s_cselect_b32 s13, -1, 0
	s_wait_alu 0xfffe
	s_cmp_lg_u32 s13, 0
	s_add_co_ci_u32 s15, s15, s21
	s_delay_alu instid0(SALU_CYCLE_1) | instskip(NEXT) | instid1(SALU_CYCLE_1)
	s_mul_u64 s[18:19], s[18:19], s[14:15]
	s_mul_hi_u32 s21, s14, s19
	s_mul_i32 s20, s14, s19
	s_mul_hi_u32 s16, s14, s18
	s_mul_i32 s22, s15, s18
	s_add_nc_u64 s[20:21], s[16:17], s[20:21]
	s_mul_hi_u32 s13, s15, s18
	s_mul_hi_u32 s23, s15, s19
	s_add_co_u32 s16, s20, s22
	s_wait_alu 0xfffe
	s_add_co_ci_u32 s16, s21, s13
	s_mul_i32 s18, s15, s19
	s_add_co_ci_u32 s19, s23, 0
	s_delay_alu instid0(SALU_CYCLE_1) | instskip(NEXT) | instid1(SALU_CYCLE_1)
	s_add_nc_u64 s[18:19], s[16:17], s[18:19]
	s_add_co_u32 s13, s14, s18
	s_cselect_b32 s14, -1, 0
	s_delay_alu instid0(SALU_CYCLE_1) | instskip(SKIP_2) | instid1(SALU_CYCLE_1)
	s_cmp_lg_u32 s14, 0
	s_add_co_ci_u32 s20, s15, s19
	s_xor_b64 s[14:15], s[2:3], 0
	s_mul_hi_u32 s19, s14, s20
	s_mul_i32 s18, s14, s20
	s_wait_alu 0xfffe
	s_mul_hi_u32 s16, s14, s13
	s_mul_hi_u32 s22, s15, s13
	s_mul_i32 s13, s15, s13
	s_add_nc_u64 s[18:19], s[16:17], s[18:19]
	s_mul_hi_u32 s21, s15, s20
	s_wait_alu 0xfffe
	s_add_co_u32 s13, s18, s13
	s_add_co_ci_u32 s16, s19, s22
	s_mul_i32 s20, s15, s20
	s_add_co_ci_u32 s21, s21, 0
	s_delay_alu instid0(SALU_CYCLE_1) | instskip(NEXT) | instid1(SALU_CYCLE_1)
	s_add_nc_u64 s[18:19], s[16:17], s[20:21]
	s_mul_u64 s[20:21], s[10:11], s[18:19]
	s_delay_alu instid0(SALU_CYCLE_1)
	s_sub_co_u32 s13, s14, s20
	s_cselect_b32 s14, -1, 0
	s_sub_co_i32 s16, s15, s21
	s_cmp_lg_u32 s14, 0
	s_sub_co_ci_u32 s16, s16, s11
	s_wait_alu 0xfffe
	s_sub_co_u32 s20, s13, s10
	s_cselect_b32 s22, -1, 0
	s_delay_alu instid0(SALU_CYCLE_1) | instskip(SKIP_2) | instid1(SALU_CYCLE_1)
	s_cmp_lg_u32 s22, 0
	s_add_nc_u64 s[22:23], s[18:19], 1
	s_sub_co_ci_u32 s16, s16, 0
	s_cmp_ge_u32 s16, s11
	s_cselect_b32 s24, -1, 0
	s_cmp_ge_u32 s20, s10
	s_cselect_b32 s20, -1, 0
	s_cmp_eq_u32 s16, s11
	s_cselect_b32 s16, s20, s24
	s_add_nc_u64 s[24:25], s[18:19], 2
	s_cmp_lg_u32 s16, 0
	s_cselect_b32 s16, s24, s22
	s_cselect_b32 s20, s25, s23
	s_cmp_lg_u32 s14, 0
	s_sub_co_ci_u32 s14, s15, s21
	s_delay_alu instid0(SALU_CYCLE_1)
	s_cmp_ge_u32 s14, s11
	s_cselect_b32 s15, -1, 0
	s_cmp_ge_u32 s13, s10
	s_cselect_b32 s10, -1, 0
	s_cmp_eq_u32 s14, s11
	s_cselect_b32 s10, s10, s15
	s_delay_alu instid0(SALU_CYCLE_1) | instskip(SKIP_3) | instid1(SALU_CYCLE_1)
	s_cmp_lg_u32 s10, 0
	s_cselect_b32 s11, s20, s19
	s_cselect_b32 s10, s16, s18
	s_xor_b64 s[8:9], 0, s[8:9]
	s_xor_b64 s[10:11], s[10:11], s[8:9]
	s_delay_alu instid0(SALU_CYCLE_1)
	s_sub_nc_u64 s[14:15], s[10:11], s[8:9]
	s_cbranch_execnz .LBB22_4
.LBB22_3:
	v_cvt_f32_u32_e32 v1, s6
	s_sub_co_i32 s9, 0, s6
	s_mov_b32 s15, 0
	s_delay_alu instid0(VALU_DEP_1) | instskip(NEXT) | instid1(TRANS32_DEP_1)
	v_rcp_iflag_f32_e32 v1, v1
	v_mul_f32_e32 v1, 0x4f7ffffe, v1
	s_delay_alu instid0(VALU_DEP_1) | instskip(NEXT) | instid1(VALU_DEP_1)
	v_cvt_u32_f32_e32 v1, v1
	v_readfirstlane_b32 s8, v1
	s_mul_i32 s9, s9, s8
	s_delay_alu instid0(SALU_CYCLE_1) | instskip(NEXT) | instid1(SALU_CYCLE_1)
	s_mul_hi_u32 s9, s8, s9
	s_add_co_i32 s8, s8, s9
	s_delay_alu instid0(SALU_CYCLE_1) | instskip(NEXT) | instid1(SALU_CYCLE_1)
	s_mul_hi_u32 s8, s26, s8
	s_mul_i32 s9, s8, s6
	s_add_co_i32 s10, s8, 1
	s_sub_co_i32 s9, s26, s9
	s_delay_alu instid0(SALU_CYCLE_1)
	s_sub_co_i32 s11, s9, s6
	s_cmp_ge_u32 s9, s6
	s_cselect_b32 s8, s10, s8
	s_cselect_b32 s9, s11, s9
	s_add_co_i32 s10, s8, 1
	s_cmp_ge_u32 s9, s6
	s_cselect_b32 s14, s10, s8
.LBB22_4:
	s_delay_alu instid0(SALU_CYCLE_1) | instskip(SKIP_1) | instid1(SALU_CYCLE_1)
	s_or_b64 s[8:9], s[14:15], s[4:5]
	s_mov_b32 s8, 0
	s_cmp_lg_u64 s[8:9], 0
	s_cbranch_scc0 .LBB22_19
; %bb.5:
	s_ashr_i32 s10, s5, 31
	s_mov_b32 s23, s8
	s_mov_b32 s11, s10
	;; [unrolled: 1-line block ×3, first 2 shown]
	s_add_nc_u64 s[16:17], s[4:5], s[10:11]
	s_delay_alu instid0(SALU_CYCLE_1) | instskip(NEXT) | instid1(SALU_CYCLE_1)
	s_xor_b64 s[16:17], s[16:17], s[10:11]
	s_cvt_f32_u32 s9, s16
	s_cvt_f32_u32 s13, s17
	s_sub_nc_u64 s[20:21], 0, s[16:17]
	s_wait_alu 0xfffe
	s_delay_alu instid0(SALU_CYCLE_1) | instskip(NEXT) | instid1(SALU_CYCLE_3)
	s_fmamk_f32 s9, s13, 0x4f800000, s9
	v_s_rcp_f32 s9, s9
	s_delay_alu instid0(TRANS32_DEP_1) | instskip(SKIP_1) | instid1(SALU_CYCLE_2)
	s_mul_f32 s9, s9, 0x5f7ffffc
	s_wait_alu 0xfffe
	s_mul_f32 s13, s9, 0x2f800000
	s_wait_alu 0xfffe
	s_delay_alu instid0(SALU_CYCLE_2) | instskip(SKIP_1) | instid1(SALU_CYCLE_2)
	s_trunc_f32 s13, s13
	s_wait_alu 0xfffe
	s_fmamk_f32 s9, s13, 0xcf800000, s9
	s_cvt_u32_f32 s19, s13
	s_wait_alu 0xfffe
	s_delay_alu instid0(SALU_CYCLE_1) | instskip(NEXT) | instid1(SALU_CYCLE_3)
	s_cvt_u32_f32 s18, s9
	s_mul_u64 s[24:25], s[20:21], s[18:19]
	s_delay_alu instid0(SALU_CYCLE_1)
	s_mul_hi_u32 s31, s18, s25
	s_mul_i32 s30, s18, s25
	s_mul_hi_u32 s22, s18, s24
	s_mul_i32 s13, s19, s24
	s_add_nc_u64 s[22:23], s[22:23], s[30:31]
	s_mul_hi_u32 s9, s19, s24
	s_mul_hi_u32 s33, s19, s25
	s_wait_alu 0xfffe
	s_add_co_u32 s13, s22, s13
	s_add_co_ci_u32 s28, s23, s9
	s_mul_i32 s24, s19, s25
	s_add_co_ci_u32 s25, s33, 0
	s_delay_alu instid0(SALU_CYCLE_1)
	s_add_nc_u64 s[22:23], s[28:29], s[24:25]
	s_mov_b32 s25, s8
	s_add_co_u32 s18, s18, s22
	s_cselect_b32 s9, -1, 0
	s_wait_alu 0xfffe
	s_cmp_lg_u32 s9, 0
	s_add_co_ci_u32 s19, s19, s23
	s_mov_b32 s23, s8
	s_mul_u64 s[20:21], s[20:21], s[18:19]
	s_delay_alu instid0(SALU_CYCLE_1)
	s_mul_hi_u32 s29, s18, s21
	s_mul_i32 s28, s18, s21
	s_mul_hi_u32 s22, s18, s20
	s_mul_i32 s13, s19, s20
	s_add_nc_u64 s[22:23], s[22:23], s[28:29]
	s_mul_hi_u32 s9, s19, s20
	s_mul_hi_u32 s30, s19, s21
	s_wait_alu 0xfffe
	s_add_co_u32 s13, s22, s13
	s_add_co_ci_u32 s24, s23, s9
	s_mul_i32 s20, s19, s21
	s_add_co_ci_u32 s21, s30, 0
	s_mov_b32 s23, s8
	s_add_nc_u64 s[20:21], s[24:25], s[20:21]
	s_delay_alu instid0(SALU_CYCLE_1)
	s_add_co_u32 s9, s18, s20
	s_cselect_b32 s13, -1, 0
	s_wait_alu 0xfffe
	s_cmp_lg_u32 s13, 0
	s_add_co_ci_u32 s13, s19, s21
	s_ashr_i32 s18, s15, 31
	s_delay_alu instid0(SALU_CYCLE_1) | instskip(NEXT) | instid1(SALU_CYCLE_1)
	s_mov_b32 s19, s18
	s_add_nc_u64 s[20:21], s[14:15], s[18:19]
	s_delay_alu instid0(SALU_CYCLE_1)
	s_xor_b64 s[20:21], s[20:21], s[18:19]
	s_wait_alu 0xfffe
	s_mul_hi_u32 s29, s20, s13
	s_mul_i32 s28, s20, s13
	s_mul_hi_u32 s22, s20, s9
	s_mul_hi_u32 s24, s21, s9
	s_mul_i32 s9, s21, s9
	s_add_nc_u64 s[22:23], s[22:23], s[28:29]
	s_mul_hi_u32 s30, s21, s13
	s_wait_alu 0xfffe
	s_add_co_u32 s9, s22, s9
	s_add_co_ci_u32 s24, s23, s24
	s_mul_i32 s28, s21, s13
	s_add_co_ci_u32 s29, s30, 0
	s_delay_alu instid0(SALU_CYCLE_1) | instskip(NEXT) | instid1(SALU_CYCLE_1)
	s_add_nc_u64 s[22:23], s[24:25], s[28:29]
	s_mul_u64 s[24:25], s[16:17], s[22:23]
	s_delay_alu instid0(SALU_CYCLE_1)
	s_sub_co_u32 s9, s20, s24
	s_cselect_b32 s13, -1, 0
	s_sub_co_i32 s20, s21, s25
	s_wait_alu 0xfffe
	s_cmp_lg_u32 s13, 0
	s_sub_co_ci_u32 s20, s20, s17
	s_sub_co_u32 s24, s9, s16
	s_cselect_b32 s28, -1, 0
	s_delay_alu instid0(SALU_CYCLE_1) | instskip(SKIP_2) | instid1(SALU_CYCLE_1)
	s_cmp_lg_u32 s28, 0
	s_add_nc_u64 s[28:29], s[22:23], 1
	s_sub_co_ci_u32 s20, s20, 0
	s_cmp_ge_u32 s20, s17
	s_cselect_b32 s30, -1, 0
	s_cmp_ge_u32 s24, s16
	s_cselect_b32 s24, -1, 0
	s_cmp_eq_u32 s20, s17
	s_cselect_b32 s20, s24, s30
	s_add_nc_u64 s[30:31], s[22:23], 2
	s_cmp_lg_u32 s20, 0
	s_cselect_b32 s20, s30, s28
	s_cselect_b32 s24, s31, s29
	s_cmp_lg_u32 s13, 0
	s_sub_co_ci_u32 s13, s21, s25
	s_wait_alu 0xfffe
	s_cmp_ge_u32 s13, s17
	s_cselect_b32 s21, -1, 0
	s_cmp_ge_u32 s9, s16
	s_cselect_b32 s9, -1, 0
	s_cmp_eq_u32 s13, s17
	s_wait_alu 0xfffe
	s_cselect_b32 s9, s9, s21
	s_wait_alu 0xfffe
	s_cmp_lg_u32 s9, 0
	s_cselect_b32 s17, s24, s23
	s_cselect_b32 s16, s20, s22
	s_xor_b64 s[10:11], s[18:19], s[10:11]
	s_delay_alu instid0(SALU_CYCLE_1) | instskip(NEXT) | instid1(SALU_CYCLE_1)
	s_xor_b64 s[16:17], s[16:17], s[10:11]
	s_sub_nc_u64 s[16:17], s[16:17], s[10:11]
	s_load_b128 s[28:31], s[0:1], 0x1d0
	s_and_not1_b32 vcc_lo, exec_lo, s8
	s_cbranch_vccnz .LBB22_7
.LBB22_6:
	v_cvt_f32_u32_e32 v1, s4
	s_sub_co_i32 s9, 0, s4
	s_mov_b32 s17, 0
	s_delay_alu instid0(VALU_DEP_1) | instskip(NEXT) | instid1(TRANS32_DEP_1)
	v_rcp_iflag_f32_e32 v1, v1
	v_mul_f32_e32 v1, 0x4f7ffffe, v1
	s_delay_alu instid0(VALU_DEP_1) | instskip(NEXT) | instid1(VALU_DEP_1)
	v_cvt_u32_f32_e32 v1, v1
	v_readfirstlane_b32 s8, v1
	s_wait_alu 0xfffe
	s_mul_i32 s9, s9, s8
	s_wait_alu 0xfffe
	s_mul_hi_u32 s9, s8, s9
	s_wait_alu 0xfffe
	s_add_co_i32 s8, s8, s9
	s_wait_alu 0xfffe
	s_mul_hi_u32 s8, s14, s8
	s_wait_alu 0xfffe
	s_mul_i32 s9, s8, s4
	s_add_co_i32 s10, s8, 1
	s_wait_alu 0xfffe
	s_sub_co_i32 s9, s14, s9
	s_wait_alu 0xfffe
	s_sub_co_i32 s11, s9, s4
	s_cmp_ge_u32 s9, s4
	s_cselect_b32 s8, s10, s8
	s_cselect_b32 s9, s11, s9
	s_wait_alu 0xfffe
	s_add_co_i32 s10, s8, 1
	s_cmp_ge_u32 s9, s4
	s_cselect_b32 s16, s10, s8
.LBB22_7:
	s_mov_b32 s8, 0
	s_wait_kmcnt 0x0
	s_mov_b32 s9, s31
	s_wait_alu 0xfffe
	s_cmp_lg_u64 s[8:9], 0
	s_cbranch_scc0 .LBB22_20
; %bb.8:
	s_ashr_i32 s10, s31, 31
	s_mov_b32 s25, s8
	s_mov_b32 s11, s10
	;; [unrolled: 1-line block ×3, first 2 shown]
	s_add_nc_u64 s[18:19], s[30:31], s[10:11]
	s_delay_alu instid0(SALU_CYCLE_1) | instskip(NEXT) | instid1(SALU_CYCLE_1)
	s_xor_b64 s[18:19], s[18:19], s[10:11]
	s_cvt_f32_u32 s9, s18
	s_cvt_f32_u32 s13, s19
	s_sub_nc_u64 s[22:23], 0, s[18:19]
	s_wait_alu 0xfffe
	s_delay_alu instid0(SALU_CYCLE_1) | instskip(SKIP_1) | instid1(SALU_CYCLE_2)
	s_fmamk_f32 s9, s13, 0x4f800000, s9
	s_wait_alu 0xfffe
	v_s_rcp_f32 s9, s9
	s_delay_alu instid0(TRANS32_DEP_1) | instskip(SKIP_1) | instid1(SALU_CYCLE_2)
	s_mul_f32 s9, s9, 0x5f7ffffc
	s_wait_alu 0xfffe
	s_mul_f32 s13, s9, 0x2f800000
	s_wait_alu 0xfffe
	s_delay_alu instid0(SALU_CYCLE_2) | instskip(SKIP_1) | instid1(SALU_CYCLE_2)
	s_trunc_f32 s13, s13
	s_wait_alu 0xfffe
	s_fmamk_f32 s9, s13, 0xcf800000, s9
	s_cvt_u32_f32 s21, s13
	s_wait_alu 0xfffe
	s_delay_alu instid0(SALU_CYCLE_1) | instskip(NEXT) | instid1(SALU_CYCLE_3)
	s_cvt_u32_f32 s20, s9
	s_mul_u64 s[34:35], s[22:23], s[20:21]
	s_delay_alu instid0(SALU_CYCLE_1)
	s_mul_hi_u32 s45, s20, s35
	s_mul_i32 s44, s20, s35
	s_mul_hi_u32 s24, s20, s34
	s_mul_i32 s13, s21, s34
	s_add_nc_u64 s[24:25], s[24:25], s[44:45]
	s_mul_hi_u32 s9, s21, s34
	s_mul_hi_u32 s33, s21, s35
	s_wait_alu 0xfffe
	s_add_co_u32 s13, s24, s13
	s_add_co_ci_u32 s40, s25, s9
	s_mul_i32 s34, s21, s35
	s_add_co_ci_u32 s35, s33, 0
	s_wait_alu 0xfffe
	s_add_nc_u64 s[24:25], s[40:41], s[34:35]
	s_mov_b32 s35, s8
	s_add_co_u32 s20, s20, s24
	s_cselect_b32 s9, -1, 0
	s_wait_alu 0xfffe
	s_cmp_lg_u32 s9, 0
	s_add_co_ci_u32 s21, s21, s25
	s_mov_b32 s25, s8
	s_mul_u64 s[22:23], s[22:23], s[20:21]
	s_delay_alu instid0(SALU_CYCLE_1)
	s_mul_hi_u32 s41, s20, s23
	s_mul_i32 s40, s20, s23
	s_mul_hi_u32 s24, s20, s22
	s_mul_i32 s13, s21, s22
	s_wait_alu 0xfffe
	s_add_nc_u64 s[24:25], s[24:25], s[40:41]
	s_mul_hi_u32 s9, s21, s22
	s_mul_hi_u32 s33, s21, s23
	s_add_co_u32 s13, s24, s13
	s_wait_alu 0xfffe
	s_add_co_ci_u32 s34, s25, s9
	s_mul_i32 s22, s21, s23
	s_add_co_ci_u32 s23, s33, 0
	s_mov_b32 s25, s8
	s_add_nc_u64 s[22:23], s[34:35], s[22:23]
	s_delay_alu instid0(SALU_CYCLE_1)
	s_add_co_u32 s9, s20, s22
	s_cselect_b32 s13, -1, 0
	s_wait_alu 0xfffe
	s_cmp_lg_u32 s13, 0
	s_add_co_ci_u32 s13, s21, s23
	s_xor_b64 s[20:21], s[2:3], 0
	s_mov_b32 s23, s8
	s_wait_alu 0xfffe
	s_mul_hi_u32 s35, s20, s13
	s_mul_i32 s34, s20, s13
	s_mul_hi_u32 s24, s20, s9
	s_mul_hi_u32 s22, s21, s9
	s_mul_i32 s9, s21, s9
	s_add_nc_u64 s[24:25], s[24:25], s[34:35]
	s_mul_hi_u32 s33, s21, s13
	s_wait_alu 0xfffe
	s_add_co_u32 s9, s24, s9
	s_add_co_ci_u32 s22, s25, s22
	s_mul_i32 s34, s21, s13
	s_add_co_ci_u32 s35, s33, 0
	s_delay_alu instid0(SALU_CYCLE_1) | instskip(NEXT) | instid1(SALU_CYCLE_1)
	s_add_nc_u64 s[22:23], s[22:23], s[34:35]
	s_mul_u64 s[24:25], s[18:19], s[22:23]
	s_add_nc_u64 s[34:35], s[22:23], 1
	s_sub_co_u32 s9, s20, s24
	s_cselect_b32 s13, -1, 0
	s_sub_co_i32 s20, s21, s25
	s_wait_alu 0xfffe
	s_cmp_lg_u32 s13, 0
	s_add_nc_u64 s[40:41], s[22:23], 2
	s_sub_co_ci_u32 s20, s20, s19
	s_sub_co_u32 s24, s9, s18
	s_cselect_b32 s33, -1, 0
	s_delay_alu instid0(SALU_CYCLE_1) | instskip(SKIP_1) | instid1(SALU_CYCLE_1)
	s_cmp_lg_u32 s33, 0
	s_sub_co_ci_u32 s20, s20, 0
	s_cmp_ge_u32 s20, s19
	s_cselect_b32 s33, -1, 0
	s_cmp_ge_u32 s24, s18
	s_cselect_b32 s24, -1, 0
	s_cmp_eq_u32 s20, s19
	s_cselect_b32 s20, s24, s33
	s_delay_alu instid0(SALU_CYCLE_1)
	s_cmp_lg_u32 s20, 0
	s_wait_alu 0xfffe
	s_cselect_b32 s20, s40, s34
	s_cselect_b32 s24, s41, s35
	s_cmp_lg_u32 s13, 0
	s_sub_co_ci_u32 s13, s21, s25
	s_wait_alu 0xfffe
	s_cmp_ge_u32 s13, s19
	s_cselect_b32 s21, -1, 0
	s_cmp_ge_u32 s9, s18
	s_cselect_b32 s9, -1, 0
	s_cmp_eq_u32 s13, s19
	s_wait_alu 0xfffe
	s_cselect_b32 s9, s9, s21
	s_wait_alu 0xfffe
	s_cmp_lg_u32 s9, 0
	s_cselect_b32 s19, s24, s23
	s_cselect_b32 s18, s20, s22
	s_xor_b64 s[10:11], 0, s[10:11]
	s_delay_alu instid0(SALU_CYCLE_1) | instskip(NEXT) | instid1(SALU_CYCLE_1)
	s_xor_b64 s[18:19], s[18:19], s[10:11]
	s_sub_nc_u64 s[34:35], s[18:19], s[10:11]
	s_and_not1_b32 vcc_lo, exec_lo, s8
	s_cbranch_vccnz .LBB22_10
.LBB22_9:
	v_cvt_f32_u32_e32 v1, s30
	s_sub_co_i32 s9, 0, s30
	s_mov_b32 s35, 0
	s_delay_alu instid0(VALU_DEP_1) | instskip(NEXT) | instid1(TRANS32_DEP_1)
	v_rcp_iflag_f32_e32 v1, v1
	v_mul_f32_e32 v1, 0x4f7ffffe, v1
	s_delay_alu instid0(VALU_DEP_1) | instskip(NEXT) | instid1(VALU_DEP_1)
	v_cvt_u32_f32_e32 v1, v1
	v_readfirstlane_b32 s8, v1
	s_wait_alu 0xfffe
	s_mul_i32 s9, s9, s8
	s_wait_alu 0xfffe
	s_mul_hi_u32 s9, s8, s9
	s_wait_alu 0xfffe
	s_add_co_i32 s8, s8, s9
	s_wait_alu 0xfffe
	s_mul_hi_u32 s8, s26, s8
	s_wait_alu 0xfffe
	s_mul_i32 s9, s8, s30
	s_add_co_i32 s10, s8, 1
	s_wait_alu 0xfffe
	s_sub_co_i32 s9, s26, s9
	s_wait_alu 0xfffe
	s_sub_co_i32 s11, s9, s30
	s_cmp_ge_u32 s9, s30
	s_cselect_b32 s8, s10, s8
	s_cselect_b32 s9, s11, s9
	s_wait_alu 0xfffe
	s_add_co_i32 s10, s8, 1
	s_cmp_ge_u32 s9, s30
	s_cselect_b32 s34, s10, s8
.LBB22_10:
	s_delay_alu instid0(SALU_CYCLE_1)
	s_or_b64 s[8:9], s[34:35], s[28:29]
	s_mov_b32 s8, 0
	s_wait_alu 0xfffe
	s_cmp_lg_u64 s[8:9], 0
	s_cbranch_scc0 .LBB22_21
; %bb.11:
	s_ashr_i32 s10, s29, 31
	s_mov_b32 s25, s8
	s_mov_b32 s11, s10
	;; [unrolled: 1-line block ×3, first 2 shown]
	s_add_nc_u64 s[18:19], s[28:29], s[10:11]
	s_delay_alu instid0(SALU_CYCLE_1) | instskip(NEXT) | instid1(SALU_CYCLE_1)
	s_xor_b64 s[18:19], s[18:19], s[10:11]
	s_cvt_f32_u32 s9, s18
	s_cvt_f32_u32 s13, s19
	s_sub_nc_u64 s[22:23], 0, s[18:19]
	s_wait_alu 0xfffe
	s_delay_alu instid0(SALU_CYCLE_1) | instskip(SKIP_1) | instid1(SALU_CYCLE_2)
	s_fmamk_f32 s9, s13, 0x4f800000, s9
	s_wait_alu 0xfffe
	v_s_rcp_f32 s9, s9
	s_delay_alu instid0(TRANS32_DEP_1) | instskip(SKIP_1) | instid1(SALU_CYCLE_2)
	s_mul_f32 s9, s9, 0x5f7ffffc
	s_wait_alu 0xfffe
	s_mul_f32 s13, s9, 0x2f800000
	s_wait_alu 0xfffe
	s_delay_alu instid0(SALU_CYCLE_2) | instskip(SKIP_1) | instid1(SALU_CYCLE_2)
	s_trunc_f32 s13, s13
	s_wait_alu 0xfffe
	s_fmamk_f32 s9, s13, 0xcf800000, s9
	s_cvt_u32_f32 s21, s13
	s_wait_alu 0xfffe
	s_delay_alu instid0(SALU_CYCLE_1) | instskip(NEXT) | instid1(SALU_CYCLE_3)
	s_cvt_u32_f32 s20, s9
	s_mul_u64 s[40:41], s[22:23], s[20:21]
	s_wait_alu 0xfffe
	s_mul_hi_u32 s47, s20, s41
	s_mul_i32 s46, s20, s41
	s_mul_hi_u32 s24, s20, s40
	s_mul_i32 s13, s21, s40
	s_add_nc_u64 s[24:25], s[24:25], s[46:47]
	s_mul_hi_u32 s9, s21, s40
	s_mul_hi_u32 s33, s21, s41
	s_wait_alu 0xfffe
	s_add_co_u32 s13, s24, s13
	s_add_co_ci_u32 s44, s25, s9
	s_mul_i32 s40, s21, s41
	s_add_co_ci_u32 s41, s33, 0
	s_wait_alu 0xfffe
	s_add_nc_u64 s[24:25], s[44:45], s[40:41]
	s_mov_b32 s41, s8
	s_add_co_u32 s20, s20, s24
	s_cselect_b32 s9, -1, 0
	s_wait_alu 0xfffe
	s_cmp_lg_u32 s9, 0
	s_add_co_ci_u32 s21, s21, s25
	s_mov_b32 s25, s8
	s_mul_u64 s[22:23], s[22:23], s[20:21]
	s_delay_alu instid0(SALU_CYCLE_1)
	s_mul_hi_u32 s45, s20, s23
	s_mul_i32 s44, s20, s23
	s_mul_hi_u32 s24, s20, s22
	s_mul_i32 s13, s21, s22
	s_add_nc_u64 s[24:25], s[24:25], s[44:45]
	s_mul_hi_u32 s9, s21, s22
	s_mul_hi_u32 s33, s21, s23
	s_wait_alu 0xfffe
	s_add_co_u32 s13, s24, s13
	s_add_co_ci_u32 s40, s25, s9
	s_mul_i32 s22, s21, s23
	s_add_co_ci_u32 s23, s33, 0
	s_mov_b32 s25, s8
	s_wait_alu 0xfffe
	s_add_nc_u64 s[22:23], s[40:41], s[22:23]
	s_delay_alu instid0(SALU_CYCLE_1)
	s_add_co_u32 s9, s20, s22
	s_cselect_b32 s13, -1, 0
	s_wait_alu 0xfffe
	s_cmp_lg_u32 s13, 0
	s_add_co_ci_u32 s13, s21, s23
	s_ashr_i32 s20, s35, 31
	s_delay_alu instid0(SALU_CYCLE_1) | instskip(NEXT) | instid1(SALU_CYCLE_1)
	s_mov_b32 s21, s20
	s_add_nc_u64 s[22:23], s[34:35], s[20:21]
	s_delay_alu instid0(SALU_CYCLE_1)
	s_xor_b64 s[22:23], s[22:23], s[20:21]
	s_wait_alu 0xfffe
	s_mul_hi_u32 s45, s22, s13
	s_mul_i32 s44, s22, s13
	s_mul_hi_u32 s24, s22, s9
	s_mul_hi_u32 s40, s23, s9
	s_mul_i32 s9, s23, s9
	s_add_nc_u64 s[24:25], s[24:25], s[44:45]
	s_mul_hi_u32 s33, s23, s13
	s_wait_alu 0xfffe
	s_add_co_u32 s9, s24, s9
	s_add_co_ci_u32 s40, s25, s40
	s_mul_i32 s44, s23, s13
	s_add_co_ci_u32 s45, s33, 0
	s_wait_alu 0xfffe
	s_add_nc_u64 s[24:25], s[40:41], s[44:45]
	s_delay_alu instid0(SALU_CYCLE_1)
	s_mul_u64 s[40:41], s[18:19], s[24:25]
	s_add_nc_u64 s[44:45], s[24:25], 1
	s_wait_alu 0xfffe
	s_sub_co_u32 s9, s22, s40
	s_cselect_b32 s13, -1, 0
	s_sub_co_i32 s22, s23, s41
	s_wait_alu 0xfffe
	s_cmp_lg_u32 s13, 0
	s_add_nc_u64 s[46:47], s[24:25], 2
	s_sub_co_ci_u32 s22, s22, s19
	s_sub_co_u32 s33, s9, s18
	s_cselect_b32 s40, -1, 0
	s_wait_alu 0xfffe
	s_cmp_lg_u32 s40, 0
	s_sub_co_ci_u32 s22, s22, 0
	s_delay_alu instid0(SALU_CYCLE_1)
	s_cmp_ge_u32 s22, s19
	s_cselect_b32 s40, -1, 0
	s_cmp_ge_u32 s33, s18
	s_cselect_b32 s33, -1, 0
	s_cmp_eq_u32 s22, s19
	s_wait_alu 0xfffe
	s_cselect_b32 s22, s33, s40
	s_delay_alu instid0(SALU_CYCLE_1)
	s_cmp_lg_u32 s22, 0
	s_cselect_b32 s22, s46, s44
	s_cselect_b32 s33, s47, s45
	s_cmp_lg_u32 s13, 0
	s_sub_co_ci_u32 s13, s23, s41
	s_wait_alu 0xfffe
	s_cmp_ge_u32 s13, s19
	s_cselect_b32 s23, -1, 0
	s_cmp_ge_u32 s9, s18
	s_cselect_b32 s9, -1, 0
	s_cmp_eq_u32 s13, s19
	s_wait_alu 0xfffe
	s_cselect_b32 s9, s9, s23
	s_wait_alu 0xfffe
	s_cmp_lg_u32 s9, 0
	s_cselect_b32 s19, s33, s25
	s_cselect_b32 s18, s22, s24
	s_xor_b64 s[10:11], s[20:21], s[10:11]
	s_delay_alu instid0(SALU_CYCLE_1) | instskip(NEXT) | instid1(SALU_CYCLE_1)
	s_xor_b64 s[18:19], s[18:19], s[10:11]
	s_sub_nc_u64 s[40:41], s[18:19], s[10:11]
	s_load_b128 s[44:47], s[0:1], 0x370
	s_and_not1_b32 vcc_lo, exec_lo, s8
	s_cbranch_vccnz .LBB22_13
.LBB22_12:
	v_cvt_f32_u32_e32 v1, s28
	s_sub_co_i32 s9, 0, s28
	s_mov_b32 s41, 0
	s_delay_alu instid0(VALU_DEP_1) | instskip(NEXT) | instid1(TRANS32_DEP_1)
	v_rcp_iflag_f32_e32 v1, v1
	v_mul_f32_e32 v1, 0x4f7ffffe, v1
	s_delay_alu instid0(VALU_DEP_1) | instskip(NEXT) | instid1(VALU_DEP_1)
	v_cvt_u32_f32_e32 v1, v1
	v_readfirstlane_b32 s8, v1
	s_wait_alu 0xfffe
	s_mul_i32 s9, s9, s8
	s_wait_alu 0xfffe
	s_mul_hi_u32 s9, s8, s9
	s_wait_alu 0xfffe
	s_add_co_i32 s8, s8, s9
	s_wait_alu 0xfffe
	s_mul_hi_u32 s8, s34, s8
	s_wait_alu 0xfffe
	s_mul_i32 s9, s8, s28
	s_add_co_i32 s10, s8, 1
	s_wait_alu 0xfffe
	s_sub_co_i32 s9, s34, s9
	s_wait_alu 0xfffe
	s_sub_co_i32 s11, s9, s28
	s_cmp_ge_u32 s9, s28
	s_cselect_b32 s8, s10, s8
	s_cselect_b32 s9, s11, s9
	s_wait_alu 0xfffe
	s_add_co_i32 s10, s8, 1
	s_cmp_ge_u32 s9, s28
	s_cselect_b32 s40, s10, s8
.LBB22_13:
	s_mov_b32 s8, 0
	s_wait_kmcnt 0x0
	s_mov_b32 s9, s47
	s_wait_alu 0xfffe
	s_cmp_lg_u64 s[8:9], 0
	s_cbranch_scc0 .LBB22_22
; %bb.14:
	s_ashr_i32 s10, s47, 31
	s_mov_b32 s25, s8
	s_mov_b32 s11, s10
	;; [unrolled: 1-line block ×3, first 2 shown]
	s_add_nc_u64 s[18:19], s[46:47], s[10:11]
	s_delay_alu instid0(SALU_CYCLE_1) | instskip(NEXT) | instid1(SALU_CYCLE_1)
	s_xor_b64 s[18:19], s[18:19], s[10:11]
	s_cvt_f32_u32 s9, s18
	s_cvt_f32_u32 s13, s19
	s_sub_nc_u64 s[22:23], 0, s[18:19]
	s_wait_alu 0xfffe
	s_delay_alu instid0(SALU_CYCLE_1) | instskip(SKIP_1) | instid1(SALU_CYCLE_2)
	s_fmamk_f32 s9, s13, 0x4f800000, s9
	s_wait_alu 0xfffe
	v_s_rcp_f32 s9, s9
	s_delay_alu instid0(TRANS32_DEP_1) | instskip(SKIP_1) | instid1(SALU_CYCLE_2)
	s_mul_f32 s9, s9, 0x5f7ffffc
	s_wait_alu 0xfffe
	s_mul_f32 s13, s9, 0x2f800000
	s_wait_alu 0xfffe
	s_delay_alu instid0(SALU_CYCLE_2) | instskip(SKIP_1) | instid1(SALU_CYCLE_2)
	s_trunc_f32 s13, s13
	s_wait_alu 0xfffe
	s_fmamk_f32 s9, s13, 0xcf800000, s9
	s_cvt_u32_f32 s21, s13
	s_wait_alu 0xfffe
	s_delay_alu instid0(SALU_CYCLE_1) | instskip(NEXT) | instid1(SALU_CYCLE_3)
	s_cvt_u32_f32 s20, s9
	s_mul_u64 s[48:49], s[22:23], s[20:21]
	s_delay_alu instid0(SALU_CYCLE_1)
	s_mul_hi_u32 s53, s20, s49
	s_mul_i32 s52, s20, s49
	s_mul_hi_u32 s24, s20, s48
	s_mul_i32 s13, s21, s48
	s_add_nc_u64 s[24:25], s[24:25], s[52:53]
	s_mul_hi_u32 s9, s21, s48
	s_mul_hi_u32 s33, s21, s49
	s_wait_alu 0xfffe
	s_add_co_u32 s13, s24, s13
	s_add_co_ci_u32 s50, s25, s9
	s_mul_i32 s48, s21, s49
	s_add_co_ci_u32 s49, s33, 0
	s_delay_alu instid0(SALU_CYCLE_1)
	s_add_nc_u64 s[24:25], s[50:51], s[48:49]
	s_mov_b32 s49, s8
	s_add_co_u32 s20, s20, s24
	s_cselect_b32 s9, -1, 0
	s_wait_alu 0xfffe
	s_cmp_lg_u32 s9, 0
	s_add_co_ci_u32 s21, s21, s25
	s_mov_b32 s25, s8
	s_mul_u64 s[22:23], s[22:23], s[20:21]
	s_delay_alu instid0(SALU_CYCLE_1)
	s_mul_hi_u32 s51, s20, s23
	s_mul_i32 s50, s20, s23
	s_mul_hi_u32 s24, s20, s22
	s_mul_i32 s13, s21, s22
	s_add_nc_u64 s[24:25], s[24:25], s[50:51]
	s_mul_hi_u32 s9, s21, s22
	s_mul_hi_u32 s33, s21, s23
	s_wait_alu 0xfffe
	s_add_co_u32 s13, s24, s13
	s_add_co_ci_u32 s48, s25, s9
	s_mul_i32 s22, s21, s23
	s_add_co_ci_u32 s23, s33, 0
	s_mov_b32 s25, s8
	s_add_nc_u64 s[22:23], s[48:49], s[22:23]
	s_delay_alu instid0(SALU_CYCLE_1)
	s_add_co_u32 s9, s20, s22
	s_cselect_b32 s13, -1, 0
	s_wait_alu 0xfffe
	s_cmp_lg_u32 s13, 0
	s_add_co_ci_u32 s13, s21, s23
	s_xor_b64 s[2:3], s[2:3], 0
	s_mov_b32 s21, s8
	s_wait_alu 0xfffe
	s_mul_hi_u32 s23, s2, s13
	s_mul_i32 s22, s2, s13
	s_mul_hi_u32 s24, s2, s9
	s_mul_hi_u32 s20, s3, s9
	s_mul_i32 s9, s3, s9
	s_add_nc_u64 s[22:23], s[24:25], s[22:23]
	s_mul_hi_u32 s33, s3, s13
	s_wait_alu 0xfffe
	s_add_co_u32 s9, s22, s9
	s_add_co_ci_u32 s20, s23, s20
	s_mul_i32 s24, s3, s13
	s_add_co_ci_u32 s25, s33, 0
	s_delay_alu instid0(SALU_CYCLE_1) | instskip(NEXT) | instid1(SALU_CYCLE_1)
	s_add_nc_u64 s[20:21], s[20:21], s[24:25]
	s_mul_u64 s[22:23], s[18:19], s[20:21]
	s_add_nc_u64 s[48:49], s[20:21], 2
	s_sub_co_u32 s2, s2, s22
	s_cselect_b32 s9, -1, 0
	s_sub_co_i32 s13, s3, s23
	s_wait_alu 0xfffe
	s_cmp_lg_u32 s9, 0
	s_sub_co_ci_u32 s13, s13, s19
	s_sub_co_u32 s22, s2, s18
	s_cselect_b32 s24, -1, 0
	s_delay_alu instid0(SALU_CYCLE_1)
	s_cmp_lg_u32 s24, 0
	s_add_nc_u64 s[24:25], s[20:21], 1
	s_wait_alu 0xfffe
	s_sub_co_ci_u32 s13, s13, 0
	s_wait_alu 0xfffe
	s_cmp_ge_u32 s13, s19
	s_cselect_b32 s33, -1, 0
	s_cmp_ge_u32 s22, s18
	s_cselect_b32 s22, -1, 0
	s_cmp_eq_u32 s13, s19
	s_cselect_b32 s13, s22, s33
	s_wait_alu 0xfffe
	s_cmp_lg_u32 s13, 0
	s_cselect_b32 s13, s48, s24
	s_cselect_b32 s22, s49, s25
	s_cmp_lg_u32 s9, 0
	s_sub_co_ci_u32 s3, s3, s23
	s_delay_alu instid0(SALU_CYCLE_1)
	s_cmp_ge_u32 s3, s19
	s_cselect_b32 s9, -1, 0
	s_cmp_ge_u32 s2, s18
	s_cselect_b32 s2, -1, 0
	s_cmp_eq_u32 s3, s19
	s_wait_alu 0xfffe
	s_cselect_b32 s2, s2, s9
	s_delay_alu instid0(SALU_CYCLE_1) | instskip(SKIP_3) | instid1(SALU_CYCLE_1)
	s_cmp_lg_u32 s2, 0
	s_cselect_b32 s3, s22, s21
	s_cselect_b32 s2, s13, s20
	s_xor_b64 s[10:11], 0, s[10:11]
	s_xor_b64 s[2:3], s[2:3], s[10:11]
	s_delay_alu instid0(SALU_CYCLE_1)
	s_sub_nc_u64 s[56:57], s[2:3], s[10:11]
	s_and_not1_b32 vcc_lo, exec_lo, s8
	s_cbranch_vccnz .LBB22_16
.LBB22_15:
	v_cvt_f32_u32_e32 v1, s46
	s_sub_co_i32 s3, 0, s46
	s_mov_b32 s57, 0
	s_delay_alu instid0(VALU_DEP_1) | instskip(NEXT) | instid1(TRANS32_DEP_1)
	v_rcp_iflag_f32_e32 v1, v1
	v_mul_f32_e32 v1, 0x4f7ffffe, v1
	s_delay_alu instid0(VALU_DEP_1) | instskip(NEXT) | instid1(VALU_DEP_1)
	v_cvt_u32_f32_e32 v1, v1
	v_readfirstlane_b32 s2, v1
	s_mul_i32 s3, s3, s2
	s_delay_alu instid0(SALU_CYCLE_1) | instskip(NEXT) | instid1(SALU_CYCLE_1)
	s_mul_hi_u32 s3, s2, s3
	s_add_co_i32 s2, s2, s3
	s_delay_alu instid0(SALU_CYCLE_1) | instskip(NEXT) | instid1(SALU_CYCLE_1)
	s_mul_hi_u32 s2, s26, s2
	s_mul_i32 s3, s2, s46
	s_add_co_i32 s8, s2, 1
	s_sub_co_i32 s3, s26, s3
	s_delay_alu instid0(SALU_CYCLE_1)
	s_sub_co_i32 s9, s3, s46
	s_cmp_ge_u32 s3, s46
	s_wait_alu 0xfffe
	s_cselect_b32 s2, s8, s2
	s_cselect_b32 s3, s9, s3
	s_add_co_i32 s8, s2, 1
	s_cmp_ge_u32 s3, s46
	s_wait_alu 0xfffe
	s_cselect_b32 s56, s8, s2
.LBB22_16:
	s_clause 0x1
	s_load_b64 s[18:19], s[0:1], 0xe0
	s_load_b128 s[8:11], s[0:1], 0xd0
	s_or_b64 s[2:3], s[56:57], s[44:45]
	s_mov_b32 s2, 0
	s_delay_alu instid0(SALU_CYCLE_1)
	s_cmp_lg_u64 s[2:3], 0
	s_cbranch_scc0 .LBB22_23
; %bb.17:
	s_ashr_i32 s20, s45, 31
	s_mov_b32 s51, s2
	s_mov_b32 s21, s20
	;; [unrolled: 1-line block ×3, first 2 shown]
	s_add_nc_u64 s[22:23], s[44:45], s[20:21]
	s_delay_alu instid0(SALU_CYCLE_1) | instskip(NEXT) | instid1(SALU_CYCLE_1)
	s_xor_b64 s[22:23], s[22:23], s[20:21]
	s_cvt_f32_u32 s3, s22
	s_cvt_f32_u32 s13, s23
	s_sub_nc_u64 s[48:49], 0, s[22:23]
	s_wait_alu 0xfffe
	s_delay_alu instid0(SALU_CYCLE_1) | instskip(NEXT) | instid1(SALU_CYCLE_3)
	s_fmamk_f32 s3, s13, 0x4f800000, s3
	v_s_rcp_f32 s3, s3
	s_delay_alu instid0(TRANS32_DEP_1) | instskip(SKIP_1) | instid1(SALU_CYCLE_2)
	s_mul_f32 s3, s3, 0x5f7ffffc
	s_wait_alu 0xfffe
	s_mul_f32 s13, s3, 0x2f800000
	s_wait_alu 0xfffe
	s_delay_alu instid0(SALU_CYCLE_2) | instskip(SKIP_1) | instid1(SALU_CYCLE_2)
	s_trunc_f32 s13, s13
	s_wait_alu 0xfffe
	s_fmamk_f32 s3, s13, 0xcf800000, s3
	s_cvt_u32_f32 s25, s13
	s_wait_alu 0xfffe
	s_delay_alu instid0(SALU_CYCLE_1) | instskip(NEXT) | instid1(SALU_CYCLE_3)
	s_cvt_u32_f32 s24, s3
	s_mul_u64 s[52:53], s[48:49], s[24:25]
	s_delay_alu instid0(SALU_CYCLE_1)
	s_mul_hi_u32 s59, s24, s53
	s_mul_i32 s58, s24, s53
	s_mul_hi_u32 s50, s24, s52
	s_mul_i32 s13, s25, s52
	s_add_nc_u64 s[50:51], s[50:51], s[58:59]
	s_mul_hi_u32 s3, s25, s52
	s_mul_hi_u32 s33, s25, s53
	s_wait_alu 0xfffe
	s_add_co_u32 s13, s50, s13
	s_add_co_ci_u32 s54, s51, s3
	s_mul_i32 s52, s25, s53
	s_add_co_ci_u32 s53, s33, 0
	s_delay_alu instid0(SALU_CYCLE_1)
	s_add_nc_u64 s[50:51], s[54:55], s[52:53]
	s_mov_b32 s53, s2
	s_add_co_u32 s24, s24, s50
	s_cselect_b32 s3, -1, 0
	s_wait_alu 0xfffe
	s_cmp_lg_u32 s3, 0
	s_add_co_ci_u32 s25, s25, s51
	s_mov_b32 s51, s2
	s_mul_u64 s[48:49], s[48:49], s[24:25]
	s_delay_alu instid0(SALU_CYCLE_1)
	s_mul_hi_u32 s55, s24, s49
	s_mul_i32 s54, s24, s49
	s_mul_hi_u32 s50, s24, s48
	s_mul_i32 s13, s25, s48
	s_add_nc_u64 s[50:51], s[50:51], s[54:55]
	s_mul_hi_u32 s3, s25, s48
	s_mul_hi_u32 s33, s25, s49
	s_wait_alu 0xfffe
	s_add_co_u32 s13, s50, s13
	s_add_co_ci_u32 s52, s51, s3
	s_mul_i32 s48, s25, s49
	s_add_co_ci_u32 s49, s33, 0
	s_mov_b32 s51, s2
	s_add_nc_u64 s[48:49], s[52:53], s[48:49]
	s_delay_alu instid0(SALU_CYCLE_1)
	s_add_co_u32 s3, s24, s48
	s_cselect_b32 s13, -1, 0
	s_wait_alu 0xfffe
	s_cmp_lg_u32 s13, 0
	s_add_co_ci_u32 s13, s25, s49
	s_ashr_i32 s24, s57, 31
	s_delay_alu instid0(SALU_CYCLE_1) | instskip(NEXT) | instid1(SALU_CYCLE_1)
	s_mov_b32 s25, s24
	s_add_nc_u64 s[48:49], s[56:57], s[24:25]
	s_delay_alu instid0(SALU_CYCLE_1)
	s_xor_b64 s[48:49], s[48:49], s[24:25]
	s_wait_alu 0xfffe
	s_mul_hi_u32 s55, s48, s13
	s_mul_i32 s54, s48, s13
	s_mul_hi_u32 s50, s48, s3
	s_mul_hi_u32 s52, s49, s3
	s_mul_i32 s3, s49, s3
	s_add_nc_u64 s[50:51], s[50:51], s[54:55]
	s_mul_hi_u32 s33, s49, s13
	s_wait_alu 0xfffe
	s_add_co_u32 s3, s50, s3
	s_add_co_ci_u32 s52, s51, s52
	s_mul_i32 s54, s49, s13
	s_add_co_ci_u32 s55, s33, 0
	s_delay_alu instid0(SALU_CYCLE_1) | instskip(NEXT) | instid1(SALU_CYCLE_1)
	s_add_nc_u64 s[50:51], s[52:53], s[54:55]
	s_mul_u64 s[52:53], s[22:23], s[50:51]
	s_add_nc_u64 s[54:55], s[50:51], 1
	s_sub_co_u32 s3, s48, s52
	s_cselect_b32 s13, -1, 0
	s_sub_co_i32 s33, s49, s53
	s_wait_alu 0xfffe
	s_cmp_lg_u32 s13, 0
	s_add_nc_u64 s[58:59], s[50:51], 2
	s_sub_co_ci_u32 s33, s33, s23
	s_sub_co_u32 s48, s3, s22
	s_cselect_b32 s52, -1, 0
	s_delay_alu instid0(SALU_CYCLE_1) | instskip(SKIP_1) | instid1(SALU_CYCLE_1)
	s_cmp_lg_u32 s52, 0
	s_sub_co_ci_u32 s33, s33, 0
	s_cmp_ge_u32 s33, s23
	s_cselect_b32 s52, -1, 0
	s_cmp_ge_u32 s48, s22
	s_cselect_b32 s48, -1, 0
	s_cmp_eq_u32 s33, s23
	s_cselect_b32 s33, s48, s52
	s_delay_alu instid0(SALU_CYCLE_1)
	s_cmp_lg_u32 s33, 0
	s_cselect_b32 s33, s58, s54
	s_cselect_b32 s48, s59, s55
	s_cmp_lg_u32 s13, 0
	s_sub_co_ci_u32 s13, s49, s53
	s_wait_alu 0xfffe
	s_cmp_ge_u32 s13, s23
	s_cselect_b32 s49, -1, 0
	s_cmp_ge_u32 s3, s22
	s_cselect_b32 s3, -1, 0
	s_cmp_eq_u32 s13, s23
	s_wait_alu 0xfffe
	s_cselect_b32 s3, s3, s49
	s_wait_alu 0xfffe
	s_cmp_lg_u32 s3, 0
	s_cselect_b32 s23, s48, s51
	s_cselect_b32 s22, s33, s50
	s_xor_b64 s[20:21], s[24:25], s[20:21]
	s_delay_alu instid0(SALU_CYCLE_1) | instskip(NEXT) | instid1(SALU_CYCLE_1)
	s_xor_b64 s[22:23], s[22:23], s[20:21]
	s_sub_nc_u64 s[62:63], s[22:23], s[20:21]
	s_branch .LBB22_24
.LBB22_18:
                                        ; implicit-def: $sgpr14_sgpr15
	s_branch .LBB22_3
.LBB22_19:
                                        ; implicit-def: $sgpr16_sgpr17
	s_load_b128 s[28:31], s[0:1], 0x1d0
	s_branch .LBB22_6
.LBB22_20:
                                        ; implicit-def: $sgpr34_sgpr35
	s_branch .LBB22_9
.LBB22_21:
                                        ; implicit-def: $sgpr40_sgpr41
	s_load_b128 s[44:47], s[0:1], 0x370
	s_branch .LBB22_12
.LBB22_22:
                                        ; implicit-def: $sgpr56_sgpr57
	s_branch .LBB22_15
.LBB22_23:
	s_mov_b32 s2, -1
                                        ; implicit-def: $sgpr62_sgpr63
.LBB22_24:
	s_load_b64 s[20:21], s[0:1], 0x440
                                        ; implicit-def: $vgpr52 : SGPR spill to VGPR lane
	s_and_not1_b32 vcc_lo, exec_lo, s2
	s_load_b128 s[52:55], s[0:1], 0x290
	s_wait_kmcnt 0x0
	v_writelane_b32 v52, s20, 0
	v_writelane_b32 v52, s21, 1
	s_load_b128 s[20:23], s[0:1], 0x430
	s_wait_kmcnt 0x0
	v_writelane_b32 v52, s20, 2
	v_writelane_b32 v52, s21, 3
	;; [unrolled: 1-line block ×4, first 2 shown]
	s_load_b64 s[20:21], s[0:1], 0x2a0
	s_wait_kmcnt 0x0
	v_writelane_b32 v52, s20, 6
	v_writelane_b32 v52, s21, 7
	s_cbranch_vccnz .LBB22_26
; %bb.25:
	v_cvt_f32_u32_e32 v1, s44
	s_sub_co_i32 s3, 0, s44
	s_mov_b32 s63, 0
	s_delay_alu instid0(VALU_DEP_1) | instskip(NEXT) | instid1(TRANS32_DEP_1)
	v_rcp_iflag_f32_e32 v1, v1
	v_mul_f32_e32 v1, 0x4f7ffffe, v1
	s_delay_alu instid0(VALU_DEP_1) | instskip(NEXT) | instid1(VALU_DEP_1)
	v_cvt_u32_f32_e32 v1, v1
	v_readfirstlane_b32 s2, v1
	s_wait_alu 0xfffe
	s_mul_i32 s3, s3, s2
	s_wait_alu 0xfffe
	s_mul_hi_u32 s3, s2, s3
	s_wait_alu 0xfffe
	s_add_co_i32 s2, s2, s3
	s_wait_alu 0xfffe
	s_mul_hi_u32 s2, s56, s2
	s_wait_alu 0xfffe
	s_mul_i32 s3, s2, s44
	s_add_co_i32 s13, s2, 1
	s_wait_alu 0xfffe
	s_sub_co_i32 s3, s56, s3
	s_wait_alu 0xfffe
	s_sub_co_i32 s20, s3, s44
	s_cmp_ge_u32 s3, s44
	s_cselect_b32 s2, s13, s2
	s_wait_alu 0xfffe
	s_cselect_b32 s3, s20, s3
	s_add_co_i32 s13, s2, 1
	s_wait_alu 0xfffe
	s_cmp_ge_u32 s3, s44
	s_cselect_b32 s62, s13, s2
.LBB22_26:
	s_load_b64 s[22:23], s[0:1], 0x0
	v_cmp_eq_u32_e64 s2, 0, v0
	s_add_nc_u64 s[20:21], s[0:1], 0x500
	s_mov_b32 s25, 0
	s_and_saveexec_b32 s3, s2
	s_cbranch_execz .LBB22_28
; %bb.27:
	v_dual_mov_b32 v1, 0 :: v_dual_mov_b32 v4, s37
	s_delay_alu instid0(VALU_DEP_1)
	v_dual_mov_b32 v3, s36 :: v_dual_mov_b32 v2, v1
	ds_store_b32 v1, v1 offset:5136
	ds_store_b128 v1, v[1:4] offset:5120
.LBB22_28:
	s_wait_alu 0xfffe
	s_or_b32 exec_lo, exec_lo, s3
	s_mul_u64 s[4:5], s[16:17], s[4:5]
	s_mul_u64 s[8:9], s[16:17], s[8:9]
	s_wait_alu 0xfffe
	s_sub_nc_u64 s[4:5], s[14:15], s[4:5]
	s_mul_u64 s[14:15], s[14:15], s[6:7]
	s_wait_alu 0xfffe
	s_mul_u64 s[4:5], s[4:5], s[10:11]
	s_lshl_b64 s[6:7], s[8:9], 2
	s_sub_nc_u64 s[10:11], s[26:27], s[14:15]
	s_wait_kmcnt 0x0
	s_wait_alu 0xfffe
	s_add_nc_u64 s[14:15], s[22:23], s[6:7]
	s_lshl_b64 s[8:9], s[4:5], 2
	s_mul_u64 s[4:5], s[10:11], s[18:19]
	s_wait_alu 0xfffe
	s_add_nc_u64 s[10:11], s[14:15], s[8:9]
	s_lshl_b64 s[14:15], s[4:5], 2
	s_clause 0x1
	s_load_b64 s[4:5], s[0:1], 0x360
	s_load_b64 s[0:1], s[0:1], 0x1c0
	s_wait_dscnt 0x0
	s_barrier_signal -1
	s_barrier_wait -1
	global_inv scope:SCOPE_SE
	v_dual_mov_b32 v46, 0 :: v_dual_lshlrev_b32 v37, 4, v0
	v_mbcnt_lo_u32_b32 v34, -1, 0
	v_mad_co_u64_u32 v[2:3], null, s42, v0, 0
	s_delay_alu instid0(VALU_DEP_3) | instskip(SKIP_1) | instid1(VALU_DEP_4)
	v_or_b32_e32 v9, 12, v37
	v_or_b32_e32 v11, 8, v37
	v_lshlrev_b64_e64 v[6:7], v34, -1
	v_or_b32_e32 v12, 4, v37
	v_cmp_gt_u32_e32 vcc_lo, 32, v0
	v_mad_co_u64_u32 v[18:19], null, s42, v9, 0
	v_mad_co_u64_u32 v[20:21], null, s42, v11, 0
	s_wait_kmcnt 0x0
	v_writelane_b32 v52, s4, 8
	v_dual_mov_b32 v1, v3 :: v_dual_lshlrev_b32 v14, 2, v0
	v_mad_co_u64_u32 v[22:23], null, s42, v12, 0
	v_writelane_b32 v52, s5, 9
	s_load_b32 s5, s[20:21], 0xc
	v_mov_b32_e32 v13, 0
	v_not_b32_e32 v36, v6
	v_mov_b32_e32 v6, v19
	v_writelane_b32 v52, s0, 10
	v_mov_b32_e32 v7, v21
	v_mad_co_u64_u32 v[3:4], null, s43, v0, v[1:2]
	s_add_nc_u64 s[72:73], s[10:11], s[14:15]
	v_writelane_b32 v52, s1, 11
	v_cmp_gt_i32_e64 s0, 4, v34
	v_mad_co_u64_u32 v[9:10], null, s43, v9, v[6:7]
	v_dual_mov_b32 v1, v13 :: v_dual_mov_b32 v8, v23
	s_delay_alu instid0(VALU_DEP_3)
	s_and_b32 s33, vcc_lo, s0
	v_lshlrev_b64_e32 v[4:5], 2, v[2:3]
	s_add_nc_u64 s[6:7], s[6:7], s[14:15]
	s_movk_i32 s10, 0x3e0
	v_mad_co_u64_u32 v[6:7], null, s43, v11, v[7:8]
	s_wait_kmcnt 0x0
	s_and_b32 s68, s5, 0xffff
	s_bfe_u32 s5, s5, 0xb0005
	s_cmp_gt_u32 s68, 31
	v_mad_co_u64_u32 v[7:8], null, s43, v12, v[8:9]
	s_cselect_b32 s101, -1, 0
	s_cmp_lt_u32 ttmp9, s12
	s_wait_alu 0xfffe
	s_add_nc_u64 s[6:7], s[6:7], s[8:9]
	s_cselect_b32 s24, 12, 18
	s_add_co_i32 s11, s5, -1
	s_bfe_u32 s102, s68, 0x30005
	s_and_b32 s11, s11, 0xffff
	v_add_co_u32 v16, vcc_lo, s72, v4
	s_cmp_gt_u32 s11, 6
	s_wait_alu 0xfffe
	s_add_nc_u64 s[78:79], s[22:23], s[6:7]
	s_cselect_b32 s103, -1, 0
	s_and_b32 s104, s5, 0x7f8
	s_cmp_lg_u32 s102, 0
	v_add_co_ci_u32_e64 v17, null, s73, v5, vcc_lo
	s_cselect_b32 vcc_hi, -1, 0
	s_lshl_b64 s[80:81], s[42:43], 2
	s_lshl_b64 s[82:83], s[42:43], 4
	v_mul_lo_u32 v44, 0, s80
	v_mul_lo_u32 v45, 0, s82
	v_add_co_u32 v41, s5, s36, v0
	v_add_co_u32 v10, vcc_lo, s78, v4
	v_dual_mov_b32 v28, s38 :: v_dual_add_nc_u32 v35, 0xc00, v14
	v_cmp_lt_i64_e64 s100, 0x300, s[36:37]
	v_cmp_gt_u64_e64 s4, s[36:37], v[0:1]
	v_cmp_gt_i64_e64 s0, s[36:37], v[0:1]
	s_mov_b32 s69, s25
	v_lshlrev_b64_e32 v[23:24], 4, v[2:3]
	v_cmp_eq_u32_e64 s1, 0, v34
	v_cmp_gt_u32_e64 s3, 2, v0
	v_dual_mov_b32 v15, v13 :: v_dual_mov_b32 v40, 0
	v_and_or_b32 v38, v0, s10, 0xc00
	v_mov_b32_e32 v19, v9
	v_mov_b32_e32 v21, v6
	;; [unrolled: 1-line block ×3, first 2 shown]
	s_wait_alu 0xf1ff
	v_add_co_ci_u32_e64 v42, null, s37, 0, s5
	v_lshl_or_b32 v43, v34, 3, 0xc00
	s_wait_alu 0xfffd
	v_add_co_ci_u32_e64 v11, null, s79, v5, vcc_lo
	v_mov_b32_e32 v29, s39
	v_mov_b32_e32 v25, 1
	;; [unrolled: 1-line block ×3, first 2 shown]
	s_add_nc_u64 s[74:75], s[68:69], -1
	s_mul_u64 s[6:7], s[42:43], s[68:69]
	s_add_nc_u64 s[76:77], s[74:75], s[36:37]
	s_wait_alu 0xfffe
	s_lshl_b64 s[70:71], s[6:7], 2
	s_lshl_b32 s58, s68, 2
	s_mov_b32 s59, 30
	s_add_nc_u64 s[38:39], s[20:21], s[24:25]
	s_mov_b32 s60, 0
	s_mov_b32 s61, 0
                                        ; implicit-def: $sgpr67
                                        ; implicit-def: $sgpr49
                                        ; implicit-def: $sgpr64
                                        ; implicit-def: $sgpr66
                                        ; implicit-def: $sgpr48
                                        ; implicit-def: $sgpr65
	s_branch .LBB22_32
.LBB22_29:                              ;   in Loop: Header=BB22_32 Depth=1
	s_wait_alu 0xfffe
	s_or_b32 exec_lo, exec_lo, s8
	s_delay_alu instid0(SALU_CYCLE_1)
	s_and_b32 s6, s6, exec_lo
	s_and_not1_b32 s22, s22, exec_lo
	s_and_not1_b32 s21, s21, exec_lo
	s_or_not1_b32 s18, s7, exec_lo
.LBB22_30:                              ;   in Loop: Header=BB22_32 Depth=1
	s_wait_alu 0xfffe
	s_or_b32 exec_lo, exec_lo, s5
	s_delay_alu instid0(SALU_CYCLE_1)
	s_and_not1_b32 s5, s65, exec_lo
	s_and_b32 s6, s6, exec_lo
	s_and_not1_b32 s7, s66, exec_lo
	s_wait_alu 0xfffe
	s_or_b32 s65, s5, s6
	s_and_not1_b32 s5, s48, exec_lo
	s_and_b32 s6, s22, exec_lo
	s_and_b32 s8, s21, exec_lo
	s_wait_alu 0xfffe
	s_or_b32 s48, s5, s6
	s_or_b32 s66, s7, s8
	s_or_not1_b32 s18, s18, exec_lo
.LBB22_31:                              ;   in Loop: Header=BB22_32 Depth=1
	s_wait_alu 0xfffe
	s_or_b32 exec_lo, exec_lo, s17
	s_delay_alu instid0(SALU_CYCLE_1)
	s_and_b32 s5, exec_lo, s18
	v_dual_mov_b32 v29, v7 :: v_dual_mov_b32 v28, v6
	s_wait_alu 0xfffe
	s_or_b32 s60, s5, s60
	s_and_not1_b32 s5, s64, exec_lo
	s_and_b32 s6, s65, exec_lo
	s_and_not1_b32 s7, s49, exec_lo
	s_wait_alu 0xfffe
	s_or_b32 s64, s5, s6
	s_and_b32 s5, s48, exec_lo
	s_and_not1_b32 s6, s67, exec_lo
	s_and_b32 s8, s66, exec_lo
	s_wait_alu 0xfffe
	s_or_b32 s49, s7, s5
	s_or_b32 s67, s6, s8
	s_and_not1_b32 exec_lo, exec_lo, s60
	s_cbranch_execz .LBB22_289
.LBB22_32:                              ; =>This Loop Header: Depth=1
                                        ;     Child Loop BB22_38 Depth 2
                                        ;     Child Loop BB22_51 Depth 2
	;; [unrolled: 1-line block ×16, first 2 shown]
	ds_load_b128 v[2:5], v13 offset:5120
	s_wait_dscnt 0x0
	v_readfirstlane_b32 s85, v3
	v_readfirstlane_b32 s84, v2
	s_wait_alu 0xf1ff
	s_delay_alu instid0(VALU_DEP_1)
	v_cmp_gt_i64_e64 s5, s[84:85], 0
	s_and_b32 vcc_lo, exec_lo, s5
	s_wait_alu 0xfffe
	s_cbranch_vccnz .LBB22_59
; %bb.33:                               ;   in Loop: Header=BB22_32 Depth=1
	s_and_b32 vcc_lo, exec_lo, s100
	s_wait_alu 0xfffe
	s_cbranch_vccz .LBB22_46
; %bb.34:                               ;   in Loop: Header=BB22_32 Depth=1
	v_cmp_gt_i64_e32 vcc_lo, 0x301, v[4:5]
	s_mov_b32 s7, 0
	s_mov_b32 s5, 0
	s_cbranch_vccz .LBB22_47
; %bb.35:                               ;   in Loop: Header=BB22_32 Depth=1
	s_and_saveexec_b32 s8, s4
	s_cbranch_execz .LBB22_93
; %bb.36:                               ;   in Loop: Header=BB22_32 Depth=1
	global_load_u16 v2, v13, s[38:39]
	global_load_b32 v7, v[16:17], off
	s_mov_b32 s9, 0
	s_wait_loadcnt 0x1
	v_and_b32_e32 v6, 0xffff, v2
	s_delay_alu instid0(VALU_DEP_1) | instskip(SKIP_2) | instid1(VALU_DEP_3)
	v_add_nc_u32_e32 v4, v0, v6
	v_mul_lo_u32 v5, v6, s81
	v_mul_hi_u32 v9, v6, s80
	v_mad_co_u64_u32 v[2:3], null, s80, v4, s[78:79]
	s_delay_alu instid0(VALU_DEP_1) | instskip(NEXT) | instid1(VALU_DEP_4)
	v_mad_co_u64_u32 v[3:4], null, s81, v4, v[3:4]
	v_add_nc_u32_e32 v4, v5, v44
	s_delay_alu instid0(VALU_DEP_1)
	v_add_nc_u32_e32 v9, v4, v9
	v_mov_b32_e32 v5, v1
	v_mul_lo_u32 v8, v6, s80
	v_mov_b32_e32 v4, v0
	s_branch .LBB22_38
.LBB22_37:                              ;   in Loop: Header=BB22_38 Depth=2
	s_wait_alu 0xfffe
	s_or_b32 exec_lo, exec_lo, s6
	v_add_co_u32 v2, vcc_lo, v2, v8
	s_wait_alu 0xfffd
	v_add_co_ci_u32_e64 v3, null, v3, v9, vcc_lo
	v_mov_b32_e32 v7, v12
	s_and_not1_b32 exec_lo, exec_lo, s9
	s_cbranch_execz .LBB22_93
.LBB22_38:                              ;   Parent Loop BB22_32 Depth=1
                                        ; =>  This Inner Loop Header: Depth=2
	s_delay_alu instid0(VALU_DEP_1)
	v_add_co_u32 v4, vcc_lo, v4, v6
	s_wait_alu 0xfffd
	v_add_co_ci_u32_e64 v5, null, 0, v5, vcc_lo
	s_wait_dscnt 0x0
	v_mov_b32_e32 v26, 0
	v_mov_b32_e32 v12, 0
	s_mov_b32 s6, exec_lo
	v_cmp_le_i64_e32 vcc_lo, s[36:37], v[4:5]
	v_cmpx_gt_i64_e64 s[36:37], v[4:5]
	s_cbranch_execz .LBB22_40
; %bb.39:                               ;   in Loop: Header=BB22_38 Depth=2
	global_load_b32 v12, v[2:3], off
.LBB22_40:                              ;   in Loop: Header=BB22_38 Depth=2
	s_wait_alu 0xfffe
	s_or_b32 exec_lo, exec_lo, s6
	s_wait_loadcnt 0x0
	v_xor_b32_e32 v30, 0x80000000, v7
	s_delay_alu instid0(VALU_DEP_1) | instskip(NEXT) | instid1(VALU_DEP_1)
	v_and_b32_e32 v30, v30, v46
	v_cmp_eq_u32_e64 s5, v30, v40
	s_cmp_lg_u32 s5, 0
	s_cselect_b32 s6, -1, 0
	s_wait_alu 0xfffe
	s_and_b32 s6, s1, s6
	s_wait_alu 0xfffe
	s_and_saveexec_b32 s10, s6
	s_cbranch_execz .LBB22_44
; %bb.41:                               ;   in Loop: Header=BB22_38 Depth=2
	s_mov_b32 s13, exec_lo
	s_bcnt1_i32_b32 s11, s5
	s_wait_alu 0xfffe
	v_mbcnt_lo_u32_b32 v26, s13, 0
	s_mov_b32 s12, exec_lo
                                        ; implicit-def: $vgpr30
	s_delay_alu instid0(VALU_DEP_1)
	v_cmpx_eq_u32_e32 0, v26
; %bb.42:                               ;   in Loop: Header=BB22_38 Depth=2
	s_bcnt1_i32_b32 s6, s13
	s_wait_alu 0xfffe
	s_mul_i32 s6, s11, s6
	s_wait_alu 0xfffe
	v_mov_b32_e32 v30, s6
	ds_add_rtn_u32 v30, v13, v30 offset:5136
; %bb.43:                               ;   in Loop: Header=BB22_38 Depth=2
	s_or_b32 exec_lo, exec_lo, s12
	s_wait_dscnt 0x0
	v_readfirstlane_b32 s6, v30
	s_wait_alu 0xf1ff
	s_delay_alu instid0(VALU_DEP_1)
	v_mad_u32_u24 v26, s11, v26, s6
.LBB22_44:                              ;   in Loop: Header=BB22_38 Depth=2
	s_wait_alu 0xfffe
	s_or_b32 exec_lo, exec_lo, s10
	ds_bpermute_b32 v26, v13, v26
	s_and_b32 s6, exec_lo, vcc_lo
	s_wait_alu 0xfffe
	s_or_b32 s9, s6, s9
	s_and_saveexec_b32 s6, s5
	s_cbranch_execz .LBB22_37
; %bb.45:                               ;   in Loop: Header=BB22_38 Depth=2
	v_and_b32_e32 v30, s5, v36
	s_delay_alu instid0(VALU_DEP_1) | instskip(NEXT) | instid1(VALU_DEP_1)
	v_bcnt_u32_b32 v30, v30, 0
	v_lshlrev_b32_e32 v30, 2, v30
	s_wait_dscnt 0x0
	s_delay_alu instid0(VALU_DEP_1)
	v_lshl_add_u32 v26, v26, 2, v30
	ds_store_b32 v26, v7
	s_branch .LBB22_37
.LBB22_46:                              ;   in Loop: Header=BB22_32 Depth=1
	s_mov_b32 s7, -1
	s_mov_b32 s5, 0
.LBB22_47:                              ;   in Loop: Header=BB22_32 Depth=1
	s_wait_alu 0xfffe
	s_and_b32 vcc_lo, exec_lo, s7
	s_wait_alu 0xfffe
	s_cbranch_vccz .LBB22_57
.LBB22_48:                              ;   in Loop: Header=BB22_32 Depth=1
	s_and_saveexec_b32 s6, s0
	s_cbranch_execz .LBB22_54
; %bb.49:                               ;   in Loop: Header=BB22_32 Depth=1
	global_load_u16 v2, v13, s[38:39]
	global_load_b32 v8, v[16:17], off
	s_mov_b32 s7, exec_lo
	s_wait_loadcnt 0x1
	v_dual_mov_b32 v2, v0 :: v_dual_and_b32 v9, 0xffff, v2
	s_delay_alu instid0(VALU_DEP_1) | instskip(NEXT) | instid1(VALU_DEP_1)
	v_add_nc_u32_e32 v12, v9, v0
	v_cmpx_gt_i64_e64 s[36:37], v[12:13]
	s_cbranch_execz .LBB22_53
; %bb.50:                               ;   in Loop: Header=BB22_32 Depth=1
	v_mul_lo_u32 v5, v9, s81
	v_mad_co_u64_u32 v[2:3], null, s80, v12, s[78:79]
	v_mul_hi_u32 v6, v9, s80
	v_mul_lo_u32 v26, v9, s80
	s_mov_b32 s8, 0
	s_delay_alu instid0(VALU_DEP_4) | instskip(NEXT) | instid1(VALU_DEP_4)
	v_add_nc_u32_e32 v7, v5, v44
	v_mad_co_u64_u32 v[3:4], null, s81, v12, v[3:4]
	v_dual_mov_b32 v4, v12 :: v_dual_mov_b32 v5, v13
	s_delay_alu instid0(VALU_DEP_3)
	v_dual_mov_b32 v7, v1 :: v_dual_add_nc_u32 v12, v7, v6
	v_mov_b32_e32 v6, v0
.LBB22_51:                              ;   Parent Loop BB22_32 Depth=1
                                        ; =>  This Inner Loop Header: Depth=2
	global_load_b32 v30, v[2:3], off
	v_dual_mov_b32 v32, v5 :: v_dual_mov_b32 v31, v4
	v_lshlrev_b32_e32 v6, 2, v6
	s_delay_alu instid0(VALU_DEP_2) | instskip(SKIP_1) | instid1(VALU_DEP_3)
	v_add_co_u32 v4, vcc_lo, v31, v9
	s_wait_alu 0xfffd
	v_add_co_ci_u32_e64 v5, null, 0, v32, vcc_lo
	v_add_co_u32 v2, vcc_lo, v2, v26
	s_wait_alu 0xfffd
	v_add_co_ci_u32_e64 v3, null, v3, v12, vcc_lo
	s_delay_alu instid0(VALU_DEP_3)
	v_cmp_le_i64_e64 s5, s[36:37], v[4:5]
	s_wait_loadcnt 0x1
	ds_store_b32 v6, v8
	v_dual_mov_b32 v6, v31 :: v_dual_mov_b32 v7, v32
	s_wait_alu 0xfffe
	s_or_b32 s8, s5, s8
	s_wait_loadcnt 0x0
	v_mov_b32_e32 v8, v30
	s_wait_alu 0xfffe
	s_and_not1_b32 exec_lo, exec_lo, s8
	s_cbranch_execnz .LBB22_51
; %bb.52:                               ;   in Loop: Header=BB22_32 Depth=1
	s_or_b32 exec_lo, exec_lo, s8
	v_sub_nc_u32_e32 v2, v4, v9
	v_mov_b32_e32 v8, v30
.LBB22_53:                              ;   in Loop: Header=BB22_32 Depth=1
	s_wait_alu 0xfffe
	s_or_b32 exec_lo, exec_lo, s7
	s_delay_alu instid0(VALU_DEP_2)
	v_lshlrev_b32_e32 v2, 2, v2
	s_wait_loadcnt 0x0
	ds_store_b32 v2, v8
.LBB22_54:                              ;   in Loop: Header=BB22_32 Depth=1
	s_wait_alu 0xfffe
	s_or_b32 exec_lo, exec_lo, s6
	s_wait_loadcnt_dscnt 0x0
	s_barrier_signal -1
	s_barrier_wait -1
	global_inv scope:SCOPE_SE
	s_and_saveexec_b32 s5, s2
; %bb.55:                               ;   in Loop: Header=BB22_32 Depth=1
	v_dual_mov_b32 v2, s36 :: v_dual_mov_b32 v3, s37
	ds_store_b64 v13, v[2:3] offset:5120
; %bb.56:                               ;   in Loop: Header=BB22_32 Depth=1
	s_wait_alu 0xfffe
	s_or_b32 exec_lo, exec_lo, s5
	s_mov_b32 s5, -1
	s_wait_loadcnt_dscnt 0x0
	s_barrier_signal -1
	s_barrier_wait -1
.LBB22_57:                              ;   in Loop: Header=BB22_32 Depth=1
	s_wait_alu 0xfffe
	s_and_b32 vcc_lo, exec_lo, s5
	s_wait_alu 0xfffe
	s_cbranch_vccz .LBB22_59
; %bb.58:                               ;   in Loop: Header=BB22_32 Depth=1
	s_wait_loadcnt 0x0
	global_inv scope:SCOPE_SE
	ds_load_b64 v[2:3], v13 offset:5120
	s_wait_dscnt 0x0
	v_readfirstlane_b32 s84, v2
.LBB22_59:                              ;   in Loop: Header=BB22_32 Depth=1
	s_delay_alu instid0(VALU_DEP_1)
	s_cmp_lt_i32 s84, 1
	s_mov_b32 s5, -1
                                        ; implicit-def: $vgpr2_vgpr3
                                        ; implicit-def: $vgpr6_vgpr7
	s_cbranch_scc1 .LBB22_69
; %bb.60:                               ;   in Loop: Header=BB22_32 Depth=1
	s_wait_alu 0xfffe
	s_and_b32 vcc_lo, exec_lo, s5
	s_wait_alu 0xfffe
	s_cbranch_vccnz .LBB22_83
.LBB22_61:                              ;   in Loop: Header=BB22_32 Depth=1
	s_lshl_b32 s5, s61, 7
	s_and_saveexec_b32 s6, s1
	s_cbranch_execz .LBB22_63
.LBB22_62:                              ;   in Loop: Header=BB22_32 Depth=1
	s_wait_alu 0xfffe
	v_lshl_add_u32 v12, s5, 3, v38
	ds_store_b128 v12, v[2:5]
	ds_store_b128 v12, v[6:9] offset:16
.LBB22_63:                              ;   in Loop: Header=BB22_32 Depth=1
	s_wait_alu 0xfffe
	s_or_b32 exec_lo, exec_lo, s6
	s_wait_loadcnt_dscnt 0x0
	s_barrier_signal -1
	s_barrier_wait -1
	global_inv scope:SCOPE_SE
	s_and_saveexec_b32 s6, s33
	s_cbranch_execz .LBB22_100
; %bb.64:                               ;   in Loop: Header=BB22_32 Depth=1
	v_mov_b32_e32 v2, 0
	v_mov_b32_e32 v3, 0
	s_and_not1_b32 vcc_lo, exec_lo, s101
	s_wait_alu 0xfffe
	s_cbranch_vccnz .LBB22_99
; %bb.65:                               ;   in Loop: Header=BB22_32 Depth=1
	v_mov_b32_e32 v2, 0
	v_mov_b32_e32 v3, 0
	s_and_not1_b32 vcc_lo, exec_lo, s103
	s_wait_alu 0xfffe
	s_cbranch_vccnz .LBB22_96
; %bb.66:                               ;   in Loop: Header=BB22_32 Depth=1
	v_lshl_add_u32 v4, s61, 10, v43
	s_mov_b32 s7, 0
.LBB22_67:                              ;   Parent Loop BB22_32 Depth=1
                                        ; =>  This Inner Loop Header: Depth=2
	ds_load_2addr_b64 v[5:8], v4 offset1:4
	ds_load_2addr_b64 v[30:33], v4 offset0:8 offset1:12
	ds_load_2addr_b64 v[47:50], v4 offset0:16 offset1:20
	s_wait_alu 0xfffe
	s_add_co_i32 s7, s7, 8
	s_wait_alu 0xfffe
	s_cmp_eq_u32 s104, s7
	s_wait_dscnt 0x2
	v_add_co_u32 v2, vcc_lo, v5, v2
	s_wait_alu 0xfffd
	v_add_co_ci_u32_e64 v3, null, v6, v3, vcc_lo
	s_delay_alu instid0(VALU_DEP_2) | instskip(SKIP_1) | instid1(VALU_DEP_2)
	v_add_co_u32 v2, vcc_lo, v7, v2
	s_wait_alu 0xfffd
	v_add_co_ci_u32_e64 v3, null, v8, v3, vcc_lo
	ds_load_2addr_b64 v[5:8], v4 offset0:24 offset1:28
	s_wait_dscnt 0x2
	v_add_co_u32 v2, vcc_lo, v30, v2
	s_wait_alu 0xfffd
	v_add_co_ci_u32_e64 v3, null, v31, v3, vcc_lo
	v_add_nc_u32_e32 v4, 0x100, v4
	s_delay_alu instid0(VALU_DEP_3) | instskip(SKIP_1) | instid1(VALU_DEP_3)
	v_add_co_u32 v2, vcc_lo, v32, v2
	s_wait_alu 0xfffd
	v_add_co_ci_u32_e64 v3, null, v33, v3, vcc_lo
	s_wait_dscnt 0x1
	s_delay_alu instid0(VALU_DEP_2) | instskip(SKIP_1) | instid1(VALU_DEP_2)
	v_add_co_u32 v2, vcc_lo, v47, v2
	s_wait_alu 0xfffd
	v_add_co_ci_u32_e64 v3, null, v48, v3, vcc_lo
	s_delay_alu instid0(VALU_DEP_2) | instskip(SKIP_1) | instid1(VALU_DEP_2)
	v_add_co_u32 v2, vcc_lo, v49, v2
	s_wait_alu 0xfffd
	v_add_co_ci_u32_e64 v3, null, v50, v3, vcc_lo
	s_wait_dscnt 0x0
	s_delay_alu instid0(VALU_DEP_2) | instskip(SKIP_1) | instid1(VALU_DEP_2)
	v_add_co_u32 v2, vcc_lo, v5, v2
	s_wait_alu 0xfffd
	v_add_co_ci_u32_e64 v3, null, v6, v3, vcc_lo
	s_delay_alu instid0(VALU_DEP_2) | instskip(SKIP_1) | instid1(VALU_DEP_2)
	v_add_co_u32 v2, vcc_lo, v7, v2
	s_wait_alu 0xfffd
	v_add_co_ci_u32_e64 v3, null, v8, v3, vcc_lo
	s_cbranch_scc0 .LBB22_67
; %bb.68:                               ;   in Loop: Header=BB22_32 Depth=1
	s_mov_b32 s7, s104
	s_and_not1_b32 vcc_lo, exec_lo, vcc_hi
	s_wait_alu 0xfffe
	s_cbranch_vccz .LBB22_97
	s_branch .LBB22_99
.LBB22_69:                              ;   in Loop: Header=BB22_32 Depth=1
	global_load_u16 v12, v13, s[38:39]
	s_mov_b32 s6, s25
	s_mov_b32 s7, s37
	s_wait_loadcnt 0x0
	v_readfirstlane_b32 s5, v12
	s_wait_alu 0xfffe
	s_and_b32 s5, 0xffff, s5
	s_wait_alu 0xfffe
	s_lshl_b32 s86, s5, 2
	s_cmp_lg_u64 s[6:7], 0
	s_cbranch_scc0 .LBB22_92
; %bb.70:                               ;   in Loop: Header=BB22_32 Depth=1
	s_mov_b32 s87, s25
	s_wait_alu 0xfffe
	s_add_nc_u64 s[6:7], s[86:87], 0
	s_wait_alu 0xfffe
	s_xor_b64 s[6:7], s[6:7], 0
	s_wait_alu 0xfffe
	s_cvt_f32_u32 s5, s6
	s_cvt_f32_u32 s8, s7
	s_sub_nc_u64 s[10:11], 0, s[6:7]
	s_wait_alu 0xfffe
	s_delay_alu instid0(SALU_CYCLE_1) | instskip(SKIP_1) | instid1(SALU_CYCLE_2)
	s_fmamk_f32 s5, s8, 0x4f800000, s5
	s_wait_alu 0xfffe
	v_s_rcp_f32 s5, s5
	s_delay_alu instid0(TRANS32_DEP_1) | instskip(SKIP_1) | instid1(SALU_CYCLE_2)
	s_mul_f32 s5, s5, 0x5f7ffffc
	s_wait_alu 0xfffe
	s_mul_f32 s8, s5, 0x2f800000
	s_wait_alu 0xfffe
	s_delay_alu instid0(SALU_CYCLE_2) | instskip(SKIP_1) | instid1(SALU_CYCLE_2)
	s_trunc_f32 s8, s8
	s_wait_alu 0xfffe
	s_fmamk_f32 s5, s8, 0xcf800000, s5
	s_cvt_u32_f32 s9, s8
	s_wait_alu 0xfffe
	s_delay_alu instid0(SALU_CYCLE_1) | instskip(SKIP_1) | instid1(SALU_CYCLE_2)
	s_cvt_u32_f32 s8, s5
	s_wait_alu 0xfffe
	s_mul_u64 s[12:13], s[10:11], s[8:9]
	s_wait_alu 0xfffe
	s_mul_hi_u32 s15, s8, s13
	s_mul_i32 s14, s8, s13
	s_mul_hi_u32 s24, s8, s12
	s_mul_i32 s16, s9, s12
	s_wait_alu 0xfffe
	s_add_nc_u64 s[14:15], s[24:25], s[14:15]
	s_mul_hi_u32 s5, s9, s12
	s_mul_hi_u32 s17, s9, s13
	s_mul_i32 s12, s9, s13
	s_wait_alu 0xfffe
	s_add_co_u32 s13, s14, s16
	s_add_co_ci_u32 s24, s15, s5
	s_add_co_ci_u32 s13, s17, 0
	s_wait_alu 0xfffe
	s_add_nc_u64 s[12:13], s[24:25], s[12:13]
	s_wait_alu 0xfffe
	s_add_co_u32 s8, s8, s12
	s_cselect_b32 s5, -1, 0
	s_wait_alu 0xfffe
	s_cmp_lg_u32 s5, 0
	s_add_co_ci_u32 s9, s9, s13
	s_wait_alu 0xfffe
	s_mul_u64 s[10:11], s[10:11], s[8:9]
	s_wait_alu 0xfffe
	s_mul_hi_u32 s13, s8, s11
	s_mul_i32 s12, s8, s11
	s_mul_hi_u32 s24, s8, s10
	s_mul_i32 s14, s9, s10
	s_wait_alu 0xfffe
	s_add_nc_u64 s[12:13], s[24:25], s[12:13]
	s_mul_hi_u32 s5, s9, s10
	s_mul_hi_u32 s15, s9, s11
	s_mul_i32 s10, s9, s11
	s_wait_alu 0xfffe
	s_add_co_u32 s11, s12, s14
	s_add_co_ci_u32 s24, s13, s5
	s_add_co_ci_u32 s11, s15, 0
	s_wait_alu 0xfffe
	s_add_nc_u64 s[10:11], s[24:25], s[10:11]
	s_wait_alu 0xfffe
	s_add_co_u32 s5, s8, s10
	s_cselect_b32 s8, -1, 0
	s_wait_alu 0xfffe
	s_cmp_lg_u32 s8, 0
	s_add_co_ci_u32 s14, s9, s11
	s_ashr_i32 s8, s37, 31
	s_wait_alu 0xfffe
	s_mov_b32 s9, s8
	s_wait_alu 0xfffe
	s_add_nc_u64 s[10:11], s[36:37], s[8:9]
	s_wait_alu 0xfffe
	s_xor_b64 s[10:11], s[10:11], s[8:9]
	s_wait_alu 0xfffe
	s_mul_hi_u32 s13, s10, s14
	s_mul_i32 s12, s10, s14
	s_mul_hi_u32 s24, s10, s5
	s_mul_hi_u32 s16, s11, s5
	s_mul_i32 s5, s11, s5
	s_wait_alu 0xfffe
	s_add_nc_u64 s[12:13], s[24:25], s[12:13]
	s_mul_hi_u32 s15, s11, s14
	s_wait_alu 0xfffe
	s_add_co_u32 s5, s12, s5
	s_add_co_ci_u32 s24, s13, s16
	s_mul_i32 s14, s11, s14
	s_add_co_ci_u32 s15, s15, 0
	s_wait_alu 0xfffe
	s_add_nc_u64 s[12:13], s[24:25], s[14:15]
	s_wait_alu 0xfffe
	s_mul_u64 s[12:13], s[6:7], s[12:13]
	s_wait_alu 0xfffe
	s_sub_co_u32 s5, s10, s12
	s_cselect_b32 s10, -1, 0
	s_sub_co_i32 s12, s11, s13
	s_wait_alu 0xfffe
	s_cmp_lg_u32 s10, 0
	s_sub_co_ci_u32 s12, s12, s7
	s_sub_co_u32 s14, s5, s6
	s_cselect_b32 s15, -1, 0
	s_wait_alu 0xfffe
	s_cmp_lg_u32 s15, 0
	s_sub_co_ci_u32 s16, s12, 0
	s_wait_alu 0xfffe
	s_cmp_ge_u32 s16, s7
	s_cselect_b32 s17, -1, 0
	s_cmp_ge_u32 s14, s6
	s_cselect_b32 s18, -1, 0
	s_cmp_eq_u32 s16, s7
	s_wait_alu 0xfffe
	s_cselect_b32 s17, s18, s17
	s_cmp_lg_u32 s15, 0
	s_sub_co_ci_u32 s12, s12, s7
	s_sub_co_u32 s15, s14, s6
	s_cselect_b32 s18, -1, 0
	s_wait_alu 0xfffe
	s_cmp_lg_u32 s18, 0
	s_sub_co_ci_u32 s12, s12, 0
	s_cmp_lg_u32 s17, 0
	s_cselect_b32 s14, s15, s14
	s_wait_alu 0xfffe
	s_cselect_b32 s12, s12, s16
	s_cmp_lg_u32 s10, 0
	s_sub_co_ci_u32 s10, s11, s13
	s_wait_alu 0xfffe
	s_cmp_ge_u32 s10, s7
	s_cselect_b32 s11, -1, 0
	s_cmp_ge_u32 s5, s6
	s_cselect_b32 s6, -1, 0
	s_cmp_eq_u32 s10, s7
	s_wait_alu 0xfffe
	s_cselect_b32 s6, s6, s11
	s_wait_alu 0xfffe
	s_cmp_lg_u32 s6, 0
	s_cselect_b32 s7, s12, s10
	s_cselect_b32 s6, s14, s5
	s_wait_alu 0xfffe
	s_xor_b64 s[6:7], s[6:7], s[8:9]
	s_wait_alu 0xfffe
	s_sub_nc_u64 s[88:89], s[6:7], s[8:9]
	s_cbranch_execnz .LBB22_72
.LBB22_71:                              ;   in Loop: Header=BB22_32 Depth=1
	s_wait_alu 0xfffe
	v_cvt_f32_u32_e32 v2, s86
	s_sub_co_i32 s6, 0, s86
	s_delay_alu instid0(VALU_DEP_1) | instskip(NEXT) | instid1(TRANS32_DEP_1)
	v_rcp_iflag_f32_e32 v2, v2
	v_mul_f32_e32 v2, 0x4f7ffffe, v2
	s_delay_alu instid0(VALU_DEP_1) | instskip(NEXT) | instid1(VALU_DEP_1)
	v_cvt_u32_f32_e32 v2, v2
	v_readfirstlane_b32 s5, v2
	s_wait_alu 0xfffe
	s_mul_i32 s6, s6, s5
	s_wait_alu 0xfffe
	s_mul_hi_u32 s6, s5, s6
	s_wait_alu 0xfffe
	s_add_co_i32 s5, s5, s6
	s_wait_alu 0xfffe
	s_mul_hi_u32 s5, s36, s5
	s_wait_alu 0xfffe
	s_mul_i32 s5, s5, s86
	s_wait_alu 0xfffe
	s_sub_co_i32 s5, s36, s5
	s_wait_alu 0xfffe
	s_sub_co_i32 s6, s5, s86
	s_cmp_ge_u32 s5, s86
	s_wait_alu 0xfffe
	s_cselect_b32 s5, s6, s5
	s_wait_alu 0xfffe
	s_sub_co_i32 s6, s5, s86
	s_cmp_ge_u32 s5, s86
	s_wait_alu 0xfffe
	s_cselect_b32 s24, s6, s5
	s_wait_alu 0xfffe
	s_mov_b64 s[88:89], s[24:25]
.LBB22_72:                              ;   in Loop: Header=BB22_32 Depth=1
	v_mov_b32_e32 v2, 0
	v_dual_mov_b32 v6, 0 :: v_dual_mov_b32 v3, 0
	v_dual_mov_b32 v4, 0 :: v_dual_mov_b32 v7, 0
	;; [unrolled: 1-line block ×3, first 2 shown]
	v_dual_mov_b32 v9, 0 :: v_dual_and_b32 v12, 0xffff, v12
	s_wait_alu 0xfffe
	s_sub_nc_u64 s[90:91], s[36:37], s[88:89]
	s_mov_b32 s50, exec_lo
	s_wait_alu 0xfffe
	v_cmpx_gt_i64_e64 s[90:91], v[14:15]
	s_cbranch_execz .LBB22_76
; %bb.73:                               ;   in Loop: Header=BB22_32 Depth=1
	v_mul_lo_u32 v2, v12, s83
	v_mul_hi_u32 v3, v12, s82
	v_mul_lo_u32 v26, v12, s82
	v_dual_mov_b32 v33, v15 :: v_dual_mov_b32 v32, v14
	s_mov_b64 s[92:93], 0
	s_mov_b32 s51, 0
	s_mov_b64 s[94:95], 0
	s_delay_alu instid0(VALU_DEP_4) | instskip(SKIP_3) | instid1(VALU_DEP_2)
	v_add_nc_u32_e32 v2, v2, v45
	v_dual_mov_b32 v30, s72 :: v_dual_mov_b32 v31, s73
	s_mov_b64 s[96:97], 0
	s_mov_b64 s[98:99], 0
	v_add_nc_u32_e32 v47, v2, v3
.LBB22_74:                              ;   Parent Loop BB22_32 Depth=1
                                        ; =>  This Inner Loop Header: Depth=2
	s_delay_alu instid0(VALU_DEP_2)
	v_add_co_u32 v2, vcc_lo, v30, v23
	s_wait_alu 0xfffd
	v_add_co_ci_u32_e64 v3, null, v31, v24, vcc_lo
	global_load_b32 v4, v[2:3], off
	v_add_co_u32 v2, vcc_lo, v30, v22
	s_wait_alu 0xfffd
	v_add_co_ci_u32_e64 v3, null, v31, v39, vcc_lo
	global_load_b32 v5, v[2:3], off
	;; [unrolled: 4-line block ×4, first 2 shown]
	s_wait_loadcnt 0x3
	v_xor_b32_e32 v3, 0x80000000, v4
	s_delay_alu instid0(VALU_DEP_1) | instskip(SKIP_1) | instid1(VALU_DEP_2)
	v_and_b32_e32 v4, v3, v46
	v_bfe_u32 v3, v3, s59, 2
	v_cmp_eq_u32_e32 vcc_lo, v4, v40
	s_wait_loadcnt 0x2
	v_xor_b32_e32 v4, 0x80000000, v5
	s_delay_alu instid0(VALU_DEP_3)
	v_cmp_eq_u32_e64 s8, 0, v3
	v_cmp_eq_u32_e64 s9, 1, v3
	;; [unrolled: 1-line block ×4, first 2 shown]
	v_and_b32_e32 v5, v4, v46
	v_bfe_u32 v3, v4, s59, 2
	s_and_b32 s8, vcc_lo, s8
	s_and_b32 s9, vcc_lo, s9
	;; [unrolled: 1-line block ×3, first 2 shown]
	v_cmp_eq_u32_e64 s5, v5, v40
	s_wait_loadcnt 0x1
	v_xor_b32_e32 v5, 0x80000000, v6
	v_cmp_eq_u32_e64 s12, 0, v3
	s_wait_loadcnt 0x0
	v_xor_b32_e32 v2, 0x80000000, v2
	v_cmp_eq_u32_e64 s13, 1, v3
	v_cmp_eq_u32_e64 s14, 2, v3
	v_and_b32_e32 v6, v5, v46
	v_cmp_eq_u32_e64 s15, 3, v3
	v_bfe_u32 v3, v5, s59, 2
	s_and_b32 s12, s5, s12
	s_and_b32 s13, s5, s13
	v_cmp_eq_u32_e64 s6, v6, v40
	v_and_b32_e32 v6, v2, v46
	v_bfe_u32 v2, v2, s59, 2
	v_cmp_eq_u32_e64 s16, 0, v3
	v_cmp_eq_u32_e64 s17, 1, v3
	;; [unrolled: 1-line block ×8, first 2 shown]
	s_wait_alu 0xfffe
	v_cndmask_b32_e64 v2, 0, 1, s8
	s_and_b32 s16, s6, s16
	s_and_b32 s20, s7, s20
	;; [unrolled: 1-line block ×4, first 2 shown]
	v_cmp_ne_u32_e64 s8, 0, v2
	v_cndmask_b32_e64 v2, 0, 1, s12
	s_and_b32 s14, s5, s14
	s_and_b32 s18, s6, s18
	;; [unrolled: 1-line block ×3, first 2 shown]
	s_and_b32 s11, vcc_lo, s11
	v_cmp_ne_u32_e64 s12, 0, v2
	s_wait_alu 0xfffe
	v_cndmask_b32_e64 v2, 0, 1, s16
	v_cmp_eq_u32_e64 s19, 3, v3
	s_and_b32 s5, s5, s15
	s_and_b32 s7, s7, s23
	v_add_co_u32 v30, s15, v30, v26
	v_cmp_ne_u32_e64 s16, 0, v2
	v_cndmask_b32_e64 v2, 0, 1, s20
	s_and_b32 s6, s6, s19
	s_bcnt1_i32_b32 s8, s8
	s_bcnt1_i32_b32 s12, s12
	v_add_co_ci_u32_e64 v31, null, v31, v47, s15
	v_cmp_ne_u32_e64 s20, 0, v2
	v_cndmask_b32_e64 v2, 0, 1, s9
	s_bcnt1_i32_b32 s15, s16
	s_wait_alu 0xfffe
	s_add_co_i32 s8, s12, s8
	s_bcnt1_i32_b32 s16, s20
	v_cmp_ne_u32_e64 s9, 0, v2
	v_cndmask_b32_e64 v2, 0, 1, s13
	s_wait_alu 0xfffe
	s_add_co_i32 s8, s8, s15
	s_wait_alu 0xfffe
	s_add_co_i32 s24, s8, s16
	s_bcnt1_i32_b32 s9, s9
	v_cmp_ne_u32_e64 s13, 0, v2
	v_cndmask_b32_e64 v2, 0, 1, s17
	s_wait_alu 0xfffe
	s_add_nc_u64 s[98:99], s[98:99], s[24:25]
	s_bcnt1_i32_b32 s13, s13
	s_delay_alu instid0(VALU_DEP_1) | instskip(SKIP_4) | instid1(VALU_DEP_1)
	v_cmp_ne_u32_e64 s17, 0, v2
	v_cndmask_b32_e64 v2, 0, 1, s21
	s_wait_alu 0xfffe
	s_add_co_i32 s9, s13, s9
	s_bcnt1_i32_b32 s17, s17
	v_cmp_ne_u32_e64 s21, 0, v2
	v_cndmask_b32_e64 v2, 0, 1, s10
	s_wait_alu 0xfffe
	s_add_co_i32 s9, s9, s17
	s_bcnt1_i32_b32 s19, s21
	s_delay_alu instid0(VALU_DEP_1)
	v_cmp_ne_u32_e64 s10, 0, v2
	v_cndmask_b32_e64 v2, 0, 1, s14
	s_wait_alu 0xfffe
	s_add_co_i32 s24, s9, s19
	s_wait_alu 0xfffe
	s_add_nc_u64 s[96:97], s[96:97], s[24:25]
	s_bcnt1_i32_b32 s10, s10
	v_cmp_ne_u32_e64 s14, 0, v2
	v_cndmask_b32_e64 v2, 0, 1, s18
	s_bcnt1_i32_b32 s14, s14
	s_delay_alu instid0(VALU_DEP_1) | instskip(SKIP_4) | instid1(VALU_DEP_1)
	v_cmp_ne_u32_e64 s18, 0, v2
	v_cndmask_b32_e64 v2, 0, 1, s22
	s_wait_alu 0xfffe
	s_add_co_i32 s10, s14, s10
	s_bcnt1_i32_b32 s18, s18
	v_cmp_ne_u32_e64 s22, 0, v2
	v_cndmask_b32_e64 v2, 0, 1, s11
	v_add_co_u32 v32, s11, v32, s86
	s_wait_alu 0xfffe
	s_add_co_i32 s10, s10, s18
	s_bcnt1_i32_b32 s20, s22
	v_cmp_ne_u32_e32 vcc_lo, 0, v2
	v_cndmask_b32_e64 v2, 0, 1, s5
	v_add_co_ci_u32_e64 v33, null, 0, v33, s11
	s_wait_alu 0xfffe
	s_add_co_i32 s24, s10, s20
	s_bcnt1_i32_b32 s21, vcc_lo
	v_cmp_ne_u32_e64 s5, 0, v2
	v_cndmask_b32_e64 v2, 0, 1, s6
	s_wait_alu 0xfffe
	s_add_nc_u64 s[94:95], s[94:95], s[24:25]
	v_cmp_le_i64_e64 s11, s[90:91], v[32:33]
	s_wait_alu 0xfffe
	v_mov_b32_e32 v6, s94
	s_bcnt1_i32_b32 s5, s5
	v_cmp_ne_u32_e64 s6, 0, v2
	v_cndmask_b32_e64 v2, 0, 1, s7
	s_wait_alu 0xfffe
	s_add_co_i32 s5, s5, s21
	v_mov_b32_e32 v7, s95
	s_bcnt1_i32_b32 s6, s6
	v_cmp_ne_u32_e64 s7, 0, v2
	s_wait_alu 0xfffe
	s_add_co_i32 s5, s5, s6
	v_dual_mov_b32 v2, s98 :: v_dual_mov_b32 v3, s99
	s_bcnt1_i32_b32 s7, s7
	s_wait_alu 0xfffe
	s_add_co_i32 s24, s5, s7
	s_or_b32 s51, s11, s51
	s_wait_alu 0xfffe
	s_add_nc_u64 s[92:93], s[92:93], s[24:25]
	v_mov_b32_e32 v4, s96
	s_wait_alu 0xfffe
	v_dual_mov_b32 v8, s92 :: v_dual_mov_b32 v5, s97
	v_mov_b32_e32 v9, s93
	s_and_not1_b32 exec_lo, exec_lo, s51
	s_cbranch_execnz .LBB22_74
; %bb.75:                               ;   in Loop: Header=BB22_32 Depth=1
	s_or_b32 exec_lo, exec_lo, s51
.LBB22_76:                              ;   in Loop: Header=BB22_32 Depth=1
	s_delay_alu instid0(SALU_CYCLE_1)
	s_or_b32 exec_lo, exec_lo, s50
	v_add_co_u32 v30, s5, s90, v0
	s_wait_alu 0xf1ff
	v_add_co_ci_u32_e64 v31, null, s91, 0, s5
	s_mov_b32 s8, exec_lo
	v_cmpx_gt_i64_e64 s[36:37], v[30:31]
	s_cbranch_execz .LBB22_82
; %bb.77:                               ;   in Loop: Header=BB22_32 Depth=1
	v_mul_lo_u32 v26, v31, s42
	v_mul_lo_u32 v47, v30, s43
	v_mad_co_u64_u32 v[32:33], null, v30, s42, 0
	v_mul_hi_u32 v51, v12, s80
	s_mov_b32 s9, 0
	s_delay_alu instid0(VALU_DEP_2) | instskip(SKIP_1) | instid1(VALU_DEP_2)
	v_add3_u32 v33, v33, v47, v26
	v_mul_lo_u32 v47, v12, s81
	v_lshlrev_b64_e32 v[32:33], 2, v[32:33]
	s_delay_alu instid0(VALU_DEP_2) | instskip(NEXT) | instid1(VALU_DEP_2)
	v_add_nc_u32_e32 v47, v47, v44
	v_add_co_u32 v32, vcc_lo, s72, v32
	s_wait_alu 0xfffd
	s_delay_alu instid0(VALU_DEP_3)
	v_add_co_ci_u32_e64 v33, null, s73, v33, vcc_lo
	v_add_co_u32 v26, vcc_lo, v41, v12
	v_add_nc_u32_e32 v47, v47, v51
	global_load_b32 v49, v[32:33], off
	s_wait_alu 0xfffd
	v_add_co_ci_u32_e64 v32, null, 0, v42, vcc_lo
	v_sub_co_u32 v26, vcc_lo, v26, s88
	s_wait_alu 0xfffd
	s_delay_alu instid0(VALU_DEP_2) | instskip(NEXT) | instid1(VALU_DEP_2)
	v_subrev_co_ci_u32_e64 v32, null, s89, v32, vcc_lo
	v_mul_lo_u32 v50, s81, v26
	s_delay_alu instid0(VALU_DEP_2) | instskip(SKIP_2) | instid1(VALU_DEP_2)
	v_mul_lo_u32 v48, s80, v32
	v_mad_co_u64_u32 v[32:33], null, s80, v26, s[78:79]
	v_mul_lo_u32 v26, v12, s80
	v_add3_u32 v33, v50, v33, v48
	s_branch .LBB22_79
.LBB22_78:                              ;   in Loop: Header=BB22_79 Depth=2
	s_wait_alu 0xfffe
	s_or_b32 exec_lo, exec_lo, s6
	s_wait_loadcnt 0x0
	v_xor_b32_e32 v49, 0x80000000, v49
	s_and_b32 s7, exec_lo, vcc_lo
	s_wait_alu 0xfffe
	s_or_b32 s9, s7, s9
	s_delay_alu instid0(VALU_DEP_1) | instskip(SKIP_1) | instid1(VALU_DEP_2)
	v_and_b32_e32 v50, v49, v46
	v_bfe_u32 v49, v49, s59, 2
	v_cmp_eq_u32_e64 s5, v50, v40
	s_delay_alu instid0(VALU_DEP_2)
	v_cmp_eq_u32_e64 s6, 0, v49
	v_cmp_eq_u32_e32 vcc_lo, 1, v49
	v_cmp_eq_u32_e64 s7, 2, v49
	s_and_b32 s6, s5, s6
	s_wait_alu 0xfffe
	v_cndmask_b32_e64 v50, 0, 1, s6
	s_and_b32 s6, s5, vcc_lo
	v_cmp_eq_u32_e32 vcc_lo, 3, v49
	s_wait_alu 0xfffe
	v_cndmask_b32_e64 v51, 0, 1, s6
	s_and_b32 s6, s5, s7
	s_wait_alu 0xfffe
	v_cndmask_b32_e64 v49, 0, 1, s6
	v_cmp_ne_u32_e64 s6, 0, v50
	v_cmp_ne_u32_e64 s7, 0, v51
	s_and_b32 s5, s5, vcc_lo
	s_wait_alu 0xfffe
	v_cndmask_b32_e64 v50, 0, 1, s5
	s_bcnt1_i32_b32 s5, s6
	v_cmp_ne_u32_e32 vcc_lo, 0, v49
	s_bcnt1_i32_b32 s6, s7
	s_wait_alu 0xfffe
	v_add_co_u32 v2, s5, v2, s5
	s_wait_alu 0xf1ff
	v_add_co_ci_u32_e64 v3, null, 0, v3, s5
	v_add_co_u32 v4, s5, v4, s6
	s_wait_alu 0xf1ff
	v_add_co_ci_u32_e64 v5, null, 0, v5, s5
	s_bcnt1_i32_b32 s5, vcc_lo
	v_cmp_ne_u32_e32 vcc_lo, 0, v50
	s_wait_alu 0xfffe
	v_add_co_u32 v6, s5, v6, s5
	s_wait_alu 0xf1ff
	v_add_co_ci_u32_e64 v7, null, 0, v7, s5
	s_bcnt1_i32_b32 s5, vcc_lo
	v_mov_b32_e32 v49, v48
	s_wait_alu 0xfffe
	v_add_co_u32 v8, vcc_lo, v8, s5
	s_wait_alu 0xfffd
	v_add_co_ci_u32_e64 v9, null, 0, v9, vcc_lo
	v_add_co_u32 v32, vcc_lo, v32, v26
	s_wait_alu 0xfffd
	v_add_co_ci_u32_e64 v33, null, v33, v47, vcc_lo
	s_and_not1_b32 exec_lo, exec_lo, s9
	s_cbranch_execz .LBB22_81
.LBB22_79:                              ;   Parent Loop BB22_32 Depth=1
                                        ; =>  This Inner Loop Header: Depth=2
	v_add_co_u32 v30, vcc_lo, v30, v12
	s_wait_alu 0xfffd
	v_add_co_ci_u32_e64 v31, null, 0, v31, vcc_lo
	v_mov_b32_e32 v48, 0
	s_mov_b32 s6, exec_lo
	s_delay_alu instid0(VALU_DEP_2)
	v_cmp_le_i64_e32 vcc_lo, s[36:37], v[30:31]
	v_cmpx_gt_i64_e64 s[36:37], v[30:31]
	s_cbranch_execz .LBB22_78
; %bb.80:                               ;   in Loop: Header=BB22_79 Depth=2
	global_load_b32 v48, v[32:33], off
	s_branch .LBB22_78
.LBB22_81:                              ;   in Loop: Header=BB22_32 Depth=1
	s_or_b32 exec_lo, exec_lo, s9
.LBB22_82:                              ;   in Loop: Header=BB22_32 Depth=1
	s_wait_alu 0xfffe
	s_or_b32 exec_lo, exec_lo, s8
	s_branch .LBB22_61
.LBB22_83:                              ;   in Loop: Header=BB22_32 Depth=1
	global_load_u16 v2, v13, s[38:39]
	v_mov_b32_e32 v4, 0
	v_mov_b32_e32 v6, 0
	v_dual_mov_b32 v8, 0 :: v_dual_mov_b32 v7, 0
	v_mov_b32_e32 v9, 0
	s_mov_b32 s94, exec_lo
	v_mov_b32_e32 v5, 0
	s_wait_loadcnt 0x0
	v_readfirstlane_b32 s5, v2
	v_and_b32_e32 v12, 0xffff, v2
	s_and_b32 s51, 0xffff, s5
	s_wait_alu 0xfffe
	s_lshl_b32 s50, s51, 2
	s_wait_alu 0xfffe
	s_cvt_f32_u32 s5, s50
	s_sub_co_i32 s6, 0, s50
	s_wait_alu 0xfffe
	s_delay_alu instid0(SALU_CYCLE_1) | instskip(NEXT) | instid1(TRANS32_DEP_1)
	v_rcp_iflag_f32_e32 v3, s5
	v_readfirstlane_b32 s5, v3
	s_mul_f32 s5, s5, 0x4f7ffffe
	s_wait_alu 0xfffe
	s_delay_alu instid0(SALU_CYCLE_2) | instskip(SKIP_1) | instid1(SALU_CYCLE_2)
	s_cvt_u32_f32 s5, s5
	s_wait_alu 0xfffe
	s_mul_i32 s6, s6, s5
	s_wait_alu 0xfffe
	s_mul_hi_u32 s6, s5, s6
	s_wait_alu 0xfffe
	s_add_co_i32 s5, s5, s6
	s_wait_alu 0xfffe
	s_mul_hi_u32 s5, s84, s5
	s_wait_alu 0xfffe
	s_mul_i32 s6, s5, s50
	s_add_co_i32 s7, s5, 1
	s_wait_alu 0xfffe
	s_sub_co_i32 s6, s84, s6
	s_wait_alu 0xfffe
	s_sub_co_i32 s8, s6, s50
	s_cmp_ge_u32 s6, s50
	s_cselect_b32 s5, s7, s5
	s_wait_alu 0xfffe
	s_cselect_b32 s6, s8, s6
	s_add_co_i32 s7, s5, 1
	s_wait_alu 0xfffe
	s_cmp_ge_u32 s6, s50
	s_cselect_b32 s85, s7, s5
	s_wait_alu 0xfffe
	v_mul_hi_u32 v3, s85, v12
	v_mul_lo_u32 v2, s85, v12
	s_delay_alu instid0(VALU_DEP_1) | instskip(SKIP_2) | instid1(VALU_DEP_3)
	v_lshlrev_b64_e32 v[30:31], 2, v[2:3]
	v_mov_b32_e32 v2, 0
	v_mov_b32_e32 v3, 0
	v_cmpx_gt_u64_e64 v[30:31], v[14:15]
	s_cbranch_execz .LBB22_87
; %bb.84:                               ;   in Loop: Header=BB22_32 Depth=1
	v_dual_mov_b32 v26, v37 :: v_dual_mov_b32 v33, v15
	v_mov_b32_e32 v32, v14
	s_lshl_b32 s95, s51, 4
	s_mov_b64 s[86:87], 0
	s_mov_b32 s96, 0
	s_mov_b64 s[88:89], 0
	s_mov_b64 s[90:91], 0
	;; [unrolled: 1-line block ×3, first 2 shown]
.LBB22_85:                              ;   Parent Loop BB22_32 Depth=1
                                        ; =>  This Inner Loop Header: Depth=2
	ds_load_b128 v[2:5], v26
	v_add_co_u32 v32, vcc_lo, v32, s50
	s_wait_alu 0xfffd
	v_add_co_ci_u32_e64 v33, null, 0, v33, vcc_lo
	s_delay_alu instid0(VALU_DEP_1)
	v_cmp_ge_u64_e32 vcc_lo, v[32:33], v[30:31]
	s_wait_dscnt 0x0
	v_xor_b32_e32 v2, 0x80000000, v2
	v_xor_b32_e32 v3, 0x80000000, v3
	;; [unrolled: 1-line block ×4, first 2 shown]
	s_delay_alu instid0(VALU_DEP_4) | instskip(NEXT) | instid1(VALU_DEP_4)
	v_and_b32_e32 v6, v2, v46
	v_and_b32_e32 v7, v3, v46
	v_bfe_u32 v2, v2, s59, 2
	v_bfe_u32 v3, v3, s59, 2
	s_delay_alu instid0(VALU_DEP_4)
	v_cmp_eq_u32_e64 s5, v6, v40
	v_and_b32_e32 v6, v4, v46
	v_bfe_u32 v4, v4, s59, 2
	v_cmp_eq_u32_e64 s6, v7, v40
	v_and_b32_e32 v7, v5, v46
	v_bfe_u32 v5, v5, s59, 2
	v_cmp_eq_u32_e64 s9, 0, v2
	v_cmp_eq_u32_e64 s10, 0, v3
	;; [unrolled: 1-line block ×9, first 2 shown]
	s_and_b32 s9, s5, s9
	s_and_b32 s10, s6, s10
	v_cmp_eq_u32_e64 s14, 1, v3
	v_cmp_eq_u32_e64 s17, 2, v2
	;; [unrolled: 1-line block ×5, first 2 shown]
	s_and_b32 s11, s7, s11
	s_wait_alu 0xfffe
	v_cndmask_b32_e64 v2, 0, 1, s9
	v_cndmask_b32_e64 v3, 0, 1, s10
	s_and_b32 s12, s8, s12
	v_cmp_eq_u32_e64 s19, 2, v4
	v_cmp_eq_u32_e64 s23, 3, v4
	v_cndmask_b32_e64 v4, 0, 1, s11
	v_cmp_eq_u32_e64 s20, 2, v5
	v_cmp_eq_u32_e64 s24, 3, v5
	s_and_b32 s13, s5, s13
	s_and_b32 s15, s7, s15
	;; [unrolled: 1-line block ×3, first 2 shown]
	s_wait_alu 0xfffe
	v_cndmask_b32_e64 v5, 0, 1, s12
	s_and_b32 s14, s6, s14
	s_and_b32 s17, s5, s17
	;; [unrolled: 1-line block ×5, first 2 shown]
	v_cndmask_b32_e64 v6, 0, 1, s13
	v_cmp_ne_u32_e64 s5, 0, v2
	v_cndmask_b32_e64 v2, 0, 1, s15
	v_cmp_ne_u32_e64 s6, 0, v3
	v_cndmask_b32_e64 v3, 0, 1, s16
	s_wait_alu 0xfffe
	v_cndmask_b32_e64 v7, 0, 1, s14
	s_and_b32 s19, s7, s19
	s_and_b32 s23, s7, s23
	v_cmp_ne_u32_e64 s7, 0, v4
	v_cndmask_b32_e64 v4, 0, 1, s17
	s_and_b32 s20, s8, s20
	s_and_b32 s24, s8, s24
	v_cmp_ne_u32_e64 s8, 0, v5
	v_cndmask_b32_e64 v5, 0, 1, s18
	v_cmp_ne_u32_e64 s9, 0, v6
	s_wait_alu 0xfffe
	v_cndmask_b32_e64 v6, 0, 1, s19
	v_cmp_ne_u32_e64 s11, 0, v2
	v_cndmask_b32_e64 v2, 0, 1, s21
	v_cmp_ne_u32_e64 s12, 0, v3
	v_cndmask_b32_e64 v3, 0, 1, s22
	v_cmp_ne_u32_e64 s10, 0, v7
	v_cndmask_b32_e64 v7, 0, 1, s20
	v_cmp_ne_u32_e64 s13, 0, v4
	v_cndmask_b32_e64 v4, 0, 1, s23
	v_cmp_ne_u32_e64 s14, 0, v5
	v_cndmask_b32_e64 v5, 0, 1, s24
	s_bcnt1_i32_b32 s5, s5
	s_bcnt1_i32_b32 s6, s6
	v_cmp_ne_u32_e64 s15, 0, v6
	v_cmp_ne_u32_e64 s17, 0, v2
	;; [unrolled: 1-line block ×3, first 2 shown]
	s_bcnt1_i32_b32 s7, s7
	s_bcnt1_i32_b32 s9, s9
	;; [unrolled: 1-line block ×3, first 2 shown]
	s_wait_alu 0xfffe
	s_add_co_i32 s5, s6, s5
	v_cmp_ne_u32_e64 s16, 0, v7
	v_cmp_ne_u32_e64 s19, 0, v4
	s_bcnt1_i32_b32 s8, s8
	s_bcnt1_i32_b32 s11, s11
	;; [unrolled: 1-line block ×4, first 2 shown]
	s_add_co_i32 s6, s10, s9
	s_wait_alu 0xfffe
	s_add_co_i32 s5, s5, s7
	v_cmp_ne_u32_e64 s20, 0, v5
	s_bcnt1_i32_b32 s12, s12
	s_bcnt1_i32_b32 s15, s15
	;; [unrolled: 1-line block ×4, first 2 shown]
	s_add_co_i32 s9, s14, s13
	s_add_co_i32 s6, s6, s11
	s_wait_alu 0xfffe
	s_add_co_i32 s24, s5, s8
	s_bcnt1_i32_b32 s16, s16
	s_bcnt1_i32_b32 s19, s19
	s_add_co_i32 s10, s18, s17
	s_add_co_i32 s7, s9, s15
	s_wait_alu 0xfffe
	s_add_nc_u64 s[92:93], s[92:93], s[24:25]
	s_add_co_i32 s24, s6, s12
	s_bcnt1_i32_b32 s20, s20
	s_add_co_i32 s9, s10, s19
	s_wait_alu 0xfffe
	s_add_nc_u64 s[90:91], s[90:91], s[24:25]
	s_add_co_i32 s24, s7, s16
	v_mov_b32_e32 v2, s92
	s_wait_alu 0xfffe
	s_add_nc_u64 s[88:89], s[88:89], s[24:25]
	s_add_co_i32 s24, s9, s20
	v_mov_b32_e32 v4, s90
	s_wait_alu 0xfffe
	s_add_nc_u64 s[86:87], s[86:87], s[24:25]
	v_mov_b32_e32 v6, s88
	s_wait_alu 0xfffe
	v_mov_b32_e32 v8, s86
	v_dual_mov_b32 v3, s93 :: v_dual_add_nc_u32 v26, s95, v26
	v_mov_b32_e32 v5, s91
	v_mov_b32_e32 v7, s89
	;; [unrolled: 1-line block ×3, first 2 shown]
	s_or_b32 s96, vcc_lo, s96
	s_wait_alu 0xfffe
	s_and_not1_b32 exec_lo, exec_lo, s96
	s_cbranch_execnz .LBB22_85
; %bb.86:                               ;   in Loop: Header=BB22_32 Depth=1
	s_or_b32 exec_lo, exec_lo, s96
.LBB22_87:                              ;   in Loop: Header=BB22_32 Depth=1
	s_delay_alu instid0(SALU_CYCLE_1)
	s_or_b32 exec_lo, exec_lo, s94
	v_add_co_u32 v30, vcc_lo, v30, v0
	s_wait_alu 0xfffd
	v_add_co_ci_u32_e64 v31, null, 0, v31, vcc_lo
	s_and_b32 s24, s84, 0x7fffffff
	s_mov_b32 s10, exec_lo
	s_wait_alu 0xfffe
	v_cmpx_gt_u64_e64 s[24:25], v[30:31]
	s_cbranch_execz .LBB22_91
; %bb.88:                               ;   in Loop: Header=BB22_32 Depth=1
	s_mul_i32 s85, s85, s51
	s_mov_b32 s11, 0
	s_wait_alu 0xfffe
	v_lshl_add_u32 v26, s85, 4, v14
.LBB22_89:                              ;   Parent Loop BB22_32 Depth=1
                                        ; =>  This Inner Loop Header: Depth=2
	ds_load_b32 v32, v26
	v_add_co_u32 v30, vcc_lo, v30, v12
	s_wait_alu 0xfffd
	v_add_co_ci_u32_e64 v31, null, 0, v31, vcc_lo
	v_add_nc_u32_e32 v26, s50, v26
	s_delay_alu instid0(VALU_DEP_2) | instskip(SKIP_2) | instid1(VALU_DEP_1)
	v_cmp_le_u64_e32 vcc_lo, s[24:25], v[30:31]
	s_wait_dscnt 0x0
	v_xor_b32_e32 v32, 0x80000000, v32
	v_and_b32_e32 v33, v32, v46
	v_bfe_u32 v32, v32, s59, 2
	s_delay_alu instid0(VALU_DEP_2) | instskip(NEXT) | instid1(VALU_DEP_2)
	v_cmp_eq_u32_e64 s5, v33, v40
	v_cmp_eq_u32_e64 s6, 0, v32
	;; [unrolled: 1-line block ×5, first 2 shown]
	s_and_b32 s6, s5, s6
	s_wait_alu 0xfffe
	v_cndmask_b32_e64 v32, 0, 1, s6
	s_and_b32 s6, s5, s7
	s_wait_alu 0xfffe
	v_cndmask_b32_e64 v33, 0, 1, s6
	s_and_b32 s6, s5, s8
	s_and_b32 s5, s5, s9
	s_wait_alu 0xfffe
	v_cndmask_b32_e64 v47, 0, 1, s6
	v_cndmask_b32_e64 v48, 0, 1, s5
	v_cmp_ne_u32_e64 s5, 0, v32
	v_cmp_ne_u32_e64 s6, 0, v33
	s_delay_alu instid0(VALU_DEP_4) | instskip(NEXT) | instid1(VALU_DEP_4)
	v_cmp_ne_u32_e64 s7, 0, v47
	v_cmp_ne_u32_e64 s8, 0, v48
	s_bcnt1_i32_b32 s5, s5
	s_bcnt1_i32_b32 s6, s6
	s_wait_alu 0xfffe
	v_add_co_u32 v2, s5, v2, s5
	s_bcnt1_i32_b32 s7, s7
	v_add_co_ci_u32_e64 v3, null, 0, v3, s5
	v_add_co_u32 v4, s5, v4, s6
	s_bcnt1_i32_b32 s8, s8
	v_add_co_ci_u32_e64 v5, null, 0, v5, s5
	s_wait_alu 0xfffe
	v_add_co_u32 v6, s5, v6, s7
	s_wait_alu 0xf1ff
	v_add_co_ci_u32_e64 v7, null, 0, v7, s5
	v_add_co_u32 v8, s5, v8, s8
	s_wait_alu 0xf1ff
	v_add_co_ci_u32_e64 v9, null, 0, v9, s5
	s_or_b32 s11, vcc_lo, s11
	s_wait_alu 0xfffe
	s_and_not1_b32 exec_lo, exec_lo, s11
	s_cbranch_execnz .LBB22_89
; %bb.90:                               ;   in Loop: Header=BB22_32 Depth=1
	s_or_b32 exec_lo, exec_lo, s11
.LBB22_91:                              ;   in Loop: Header=BB22_32 Depth=1
	s_delay_alu instid0(SALU_CYCLE_1)
	s_or_b32 exec_lo, exec_lo, s10
	s_lshl_b32 s5, s61, 7
	s_and_saveexec_b32 s6, s1
	s_cbranch_execnz .LBB22_62
	s_branch .LBB22_63
.LBB22_92:                              ;   in Loop: Header=BB22_32 Depth=1
                                        ; implicit-def: $sgpr88_sgpr89
	s_branch .LBB22_71
.LBB22_93:                              ;   in Loop: Header=BB22_32 Depth=1
	s_wait_alu 0xfffe
	s_or_b32 exec_lo, exec_lo, s8
	s_wait_loadcnt_dscnt 0x0
	s_barrier_signal -1
	s_barrier_wait -1
	global_inv scope:SCOPE_SE
	s_and_saveexec_b32 s5, s2
	s_cbranch_execz .LBB22_95
; %bb.94:                               ;   in Loop: Header=BB22_32 Depth=1
	ds_load_b32 v2, v13 offset:5136
	s_wait_dscnt 0x0
	v_ashrrev_i32_e32 v3, 31, v2
	ds_store_b64 v13, v[2:3] offset:5120
.LBB22_95:                              ;   in Loop: Header=BB22_32 Depth=1
	s_wait_alu 0xfffe
	s_or_b32 exec_lo, exec_lo, s5
	s_wait_loadcnt_dscnt 0x0
	s_barrier_signal -1
	s_mov_b32 s5, -1
	s_barrier_wait -1
	s_and_b32 vcc_lo, exec_lo, s7
	s_wait_alu 0xfffe
	s_cbranch_vccnz .LBB22_48
	s_branch .LBB22_57
.LBB22_96:                              ;   in Loop: Header=BB22_32 Depth=1
	s_mov_b32 s7, 0
	s_and_not1_b32 vcc_lo, exec_lo, vcc_hi
	s_wait_alu 0xfffe
	s_cbranch_vccnz .LBB22_99
.LBB22_97:                              ;   in Loop: Header=BB22_32 Depth=1
	s_lshl_b32 s8, s61, 10
	s_lshl_b32 s7, s7, 5
	s_wait_alu 0xfffe
	v_add3_u32 v4, s8, s7, v43
	s_mov_b32 s7, s102
.LBB22_98:                              ;   Parent Loop BB22_32 Depth=1
                                        ; =>  This Inner Loop Header: Depth=2
	ds_load_b64 v[5:6], v4
	v_add_nc_u32_e32 v4, 32, v4
	s_wait_alu 0xfffe
	s_add_co_i32 s7, s7, -1
	s_wait_alu 0xfffe
	s_cmp_lg_u32 s7, 0
	s_wait_dscnt 0x0
	v_add_co_u32 v2, vcc_lo, v5, v2
	s_wait_alu 0xfffd
	v_add_co_ci_u32_e64 v3, null, v6, v3, vcc_lo
	s_cbranch_scc1 .LBB22_98
.LBB22_99:                              ;   in Loop: Header=BB22_32 Depth=1
	v_add_lshl_u32 v4, s5, v34, 3
	ds_store_b64 v4, v[2:3] offset:3072
.LBB22_100:                             ;   in Loop: Header=BB22_32 Depth=1
	s_wait_alu 0xfffe
	s_or_b32 exec_lo, exec_lo, s6
	s_lshl_b32 s5, s5, 3
	s_wait_loadcnt_dscnt 0x0
	s_wait_alu 0xfffe
	v_mov_b32_e32 v6, s5
	s_barrier_signal -1
	s_barrier_wait -1
	global_inv scope:SCOPE_SE
	v_cmp_eq_u64_e32 vcc_lo, 1, v[28:29]
	ds_load_b128 v[2:5], v6 offset:3072
	ds_load_b128 v[6:9], v6 offset:3088
	s_lshl_b32 s16, 3, s59
	s_mov_b32 s18, -1
	s_wait_alu 0xfffe
	s_not_b32 s20, s16
                                        ; implicit-def: $sgpr15
                                        ; implicit-def: $sgpr14
	s_wait_dscnt 0x1
	v_cmp_eq_u64_e64 s5, 1, v[2:3]
	s_wait_dscnt 0x0
	v_readfirstlane_b32 s8, v6
	v_readfirstlane_b32 s9, v7
	v_readfirstlane_b32 s6, v8
	v_readfirstlane_b32 s7, v9
	s_and_b32 s19, s5, vcc_lo
	s_mov_b32 s5, -1
	s_wait_alu 0xfffe
	s_and_saveexec_b32 s17, s19
	s_cbranch_execz .LBB22_132
; %bb.101:                              ;   in Loop: Header=BB22_32 Depth=1
	ds_load_b64 v[6:7], v13 offset:5120
	s_wait_loadcnt_dscnt 0x0
	s_barrier_signal -1
	s_barrier_wait -1
	global_inv scope:SCOPE_SE
	v_readfirstlane_b32 s10, v6
	v_readfirstlane_b32 s11, v7
	s_and_saveexec_b32 s5, s3
; %bb.102:                              ;   in Loop: Header=BB22_32 Depth=1
	ds_store_b32 v35, v13
; %bb.103:                              ;   in Loop: Header=BB22_32 Depth=1
	s_wait_alu 0xfffe
	s_or_b32 exec_lo, exec_lo, s5
	v_cmp_lt_i64_e64 s5, s[10:11], 1
	v_and_b32_e32 v40, s20, v40
	v_or_b32_e32 v46, s16, v46
	s_mov_b32 s14, -1
	s_mov_b32 s15, 0
	s_mov_b32 s21, -1
	s_and_b32 vcc_lo, exec_lo, s5
	s_mov_b32 s5, 0
	s_wait_loadcnt_dscnt 0x0
	s_barrier_signal -1
	s_barrier_wait -1
	global_inv scope:SCOPE_SE
                                        ; implicit-def: $vgpr27
	s_wait_alu 0xfffe
	s_cbranch_vccz .LBB22_117
; %bb.104:                              ;   in Loop: Header=BB22_32 Depth=1
	s_mov_b32 s12, s25
	s_mov_b32 s13, s77
	s_wait_alu 0xfffe
	s_cmp_lg_u64 s[12:13], 0
	s_cbranch_scc0 .LBB22_158
; %bb.105:                              ;   in Loop: Header=BB22_32 Depth=1
	s_add_nc_u64 s[12:13], s[68:69], 0
	s_wait_alu 0xfffe
	s_xor_b64 s[12:13], s[12:13], 0
	s_wait_alu 0xfffe
	s_cvt_f32_u32 s5, s12
	s_cvt_f32_u32 s21, s13
	s_sub_nc_u64 s[50:51], 0, s[12:13]
	s_wait_alu 0xfffe
	s_delay_alu instid0(SALU_CYCLE_1) | instskip(SKIP_1) | instid1(SALU_CYCLE_2)
	s_fmamk_f32 s5, s21, 0x4f800000, s5
	s_wait_alu 0xfffe
	v_s_rcp_f32 s5, s5
	s_delay_alu instid0(TRANS32_DEP_1) | instskip(SKIP_1) | instid1(SALU_CYCLE_2)
	s_mul_f32 s5, s5, 0x5f7ffffc
	s_wait_alu 0xfffe
	s_mul_f32 s21, s5, 0x2f800000
	s_wait_alu 0xfffe
	s_delay_alu instid0(SALU_CYCLE_2) | instskip(SKIP_1) | instid1(SALU_CYCLE_2)
	s_trunc_f32 s21, s21
	s_wait_alu 0xfffe
	s_fmamk_f32 s5, s21, 0xcf800000, s5
	s_cvt_u32_f32 s23, s21
	s_wait_alu 0xfffe
	s_delay_alu instid0(SALU_CYCLE_1) | instskip(SKIP_1) | instid1(SALU_CYCLE_2)
	s_cvt_u32_f32 s22, s5
	s_wait_alu 0xfffe
	s_mul_u64 s[84:85], s[50:51], s[22:23]
	s_wait_alu 0xfffe
	s_mul_hi_u32 s87, s22, s85
	s_mul_i32 s86, s22, s85
	s_mul_hi_u32 s24, s22, s84
	s_mul_i32 s21, s23, s84
	s_wait_alu 0xfffe
	s_add_nc_u64 s[86:87], s[24:25], s[86:87]
	s_mul_hi_u32 s5, s23, s84
	s_mul_hi_u32 s88, s23, s85
	s_wait_alu 0xfffe
	s_add_co_u32 s21, s86, s21
	s_add_co_ci_u32 s24, s87, s5
	s_mul_i32 s84, s23, s85
	s_add_co_ci_u32 s85, s88, 0
	s_wait_alu 0xfffe
	s_add_nc_u64 s[84:85], s[24:25], s[84:85]
	s_wait_alu 0xfffe
	s_add_co_u32 s22, s22, s84
	s_cselect_b32 s5, -1, 0
	s_wait_alu 0xfffe
	s_cmp_lg_u32 s5, 0
	s_add_co_ci_u32 s23, s23, s85
	s_wait_alu 0xfffe
	s_mul_u64 s[50:51], s[50:51], s[22:23]
	s_wait_alu 0xfffe
	s_mul_hi_u32 s85, s22, s51
	s_mul_i32 s84, s22, s51
	s_mul_hi_u32 s24, s22, s50
	s_mul_i32 s21, s23, s50
	s_wait_alu 0xfffe
	s_add_nc_u64 s[84:85], s[24:25], s[84:85]
	s_mul_hi_u32 s5, s23, s50
	s_mul_hi_u32 s86, s23, s51
	s_wait_alu 0xfffe
	s_add_co_u32 s21, s84, s21
	s_add_co_ci_u32 s24, s85, s5
	s_mul_i32 s50, s23, s51
	s_add_co_ci_u32 s51, s86, 0
	s_wait_alu 0xfffe
	s_add_nc_u64 s[50:51], s[24:25], s[50:51]
	s_wait_alu 0xfffe
	s_add_co_u32 s5, s22, s50
	s_cselect_b32 s21, -1, 0
	s_wait_alu 0xfffe
	s_cmp_lg_u32 s21, 0
	s_add_co_ci_u32 s21, s23, s51
	s_ashr_i32 s22, s77, 31
	s_wait_alu 0xfffe
	s_mov_b32 s23, s22
	s_wait_alu 0xfffe
	s_add_nc_u64 s[50:51], s[76:77], s[22:23]
	s_wait_alu 0xfffe
	s_xor_b64 s[50:51], s[50:51], s[22:23]
	s_wait_alu 0xfffe
	s_mul_hi_u32 s85, s50, s21
	s_mul_i32 s84, s50, s21
	s_mul_hi_u32 s24, s50, s5
	s_mul_hi_u32 s88, s51, s5
	s_mul_i32 s5, s51, s5
	s_wait_alu 0xfffe
	s_add_nc_u64 s[84:85], s[24:25], s[84:85]
	s_mul_hi_u32 s87, s51, s21
	s_wait_alu 0xfffe
	s_add_co_u32 s5, s84, s5
	s_add_co_ci_u32 s24, s85, s88
	s_mul_i32 s86, s51, s21
	s_add_co_ci_u32 s87, s87, 0
	s_wait_alu 0xfffe
	s_add_nc_u64 s[84:85], s[24:25], s[86:87]
	s_wait_alu 0xfffe
	s_mul_u64 s[84:85], s[12:13], s[84:85]
	s_wait_alu 0xfffe
	s_sub_co_u32 s5, s50, s84
	s_cselect_b32 s21, -1, 0
	s_sub_co_i32 s24, s51, s85
	s_wait_alu 0xfffe
	s_cmp_lg_u32 s21, 0
	s_sub_co_ci_u32 s24, s24, s13
	s_sub_co_u32 s50, s5, s12
	s_cselect_b32 s84, -1, 0
	s_wait_alu 0xfffe
	s_cmp_lg_u32 s84, 0
	s_sub_co_ci_u32 s86, s24, 0
	s_wait_alu 0xfffe
	s_cmp_ge_u32 s86, s13
	s_cselect_b32 s87, -1, 0
	s_cmp_ge_u32 s50, s12
	s_cselect_b32 s88, -1, 0
	s_cmp_eq_u32 s86, s13
	s_wait_alu 0xfffe
	s_cselect_b32 s87, s88, s87
	s_cmp_lg_u32 s84, 0
	s_sub_co_ci_u32 s24, s24, s13
	s_sub_co_u32 s84, s50, s12
	s_cselect_b32 s88, -1, 0
	s_wait_alu 0xfffe
	s_cmp_lg_u32 s88, 0
	s_sub_co_ci_u32 s24, s24, 0
	s_cmp_lg_u32 s87, 0
	s_cselect_b32 s50, s84, s50
	s_wait_alu 0xfffe
	s_cselect_b32 s24, s24, s86
	s_cmp_lg_u32 s21, 0
	s_sub_co_ci_u32 s21, s51, s85
	s_wait_alu 0xfffe
	s_cmp_ge_u32 s21, s13
	s_cselect_b32 s51, -1, 0
	s_cmp_ge_u32 s5, s12
	s_cselect_b32 s12, -1, 0
	s_cmp_eq_u32 s21, s13
	s_wait_alu 0xfffe
	s_cselect_b32 s12, s12, s51
	s_wait_alu 0xfffe
	s_cmp_lg_u32 s12, 0
	s_cselect_b32 s13, s24, s21
	s_cselect_b32 s12, s50, s5
	s_wait_alu 0xfffe
	s_xor_b64 s[12:13], s[12:13], s[22:23]
	s_wait_alu 0xfffe
	s_sub_nc_u64 s[12:13], s[12:13], s[22:23]
	s_cbranch_execnz .LBB22_107
.LBB22_106:                             ;   in Loop: Header=BB22_32 Depth=1
	v_cvt_f32_u32_e32 v6, s68
	s_sub_co_i32 s12, 0, s68
	s_delay_alu instid0(VALU_DEP_1) | instskip(NEXT) | instid1(TRANS32_DEP_1)
	v_rcp_iflag_f32_e32 v6, v6
	v_mul_f32_e32 v6, 0x4f7ffffe, v6
	s_delay_alu instid0(VALU_DEP_1) | instskip(NEXT) | instid1(VALU_DEP_1)
	v_cvt_u32_f32_e32 v6, v6
	v_readfirstlane_b32 s5, v6
	s_wait_alu 0xfffe
	s_mul_i32 s12, s12, s5
	s_wait_alu 0xfffe
	s_mul_hi_u32 s12, s5, s12
	s_wait_alu 0xfffe
	s_add_co_i32 s5, s5, s12
	s_wait_alu 0xfffe
	s_mul_hi_u32 s5, s76, s5
	s_wait_alu 0xfffe
	s_mul_i32 s5, s5, s68
	s_wait_alu 0xfffe
	s_sub_co_i32 s5, s76, s5
	s_wait_alu 0xfffe
	s_sub_co_i32 s12, s5, s68
	s_cmp_ge_u32 s5, s68
	s_wait_alu 0xfffe
	s_cselect_b32 s5, s12, s5
	s_wait_alu 0xfffe
	s_sub_co_i32 s12, s5, s68
	s_cmp_ge_u32 s5, s68
	s_wait_alu 0xfffe
	s_cselect_b32 s24, s12, s5
	s_wait_alu 0xfffe
	s_mov_b64 s[12:13], s[24:25]
.LBB22_107:                             ;   in Loop: Header=BB22_32 Depth=1
	s_wait_alu 0xfffe
	s_sub_nc_u64 s[12:13], s[76:77], s[12:13]
	s_mov_b32 s21, 0
	s_mov_b32 s5, 0
	s_mov_b32 s22, exec_lo
                                        ; implicit-def: $vgpr27
	s_wait_alu 0xfffe
	v_cmpx_gt_i64_e64 s[12:13], v[0:1]
	s_cbranch_execz .LBB22_116
; %bb.108:                              ;   in Loop: Header=BB22_32 Depth=1
	v_dual_mov_b32 v6, v10 :: v_dual_mov_b32 v7, v11
	v_dual_mov_b32 v9, v1 :: v_dual_mov_b32 v8, v0
	s_mov_b32 s23, 0
                                        ; implicit-def: $sgpr24
	s_branch .LBB22_111
.LBB22_109:                             ;   in Loop: Header=BB22_111 Depth=2
	s_wait_alu 0xfffe
	s_or_b32 exec_lo, exec_lo, s5
	s_wait_loadcnt_dscnt 0x0
	s_barrier_signal -1
	s_barrier_wait -1
	global_inv scope:SCOPE_SE
	ds_load_b64 v[26:27], v13 offset:3072
	s_mov_b32 s5, -1
	s_mov_b32 s50, -1
	s_wait_loadcnt_dscnt 0x0
	s_barrier_signal -1
	s_barrier_wait -1
	global_inv scope:SCOPE_SE
	v_cmp_ne_u32_e32 vcc_lo, 0, v26
	s_cbranch_vccz .LBB22_114
.LBB22_110:                             ;   in Loop: Header=BB22_111 Depth=2
	s_wait_alu 0xfffe
	s_and_b32 s5, exec_lo, s5
	s_wait_alu 0xfffe
	s_or_b32 s23, s5, s23
	s_and_not1_b32 s5, s24, exec_lo
	s_and_b32 s24, s50, exec_lo
	s_wait_alu 0xfffe
	s_or_b32 s24, s5, s24
	s_and_not1_b32 exec_lo, exec_lo, s23
	s_cbranch_execz .LBB22_115
.LBB22_111:                             ;   Parent Loop BB22_32 Depth=1
                                        ; =>  This Inner Loop Header: Depth=2
	s_mov_b32 s5, exec_lo
	s_delay_alu instid0(VALU_DEP_1)
	v_cmpx_gt_i64_e64 s[36:37], v[8:9]
	s_cbranch_execz .LBB22_109
; %bb.112:                              ;   in Loop: Header=BB22_111 Depth=2
	global_load_b32 v26, v[6:7], off
	s_wait_loadcnt 0x0
	v_xor_b32_e32 v12, 0x80000000, v26
	s_delay_alu instid0(VALU_DEP_1) | instskip(NEXT) | instid1(VALU_DEP_1)
	v_and_b32_e32 v12, v12, v46
	v_cmp_eq_u32_e32 vcc_lo, v12, v40
	s_and_b32 exec_lo, exec_lo, vcc_lo
	s_cbranch_execz .LBB22_109
; %bb.113:                              ;   in Loop: Header=BB22_111 Depth=2
	ds_store_b64 v13, v[25:26] offset:3072
	s_branch .LBB22_109
.LBB22_114:                             ;   in Loop: Header=BB22_111 Depth=2
	v_add_co_u32 v8, vcc_lo, v8, s68
	s_wait_alu 0xfffd
	v_add_co_ci_u32_e64 v9, null, 0, v9, vcc_lo
	v_add_co_u32 v6, s5, v6, s70
	s_wait_alu 0xf1fe
	v_add_co_ci_u32_e64 v7, null, s71, v7, s5
	s_delay_alu instid0(VALU_DEP_3)
	v_cmp_le_i64_e32 vcc_lo, s[12:13], v[8:9]
	s_mov_b32 s50, 0
	s_or_not1_b32 s5, vcc_lo, exec_lo
	s_branch .LBB22_110
.LBB22_115:                             ;   in Loop: Header=BB22_32 Depth=1
	s_or_b32 exec_lo, exec_lo, s23
	s_wait_alu 0xfffe
	s_and_b32 s5, s24, exec_lo
.LBB22_116:                             ;   in Loop: Header=BB22_32 Depth=1
	s_or_b32 exec_lo, exec_lo, s22
.LBB22_117:                             ;   in Loop: Header=BB22_32 Depth=1
	s_delay_alu instid0(SALU_CYCLE_1)
	s_and_b32 vcc_lo, exec_lo, s21
	s_wait_alu 0xfffe
	s_cbranch_vccz .LBB22_131
; %bb.118:                              ;   in Loop: Header=BB22_32 Depth=1
	s_add_nc_u64 s[12:13], s[10:11], s[74:75]
	s_mov_b32 s14, s25
	s_wait_alu 0xfffe
	s_mov_b32 s15, s13
	s_wait_alu 0xfffe
	s_cmp_lg_u64 s[14:15], 0
	s_cbranch_scc0 .LBB22_159
; %bb.119:                              ;   in Loop: Header=BB22_32 Depth=1
	s_add_nc_u64 s[14:15], s[68:69], 0
	s_wait_alu 0xfffe
	s_xor_b64 s[14:15], s[14:15], 0
	s_wait_alu 0xfffe
	s_cvt_f32_u32 s21, s14
	s_cvt_f32_u32 s22, s15
	s_sub_nc_u64 s[50:51], 0, s[14:15]
	s_wait_alu 0xfffe
	s_delay_alu instid0(SALU_CYCLE_1) | instskip(SKIP_1) | instid1(SALU_CYCLE_2)
	s_fmamk_f32 s21, s22, 0x4f800000, s21
	s_wait_alu 0xfffe
	v_s_rcp_f32 s21, s21
	s_delay_alu instid0(TRANS32_DEP_1) | instskip(SKIP_1) | instid1(SALU_CYCLE_2)
	s_mul_f32 s21, s21, 0x5f7ffffc
	s_wait_alu 0xfffe
	s_mul_f32 s22, s21, 0x2f800000
	s_wait_alu 0xfffe
	s_delay_alu instid0(SALU_CYCLE_2) | instskip(SKIP_1) | instid1(SALU_CYCLE_2)
	s_trunc_f32 s22, s22
	s_wait_alu 0xfffe
	s_fmamk_f32 s21, s22, 0xcf800000, s21
	s_cvt_u32_f32 s23, s22
	s_wait_alu 0xfffe
	s_delay_alu instid0(SALU_CYCLE_1) | instskip(SKIP_1) | instid1(SALU_CYCLE_2)
	s_cvt_u32_f32 s22, s21
	s_wait_alu 0xfffe
	s_mul_u64 s[84:85], s[50:51], s[22:23]
	s_wait_alu 0xfffe
	s_mul_hi_u32 s87, s22, s85
	s_mul_i32 s86, s22, s85
	s_mul_hi_u32 s24, s22, s84
	s_mul_i32 s88, s23, s84
	s_wait_alu 0xfffe
	s_add_nc_u64 s[86:87], s[24:25], s[86:87]
	s_mul_hi_u32 s21, s23, s84
	s_mul_hi_u32 s89, s23, s85
	s_wait_alu 0xfffe
	s_add_co_u32 s24, s86, s88
	s_add_co_ci_u32 s24, s87, s21
	s_mul_i32 s84, s23, s85
	s_add_co_ci_u32 s85, s89, 0
	s_wait_alu 0xfffe
	s_add_nc_u64 s[84:85], s[24:25], s[84:85]
	s_wait_alu 0xfffe
	s_add_co_u32 s22, s22, s84
	s_cselect_b32 s21, -1, 0
	s_wait_alu 0xfffe
	s_cmp_lg_u32 s21, 0
	s_add_co_ci_u32 s23, s23, s85
	s_wait_alu 0xfffe
	s_mul_u64 s[50:51], s[50:51], s[22:23]
	s_wait_alu 0xfffe
	s_mul_hi_u32 s85, s22, s51
	s_mul_i32 s84, s22, s51
	s_mul_hi_u32 s24, s22, s50
	s_mul_i32 s86, s23, s50
	s_wait_alu 0xfffe
	s_add_nc_u64 s[84:85], s[24:25], s[84:85]
	s_mul_hi_u32 s21, s23, s50
	s_mul_hi_u32 s87, s23, s51
	s_wait_alu 0xfffe
	s_add_co_u32 s24, s84, s86
	s_add_co_ci_u32 s24, s85, s21
	s_mul_i32 s50, s23, s51
	s_add_co_ci_u32 s51, s87, 0
	s_wait_alu 0xfffe
	s_add_nc_u64 s[50:51], s[24:25], s[50:51]
	s_wait_alu 0xfffe
	s_add_co_u32 s21, s22, s50
	s_cselect_b32 s22, -1, 0
	s_wait_alu 0xfffe
	s_cmp_lg_u32 s22, 0
	s_add_co_ci_u32 s86, s23, s51
	s_ashr_i32 s22, s13, 31
	s_wait_alu 0xfffe
	s_mov_b32 s23, s22
	s_wait_alu 0xfffe
	s_add_nc_u64 s[50:51], s[12:13], s[22:23]
	s_wait_alu 0xfffe
	s_xor_b64 s[50:51], s[50:51], s[22:23]
	s_wait_alu 0xfffe
	s_mul_hi_u32 s85, s50, s86
	s_mul_i32 s84, s50, s86
	s_mul_hi_u32 s24, s50, s21
	s_mul_hi_u32 s88, s51, s21
	s_mul_i32 s21, s51, s21
	s_wait_alu 0xfffe
	s_add_nc_u64 s[84:85], s[24:25], s[84:85]
	s_mul_hi_u32 s87, s51, s86
	s_wait_alu 0xfffe
	s_add_co_u32 s21, s84, s21
	s_add_co_ci_u32 s24, s85, s88
	s_mul_i32 s86, s51, s86
	s_add_co_ci_u32 s87, s87, 0
	s_wait_alu 0xfffe
	s_add_nc_u64 s[84:85], s[24:25], s[86:87]
	s_wait_alu 0xfffe
	s_mul_u64 s[84:85], s[14:15], s[84:85]
	s_wait_alu 0xfffe
	s_sub_co_u32 s21, s50, s84
	s_cselect_b32 s24, -1, 0
	s_sub_co_i32 s50, s51, s85
	s_wait_alu 0xfffe
	s_cmp_lg_u32 s24, 0
	s_sub_co_ci_u32 s50, s50, s15
	s_sub_co_u32 s84, s21, s14
	s_cselect_b32 s86, -1, 0
	s_wait_alu 0xfffe
	s_cmp_lg_u32 s86, 0
	s_sub_co_ci_u32 s87, s50, 0
	s_wait_alu 0xfffe
	s_cmp_ge_u32 s87, s15
	s_cselect_b32 s88, -1, 0
	s_cmp_ge_u32 s84, s14
	s_cselect_b32 s89, -1, 0
	s_cmp_eq_u32 s87, s15
	s_wait_alu 0xfffe
	s_cselect_b32 s88, s89, s88
	s_cmp_lg_u32 s86, 0
	s_sub_co_ci_u32 s50, s50, s15
	s_sub_co_u32 s86, s84, s14
	s_cselect_b32 s89, -1, 0
	s_wait_alu 0xfffe
	s_cmp_lg_u32 s89, 0
	s_sub_co_ci_u32 s50, s50, 0
	s_cmp_lg_u32 s88, 0
	s_cselect_b32 s84, s86, s84
	s_wait_alu 0xfffe
	s_cselect_b32 s50, s50, s87
	s_cmp_lg_u32 s24, 0
	s_sub_co_ci_u32 s24, s51, s85
	s_wait_alu 0xfffe
	s_cmp_ge_u32 s24, s15
	s_cselect_b32 s51, -1, 0
	s_cmp_ge_u32 s21, s14
	s_cselect_b32 s14, -1, 0
	s_cmp_eq_u32 s24, s15
	s_wait_alu 0xfffe
	s_cselect_b32 s14, s14, s51
	s_wait_alu 0xfffe
	s_cmp_lg_u32 s14, 0
	s_cselect_b32 s15, s50, s24
	s_cselect_b32 s14, s84, s21
	s_wait_alu 0xfffe
	s_xor_b64 s[14:15], s[14:15], s[22:23]
	s_wait_alu 0xfffe
	s_sub_nc_u64 s[14:15], s[14:15], s[22:23]
	s_cbranch_execnz .LBB22_121
.LBB22_120:                             ;   in Loop: Header=BB22_32 Depth=1
	v_cvt_f32_u32_e32 v6, s68
	s_sub_co_i32 s15, 0, s68
	s_delay_alu instid0(VALU_DEP_1) | instskip(NEXT) | instid1(TRANS32_DEP_1)
	v_rcp_iflag_f32_e32 v6, v6
	v_mul_f32_e32 v6, 0x4f7ffffe, v6
	s_delay_alu instid0(VALU_DEP_1) | instskip(NEXT) | instid1(VALU_DEP_1)
	v_cvt_u32_f32_e32 v6, v6
	v_readfirstlane_b32 s14, v6
	s_wait_alu 0xfffe
	s_mul_i32 s15, s15, s14
	s_wait_alu 0xfffe
	s_mul_hi_u32 s15, s14, s15
	s_wait_alu 0xfffe
	s_add_co_i32 s14, s14, s15
	s_wait_alu 0xfffe
	s_mul_hi_u32 s14, s12, s14
	s_wait_alu 0xfffe
	s_mul_i32 s14, s14, s68
	s_wait_alu 0xfffe
	s_sub_co_i32 s14, s12, s14
	s_wait_alu 0xfffe
	s_sub_co_i32 s15, s14, s68
	s_cmp_ge_u32 s14, s68
	s_wait_alu 0xfffe
	s_cselect_b32 s14, s15, s14
	s_wait_alu 0xfffe
	s_sub_co_i32 s15, s14, s68
	s_cmp_ge_u32 s14, s68
	s_wait_alu 0xfffe
	s_cselect_b32 s24, s15, s14
	s_wait_alu 0xfffe
	s_mov_b64 s[14:15], s[24:25]
.LBB22_121:                             ;   in Loop: Header=BB22_32 Depth=1
	s_wait_alu 0xfffe
	s_sub_nc_u64 s[12:13], s[12:13], s[14:15]
	s_mov_b32 s14, exec_lo
                                        ; implicit-def: $vgpr27
	s_wait_alu 0xfffe
	v_cmpx_gt_i64_e64 s[12:13], v[0:1]
	s_cbranch_execz .LBB22_130
; %bb.122:                              ;   in Loop: Header=BB22_32 Depth=1
	v_dual_mov_b32 v8, v14 :: v_dual_mov_b32 v7, v1
	v_mov_b32_e32 v6, v0
	s_mov_b32 s15, 0
                                        ; implicit-def: $sgpr21
	s_branch .LBB22_125
.LBB22_123:                             ;   in Loop: Header=BB22_125 Depth=2
	s_wait_alu 0xfffe
	s_or_b32 exec_lo, exec_lo, s22
	s_wait_loadcnt_dscnt 0x0
	s_barrier_signal -1
	s_barrier_wait -1
	global_inv scope:SCOPE_SE
	ds_load_b64 v[26:27], v13 offset:3072
	s_mov_b32 s22, -1
	s_mov_b32 s23, -1
	s_wait_loadcnt_dscnt 0x0
	s_barrier_signal -1
	s_barrier_wait -1
	global_inv scope:SCOPE_SE
	v_cmp_ne_u32_e32 vcc_lo, 0, v26
	s_cbranch_vccz .LBB22_128
.LBB22_124:                             ;   in Loop: Header=BB22_125 Depth=2
	s_wait_alu 0xfffe
	s_and_b32 s22, exec_lo, s22
	s_wait_alu 0xfffe
	s_or_b32 s15, s22, s15
	s_and_not1_b32 s21, s21, exec_lo
	s_and_b32 s22, s23, exec_lo
	s_wait_alu 0xfffe
	s_or_b32 s21, s21, s22
	s_and_not1_b32 exec_lo, exec_lo, s15
	s_cbranch_execz .LBB22_129
.LBB22_125:                             ;   Parent Loop BB22_32 Depth=1
                                        ; =>  This Inner Loop Header: Depth=2
	s_mov_b32 s22, exec_lo
	s_delay_alu instid0(VALU_DEP_1)
	v_cmpx_gt_u64_e64 s[10:11], v[6:7]
	s_cbranch_execz .LBB22_123
; %bb.126:                              ;   in Loop: Header=BB22_125 Depth=2
	ds_load_b32 v26, v8
	s_wait_dscnt 0x0
	v_xor_b32_e32 v9, 0x80000000, v26
	s_delay_alu instid0(VALU_DEP_1) | instskip(NEXT) | instid1(VALU_DEP_1)
	v_and_b32_e32 v9, v9, v46
	v_cmp_eq_u32_e32 vcc_lo, v9, v40
	s_and_b32 exec_lo, exec_lo, vcc_lo
	s_cbranch_execz .LBB22_123
; %bb.127:                              ;   in Loop: Header=BB22_125 Depth=2
	ds_store_b64 v13, v[25:26] offset:3072
	s_branch .LBB22_123
.LBB22_128:                             ;   in Loop: Header=BB22_125 Depth=2
	v_add_co_u32 v6, vcc_lo, v6, s68
	s_wait_alu 0xfffd
	v_add_co_ci_u32_e64 v7, null, 0, v7, vcc_lo
	v_add_nc_u32_e32 v8, s58, v8
	s_mov_b32 s23, 0
	s_delay_alu instid0(VALU_DEP_2)
	v_cmp_le_i64_e32 vcc_lo, s[12:13], v[6:7]
	s_or_not1_b32 s22, vcc_lo, exec_lo
	s_branch .LBB22_124
.LBB22_129:                             ;   in Loop: Header=BB22_32 Depth=1
	s_or_b32 exec_lo, exec_lo, s15
	s_delay_alu instid0(SALU_CYCLE_1)
	s_and_not1_b32 s5, s5, exec_lo
	s_wait_alu 0xfffe
	s_and_b32 s10, s21, exec_lo
	s_wait_alu 0xfffe
	s_or_b32 s5, s5, s10
.LBB22_130:                             ;   in Loop: Header=BB22_32 Depth=1
	s_or_b32 exec_lo, exec_lo, s14
	s_mov_b32 s14, 0
	s_mov_b32 s15, -1
.LBB22_131:                             ;   in Loop: Header=BB22_32 Depth=1
	s_wait_alu 0xfffe
	s_or_not1_b32 s5, s5, exec_lo
.LBB22_132:                             ;   in Loop: Header=BB22_32 Depth=1
	s_wait_alu 0xfffe
	s_or_b32 exec_lo, exec_lo, s17
	s_delay_alu instid0(SALU_CYCLE_1)
	s_and_not1_b32 s10, s48, exec_lo
	s_and_b32 s11, s15, exec_lo
	s_and_not1_b32 s12, s66, exec_lo
	s_and_b32 s13, s14, exec_lo
	s_and_not1_b32 s65, s65, exec_lo
	s_wait_alu 0xfffe
	s_or_b32 s48, s10, s11
	s_or_b32 s66, s12, s13
                                        ; implicit-def: $vgpr6_vgpr7
	s_and_saveexec_b32 s17, s5
	s_cbranch_execz .LBB22_31
; %bb.133:                              ;   in Loop: Header=BB22_32 Depth=1
	v_mov_b32_e32 v6, 1
	v_dual_mov_b32 v7, 0 :: v_dual_mov_b32 v12, 1
	s_xor_b32 s11, s19, -1
	s_mov_b32 s10, 0
	s_wait_alu 0xfffe
	s_and_saveexec_b32 s5, s11
	s_cbranch_execz .LBB22_142
; %bb.134:                              ;   in Loop: Header=BB22_32 Depth=1
	s_mov_b32 s10, exec_lo
	v_cmpx_le_i64_e64 v[28:29], v[2:3]
	s_wait_alu 0xfffe
	s_xor_b32 s10, exec_lo, s10
	s_cbranch_execz .LBB22_139
; %bb.135:                              ;   in Loop: Header=BB22_32 Depth=1
	ds_load_b64 v[6:7], v13 offset:5120
	v_and_b32_e32 v40, s20, v40
	v_or_b32_e32 v46, s16, v46
	s_wait_dscnt 0x0
	v_cmp_ne_u64_e32 vcc_lo, 0, v[6:7]
	s_cbranch_vccnz .LBB22_139
; %bb.136:                              ;   in Loop: Header=BB22_32 Depth=1
	s_and_saveexec_b32 s11, s2
; %bb.137:                              ;   in Loop: Header=BB22_32 Depth=1
	ds_store_b64 v13, v[2:3] offset:5128
; %bb.138:                              ;   in Loop: Header=BB22_32 Depth=1
	s_wait_alu 0xfffe
	s_or_b32 exec_lo, exec_lo, s11
	s_wait_loadcnt_dscnt 0x0
	s_barrier_signal -1
	s_barrier_wait -1
	global_inv scope:SCOPE_SE
.LBB22_139:                             ;   in Loop: Header=BB22_32 Depth=1
	s_wait_alu 0xfffe
	s_or_saveexec_b32 s10, s10
	v_mov_b32_e32 v12, 8
	s_mov_b32 s11, 0
	s_wait_alu 0xfffe
	s_xor_b32 exec_lo, exec_lo, s10
; %bb.140:                              ;   in Loop: Header=BB22_32 Depth=1
	v_sub_co_u32 v28, vcc_lo, v28, v2
	s_wait_alu 0xfffd
	v_sub_co_ci_u32_e64 v29, null, v29, v3, vcc_lo
	v_mov_b32_e32 v12, 0
	s_mov_b32 s11, exec_lo
; %bb.141:                              ;   in Loop: Header=BB22_32 Depth=1
	s_or_b32 exec_lo, exec_lo, s10
	s_delay_alu instid0(VALU_DEP_2)
	v_dual_mov_b32 v6, v28 :: v_dual_mov_b32 v7, v29
	s_wait_alu 0xfffe
	s_and_b32 s10, s11, exec_lo
.LBB22_142:                             ;   in Loop: Header=BB22_32 Depth=1
	s_wait_alu 0xfffe
	s_or_b32 exec_lo, exec_lo, s5
	s_mov_b32 s18, -1
	s_mov_b32 s5, -1
                                        ; implicit-def: $sgpr21
                                        ; implicit-def: $sgpr22
	s_and_saveexec_b32 s11, s10
	s_wait_alu 0xfffe
	s_xor_b32 s19, exec_lo, s11
	s_cbranch_execz .LBB22_284
; %bb.143:                              ;   in Loop: Header=BB22_32 Depth=1
	v_cmp_eq_u64_e32 vcc_lo, 1, v[4:5]
	v_cmp_eq_u64_e64 s5, 1, v[6:7]
                                        ; implicit-def: $sgpr22
                                        ; implicit-def: $sgpr21
	s_and_b32 s50, vcc_lo, s5
	s_mov_b32 s5, -1
	s_wait_alu 0xfffe
	s_and_saveexec_b32 s23, s50
	s_cbranch_execz .LBB22_177
; %bb.144:                              ;   in Loop: Header=BB22_32 Depth=1
	ds_load_b64 v[2:3], v13 offset:5120
	s_wait_loadcnt_dscnt 0x0
	s_barrier_signal -1
	s_barrier_wait -1
	global_inv scope:SCOPE_SE
	v_readfirstlane_b32 s10, v2
	v_readfirstlane_b32 s11, v3
	s_and_saveexec_b32 s5, s3
; %bb.145:                              ;   in Loop: Header=BB22_32 Depth=1
	ds_store_b32 v35, v13
; %bb.146:                              ;   in Loop: Header=BB22_32 Depth=1
	s_wait_alu 0xfffe
	s_or_b32 exec_lo, exec_lo, s5
	s_lshl_b32 s5, 1, s59
	v_or_b32_e32 v46, s16, v46
	s_wait_alu 0xfffe
	v_and_or_b32 v40, v40, s20, s5
	v_cmp_gt_i64_e64 s5, s[10:11], 0
	s_mov_b32 s21, -1
	s_mov_b32 s22, 0
	s_mov_b32 s14, -1
	s_wait_loadcnt_dscnt 0x0
	s_barrier_signal -1
	s_and_b32 vcc_lo, exec_lo, s5
	s_mov_b32 s5, 0
	s_barrier_wait -1
	global_inv scope:SCOPE_SE
                                        ; implicit-def: $vgpr27
	s_wait_alu 0xfffe
	s_cbranch_vccnz .LBB22_162
; %bb.147:                              ;   in Loop: Header=BB22_32 Depth=1
	s_mov_b32 s12, s25
	s_mov_b32 s13, s77
	s_wait_alu 0xfffe
	s_cmp_lg_u64 s[12:13], 0
	s_cbranch_scc0 .LBB22_204
; %bb.148:                              ;   in Loop: Header=BB22_32 Depth=1
	s_add_nc_u64 s[12:13], s[68:69], 0
	s_wait_alu 0xfffe
	s_xor_b64 s[12:13], s[12:13], 0
	s_wait_alu 0xfffe
	s_cvt_f32_u32 s5, s12
	s_cvt_f32_u32 s14, s13
	s_sub_nc_u64 s[84:85], 0, s[12:13]
	s_wait_alu 0xfffe
	s_delay_alu instid0(SALU_CYCLE_1) | instskip(SKIP_1) | instid1(SALU_CYCLE_2)
	s_fmamk_f32 s5, s14, 0x4f800000, s5
	s_wait_alu 0xfffe
	v_s_rcp_f32 s5, s5
	s_delay_alu instid0(TRANS32_DEP_1) | instskip(SKIP_1) | instid1(SALU_CYCLE_2)
	s_mul_f32 s5, s5, 0x5f7ffffc
	s_wait_alu 0xfffe
	s_mul_f32 s14, s5, 0x2f800000
	s_wait_alu 0xfffe
	s_delay_alu instid0(SALU_CYCLE_2) | instskip(SKIP_1) | instid1(SALU_CYCLE_2)
	s_trunc_f32 s14, s14
	s_wait_alu 0xfffe
	s_fmamk_f32 s5, s14, 0xcf800000, s5
	s_cvt_u32_f32 s15, s14
	s_wait_alu 0xfffe
	s_delay_alu instid0(SALU_CYCLE_1) | instskip(SKIP_1) | instid1(SALU_CYCLE_2)
	s_cvt_u32_f32 s14, s5
	s_wait_alu 0xfffe
	s_mul_u64 s[86:87], s[84:85], s[14:15]
	s_wait_alu 0xfffe
	s_mul_hi_u32 s89, s14, s87
	s_mul_i32 s88, s14, s87
	s_mul_hi_u32 s24, s14, s86
	s_mul_i32 s51, s15, s86
	s_wait_alu 0xfffe
	s_add_nc_u64 s[88:89], s[24:25], s[88:89]
	s_mul_hi_u32 s5, s15, s86
	s_mul_hi_u32 s90, s15, s87
	s_wait_alu 0xfffe
	s_add_co_u32 s24, s88, s51
	s_add_co_ci_u32 s24, s89, s5
	s_mul_i32 s86, s15, s87
	s_add_co_ci_u32 s87, s90, 0
	s_wait_alu 0xfffe
	s_add_nc_u64 s[86:87], s[24:25], s[86:87]
	s_wait_alu 0xfffe
	s_add_co_u32 s14, s14, s86
	s_cselect_b32 s5, -1, 0
	s_wait_alu 0xfffe
	s_cmp_lg_u32 s5, 0
	s_add_co_ci_u32 s15, s15, s87
	s_wait_alu 0xfffe
	s_mul_u64 s[84:85], s[84:85], s[14:15]
	s_wait_alu 0xfffe
	s_mul_hi_u32 s87, s14, s85
	s_mul_i32 s86, s14, s85
	s_mul_hi_u32 s24, s14, s84
	s_mul_i32 s51, s15, s84
	s_wait_alu 0xfffe
	s_add_nc_u64 s[86:87], s[24:25], s[86:87]
	s_mul_hi_u32 s5, s15, s84
	s_mul_hi_u32 s88, s15, s85
	s_wait_alu 0xfffe
	s_add_co_u32 s24, s86, s51
	s_add_co_ci_u32 s24, s87, s5
	s_mul_i32 s84, s15, s85
	s_add_co_ci_u32 s85, s88, 0
	s_wait_alu 0xfffe
	s_add_nc_u64 s[84:85], s[24:25], s[84:85]
	s_wait_alu 0xfffe
	s_add_co_u32 s5, s14, s84
	s_cselect_b32 s14, -1, 0
	s_wait_alu 0xfffe
	s_cmp_lg_u32 s14, 0
	s_add_co_ci_u32 s51, s15, s85
	s_ashr_i32 s14, s77, 31
	s_wait_alu 0xfffe
	s_mov_b32 s15, s14
	s_wait_alu 0xfffe
	s_add_nc_u64 s[84:85], s[76:77], s[14:15]
	s_wait_alu 0xfffe
	s_xor_b64 s[84:85], s[84:85], s[14:15]
	s_wait_alu 0xfffe
	s_mul_hi_u32 s87, s84, s51
	s_mul_i32 s86, s84, s51
	s_mul_hi_u32 s24, s84, s5
	s_mul_hi_u32 s90, s85, s5
	s_mul_i32 s5, s85, s5
	s_wait_alu 0xfffe
	s_add_nc_u64 s[86:87], s[24:25], s[86:87]
	s_mul_hi_u32 s89, s85, s51
	s_wait_alu 0xfffe
	s_add_co_u32 s5, s86, s5
	s_add_co_ci_u32 s24, s87, s90
	s_mul_i32 s88, s85, s51
	s_add_co_ci_u32 s89, s89, 0
	s_wait_alu 0xfffe
	s_add_nc_u64 s[86:87], s[24:25], s[88:89]
	s_wait_alu 0xfffe
	s_mul_u64 s[86:87], s[12:13], s[86:87]
	s_wait_alu 0xfffe
	s_sub_co_u32 s5, s84, s86
	s_cselect_b32 s24, -1, 0
	s_sub_co_i32 s51, s85, s87
	s_wait_alu 0xfffe
	s_cmp_lg_u32 s24, 0
	s_sub_co_ci_u32 s51, s51, s13
	s_sub_co_u32 s84, s5, s12
	s_cselect_b32 s86, -1, 0
	s_wait_alu 0xfffe
	s_cmp_lg_u32 s86, 0
	s_sub_co_ci_u32 s88, s51, 0
	s_wait_alu 0xfffe
	s_cmp_ge_u32 s88, s13
	s_cselect_b32 s89, -1, 0
	s_cmp_ge_u32 s84, s12
	s_cselect_b32 s90, -1, 0
	s_cmp_eq_u32 s88, s13
	s_wait_alu 0xfffe
	s_cselect_b32 s89, s90, s89
	s_cmp_lg_u32 s86, 0
	s_sub_co_ci_u32 s51, s51, s13
	s_sub_co_u32 s86, s84, s12
	s_cselect_b32 s90, -1, 0
	s_wait_alu 0xfffe
	s_cmp_lg_u32 s90, 0
	s_sub_co_ci_u32 s51, s51, 0
	s_cmp_lg_u32 s89, 0
	s_cselect_b32 s84, s86, s84
	s_wait_alu 0xfffe
	s_cselect_b32 s51, s51, s88
	s_cmp_lg_u32 s24, 0
	s_sub_co_ci_u32 s24, s85, s87
	s_wait_alu 0xfffe
	s_cmp_ge_u32 s24, s13
	s_cselect_b32 s85, -1, 0
	s_cmp_ge_u32 s5, s12
	s_cselect_b32 s12, -1, 0
	s_cmp_eq_u32 s24, s13
	s_wait_alu 0xfffe
	s_cselect_b32 s12, s12, s85
	s_wait_alu 0xfffe
	s_cmp_lg_u32 s12, 0
	s_cselect_b32 s13, s51, s24
	s_cselect_b32 s12, s84, s5
	s_wait_alu 0xfffe
	s_xor_b64 s[12:13], s[12:13], s[14:15]
	s_wait_alu 0xfffe
	s_sub_nc_u64 s[12:13], s[12:13], s[14:15]
	s_cbranch_execnz .LBB22_150
.LBB22_149:                             ;   in Loop: Header=BB22_32 Depth=1
	v_cvt_f32_u32_e32 v2, s68
	s_sub_co_i32 s12, 0, s68
	s_delay_alu instid0(VALU_DEP_1) | instskip(NEXT) | instid1(TRANS32_DEP_1)
	v_rcp_iflag_f32_e32 v2, v2
	v_mul_f32_e32 v2, 0x4f7ffffe, v2
	s_delay_alu instid0(VALU_DEP_1) | instskip(NEXT) | instid1(VALU_DEP_1)
	v_cvt_u32_f32_e32 v2, v2
	v_readfirstlane_b32 s5, v2
	s_wait_alu 0xfffe
	s_mul_i32 s12, s12, s5
	s_wait_alu 0xfffe
	s_mul_hi_u32 s12, s5, s12
	s_wait_alu 0xfffe
	s_add_co_i32 s5, s5, s12
	s_wait_alu 0xfffe
	s_mul_hi_u32 s5, s76, s5
	s_wait_alu 0xfffe
	s_mul_i32 s5, s5, s68
	s_wait_alu 0xfffe
	s_sub_co_i32 s5, s76, s5
	s_wait_alu 0xfffe
	s_sub_co_i32 s12, s5, s68
	s_cmp_ge_u32 s5, s68
	s_wait_alu 0xfffe
	s_cselect_b32 s5, s12, s5
	s_wait_alu 0xfffe
	s_sub_co_i32 s12, s5, s68
	s_cmp_ge_u32 s5, s68
	s_wait_alu 0xfffe
	s_cselect_b32 s24, s12, s5
	s_wait_alu 0xfffe
	s_mov_b64 s[12:13], s[24:25]
.LBB22_150:                             ;   in Loop: Header=BB22_32 Depth=1
	s_wait_alu 0xfffe
	s_sub_nc_u64 s[12:13], s[76:77], s[12:13]
	s_mov_b32 s14, 0
	s_mov_b32 s5, 0
	s_mov_b32 s15, exec_lo
                                        ; implicit-def: $vgpr27
	s_wait_alu 0xfffe
	v_cmpx_gt_i64_e64 s[12:13], v[0:1]
	s_cbranch_execz .LBB22_161
; %bb.151:                              ;   in Loop: Header=BB22_32 Depth=1
	v_dual_mov_b32 v2, v10 :: v_dual_mov_b32 v3, v11
	v_dual_mov_b32 v9, v1 :: v_dual_mov_b32 v8, v0
	s_mov_b32 s24, 0
                                        ; implicit-def: $sgpr51
	s_branch .LBB22_154
.LBB22_152:                             ;   in Loop: Header=BB22_154 Depth=2
	s_wait_alu 0xfffe
	s_or_b32 exec_lo, exec_lo, s5
	s_wait_loadcnt_dscnt 0x0
	s_barrier_signal -1
	s_barrier_wait -1
	global_inv scope:SCOPE_SE
	ds_load_b64 v[26:27], v13 offset:3072
	s_mov_b32 s5, -1
	s_mov_b32 s84, -1
	s_wait_loadcnt_dscnt 0x0
	s_barrier_signal -1
	s_barrier_wait -1
	global_inv scope:SCOPE_SE
	v_cmp_ne_u32_e32 vcc_lo, 0, v26
	s_cbranch_vccz .LBB22_157
.LBB22_153:                             ;   in Loop: Header=BB22_154 Depth=2
	s_wait_alu 0xfffe
	s_and_b32 s5, exec_lo, s5
	s_wait_alu 0xfffe
	s_or_b32 s24, s5, s24
	s_and_not1_b32 s5, s51, exec_lo
	s_and_b32 s51, s84, exec_lo
	s_wait_alu 0xfffe
	s_or_b32 s51, s5, s51
	s_and_not1_b32 exec_lo, exec_lo, s24
	s_cbranch_execz .LBB22_160
.LBB22_154:                             ;   Parent Loop BB22_32 Depth=1
                                        ; =>  This Inner Loop Header: Depth=2
	s_mov_b32 s5, exec_lo
	s_delay_alu instid0(VALU_DEP_1)
	v_cmpx_gt_i64_e64 s[36:37], v[8:9]
	s_cbranch_execz .LBB22_152
; %bb.155:                              ;   in Loop: Header=BB22_154 Depth=2
	global_load_b32 v26, v[2:3], off
	s_wait_loadcnt 0x0
	v_xor_b32_e32 v27, 0x80000000, v26
	s_delay_alu instid0(VALU_DEP_1) | instskip(NEXT) | instid1(VALU_DEP_1)
	v_and_b32_e32 v27, v27, v46
	v_cmp_eq_u32_e32 vcc_lo, v27, v40
	s_and_b32 exec_lo, exec_lo, vcc_lo
	s_cbranch_execz .LBB22_152
; %bb.156:                              ;   in Loop: Header=BB22_154 Depth=2
	ds_store_b64 v13, v[25:26] offset:3072
	s_branch .LBB22_152
.LBB22_157:                             ;   in Loop: Header=BB22_154 Depth=2
	v_add_co_u32 v8, vcc_lo, v8, s68
	s_wait_alu 0xfffd
	v_add_co_ci_u32_e64 v9, null, 0, v9, vcc_lo
	v_add_co_u32 v2, s5, v2, s70
	s_wait_alu 0xf1fe
	v_add_co_ci_u32_e64 v3, null, s71, v3, s5
	s_delay_alu instid0(VALU_DEP_3)
	v_cmp_le_i64_e32 vcc_lo, s[12:13], v[8:9]
	s_mov_b32 s84, 0
	s_or_not1_b32 s5, vcc_lo, exec_lo
	s_branch .LBB22_153
.LBB22_158:                             ;   in Loop: Header=BB22_32 Depth=1
                                        ; implicit-def: $sgpr12_sgpr13
	s_branch .LBB22_106
.LBB22_159:                             ;   in Loop: Header=BB22_32 Depth=1
                                        ; implicit-def: $sgpr14_sgpr15
	s_branch .LBB22_120
.LBB22_160:                             ;   in Loop: Header=BB22_32 Depth=1
	s_or_b32 exec_lo, exec_lo, s24
	s_wait_alu 0xfffe
	s_and_b32 s5, s51, exec_lo
.LBB22_161:                             ;   in Loop: Header=BB22_32 Depth=1
	s_or_b32 exec_lo, exec_lo, s15
.LBB22_162:                             ;   in Loop: Header=BB22_32 Depth=1
	s_delay_alu instid0(SALU_CYCLE_1)
	s_and_b32 vcc_lo, exec_lo, s14
	s_wait_alu 0xfffe
	s_cbranch_vccz .LBB22_176
; %bb.163:                              ;   in Loop: Header=BB22_32 Depth=1
	s_add_nc_u64 s[12:13], s[10:11], s[74:75]
	s_mov_b32 s14, s25
	s_wait_alu 0xfffe
	s_mov_b32 s15, s13
	s_wait_alu 0xfffe
	s_cmp_lg_u64 s[14:15], 0
	s_cbranch_scc0 .LBB22_205
; %bb.164:                              ;   in Loop: Header=BB22_32 Depth=1
	s_add_nc_u64 s[14:15], s[68:69], 0
	s_wait_alu 0xfffe
	s_xor_b64 s[14:15], s[14:15], 0
	s_wait_alu 0xfffe
	s_cvt_f32_u32 s21, s14
	s_cvt_f32_u32 s22, s15
	s_sub_nc_u64 s[86:87], 0, s[14:15]
	s_wait_alu 0xfffe
	s_delay_alu instid0(SALU_CYCLE_1) | instskip(SKIP_1) | instid1(SALU_CYCLE_2)
	s_fmamk_f32 s21, s22, 0x4f800000, s21
	s_wait_alu 0xfffe
	v_s_rcp_f32 s21, s21
	s_delay_alu instid0(TRANS32_DEP_1) | instskip(SKIP_1) | instid1(SALU_CYCLE_2)
	s_mul_f32 s21, s21, 0x5f7ffffc
	s_wait_alu 0xfffe
	s_mul_f32 s22, s21, 0x2f800000
	s_wait_alu 0xfffe
	s_delay_alu instid0(SALU_CYCLE_2) | instskip(SKIP_1) | instid1(SALU_CYCLE_2)
	s_trunc_f32 s22, s22
	s_wait_alu 0xfffe
	s_fmamk_f32 s21, s22, 0xcf800000, s21
	s_cvt_u32_f32 s85, s22
	s_wait_alu 0xfffe
	s_delay_alu instid0(SALU_CYCLE_1) | instskip(SKIP_1) | instid1(SALU_CYCLE_2)
	s_cvt_u32_f32 s84, s21
	s_wait_alu 0xfffe
	s_mul_u64 s[88:89], s[86:87], s[84:85]
	s_wait_alu 0xfffe
	s_mul_hi_u32 s91, s84, s89
	s_mul_i32 s90, s84, s89
	s_mul_hi_u32 s24, s84, s88
	s_mul_i32 s22, s85, s88
	s_wait_alu 0xfffe
	s_add_nc_u64 s[90:91], s[24:25], s[90:91]
	s_mul_hi_u32 s21, s85, s88
	s_mul_hi_u32 s51, s85, s89
	s_wait_alu 0xfffe
	s_add_co_u32 s22, s90, s22
	s_add_co_ci_u32 s24, s91, s21
	s_mul_i32 s88, s85, s89
	s_add_co_ci_u32 s89, s51, 0
	s_wait_alu 0xfffe
	s_add_nc_u64 s[88:89], s[24:25], s[88:89]
	s_wait_alu 0xfffe
	s_add_co_u32 s84, s84, s88
	s_cselect_b32 s21, -1, 0
	s_wait_alu 0xfffe
	s_cmp_lg_u32 s21, 0
	s_add_co_ci_u32 s85, s85, s89
	s_wait_alu 0xfffe
	s_mul_u64 s[86:87], s[86:87], s[84:85]
	s_wait_alu 0xfffe
	s_mul_hi_u32 s89, s84, s87
	s_mul_i32 s88, s84, s87
	s_mul_hi_u32 s24, s84, s86
	s_mul_i32 s22, s85, s86
	s_wait_alu 0xfffe
	s_add_nc_u64 s[88:89], s[24:25], s[88:89]
	s_mul_hi_u32 s21, s85, s86
	s_mul_hi_u32 s51, s85, s87
	s_wait_alu 0xfffe
	s_add_co_u32 s22, s88, s22
	s_add_co_ci_u32 s24, s89, s21
	s_mul_i32 s86, s85, s87
	s_add_co_ci_u32 s87, s51, 0
	s_wait_alu 0xfffe
	s_add_nc_u64 s[86:87], s[24:25], s[86:87]
	s_wait_alu 0xfffe
	s_add_co_u32 s21, s84, s86
	s_cselect_b32 s22, -1, 0
	s_wait_alu 0xfffe
	s_cmp_lg_u32 s22, 0
	s_add_co_ci_u32 s22, s85, s87
	s_ashr_i32 s84, s13, 31
	s_wait_alu 0xfffe
	s_mov_b32 s85, s84
	s_wait_alu 0xfffe
	s_add_nc_u64 s[86:87], s[12:13], s[84:85]
	s_wait_alu 0xfffe
	s_xor_b64 s[86:87], s[86:87], s[84:85]
	s_wait_alu 0xfffe
	s_mul_hi_u32 s89, s86, s22
	s_mul_i32 s88, s86, s22
	s_mul_hi_u32 s24, s86, s21
	s_mul_hi_u32 s91, s87, s21
	s_mul_i32 s21, s87, s21
	s_wait_alu 0xfffe
	s_add_nc_u64 s[88:89], s[24:25], s[88:89]
	s_mul_hi_u32 s51, s87, s22
	s_wait_alu 0xfffe
	s_add_co_u32 s21, s88, s21
	s_add_co_ci_u32 s24, s89, s91
	s_mul_i32 s90, s87, s22
	s_add_co_ci_u32 s91, s51, 0
	s_wait_alu 0xfffe
	s_add_nc_u64 s[88:89], s[24:25], s[90:91]
	s_wait_alu 0xfffe
	s_mul_u64 s[88:89], s[14:15], s[88:89]
	s_wait_alu 0xfffe
	s_sub_co_u32 s21, s86, s88
	s_cselect_b32 s22, -1, 0
	s_sub_co_i32 s24, s87, s89
	s_wait_alu 0xfffe
	s_cmp_lg_u32 s22, 0
	s_sub_co_ci_u32 s24, s24, s15
	s_sub_co_u32 s51, s21, s14
	s_cselect_b32 s86, -1, 0
	s_wait_alu 0xfffe
	s_cmp_lg_u32 s86, 0
	s_sub_co_ci_u32 s88, s24, 0
	s_wait_alu 0xfffe
	s_cmp_ge_u32 s88, s15
	s_cselect_b32 s90, -1, 0
	s_cmp_ge_u32 s51, s14
	s_cselect_b32 s91, -1, 0
	s_cmp_eq_u32 s88, s15
	s_wait_alu 0xfffe
	s_cselect_b32 s90, s91, s90
	s_cmp_lg_u32 s86, 0
	s_sub_co_ci_u32 s24, s24, s15
	s_sub_co_u32 s86, s51, s14
	s_cselect_b32 s91, -1, 0
	s_wait_alu 0xfffe
	s_cmp_lg_u32 s91, 0
	s_sub_co_ci_u32 s24, s24, 0
	s_cmp_lg_u32 s90, 0
	s_cselect_b32 s51, s86, s51
	s_wait_alu 0xfffe
	s_cselect_b32 s24, s24, s88
	s_cmp_lg_u32 s22, 0
	s_sub_co_ci_u32 s22, s87, s89
	s_wait_alu 0xfffe
	s_cmp_ge_u32 s22, s15
	s_cselect_b32 s86, -1, 0
	s_cmp_ge_u32 s21, s14
	s_cselect_b32 s14, -1, 0
	s_cmp_eq_u32 s22, s15
	s_wait_alu 0xfffe
	s_cselect_b32 s14, s14, s86
	s_wait_alu 0xfffe
	s_cmp_lg_u32 s14, 0
	s_cselect_b32 s15, s24, s22
	s_cselect_b32 s14, s51, s21
	s_wait_alu 0xfffe
	s_xor_b64 s[14:15], s[14:15], s[84:85]
	s_wait_alu 0xfffe
	s_sub_nc_u64 s[14:15], s[14:15], s[84:85]
	s_cbranch_execnz .LBB22_166
.LBB22_165:                             ;   in Loop: Header=BB22_32 Depth=1
	v_cvt_f32_u32_e32 v2, s68
	s_sub_co_i32 s15, 0, s68
	s_delay_alu instid0(VALU_DEP_1) | instskip(NEXT) | instid1(TRANS32_DEP_1)
	v_rcp_iflag_f32_e32 v2, v2
	v_mul_f32_e32 v2, 0x4f7ffffe, v2
	s_delay_alu instid0(VALU_DEP_1) | instskip(NEXT) | instid1(VALU_DEP_1)
	v_cvt_u32_f32_e32 v2, v2
	v_readfirstlane_b32 s14, v2
	s_wait_alu 0xfffe
	s_mul_i32 s15, s15, s14
	s_wait_alu 0xfffe
	s_mul_hi_u32 s15, s14, s15
	s_wait_alu 0xfffe
	s_add_co_i32 s14, s14, s15
	s_wait_alu 0xfffe
	s_mul_hi_u32 s14, s12, s14
	s_wait_alu 0xfffe
	s_mul_i32 s14, s14, s68
	s_wait_alu 0xfffe
	s_sub_co_i32 s14, s12, s14
	s_wait_alu 0xfffe
	s_sub_co_i32 s15, s14, s68
	s_cmp_ge_u32 s14, s68
	s_wait_alu 0xfffe
	s_cselect_b32 s14, s15, s14
	s_wait_alu 0xfffe
	s_sub_co_i32 s15, s14, s68
	s_cmp_ge_u32 s14, s68
	s_wait_alu 0xfffe
	s_cselect_b32 s24, s15, s14
	s_wait_alu 0xfffe
	s_mov_b64 s[14:15], s[24:25]
.LBB22_166:                             ;   in Loop: Header=BB22_32 Depth=1
	s_wait_alu 0xfffe
	s_sub_nc_u64 s[12:13], s[12:13], s[14:15]
	s_mov_b32 s14, exec_lo
                                        ; implicit-def: $vgpr27
	s_wait_alu 0xfffe
	v_cmpx_gt_i64_e64 s[12:13], v[0:1]
	s_cbranch_execz .LBB22_175
; %bb.167:                              ;   in Loop: Header=BB22_32 Depth=1
	v_dual_mov_b32 v8, v14 :: v_dual_mov_b32 v3, v1
	v_mov_b32_e32 v2, v0
	s_mov_b32 s15, 0
                                        ; implicit-def: $sgpr21
	s_branch .LBB22_170
.LBB22_168:                             ;   in Loop: Header=BB22_170 Depth=2
	s_wait_alu 0xfffe
	s_or_b32 exec_lo, exec_lo, s22
	s_wait_loadcnt_dscnt 0x0
	s_barrier_signal -1
	s_barrier_wait -1
	global_inv scope:SCOPE_SE
	ds_load_b64 v[26:27], v13 offset:3072
	s_mov_b32 s22, -1
	s_mov_b32 s24, -1
	s_wait_loadcnt_dscnt 0x0
	s_barrier_signal -1
	s_barrier_wait -1
	global_inv scope:SCOPE_SE
	v_cmp_eq_u32_e32 vcc_lo, 0, v26
	s_cbranch_vccnz .LBB22_173
.LBB22_169:                             ;   in Loop: Header=BB22_170 Depth=2
	s_wait_alu 0xfffe
	s_and_b32 s22, exec_lo, s22
	s_wait_alu 0xfffe
	s_or_b32 s15, s22, s15
	s_and_not1_b32 s21, s21, exec_lo
	s_and_b32 s22, s24, exec_lo
	s_wait_alu 0xfffe
	s_or_b32 s21, s21, s22
	s_and_not1_b32 exec_lo, exec_lo, s15
	s_cbranch_execz .LBB22_174
.LBB22_170:                             ;   Parent Loop BB22_32 Depth=1
                                        ; =>  This Inner Loop Header: Depth=2
	s_mov_b32 s22, exec_lo
	s_delay_alu instid0(VALU_DEP_1)
	v_cmpx_gt_u64_e64 s[10:11], v[2:3]
	s_cbranch_execz .LBB22_168
; %bb.171:                              ;   in Loop: Header=BB22_170 Depth=2
	ds_load_b32 v26, v8
	s_wait_dscnt 0x0
	v_xor_b32_e32 v9, 0x80000000, v26
	s_delay_alu instid0(VALU_DEP_1) | instskip(NEXT) | instid1(VALU_DEP_1)
	v_and_b32_e32 v9, v9, v46
	v_cmp_eq_u32_e32 vcc_lo, v9, v40
	s_and_b32 exec_lo, exec_lo, vcc_lo
	s_cbranch_execz .LBB22_168
; %bb.172:                              ;   in Loop: Header=BB22_170 Depth=2
	ds_store_b64 v13, v[25:26] offset:3072
	s_branch .LBB22_168
.LBB22_173:                             ;   in Loop: Header=BB22_170 Depth=2
	v_add_co_u32 v2, vcc_lo, v2, s68
	s_wait_alu 0xfffd
	v_add_co_ci_u32_e64 v3, null, 0, v3, vcc_lo
	v_add_nc_u32_e32 v8, s58, v8
	s_mov_b32 s24, 0
	s_delay_alu instid0(VALU_DEP_2)
	v_cmp_le_i64_e32 vcc_lo, s[12:13], v[2:3]
	s_or_not1_b32 s22, vcc_lo, exec_lo
	s_branch .LBB22_169
.LBB22_174:                             ;   in Loop: Header=BB22_32 Depth=1
	s_or_b32 exec_lo, exec_lo, s15
	s_delay_alu instid0(SALU_CYCLE_1)
	s_and_not1_b32 s5, s5, exec_lo
	s_wait_alu 0xfffe
	s_and_b32 s10, s21, exec_lo
	s_wait_alu 0xfffe
	s_or_b32 s5, s5, s10
.LBB22_175:                             ;   in Loop: Header=BB22_32 Depth=1
	s_or_b32 exec_lo, exec_lo, s14
	s_mov_b32 s21, 0
	s_mov_b32 s22, -1
.LBB22_176:                             ;   in Loop: Header=BB22_32 Depth=1
	s_wait_alu 0xfffe
	s_or_not1_b32 s5, s5, exec_lo
.LBB22_177:                             ;   in Loop: Header=BB22_32 Depth=1
	s_wait_alu 0xfffe
	s_or_b32 exec_lo, exec_lo, s23
	s_mov_b32 s10, 0
	s_and_saveexec_b32 s23, s5
	s_cbranch_execz .LBB22_283
; %bb.178:                              ;   in Loop: Header=BB22_32 Depth=1
	v_mov_b32_e32 v2, 1
	v_dual_mov_b32 v3, 0 :: v_dual_mov_b32 v12, 1
	s_xor_b32 s11, s50, -1
	s_wait_alu 0xfffe
	s_and_saveexec_b32 s5, s11
	s_cbranch_execz .LBB22_188
; %bb.179:                              ;   in Loop: Header=BB22_32 Depth=1
	s_mov_b32 s10, exec_lo
	v_cmpx_le_i64_e64 v[6:7], v[4:5]
	s_wait_alu 0xfffe
	s_xor_b32 s10, exec_lo, s10
	s_cbranch_execz .LBB22_185
; %bb.180:                              ;   in Loop: Header=BB22_32 Depth=1
	ds_load_b64 v[2:3], v13 offset:5120
	s_lshl_b32 s11, 1, s59
	v_or_b32_e32 v46, s16, v46
	s_wait_alu 0xfffe
	v_and_or_b32 v40, v40, s20, s11
	s_wait_dscnt 0x0
	v_cmp_ne_u64_e32 vcc_lo, 0, v[2:3]
	s_cbranch_vccnz .LBB22_184
; %bb.181:                              ;   in Loop: Header=BB22_32 Depth=1
	s_and_saveexec_b32 s11, s2
; %bb.182:                              ;   in Loop: Header=BB22_32 Depth=1
	ds_store_b64 v13, v[4:5] offset:5128
; %bb.183:                              ;   in Loop: Header=BB22_32 Depth=1
	s_wait_alu 0xfffe
	s_or_b32 exec_lo, exec_lo, s11
	s_wait_loadcnt_dscnt 0x0
	s_barrier_signal -1
	s_barrier_wait -1
	global_inv scope:SCOPE_SE
.LBB22_184:                             ;   in Loop: Header=BB22_32 Depth=1
                                        ; implicit-def: $vgpr2_vgpr3_vgpr4_vgpr5
.LBB22_185:                             ;   in Loop: Header=BB22_32 Depth=1
	s_wait_alu 0xfffe
	s_or_saveexec_b32 s10, s10
	v_mov_b32_e32 v12, 8
	s_mov_b32 s11, 0
	s_wait_alu 0xfffe
	s_xor_b32 exec_lo, exec_lo, s10
; %bb.186:                              ;   in Loop: Header=BB22_32 Depth=1
	v_sub_co_u32 v6, vcc_lo, v6, v4
	s_wait_alu 0xfffd
	v_sub_co_ci_u32_e64 v7, null, v7, v5, vcc_lo
	v_mov_b32_e32 v12, 0
	s_mov_b32 s11, exec_lo
; %bb.187:                              ;   in Loop: Header=BB22_32 Depth=1
	s_or_b32 exec_lo, exec_lo, s10
	s_delay_alu instid0(VALU_DEP_2)
	v_dual_mov_b32 v2, v6 :: v_dual_mov_b32 v3, v7
	s_wait_alu 0xfffe
	s_and_b32 s10, s11, exec_lo
.LBB22_188:                             ;   in Loop: Header=BB22_32 Depth=1
	s_wait_alu 0xfffe
	s_or_b32 exec_lo, exec_lo, s5
	s_mov_b32 s5, -1
                                        ; implicit-def: $sgpr14
                                        ; implicit-def: $sgpr15
	s_and_saveexec_b32 s50, s10
	s_cbranch_execz .LBB22_282
; %bb.189:                              ;   in Loop: Header=BB22_32 Depth=1
	v_cmp_eq_u64_e32 vcc_lo, 1, v[2:3]
	s_cmp_eq_u64 s[8:9], 1
                                        ; implicit-def: $sgpr15
                                        ; implicit-def: $sgpr14
	s_cselect_b32 s5, -1, 0
	s_wait_alu 0xfffe
	s_and_b32 s84, s5, vcc_lo
	s_mov_b32 s5, -1
	s_wait_alu 0xfffe
	s_and_saveexec_b32 s51, s84
	s_cbranch_execz .LBB22_223
; %bb.190:                              ;   in Loop: Header=BB22_32 Depth=1
	ds_load_b64 v[4:5], v13 offset:5120
	s_wait_loadcnt_dscnt 0x0
	s_barrier_signal -1
	s_barrier_wait -1
	global_inv scope:SCOPE_SE
	v_readfirstlane_b32 s10, v4
	v_readfirstlane_b32 s11, v5
	s_and_saveexec_b32 s5, s3
; %bb.191:                              ;   in Loop: Header=BB22_32 Depth=1
	ds_store_b32 v35, v13
; %bb.192:                              ;   in Loop: Header=BB22_32 Depth=1
	s_wait_alu 0xfffe
	s_or_b32 exec_lo, exec_lo, s5
	s_lshl_b32 s5, 2, s59
	v_or_b32_e32 v46, s16, v46
	s_wait_alu 0xfffe
	v_and_or_b32 v40, v40, s20, s5
	v_cmp_gt_i64_e64 s5, s[10:11], 0
	s_mov_b32 s14, -1
	s_mov_b32 s15, 0
	s_mov_b32 s24, -1
	s_wait_loadcnt_dscnt 0x0
	s_barrier_signal -1
	s_and_b32 vcc_lo, exec_lo, s5
	s_mov_b32 s5, 0
	s_barrier_wait -1
	global_inv scope:SCOPE_SE
                                        ; implicit-def: $vgpr27
	s_wait_alu 0xfffe
	s_cbranch_vccnz .LBB22_208
; %bb.193:                              ;   in Loop: Header=BB22_32 Depth=1
	s_mov_b32 s12, s25
	s_mov_b32 s13, s77
	s_wait_alu 0xfffe
	s_cmp_lg_u64 s[12:13], 0
	s_cbranch_scc0 .LBB22_249
; %bb.194:                              ;   in Loop: Header=BB22_32 Depth=1
	s_add_nc_u64 s[12:13], s[68:69], 0
	s_wait_alu 0xfffe
	s_xor_b64 s[12:13], s[12:13], 0
	s_wait_alu 0xfffe
	s_cvt_f32_u32 s5, s12
	s_cvt_f32_u32 s24, s13
	s_sub_nc_u64 s[88:89], 0, s[12:13]
	s_wait_alu 0xfffe
	s_delay_alu instid0(SALU_CYCLE_1) | instskip(SKIP_1) | instid1(SALU_CYCLE_2)
	s_fmamk_f32 s5, s24, 0x4f800000, s5
	s_wait_alu 0xfffe
	v_s_rcp_f32 s5, s5
	s_delay_alu instid0(TRANS32_DEP_1) | instskip(SKIP_1) | instid1(SALU_CYCLE_2)
	s_mul_f32 s5, s5, 0x5f7ffffc
	s_wait_alu 0xfffe
	s_mul_f32 s24, s5, 0x2f800000
	s_wait_alu 0xfffe
	s_delay_alu instid0(SALU_CYCLE_2) | instskip(SKIP_1) | instid1(SALU_CYCLE_2)
	s_trunc_f32 s24, s24
	s_wait_alu 0xfffe
	s_fmamk_f32 s5, s24, 0xcf800000, s5
	s_cvt_u32_f32 s87, s24
	s_wait_alu 0xfffe
	s_delay_alu instid0(SALU_CYCLE_1) | instskip(SKIP_1) | instid1(SALU_CYCLE_2)
	s_cvt_u32_f32 s86, s5
	s_wait_alu 0xfffe
	s_mul_u64 s[90:91], s[88:89], s[86:87]
	s_wait_alu 0xfffe
	s_mul_hi_u32 s93, s86, s91
	s_mul_i32 s92, s86, s91
	s_mul_hi_u32 s24, s86, s90
	s_mul_i32 s85, s87, s90
	s_wait_alu 0xfffe
	s_add_nc_u64 s[92:93], s[24:25], s[92:93]
	s_mul_hi_u32 s5, s87, s90
	s_mul_hi_u32 s94, s87, s91
	s_wait_alu 0xfffe
	s_add_co_u32 s24, s92, s85
	s_add_co_ci_u32 s24, s93, s5
	s_mul_i32 s90, s87, s91
	s_add_co_ci_u32 s91, s94, 0
	s_wait_alu 0xfffe
	s_add_nc_u64 s[90:91], s[24:25], s[90:91]
	s_wait_alu 0xfffe
	s_add_co_u32 s86, s86, s90
	s_cselect_b32 s5, -1, 0
	s_wait_alu 0xfffe
	s_cmp_lg_u32 s5, 0
	s_add_co_ci_u32 s87, s87, s91
	s_wait_alu 0xfffe
	s_mul_u64 s[88:89], s[88:89], s[86:87]
	s_wait_alu 0xfffe
	s_mul_hi_u32 s91, s86, s89
	s_mul_i32 s90, s86, s89
	s_mul_hi_u32 s24, s86, s88
	s_mul_i32 s85, s87, s88
	s_wait_alu 0xfffe
	s_add_nc_u64 s[90:91], s[24:25], s[90:91]
	s_mul_hi_u32 s5, s87, s88
	s_mul_hi_u32 s92, s87, s89
	s_wait_alu 0xfffe
	s_add_co_u32 s24, s90, s85
	s_add_co_ci_u32 s24, s91, s5
	s_mul_i32 s88, s87, s89
	s_add_co_ci_u32 s89, s92, 0
	s_wait_alu 0xfffe
	s_add_nc_u64 s[88:89], s[24:25], s[88:89]
	s_wait_alu 0xfffe
	s_add_co_u32 s5, s86, s88
	s_cselect_b32 s24, -1, 0
	s_wait_alu 0xfffe
	s_cmp_lg_u32 s24, 0
	s_add_co_ci_u32 s85, s87, s89
	s_ashr_i32 s86, s77, 31
	s_wait_alu 0xfffe
	s_mov_b32 s87, s86
	s_wait_alu 0xfffe
	s_add_nc_u64 s[88:89], s[76:77], s[86:87]
	s_wait_alu 0xfffe
	s_xor_b64 s[88:89], s[88:89], s[86:87]
	s_wait_alu 0xfffe
	s_mul_hi_u32 s91, s88, s85
	s_mul_i32 s90, s88, s85
	s_mul_hi_u32 s24, s88, s5
	s_mul_hi_u32 s94, s89, s5
	s_mul_i32 s5, s89, s5
	s_wait_alu 0xfffe
	s_add_nc_u64 s[90:91], s[24:25], s[90:91]
	s_mul_hi_u32 s93, s89, s85
	s_wait_alu 0xfffe
	s_add_co_u32 s5, s90, s5
	s_add_co_ci_u32 s24, s91, s94
	s_mul_i32 s92, s89, s85
	s_add_co_ci_u32 s93, s93, 0
	s_wait_alu 0xfffe
	s_add_nc_u64 s[90:91], s[24:25], s[92:93]
	s_wait_alu 0xfffe
	s_mul_u64 s[90:91], s[12:13], s[90:91]
	s_wait_alu 0xfffe
	s_sub_co_u32 s5, s88, s90
	s_cselect_b32 s24, -1, 0
	s_sub_co_i32 s85, s89, s91
	s_wait_alu 0xfffe
	s_cmp_lg_u32 s24, 0
	s_sub_co_ci_u32 s85, s85, s13
	s_sub_co_u32 s88, s5, s12
	s_cselect_b32 s90, -1, 0
	s_wait_alu 0xfffe
	s_cmp_lg_u32 s90, 0
	s_sub_co_ci_u32 s92, s85, 0
	s_wait_alu 0xfffe
	s_cmp_ge_u32 s92, s13
	s_cselect_b32 s93, -1, 0
	s_cmp_ge_u32 s88, s12
	s_cselect_b32 s94, -1, 0
	s_cmp_eq_u32 s92, s13
	s_wait_alu 0xfffe
	s_cselect_b32 s93, s94, s93
	s_cmp_lg_u32 s90, 0
	s_sub_co_ci_u32 s85, s85, s13
	s_sub_co_u32 s90, s88, s12
	s_cselect_b32 s94, -1, 0
	s_wait_alu 0xfffe
	s_cmp_lg_u32 s94, 0
	s_sub_co_ci_u32 s85, s85, 0
	s_cmp_lg_u32 s93, 0
	s_cselect_b32 s88, s90, s88
	s_wait_alu 0xfffe
	s_cselect_b32 s85, s85, s92
	s_cmp_lg_u32 s24, 0
	s_sub_co_ci_u32 s24, s89, s91
	s_wait_alu 0xfffe
	s_cmp_ge_u32 s24, s13
	s_cselect_b32 s89, -1, 0
	s_cmp_ge_u32 s5, s12
	s_cselect_b32 s12, -1, 0
	s_cmp_eq_u32 s24, s13
	s_wait_alu 0xfffe
	s_cselect_b32 s12, s12, s89
	s_wait_alu 0xfffe
	s_cmp_lg_u32 s12, 0
	s_cselect_b32 s13, s85, s24
	s_cselect_b32 s12, s88, s5
	s_wait_alu 0xfffe
	s_xor_b64 s[12:13], s[12:13], s[86:87]
	s_wait_alu 0xfffe
	s_sub_nc_u64 s[12:13], s[12:13], s[86:87]
	s_cbranch_execnz .LBB22_196
.LBB22_195:                             ;   in Loop: Header=BB22_32 Depth=1
	v_cvt_f32_u32_e32 v4, s68
	s_sub_co_i32 s12, 0, s68
	s_delay_alu instid0(VALU_DEP_1) | instskip(NEXT) | instid1(TRANS32_DEP_1)
	v_rcp_iflag_f32_e32 v4, v4
	v_mul_f32_e32 v4, 0x4f7ffffe, v4
	s_delay_alu instid0(VALU_DEP_1) | instskip(NEXT) | instid1(VALU_DEP_1)
	v_cvt_u32_f32_e32 v4, v4
	v_readfirstlane_b32 s5, v4
	s_wait_alu 0xfffe
	s_mul_i32 s12, s12, s5
	s_wait_alu 0xfffe
	s_mul_hi_u32 s12, s5, s12
	s_wait_alu 0xfffe
	s_add_co_i32 s5, s5, s12
	s_wait_alu 0xfffe
	s_mul_hi_u32 s5, s76, s5
	s_wait_alu 0xfffe
	s_mul_i32 s5, s5, s68
	s_wait_alu 0xfffe
	s_sub_co_i32 s5, s76, s5
	s_wait_alu 0xfffe
	s_sub_co_i32 s12, s5, s68
	s_cmp_ge_u32 s5, s68
	s_wait_alu 0xfffe
	s_cselect_b32 s5, s12, s5
	s_wait_alu 0xfffe
	s_sub_co_i32 s12, s5, s68
	s_cmp_ge_u32 s5, s68
	s_wait_alu 0xfffe
	s_cselect_b32 s24, s12, s5
	s_wait_alu 0xfffe
	s_mov_b64 s[12:13], s[24:25]
.LBB22_196:                             ;   in Loop: Header=BB22_32 Depth=1
	s_wait_alu 0xfffe
	s_sub_nc_u64 s[12:13], s[76:77], s[12:13]
	s_mov_b32 s24, 0
	s_mov_b32 s5, 0
	s_mov_b32 s85, exec_lo
                                        ; implicit-def: $vgpr27
	s_wait_alu 0xfffe
	v_cmpx_gt_i64_e64 s[12:13], v[0:1]
	s_cbranch_execz .LBB22_207
; %bb.197:                              ;   in Loop: Header=BB22_32 Depth=1
	v_dual_mov_b32 v4, v10 :: v_dual_mov_b32 v5, v11
	v_dual_mov_b32 v7, v1 :: v_dual_mov_b32 v6, v0
	s_mov_b32 s86, 0
                                        ; implicit-def: $sgpr87
	s_branch .LBB22_200
.LBB22_198:                             ;   in Loop: Header=BB22_200 Depth=2
	s_wait_alu 0xfffe
	s_or_b32 exec_lo, exec_lo, s5
	s_wait_loadcnt_dscnt 0x0
	s_barrier_signal -1
	s_barrier_wait -1
	global_inv scope:SCOPE_SE
	ds_load_b64 v[26:27], v13 offset:3072
	s_mov_b32 s5, -1
	s_mov_b32 s88, -1
	s_wait_loadcnt_dscnt 0x0
	s_barrier_signal -1
	s_barrier_wait -1
	global_inv scope:SCOPE_SE
	v_cmp_ne_u32_e32 vcc_lo, 0, v26
	s_cbranch_vccz .LBB22_203
.LBB22_199:                             ;   in Loop: Header=BB22_200 Depth=2
	s_wait_alu 0xfffe
	s_and_b32 s5, exec_lo, s5
	s_wait_alu 0xfffe
	s_or_b32 s86, s5, s86
	s_and_not1_b32 s5, s87, exec_lo
	s_and_b32 s87, s88, exec_lo
	s_wait_alu 0xfffe
	s_or_b32 s87, s5, s87
	s_and_not1_b32 exec_lo, exec_lo, s86
	s_cbranch_execz .LBB22_206
.LBB22_200:                             ;   Parent Loop BB22_32 Depth=1
                                        ; =>  This Inner Loop Header: Depth=2
	s_mov_b32 s5, exec_lo
	s_delay_alu instid0(VALU_DEP_1)
	v_cmpx_gt_i64_e64 s[36:37], v[6:7]
	s_cbranch_execz .LBB22_198
; %bb.201:                              ;   in Loop: Header=BB22_200 Depth=2
	global_load_b32 v26, v[4:5], off
	s_wait_loadcnt 0x0
	v_xor_b32_e32 v8, 0x80000000, v26
	s_delay_alu instid0(VALU_DEP_1) | instskip(NEXT) | instid1(VALU_DEP_1)
	v_and_b32_e32 v8, v8, v46
	v_cmp_eq_u32_e32 vcc_lo, v8, v40
	s_and_b32 exec_lo, exec_lo, vcc_lo
	s_cbranch_execz .LBB22_198
; %bb.202:                              ;   in Loop: Header=BB22_200 Depth=2
	ds_store_b64 v13, v[25:26] offset:3072
	s_branch .LBB22_198
.LBB22_203:                             ;   in Loop: Header=BB22_200 Depth=2
	v_add_co_u32 v6, vcc_lo, v6, s68
	s_wait_alu 0xfffd
	v_add_co_ci_u32_e64 v7, null, 0, v7, vcc_lo
	v_add_co_u32 v4, s5, v4, s70
	s_wait_alu 0xf1fe
	v_add_co_ci_u32_e64 v5, null, s71, v5, s5
	s_delay_alu instid0(VALU_DEP_3)
	v_cmp_le_i64_e32 vcc_lo, s[12:13], v[6:7]
	s_mov_b32 s88, 0
	s_or_not1_b32 s5, vcc_lo, exec_lo
	s_branch .LBB22_199
.LBB22_204:                             ;   in Loop: Header=BB22_32 Depth=1
                                        ; implicit-def: $sgpr12_sgpr13
	s_branch .LBB22_149
.LBB22_205:                             ;   in Loop: Header=BB22_32 Depth=1
                                        ; implicit-def: $sgpr14_sgpr15
	s_branch .LBB22_165
.LBB22_206:                             ;   in Loop: Header=BB22_32 Depth=1
	s_or_b32 exec_lo, exec_lo, s86
	s_wait_alu 0xfffe
	s_and_b32 s5, s87, exec_lo
.LBB22_207:                             ;   in Loop: Header=BB22_32 Depth=1
	s_or_b32 exec_lo, exec_lo, s85
.LBB22_208:                             ;   in Loop: Header=BB22_32 Depth=1
	s_delay_alu instid0(SALU_CYCLE_1)
	s_and_b32 vcc_lo, exec_lo, s24
	s_wait_alu 0xfffe
	s_cbranch_vccz .LBB22_222
; %bb.209:                              ;   in Loop: Header=BB22_32 Depth=1
	s_add_nc_u64 s[12:13], s[10:11], s[74:75]
	s_mov_b32 s14, s25
	s_wait_alu 0xfffe
	s_mov_b32 s15, s13
	s_wait_alu 0xfffe
	s_cmp_lg_u64 s[14:15], 0
	s_cbranch_scc0 .LBB22_250
; %bb.210:                              ;   in Loop: Header=BB22_32 Depth=1
	s_add_nc_u64 s[14:15], s[68:69], 0
	s_wait_alu 0xfffe
	s_xor_b64 s[14:15], s[14:15], 0
	s_wait_alu 0xfffe
	s_cvt_f32_u32 s24, s14
	s_cvt_f32_u32 s85, s15
	s_sub_nc_u64 s[88:89], 0, s[14:15]
	s_wait_alu 0xfffe
	s_delay_alu instid0(SALU_CYCLE_1) | instskip(SKIP_1) | instid1(SALU_CYCLE_2)
	s_fmamk_f32 s24, s85, 0x4f800000, s24
	s_wait_alu 0xfffe
	v_s_rcp_f32 s24, s24
	s_delay_alu instid0(TRANS32_DEP_1) | instskip(SKIP_1) | instid1(SALU_CYCLE_2)
	s_mul_f32 s24, s24, 0x5f7ffffc
	s_wait_alu 0xfffe
	s_mul_f32 s85, s24, 0x2f800000
	s_wait_alu 0xfffe
	s_delay_alu instid0(SALU_CYCLE_2) | instskip(SKIP_1) | instid1(SALU_CYCLE_2)
	s_trunc_f32 s85, s85
	s_wait_alu 0xfffe
	s_fmamk_f32 s24, s85, 0xcf800000, s24
	s_cvt_u32_f32 s87, s85
	s_wait_alu 0xfffe
	s_delay_alu instid0(SALU_CYCLE_1) | instskip(SKIP_1) | instid1(SALU_CYCLE_2)
	s_cvt_u32_f32 s86, s24
	s_wait_alu 0xfffe
	s_mul_u64 s[90:91], s[88:89], s[86:87]
	s_wait_alu 0xfffe
	s_mul_hi_u32 s93, s86, s91
	s_mul_i32 s92, s86, s91
	s_mul_hi_u32 s24, s86, s90
	s_mul_i32 s94, s87, s90
	s_wait_alu 0xfffe
	s_add_nc_u64 s[92:93], s[24:25], s[92:93]
	s_mul_hi_u32 s85, s87, s90
	s_mul_hi_u32 s95, s87, s91
	s_wait_alu 0xfffe
	s_add_co_u32 s24, s92, s94
	s_add_co_ci_u32 s24, s93, s85
	s_mul_i32 s90, s87, s91
	s_add_co_ci_u32 s91, s95, 0
	s_wait_alu 0xfffe
	s_add_nc_u64 s[90:91], s[24:25], s[90:91]
	s_wait_alu 0xfffe
	s_add_co_u32 s86, s86, s90
	s_cselect_b32 s24, -1, 0
	s_wait_alu 0xfffe
	s_cmp_lg_u32 s24, 0
	s_add_co_ci_u32 s87, s87, s91
	s_wait_alu 0xfffe
	s_mul_u64 s[88:89], s[88:89], s[86:87]
	s_wait_alu 0xfffe
	s_mul_hi_u32 s91, s86, s89
	s_mul_i32 s90, s86, s89
	s_mul_hi_u32 s24, s86, s88
	s_mul_i32 s92, s87, s88
	s_wait_alu 0xfffe
	s_add_nc_u64 s[90:91], s[24:25], s[90:91]
	s_mul_hi_u32 s85, s87, s88
	s_mul_hi_u32 s93, s87, s89
	s_wait_alu 0xfffe
	s_add_co_u32 s24, s90, s92
	s_add_co_ci_u32 s24, s91, s85
	s_mul_i32 s88, s87, s89
	s_add_co_ci_u32 s89, s93, 0
	s_wait_alu 0xfffe
	s_add_nc_u64 s[88:89], s[24:25], s[88:89]
	s_wait_alu 0xfffe
	s_add_co_u32 s85, s86, s88
	s_cselect_b32 s24, -1, 0
	s_wait_alu 0xfffe
	s_cmp_lg_u32 s24, 0
	s_add_co_ci_u32 s92, s87, s89
	s_ashr_i32 s86, s13, 31
	s_wait_alu 0xfffe
	s_mov_b32 s87, s86
	s_wait_alu 0xfffe
	s_add_nc_u64 s[88:89], s[12:13], s[86:87]
	s_wait_alu 0xfffe
	s_xor_b64 s[88:89], s[88:89], s[86:87]
	s_wait_alu 0xfffe
	s_mul_hi_u32 s91, s88, s92
	s_mul_i32 s90, s88, s92
	s_mul_hi_u32 s24, s88, s85
	s_mul_hi_u32 s94, s89, s85
	s_mul_i32 s85, s89, s85
	s_wait_alu 0xfffe
	s_add_nc_u64 s[90:91], s[24:25], s[90:91]
	s_mul_hi_u32 s93, s89, s92
	s_wait_alu 0xfffe
	s_add_co_u32 s24, s90, s85
	s_add_co_ci_u32 s24, s91, s94
	s_mul_i32 s92, s89, s92
	s_add_co_ci_u32 s93, s93, 0
	s_wait_alu 0xfffe
	s_add_nc_u64 s[90:91], s[24:25], s[92:93]
	s_wait_alu 0xfffe
	s_mul_u64 s[90:91], s[14:15], s[90:91]
	s_wait_alu 0xfffe
	s_sub_co_u32 s24, s88, s90
	s_cselect_b32 s85, -1, 0
	s_sub_co_i32 s88, s89, s91
	s_wait_alu 0xfffe
	s_cmp_lg_u32 s85, 0
	s_sub_co_ci_u32 s88, s88, s15
	s_sub_co_u32 s90, s24, s14
	s_cselect_b32 s92, -1, 0
	s_wait_alu 0xfffe
	s_cmp_lg_u32 s92, 0
	s_sub_co_ci_u32 s93, s88, 0
	s_wait_alu 0xfffe
	s_cmp_ge_u32 s93, s15
	s_cselect_b32 s94, -1, 0
	s_cmp_ge_u32 s90, s14
	s_cselect_b32 s95, -1, 0
	s_cmp_eq_u32 s93, s15
	s_wait_alu 0xfffe
	s_cselect_b32 s94, s95, s94
	s_cmp_lg_u32 s92, 0
	s_sub_co_ci_u32 s88, s88, s15
	s_sub_co_u32 s92, s90, s14
	s_cselect_b32 s95, -1, 0
	s_wait_alu 0xfffe
	s_cmp_lg_u32 s95, 0
	s_sub_co_ci_u32 s88, s88, 0
	s_cmp_lg_u32 s94, 0
	s_cselect_b32 s90, s92, s90
	s_wait_alu 0xfffe
	s_cselect_b32 s88, s88, s93
	s_cmp_lg_u32 s85, 0
	s_sub_co_ci_u32 s85, s89, s91
	s_wait_alu 0xfffe
	s_cmp_ge_u32 s85, s15
	s_cselect_b32 s89, -1, 0
	s_cmp_ge_u32 s24, s14
	s_cselect_b32 s14, -1, 0
	s_cmp_eq_u32 s85, s15
	s_wait_alu 0xfffe
	s_cselect_b32 s14, s14, s89
	s_wait_alu 0xfffe
	s_cmp_lg_u32 s14, 0
	s_cselect_b32 s15, s88, s85
	s_cselect_b32 s14, s90, s24
	s_wait_alu 0xfffe
	s_xor_b64 s[14:15], s[14:15], s[86:87]
	s_wait_alu 0xfffe
	s_sub_nc_u64 s[14:15], s[14:15], s[86:87]
	s_cbranch_execnz .LBB22_212
.LBB22_211:                             ;   in Loop: Header=BB22_32 Depth=1
	v_cvt_f32_u32_e32 v4, s68
	s_sub_co_i32 s15, 0, s68
	s_delay_alu instid0(VALU_DEP_1) | instskip(NEXT) | instid1(TRANS32_DEP_1)
	v_rcp_iflag_f32_e32 v4, v4
	v_mul_f32_e32 v4, 0x4f7ffffe, v4
	s_delay_alu instid0(VALU_DEP_1) | instskip(NEXT) | instid1(VALU_DEP_1)
	v_cvt_u32_f32_e32 v4, v4
	v_readfirstlane_b32 s14, v4
	s_wait_alu 0xfffe
	s_mul_i32 s15, s15, s14
	s_wait_alu 0xfffe
	s_mul_hi_u32 s15, s14, s15
	s_wait_alu 0xfffe
	s_add_co_i32 s14, s14, s15
	s_wait_alu 0xfffe
	s_mul_hi_u32 s14, s12, s14
	s_wait_alu 0xfffe
	s_mul_i32 s14, s14, s68
	s_wait_alu 0xfffe
	s_sub_co_i32 s14, s12, s14
	s_wait_alu 0xfffe
	s_sub_co_i32 s15, s14, s68
	s_cmp_ge_u32 s14, s68
	s_wait_alu 0xfffe
	s_cselect_b32 s14, s15, s14
	s_wait_alu 0xfffe
	s_sub_co_i32 s15, s14, s68
	s_cmp_ge_u32 s14, s68
	s_wait_alu 0xfffe
	s_cselect_b32 s24, s15, s14
	s_wait_alu 0xfffe
	s_mov_b64 s[14:15], s[24:25]
.LBB22_212:                             ;   in Loop: Header=BB22_32 Depth=1
	s_wait_alu 0xfffe
	s_sub_nc_u64 s[12:13], s[12:13], s[14:15]
	s_mov_b32 s14, exec_lo
                                        ; implicit-def: $vgpr27
	s_wait_alu 0xfffe
	v_cmpx_gt_i64_e64 s[12:13], v[0:1]
	s_cbranch_execz .LBB22_221
; %bb.213:                              ;   in Loop: Header=BB22_32 Depth=1
	v_dual_mov_b32 v6, v14 :: v_dual_mov_b32 v5, v1
	v_mov_b32_e32 v4, v0
	s_mov_b32 s15, 0
                                        ; implicit-def: $sgpr24
	s_branch .LBB22_216
.LBB22_214:                             ;   in Loop: Header=BB22_216 Depth=2
	s_wait_alu 0xfffe
	s_or_b32 exec_lo, exec_lo, s85
	s_wait_loadcnt_dscnt 0x0
	s_barrier_signal -1
	s_barrier_wait -1
	global_inv scope:SCOPE_SE
	ds_load_b64 v[26:27], v13 offset:3072
	s_mov_b32 s85, -1
	s_mov_b32 s86, -1
	s_wait_loadcnt_dscnt 0x0
	s_barrier_signal -1
	s_barrier_wait -1
	global_inv scope:SCOPE_SE
	v_cmp_eq_u32_e32 vcc_lo, 0, v26
	s_cbranch_vccnz .LBB22_219
.LBB22_215:                             ;   in Loop: Header=BB22_216 Depth=2
	s_wait_alu 0xfffe
	s_and_b32 s85, exec_lo, s85
	s_wait_alu 0xfffe
	s_or_b32 s15, s85, s15
	s_and_not1_b32 s24, s24, exec_lo
	s_and_b32 s85, s86, exec_lo
	s_wait_alu 0xfffe
	s_or_b32 s24, s24, s85
	s_and_not1_b32 exec_lo, exec_lo, s15
	s_cbranch_execz .LBB22_220
.LBB22_216:                             ;   Parent Loop BB22_32 Depth=1
                                        ; =>  This Inner Loop Header: Depth=2
	s_mov_b32 s85, exec_lo
	s_delay_alu instid0(VALU_DEP_1)
	v_cmpx_gt_u64_e64 s[10:11], v[4:5]
	s_cbranch_execz .LBB22_214
; %bb.217:                              ;   in Loop: Header=BB22_216 Depth=2
	ds_load_b32 v26, v6
	s_wait_dscnt 0x0
	v_xor_b32_e32 v7, 0x80000000, v26
	s_delay_alu instid0(VALU_DEP_1) | instskip(NEXT) | instid1(VALU_DEP_1)
	v_and_b32_e32 v7, v7, v46
	v_cmp_eq_u32_e32 vcc_lo, v7, v40
	s_and_b32 exec_lo, exec_lo, vcc_lo
	s_cbranch_execz .LBB22_214
; %bb.218:                              ;   in Loop: Header=BB22_216 Depth=2
	ds_store_b64 v13, v[25:26] offset:3072
	s_branch .LBB22_214
.LBB22_219:                             ;   in Loop: Header=BB22_216 Depth=2
	v_add_co_u32 v4, vcc_lo, v4, s68
	s_wait_alu 0xfffd
	v_add_co_ci_u32_e64 v5, null, 0, v5, vcc_lo
	v_add_nc_u32_e32 v6, s58, v6
	s_mov_b32 s86, 0
	s_delay_alu instid0(VALU_DEP_2)
	v_cmp_le_i64_e32 vcc_lo, s[12:13], v[4:5]
	s_or_not1_b32 s85, vcc_lo, exec_lo
	s_branch .LBB22_215
.LBB22_220:                             ;   in Loop: Header=BB22_32 Depth=1
	s_or_b32 exec_lo, exec_lo, s15
	s_delay_alu instid0(SALU_CYCLE_1)
	s_and_not1_b32 s5, s5, exec_lo
	s_wait_alu 0xfffe
	s_and_b32 s10, s24, exec_lo
	s_wait_alu 0xfffe
	s_or_b32 s5, s5, s10
.LBB22_221:                             ;   in Loop: Header=BB22_32 Depth=1
	s_or_b32 exec_lo, exec_lo, s14
	s_mov_b32 s14, 0
	s_mov_b32 s15, -1
.LBB22_222:                             ;   in Loop: Header=BB22_32 Depth=1
	s_wait_alu 0xfffe
	s_or_not1_b32 s5, s5, exec_lo
.LBB22_223:                             ;   in Loop: Header=BB22_32 Depth=1
	s_wait_alu 0xfffe
	s_or_b32 exec_lo, exec_lo, s51
	s_mov_b32 s10, 0
	s_and_saveexec_b32 s51, s5
	s_cbranch_execz .LBB22_281
; %bb.224:                              ;   in Loop: Header=BB22_32 Depth=1
	v_mov_b32_e32 v4, 1
	v_dual_mov_b32 v5, 0 :: v_dual_mov_b32 v12, 1
	s_xor_b32 s11, s84, -1
	s_wait_alu 0xfffe
	s_and_saveexec_b32 s5, s11
	s_cbranch_execz .LBB22_233
; %bb.225:                              ;   in Loop: Header=BB22_32 Depth=1
	s_mov_b32 s10, exec_lo
	v_cmpx_ge_i64_e64 s[8:9], v[2:3]
	s_wait_alu 0xfffe
	s_xor_b32 s10, exec_lo, s10
	s_cbranch_execz .LBB22_230
; %bb.226:                              ;   in Loop: Header=BB22_32 Depth=1
	ds_load_b64 v[4:5], v13 offset:5120
	s_lshl_b32 s11, 2, s59
	v_or_b32_e32 v46, s16, v46
	s_wait_alu 0xfffe
	v_and_or_b32 v40, v40, s20, s11
	s_wait_dscnt 0x0
	v_cmp_ne_u64_e32 vcc_lo, 0, v[4:5]
	s_cbranch_vccnz .LBB22_230
; %bb.227:                              ;   in Loop: Header=BB22_32 Depth=1
	s_and_saveexec_b32 s11, s2
; %bb.228:                              ;   in Loop: Header=BB22_32 Depth=1
	v_dual_mov_b32 v4, s8 :: v_dual_mov_b32 v5, s9
	ds_store_b64 v13, v[4:5] offset:5128
; %bb.229:                              ;   in Loop: Header=BB22_32 Depth=1
	s_wait_alu 0xfffe
	s_or_b32 exec_lo, exec_lo, s11
	s_wait_loadcnt_dscnt 0x0
	s_barrier_signal -1
	s_barrier_wait -1
	global_inv scope:SCOPE_SE
.LBB22_230:                             ;   in Loop: Header=BB22_32 Depth=1
	s_wait_alu 0xfffe
	s_or_saveexec_b32 s10, s10
	v_mov_b32_e32 v12, 8
	s_mov_b32 s11, 0
	s_wait_alu 0xfffe
	s_xor_b32 exec_lo, exec_lo, s10
; %bb.231:                              ;   in Loop: Header=BB22_32 Depth=1
	v_sub_co_u32 v2, vcc_lo, v2, s8
	s_wait_alu 0xfffd
	v_subrev_co_ci_u32_e64 v3, null, s9, v3, vcc_lo
	v_mov_b32_e32 v12, 0
	s_mov_b32 s11, exec_lo
; %bb.232:                              ;   in Loop: Header=BB22_32 Depth=1
	s_or_b32 exec_lo, exec_lo, s10
	s_delay_alu instid0(VALU_DEP_2)
	v_dual_mov_b32 v5, v3 :: v_dual_mov_b32 v4, v2
	s_wait_alu 0xfffe
	s_and_b32 s10, s11, exec_lo
.LBB22_233:                             ;   in Loop: Header=BB22_32 Depth=1
	s_wait_alu 0xfffe
	s_or_b32 exec_lo, exec_lo, s5
	s_mov_b32 s5, -1
                                        ; implicit-def: $sgpr13
                                        ; implicit-def: $sgpr12
	s_and_saveexec_b32 s20, s10
	s_cbranch_execz .LBB22_280
; %bb.234:                              ;   in Loop: Header=BB22_32 Depth=1
	v_cmp_eq_u64_e32 vcc_lo, 1, v[4:5]
	s_cmp_eq_u64 s[6:7], 1
	s_mov_b32 s8, -1
	s_cselect_b32 s5, -1, 0
                                        ; implicit-def: $sgpr13
                                        ; implicit-def: $sgpr12
	s_wait_alu 0xfffe
	s_and_b32 s84, s5, vcc_lo
	s_wait_alu 0xfffe
	s_and_saveexec_b32 s85, s84
	s_cbranch_execz .LBB22_268
; %bb.235:                              ;   in Loop: Header=BB22_32 Depth=1
	ds_load_b64 v[2:3], v13 offset:5120
	s_wait_loadcnt_dscnt 0x0
	s_barrier_signal -1
	s_barrier_wait -1
	global_inv scope:SCOPE_SE
	v_readfirstlane_b32 s8, v2
	v_readfirstlane_b32 s9, v3
	s_and_saveexec_b32 s5, s3
; %bb.236:                              ;   in Loop: Header=BB22_32 Depth=1
	ds_store_b32 v35, v13
; %bb.237:                              ;   in Loop: Header=BB22_32 Depth=1
	s_wait_alu 0xfffe
	s_or_b32 exec_lo, exec_lo, s5
	v_cmp_gt_i64_e64 s5, s[8:9], 0
	v_or_b32_e32 v40, s16, v40
	v_or_b32_e32 v46, s16, v46
	s_mov_b32 s12, -1
	s_mov_b32 s13, 0
	s_mov_b32 s24, -1
	s_and_b32 vcc_lo, exec_lo, s5
	s_mov_b32 s5, 0
	s_wait_loadcnt_dscnt 0x0
	s_barrier_signal -1
	s_barrier_wait -1
	global_inv scope:SCOPE_SE
                                        ; implicit-def: $vgpr27
	s_wait_alu 0xfffe
	s_cbranch_vccnz .LBB22_253
; %bb.238:                              ;   in Loop: Header=BB22_32 Depth=1
	s_mov_b32 s10, s25
	s_mov_b32 s11, s77
	s_wait_alu 0xfffe
	s_cmp_lg_u64 s[10:11], 0
	s_cbranch_scc0 .LBB22_287
; %bb.239:                              ;   in Loop: Header=BB22_32 Depth=1
	s_add_nc_u64 s[10:11], s[68:69], 0
	s_wait_alu 0xfffe
	s_xor_b64 s[10:11], s[10:11], 0
	s_wait_alu 0xfffe
	s_cvt_f32_u32 s5, s10
	s_cvt_f32_u32 s24, s11
	s_sub_nc_u64 s[88:89], 0, s[10:11]
	s_wait_alu 0xfffe
	s_delay_alu instid0(SALU_CYCLE_1) | instskip(SKIP_1) | instid1(SALU_CYCLE_2)
	s_fmamk_f32 s5, s24, 0x4f800000, s5
	s_wait_alu 0xfffe
	v_s_rcp_f32 s5, s5
	s_delay_alu instid0(TRANS32_DEP_1) | instskip(SKIP_1) | instid1(SALU_CYCLE_2)
	s_mul_f32 s5, s5, 0x5f7ffffc
	s_wait_alu 0xfffe
	s_mul_f32 s24, s5, 0x2f800000
	s_wait_alu 0xfffe
	s_delay_alu instid0(SALU_CYCLE_2) | instskip(SKIP_1) | instid1(SALU_CYCLE_2)
	s_trunc_f32 s24, s24
	s_wait_alu 0xfffe
	s_fmamk_f32 s5, s24, 0xcf800000, s5
	s_cvt_u32_f32 s87, s24
	s_wait_alu 0xfffe
	s_delay_alu instid0(SALU_CYCLE_1) | instskip(SKIP_1) | instid1(SALU_CYCLE_2)
	s_cvt_u32_f32 s86, s5
	s_wait_alu 0xfffe
	s_mul_u64 s[90:91], s[88:89], s[86:87]
	s_wait_alu 0xfffe
	s_mul_hi_u32 s93, s86, s91
	s_mul_i32 s92, s86, s91
	s_mul_hi_u32 s24, s86, s90
	s_mul_i32 s94, s87, s90
	s_wait_alu 0xfffe
	s_add_nc_u64 s[92:93], s[24:25], s[92:93]
	s_mul_hi_u32 s5, s87, s90
	s_mul_hi_u32 s95, s87, s91
	s_wait_alu 0xfffe
	s_add_co_u32 s24, s92, s94
	s_add_co_ci_u32 s24, s93, s5
	s_mul_i32 s90, s87, s91
	s_add_co_ci_u32 s91, s95, 0
	s_wait_alu 0xfffe
	s_add_nc_u64 s[90:91], s[24:25], s[90:91]
	s_wait_alu 0xfffe
	s_add_co_u32 s86, s86, s90
	s_cselect_b32 s5, -1, 0
	s_wait_alu 0xfffe
	s_cmp_lg_u32 s5, 0
	s_add_co_ci_u32 s87, s87, s91
	s_wait_alu 0xfffe
	s_mul_u64 s[88:89], s[88:89], s[86:87]
	s_wait_alu 0xfffe
	s_mul_hi_u32 s91, s86, s89
	s_mul_i32 s90, s86, s89
	s_mul_hi_u32 s24, s86, s88
	s_mul_i32 s92, s87, s88
	s_wait_alu 0xfffe
	s_add_nc_u64 s[90:91], s[24:25], s[90:91]
	s_mul_hi_u32 s5, s87, s88
	s_mul_hi_u32 s93, s87, s89
	s_wait_alu 0xfffe
	s_add_co_u32 s24, s90, s92
	s_add_co_ci_u32 s24, s91, s5
	s_mul_i32 s88, s87, s89
	s_add_co_ci_u32 s89, s93, 0
	s_wait_alu 0xfffe
	s_add_nc_u64 s[88:89], s[24:25], s[88:89]
	s_wait_alu 0xfffe
	s_add_co_u32 s5, s86, s88
	s_cselect_b32 s24, -1, 0
	s_wait_alu 0xfffe
	s_cmp_lg_u32 s24, 0
	s_add_co_ci_u32 s92, s87, s89
	s_ashr_i32 s86, s77, 31
	s_wait_alu 0xfffe
	s_mov_b32 s87, s86
	s_wait_alu 0xfffe
	s_add_nc_u64 s[88:89], s[76:77], s[86:87]
	s_wait_alu 0xfffe
	s_xor_b64 s[88:89], s[88:89], s[86:87]
	s_wait_alu 0xfffe
	s_mul_hi_u32 s91, s88, s92
	s_mul_i32 s90, s88, s92
	s_mul_hi_u32 s24, s88, s5
	s_mul_hi_u32 s94, s89, s5
	s_mul_i32 s5, s89, s5
	s_wait_alu 0xfffe
	s_add_nc_u64 s[90:91], s[24:25], s[90:91]
	s_mul_hi_u32 s93, s89, s92
	s_wait_alu 0xfffe
	s_add_co_u32 s5, s90, s5
	s_add_co_ci_u32 s24, s91, s94
	s_mul_i32 s92, s89, s92
	s_add_co_ci_u32 s93, s93, 0
	s_wait_alu 0xfffe
	s_add_nc_u64 s[90:91], s[24:25], s[92:93]
	s_wait_alu 0xfffe
	s_mul_u64 s[90:91], s[10:11], s[90:91]
	s_wait_alu 0xfffe
	s_sub_co_u32 s5, s88, s90
	s_cselect_b32 s24, -1, 0
	s_sub_co_i32 s88, s89, s91
	s_wait_alu 0xfffe
	s_cmp_lg_u32 s24, 0
	s_sub_co_ci_u32 s88, s88, s11
	s_sub_co_u32 s90, s5, s10
	s_cselect_b32 s92, -1, 0
	s_wait_alu 0xfffe
	s_cmp_lg_u32 s92, 0
	s_sub_co_ci_u32 s93, s88, 0
	s_wait_alu 0xfffe
	s_cmp_ge_u32 s93, s11
	s_cselect_b32 s94, -1, 0
	s_cmp_ge_u32 s90, s10
	s_cselect_b32 s95, -1, 0
	s_cmp_eq_u32 s93, s11
	s_wait_alu 0xfffe
	s_cselect_b32 s94, s95, s94
	s_cmp_lg_u32 s92, 0
	s_sub_co_ci_u32 s88, s88, s11
	s_sub_co_u32 s92, s90, s10
	s_cselect_b32 s95, -1, 0
	s_wait_alu 0xfffe
	s_cmp_lg_u32 s95, 0
	s_sub_co_ci_u32 s88, s88, 0
	s_cmp_lg_u32 s94, 0
	s_cselect_b32 s90, s92, s90
	s_wait_alu 0xfffe
	s_cselect_b32 s88, s88, s93
	s_cmp_lg_u32 s24, 0
	s_sub_co_ci_u32 s24, s89, s91
	s_wait_alu 0xfffe
	s_cmp_ge_u32 s24, s11
	s_cselect_b32 s89, -1, 0
	s_cmp_ge_u32 s5, s10
	s_cselect_b32 s10, -1, 0
	s_cmp_eq_u32 s24, s11
	s_wait_alu 0xfffe
	s_cselect_b32 s10, s10, s89
	s_wait_alu 0xfffe
	s_cmp_lg_u32 s10, 0
	s_cselect_b32 s11, s88, s24
	s_cselect_b32 s10, s90, s5
	s_wait_alu 0xfffe
	s_xor_b64 s[10:11], s[10:11], s[86:87]
	s_wait_alu 0xfffe
	s_sub_nc_u64 s[10:11], s[10:11], s[86:87]
	s_cbranch_execnz .LBB22_241
.LBB22_240:                             ;   in Loop: Header=BB22_32 Depth=1
	v_cvt_f32_u32_e32 v2, s68
	s_sub_co_i32 s10, 0, s68
	s_delay_alu instid0(VALU_DEP_1) | instskip(NEXT) | instid1(TRANS32_DEP_1)
	v_rcp_iflag_f32_e32 v2, v2
	v_mul_f32_e32 v2, 0x4f7ffffe, v2
	s_delay_alu instid0(VALU_DEP_1) | instskip(NEXT) | instid1(VALU_DEP_1)
	v_cvt_u32_f32_e32 v2, v2
	v_readfirstlane_b32 s5, v2
	s_wait_alu 0xfffe
	s_mul_i32 s10, s10, s5
	s_wait_alu 0xfffe
	s_mul_hi_u32 s10, s5, s10
	s_wait_alu 0xfffe
	s_add_co_i32 s5, s5, s10
	s_wait_alu 0xfffe
	s_mul_hi_u32 s5, s76, s5
	s_wait_alu 0xfffe
	s_mul_i32 s5, s5, s68
	s_wait_alu 0xfffe
	s_sub_co_i32 s5, s76, s5
	s_wait_alu 0xfffe
	s_sub_co_i32 s10, s5, s68
	s_cmp_ge_u32 s5, s68
	s_wait_alu 0xfffe
	s_cselect_b32 s5, s10, s5
	s_wait_alu 0xfffe
	s_sub_co_i32 s10, s5, s68
	s_cmp_ge_u32 s5, s68
	s_wait_alu 0xfffe
	s_cselect_b32 s24, s10, s5
	s_wait_alu 0xfffe
	s_mov_b64 s[10:11], s[24:25]
.LBB22_241:                             ;   in Loop: Header=BB22_32 Depth=1
	s_wait_alu 0xfffe
	s_sub_nc_u64 s[10:11], s[76:77], s[10:11]
	s_mov_b32 s24, 0
	s_mov_b32 s5, 0
	s_mov_b32 s86, exec_lo
                                        ; implicit-def: $vgpr27
	s_wait_alu 0xfffe
	v_cmpx_gt_i64_e64 s[10:11], v[0:1]
	s_cbranch_execz .LBB22_252
; %bb.242:                              ;   in Loop: Header=BB22_32 Depth=1
	v_dual_mov_b32 v2, v10 :: v_dual_mov_b32 v3, v11
	v_dual_mov_b32 v7, v1 :: v_dual_mov_b32 v6, v0
	s_mov_b32 s87, 0
                                        ; implicit-def: $sgpr88
	s_branch .LBB22_245
.LBB22_243:                             ;   in Loop: Header=BB22_245 Depth=2
	s_wait_alu 0xfffe
	s_or_b32 exec_lo, exec_lo, s5
	s_wait_loadcnt_dscnt 0x0
	s_barrier_signal -1
	s_barrier_wait -1
	global_inv scope:SCOPE_SE
	ds_load_b64 v[26:27], v13 offset:3072
	s_mov_b32 s5, -1
	s_mov_b32 s89, -1
	s_wait_loadcnt_dscnt 0x0
	s_barrier_signal -1
	s_barrier_wait -1
	global_inv scope:SCOPE_SE
	v_cmp_ne_u32_e32 vcc_lo, 0, v26
	s_cbranch_vccz .LBB22_248
.LBB22_244:                             ;   in Loop: Header=BB22_245 Depth=2
	s_wait_alu 0xfffe
	s_and_b32 s5, exec_lo, s5
	s_wait_alu 0xfffe
	s_or_b32 s87, s5, s87
	s_and_not1_b32 s5, s88, exec_lo
	s_and_b32 s88, s89, exec_lo
	s_wait_alu 0xfffe
	s_or_b32 s88, s5, s88
	s_and_not1_b32 exec_lo, exec_lo, s87
	s_cbranch_execz .LBB22_251
.LBB22_245:                             ;   Parent Loop BB22_32 Depth=1
                                        ; =>  This Inner Loop Header: Depth=2
	s_mov_b32 s5, exec_lo
	s_delay_alu instid0(VALU_DEP_1)
	v_cmpx_gt_i64_e64 s[36:37], v[6:7]
	s_cbranch_execz .LBB22_243
; %bb.246:                              ;   in Loop: Header=BB22_245 Depth=2
	global_load_b32 v26, v[2:3], off
	s_wait_loadcnt 0x0
	v_xor_b32_e32 v8, 0x80000000, v26
	s_delay_alu instid0(VALU_DEP_1) | instskip(NEXT) | instid1(VALU_DEP_1)
	v_and_b32_e32 v8, v8, v46
	v_cmp_eq_u32_e32 vcc_lo, v8, v40
	s_and_b32 exec_lo, exec_lo, vcc_lo
	s_cbranch_execz .LBB22_243
; %bb.247:                              ;   in Loop: Header=BB22_245 Depth=2
	ds_store_b64 v13, v[25:26] offset:3072
	s_branch .LBB22_243
.LBB22_248:                             ;   in Loop: Header=BB22_245 Depth=2
	v_add_co_u32 v6, vcc_lo, v6, s68
	s_wait_alu 0xfffd
	v_add_co_ci_u32_e64 v7, null, 0, v7, vcc_lo
	v_add_co_u32 v2, s5, v2, s70
	s_wait_alu 0xf1fe
	v_add_co_ci_u32_e64 v3, null, s71, v3, s5
	s_delay_alu instid0(VALU_DEP_3)
	v_cmp_le_i64_e32 vcc_lo, s[10:11], v[6:7]
	s_mov_b32 s89, 0
	s_or_not1_b32 s5, vcc_lo, exec_lo
	s_branch .LBB22_244
.LBB22_249:                             ;   in Loop: Header=BB22_32 Depth=1
                                        ; implicit-def: $sgpr12_sgpr13
	s_branch .LBB22_195
.LBB22_250:                             ;   in Loop: Header=BB22_32 Depth=1
                                        ; implicit-def: $sgpr14_sgpr15
	s_branch .LBB22_211
.LBB22_251:                             ;   in Loop: Header=BB22_32 Depth=1
	s_or_b32 exec_lo, exec_lo, s87
	s_wait_alu 0xfffe
	s_and_b32 s5, s88, exec_lo
.LBB22_252:                             ;   in Loop: Header=BB22_32 Depth=1
	s_or_b32 exec_lo, exec_lo, s86
.LBB22_253:                             ;   in Loop: Header=BB22_32 Depth=1
	s_delay_alu instid0(SALU_CYCLE_1)
	s_and_b32 vcc_lo, exec_lo, s24
	s_wait_alu 0xfffe
	s_cbranch_vccz .LBB22_267
; %bb.254:                              ;   in Loop: Header=BB22_32 Depth=1
	s_add_nc_u64 s[10:11], s[8:9], s[74:75]
	s_mov_b32 s12, s25
	s_wait_alu 0xfffe
	s_mov_b32 s13, s11
	s_wait_alu 0xfffe
	s_cmp_lg_u64 s[12:13], 0
	s_cbranch_scc0 .LBB22_288
; %bb.255:                              ;   in Loop: Header=BB22_32 Depth=1
	s_add_nc_u64 s[12:13], s[68:69], 0
	s_wait_alu 0xfffe
	s_xor_b64 s[12:13], s[12:13], 0
	s_wait_alu 0xfffe
	s_cvt_f32_u32 s24, s12
	s_cvt_f32_u32 s86, s13
	s_sub_nc_u64 s[88:89], 0, s[12:13]
	s_wait_alu 0xfffe
	s_delay_alu instid0(SALU_CYCLE_1) | instskip(SKIP_1) | instid1(SALU_CYCLE_2)
	s_fmamk_f32 s24, s86, 0x4f800000, s24
	s_wait_alu 0xfffe
	v_s_rcp_f32 s24, s24
	s_delay_alu instid0(TRANS32_DEP_1) | instskip(SKIP_1) | instid1(SALU_CYCLE_2)
	s_mul_f32 s24, s24, 0x5f7ffffc
	s_wait_alu 0xfffe
	s_mul_f32 s86, s24, 0x2f800000
	s_wait_alu 0xfffe
	s_delay_alu instid0(SALU_CYCLE_2) | instskip(SKIP_1) | instid1(SALU_CYCLE_2)
	s_trunc_f32 s86, s86
	s_wait_alu 0xfffe
	s_fmamk_f32 s24, s86, 0xcf800000, s24
	s_cvt_u32_f32 s87, s86
	s_wait_alu 0xfffe
	s_delay_alu instid0(SALU_CYCLE_1) | instskip(SKIP_1) | instid1(SALU_CYCLE_2)
	s_cvt_u32_f32 s86, s24
	s_wait_alu 0xfffe
	s_mul_u64 s[90:91], s[88:89], s[86:87]
	s_wait_alu 0xfffe
	s_mul_hi_u32 s93, s86, s91
	s_mul_i32 s92, s86, s91
	s_mul_hi_u32 s24, s86, s90
	s_mul_i32 s95, s87, s90
	s_wait_alu 0xfffe
	s_add_nc_u64 s[92:93], s[24:25], s[92:93]
	s_mul_hi_u32 s94, s87, s90
	s_mul_hi_u32 s96, s87, s91
	s_wait_alu 0xfffe
	s_add_co_u32 s24, s92, s95
	s_add_co_ci_u32 s24, s93, s94
	s_mul_i32 s90, s87, s91
	s_add_co_ci_u32 s91, s96, 0
	s_wait_alu 0xfffe
	s_add_nc_u64 s[90:91], s[24:25], s[90:91]
	s_wait_alu 0xfffe
	s_add_co_u32 s86, s86, s90
	s_cselect_b32 s24, -1, 0
	s_wait_alu 0xfffe
	s_cmp_lg_u32 s24, 0
	s_add_co_ci_u32 s87, s87, s91
	s_wait_alu 0xfffe
	s_mul_u64 s[88:89], s[88:89], s[86:87]
	s_wait_alu 0xfffe
	s_mul_hi_u32 s91, s86, s89
	s_mul_i32 s90, s86, s89
	s_mul_hi_u32 s24, s86, s88
	s_mul_i32 s93, s87, s88
	s_wait_alu 0xfffe
	s_add_nc_u64 s[90:91], s[24:25], s[90:91]
	s_mul_hi_u32 s92, s87, s88
	s_mul_hi_u32 s94, s87, s89
	s_wait_alu 0xfffe
	s_add_co_u32 s24, s90, s93
	s_add_co_ci_u32 s24, s91, s92
	s_mul_i32 s88, s87, s89
	s_add_co_ci_u32 s89, s94, 0
	s_wait_alu 0xfffe
	s_add_nc_u64 s[88:89], s[24:25], s[88:89]
	s_wait_alu 0xfffe
	s_add_co_u32 s92, s86, s88
	s_cselect_b32 s24, -1, 0
	s_wait_alu 0xfffe
	s_cmp_lg_u32 s24, 0
	s_add_co_ci_u32 s93, s87, s89
	s_ashr_i32 s86, s11, 31
	s_wait_alu 0xfffe
	s_mov_b32 s87, s86
	s_wait_alu 0xfffe
	s_add_nc_u64 s[88:89], s[10:11], s[86:87]
	s_wait_alu 0xfffe
	s_xor_b64 s[88:89], s[88:89], s[86:87]
	s_wait_alu 0xfffe
	s_mul_hi_u32 s91, s88, s93
	s_mul_i32 s90, s88, s93
	s_mul_hi_u32 s24, s88, s92
	s_mul_i32 s96, s89, s92
	s_wait_alu 0xfffe
	s_add_nc_u64 s[90:91], s[24:25], s[90:91]
	s_mul_hi_u32 s95, s89, s92
	s_mul_hi_u32 s94, s89, s93
	s_wait_alu 0xfffe
	s_add_co_u32 s24, s90, s96
	s_add_co_ci_u32 s24, s91, s95
	s_mul_i32 s92, s89, s93
	s_add_co_ci_u32 s93, s94, 0
	s_wait_alu 0xfffe
	s_add_nc_u64 s[90:91], s[24:25], s[92:93]
	s_wait_alu 0xfffe
	s_mul_u64 s[90:91], s[12:13], s[90:91]
	s_wait_alu 0xfffe
	s_sub_co_u32 s24, s88, s90
	s_cselect_b32 s88, -1, 0
	s_sub_co_i32 s90, s89, s91
	s_wait_alu 0xfffe
	s_cmp_lg_u32 s88, 0
	s_sub_co_ci_u32 s90, s90, s13
	s_sub_co_u32 s92, s24, s12
	s_cselect_b32 s93, -1, 0
	s_wait_alu 0xfffe
	s_cmp_lg_u32 s93, 0
	s_sub_co_ci_u32 s94, s90, 0
	s_wait_alu 0xfffe
	s_cmp_ge_u32 s94, s13
	s_cselect_b32 s95, -1, 0
	s_cmp_ge_u32 s92, s12
	s_cselect_b32 s96, -1, 0
	s_cmp_eq_u32 s94, s13
	s_wait_alu 0xfffe
	s_cselect_b32 s95, s96, s95
	s_cmp_lg_u32 s93, 0
	s_sub_co_ci_u32 s90, s90, s13
	s_sub_co_u32 s93, s92, s12
	s_cselect_b32 s96, -1, 0
	s_wait_alu 0xfffe
	s_cmp_lg_u32 s96, 0
	s_sub_co_ci_u32 s90, s90, 0
	s_cmp_lg_u32 s95, 0
	s_cselect_b32 s92, s93, s92
	s_wait_alu 0xfffe
	s_cselect_b32 s90, s90, s94
	s_cmp_lg_u32 s88, 0
	s_sub_co_ci_u32 s88, s89, s91
	s_wait_alu 0xfffe
	s_cmp_ge_u32 s88, s13
	s_cselect_b32 s89, -1, 0
	s_cmp_ge_u32 s24, s12
	s_cselect_b32 s12, -1, 0
	s_cmp_eq_u32 s88, s13
	s_wait_alu 0xfffe
	s_cselect_b32 s12, s12, s89
	s_wait_alu 0xfffe
	s_cmp_lg_u32 s12, 0
	s_cselect_b32 s13, s90, s88
	s_cselect_b32 s12, s92, s24
	s_wait_alu 0xfffe
	s_xor_b64 s[12:13], s[12:13], s[86:87]
	s_wait_alu 0xfffe
	s_sub_nc_u64 s[12:13], s[12:13], s[86:87]
	s_cbranch_execnz .LBB22_257
.LBB22_256:                             ;   in Loop: Header=BB22_32 Depth=1
	v_cvt_f32_u32_e32 v2, s68
	s_sub_co_i32 s13, 0, s68
	s_delay_alu instid0(VALU_DEP_1) | instskip(NEXT) | instid1(TRANS32_DEP_1)
	v_rcp_iflag_f32_e32 v2, v2
	v_mul_f32_e32 v2, 0x4f7ffffe, v2
	s_delay_alu instid0(VALU_DEP_1) | instskip(NEXT) | instid1(VALU_DEP_1)
	v_cvt_u32_f32_e32 v2, v2
	v_readfirstlane_b32 s12, v2
	s_wait_alu 0xfffe
	s_mul_i32 s13, s13, s12
	s_wait_alu 0xfffe
	s_mul_hi_u32 s13, s12, s13
	s_wait_alu 0xfffe
	s_add_co_i32 s12, s12, s13
	s_wait_alu 0xfffe
	s_mul_hi_u32 s12, s10, s12
	s_wait_alu 0xfffe
	s_mul_i32 s12, s12, s68
	s_wait_alu 0xfffe
	s_sub_co_i32 s12, s10, s12
	s_wait_alu 0xfffe
	s_sub_co_i32 s13, s12, s68
	s_cmp_ge_u32 s12, s68
	s_wait_alu 0xfffe
	s_cselect_b32 s12, s13, s12
	s_wait_alu 0xfffe
	s_sub_co_i32 s13, s12, s68
	s_cmp_ge_u32 s12, s68
	s_wait_alu 0xfffe
	s_cselect_b32 s24, s13, s12
	s_wait_alu 0xfffe
	s_mov_b64 s[12:13], s[24:25]
.LBB22_257:                             ;   in Loop: Header=BB22_32 Depth=1
	s_wait_alu 0xfffe
	s_sub_nc_u64 s[10:11], s[10:11], s[12:13]
	s_mov_b32 s12, exec_lo
                                        ; implicit-def: $vgpr27
	s_wait_alu 0xfffe
	v_cmpx_gt_i64_e64 s[10:11], v[0:1]
	s_cbranch_execz .LBB22_266
; %bb.258:                              ;   in Loop: Header=BB22_32 Depth=1
	v_dual_mov_b32 v6, v14 :: v_dual_mov_b32 v3, v1
	v_mov_b32_e32 v2, v0
	s_mov_b32 s13, 0
                                        ; implicit-def: $sgpr24
	s_branch .LBB22_261
.LBB22_259:                             ;   in Loop: Header=BB22_261 Depth=2
	s_wait_alu 0xfffe
	s_or_b32 exec_lo, exec_lo, s86
	s_wait_loadcnt_dscnt 0x0
	s_barrier_signal -1
	s_barrier_wait -1
	global_inv scope:SCOPE_SE
	ds_load_b64 v[26:27], v13 offset:3072
	s_mov_b32 s86, -1
	s_mov_b32 s87, -1
	s_wait_loadcnt_dscnt 0x0
	s_barrier_signal -1
	s_barrier_wait -1
	global_inv scope:SCOPE_SE
	v_cmp_eq_u32_e32 vcc_lo, 0, v26
	s_cbranch_vccnz .LBB22_264
.LBB22_260:                             ;   in Loop: Header=BB22_261 Depth=2
	s_wait_alu 0xfffe
	s_and_b32 s86, exec_lo, s86
	s_wait_alu 0xfffe
	s_or_b32 s13, s86, s13
	s_and_not1_b32 s24, s24, exec_lo
	s_and_b32 s86, s87, exec_lo
	s_wait_alu 0xfffe
	s_or_b32 s24, s24, s86
	s_and_not1_b32 exec_lo, exec_lo, s13
	s_cbranch_execz .LBB22_265
.LBB22_261:                             ;   Parent Loop BB22_32 Depth=1
                                        ; =>  This Inner Loop Header: Depth=2
	s_mov_b32 s86, exec_lo
	s_delay_alu instid0(VALU_DEP_1)
	v_cmpx_gt_u64_e64 s[8:9], v[2:3]
	s_cbranch_execz .LBB22_259
; %bb.262:                              ;   in Loop: Header=BB22_261 Depth=2
	ds_load_b32 v26, v6
	s_wait_dscnt 0x0
	v_xor_b32_e32 v7, 0x80000000, v26
	s_delay_alu instid0(VALU_DEP_1) | instskip(NEXT) | instid1(VALU_DEP_1)
	v_and_b32_e32 v7, v7, v46
	v_cmp_eq_u32_e32 vcc_lo, v7, v40
	s_and_b32 exec_lo, exec_lo, vcc_lo
	s_cbranch_execz .LBB22_259
; %bb.263:                              ;   in Loop: Header=BB22_261 Depth=2
	ds_store_b64 v13, v[25:26] offset:3072
	s_branch .LBB22_259
.LBB22_264:                             ;   in Loop: Header=BB22_261 Depth=2
	v_add_co_u32 v2, vcc_lo, v2, s68
	s_wait_alu 0xfffd
	v_add_co_ci_u32_e64 v3, null, 0, v3, vcc_lo
	v_add_nc_u32_e32 v6, s58, v6
	s_mov_b32 s87, 0
	s_delay_alu instid0(VALU_DEP_2)
	v_cmp_le_i64_e32 vcc_lo, s[10:11], v[2:3]
	s_or_not1_b32 s86, vcc_lo, exec_lo
	s_branch .LBB22_260
.LBB22_265:                             ;   in Loop: Header=BB22_32 Depth=1
	s_or_b32 exec_lo, exec_lo, s13
	s_delay_alu instid0(SALU_CYCLE_1)
	s_and_not1_b32 s5, s5, exec_lo
	s_wait_alu 0xfffe
	s_and_b32 s8, s24, exec_lo
	s_wait_alu 0xfffe
	s_or_b32 s5, s5, s8
.LBB22_266:                             ;   in Loop: Header=BB22_32 Depth=1
	s_or_b32 exec_lo, exec_lo, s12
	s_mov_b32 s12, 0
	s_mov_b32 s13, -1
.LBB22_267:                             ;   in Loop: Header=BB22_32 Depth=1
	s_wait_alu 0xfffe
	s_or_not1_b32 s8, s5, exec_lo
.LBB22_268:                             ;   in Loop: Header=BB22_32 Depth=1
	s_wait_alu 0xfffe
	s_or_b32 exec_lo, exec_lo, s85
	s_mov_b32 s9, 0
	s_and_saveexec_b32 s5, s8
	s_cbranch_execz .LBB22_279
; %bb.269:                              ;   in Loop: Header=BB22_32 Depth=1
	v_mov_b32_e32 v2, 1
	v_dual_mov_b32 v3, 0 :: v_dual_mov_b32 v12, 1
	s_xor_b32 s9, s84, -1
	s_wait_alu 0xfffe
	s_and_saveexec_b32 s8, s9
	s_cbranch_execz .LBB22_278
; %bb.270:                              ;   in Loop: Header=BB22_32 Depth=1
	s_mov_b32 s9, exec_lo
	v_cmpx_ge_i64_e64 s[6:7], v[4:5]
	s_wait_alu 0xfffe
	s_xor_b32 s9, exec_lo, s9
	s_cbranch_execz .LBB22_275
; %bb.271:                              ;   in Loop: Header=BB22_32 Depth=1
	ds_load_b64 v[2:3], v13 offset:5120
	v_or_b32_e32 v40, s16, v40
	v_or_b32_e32 v46, s16, v46
	s_wait_dscnt 0x0
	v_cmp_ne_u64_e32 vcc_lo, 0, v[2:3]
	s_cbranch_vccnz .LBB22_275
; %bb.272:                              ;   in Loop: Header=BB22_32 Depth=1
	s_and_saveexec_b32 s10, s2
; %bb.273:                              ;   in Loop: Header=BB22_32 Depth=1
	v_dual_mov_b32 v2, s6 :: v_dual_mov_b32 v3, s7
	ds_store_b64 v13, v[2:3] offset:5128
; %bb.274:                              ;   in Loop: Header=BB22_32 Depth=1
	s_wait_alu 0xfffe
	s_or_b32 exec_lo, exec_lo, s10
	s_wait_loadcnt_dscnt 0x0
	s_barrier_signal -1
	s_barrier_wait -1
	global_inv scope:SCOPE_SE
.LBB22_275:                             ;   in Loop: Header=BB22_32 Depth=1
	s_wait_alu 0xfffe
	s_and_not1_saveexec_b32 s9, s9
; %bb.276:                              ;   in Loop: Header=BB22_32 Depth=1
	v_sub_co_u32 v4, vcc_lo, v4, s6
	s_wait_alu 0xfffd
	v_subrev_co_ci_u32_e64 v5, null, s7, v5, vcc_lo
; %bb.277:                              ;   in Loop: Header=BB22_32 Depth=1
	s_wait_alu 0xfffe
	s_or_b32 exec_lo, exec_lo, s9
	v_mov_b32_e32 v2, v4
	s_delay_alu instid0(VALU_DEP_2)
	v_dual_mov_b32 v12, 8 :: v_dual_mov_b32 v3, v5
.LBB22_278:                             ;   in Loop: Header=BB22_32 Depth=1
	s_wait_alu 0xfffe
	s_or_b32 exec_lo, exec_lo, s8
	s_delay_alu instid0(VALU_DEP_1)
	v_dual_mov_b32 v5, v3 :: v_dual_mov_b32 v4, v2
	s_mov_b32 s9, exec_lo
.LBB22_279:                             ;   in Loop: Header=BB22_32 Depth=1
	s_wait_alu 0xfffe
	s_or_b32 exec_lo, exec_lo, s5
	s_delay_alu instid0(SALU_CYCLE_1)
	s_or_not1_b32 s5, s9, exec_lo
.LBB22_280:                             ;   in Loop: Header=BB22_32 Depth=1
	s_wait_alu 0xfffe
	s_or_b32 exec_lo, exec_lo, s20
	v_dual_mov_b32 v2, v4 :: v_dual_mov_b32 v3, v5
	s_and_not1_b32 s6, s15, exec_lo
	s_and_b32 s7, s13, exec_lo
	s_and_not1_b32 s8, s14, exec_lo
	s_and_b32 s9, s12, exec_lo
	s_wait_alu 0xfffe
	s_or_b32 s15, s6, s7
	s_or_b32 s14, s8, s9
	s_and_b32 s10, s5, exec_lo
.LBB22_281:                             ;   in Loop: Header=BB22_32 Depth=1
	s_wait_alu 0xfffe
	s_or_b32 exec_lo, exec_lo, s51
	s_delay_alu instid0(SALU_CYCLE_1)
	s_or_not1_b32 s5, s10, exec_lo
.LBB22_282:                             ;   in Loop: Header=BB22_32 Depth=1
	s_wait_alu 0xfffe
	s_or_b32 exec_lo, exec_lo, s50
	v_dual_mov_b32 v7, v3 :: v_dual_mov_b32 v6, v2
	s_and_not1_b32 s6, s22, exec_lo
	s_and_b32 s7, s15, exec_lo
	s_and_not1_b32 s8, s21, exec_lo
	s_and_b32 s9, s14, exec_lo
	s_wait_alu 0xfffe
	s_or_b32 s22, s6, s7
	s_or_b32 s21, s8, s9
	s_and_b32 s10, s5, exec_lo
.LBB22_283:                             ;   in Loop: Header=BB22_32 Depth=1
	s_wait_alu 0xfffe
	s_or_b32 exec_lo, exec_lo, s23
	s_delay_alu instid0(SALU_CYCLE_1)
	s_or_not1_b32 s5, s10, exec_lo
.LBB22_284:                             ;   in Loop: Header=BB22_32 Depth=1
	s_wait_alu 0xfffe
	s_or_b32 exec_lo, exec_lo, s19
	s_mov_b32 s6, 0
	s_and_saveexec_b32 s7, s5
	s_wait_alu 0xfffe
	s_xor_b32 s5, exec_lo, s7
	s_cbranch_execz .LBB22_30
; %bb.285:                              ;   in Loop: Header=BB22_32 Depth=1
	v_and_b32_e32 v2, 7, v12
	s_mov_b32 s7, -1
	s_mov_b32 s6, -1
	s_mov_b32 s8, exec_lo
	s_delay_alu instid0(VALU_DEP_1)
	v_cmpx_eq_u32_e32 0, v2
	s_cbranch_execz .LBB22_29
; %bb.286:                              ;   in Loop: Header=BB22_32 Depth=1
	s_xor_b32 s61, s61, 1
	s_add_co_i32 s9, s59, -2
	s_cmp_eq_u32 s59, 0
	s_wait_alu 0xfffe
	s_mov_b32 s59, s9
	s_cselect_b32 s7, -1, 0
	s_xor_b32 s6, exec_lo, -1
	s_wait_alu 0xfffe
	s_or_not1_b32 s7, s7, exec_lo
	s_branch .LBB22_29
.LBB22_287:                             ;   in Loop: Header=BB22_32 Depth=1
                                        ; implicit-def: $sgpr10_sgpr11
	s_branch .LBB22_240
.LBB22_288:                             ;   in Loop: Header=BB22_32 Depth=1
                                        ; implicit-def: $sgpr12_sgpr13
	s_branch .LBB22_256
.LBB22_289:
	s_or_b32 exec_lo, exec_lo, s60
	s_xor_b32 s5, s49, -1
	s_xor_b32 s1, s67, -1
	;; [unrolled: 1-line block ×3, first 2 shown]
	s_mov_b32 s3, 0
	s_wait_alu 0xfffe
	s_and_saveexec_b32 s6, s1
	s_wait_alu 0xfffe
	s_xor_b32 s1, exec_lo, s6
	s_cbranch_execnz .LBB22_294
; %bb.290:
	s_wait_alu 0xfffe
	s_and_not1_saveexec_b32 s0, s1
	s_cbranch_execnz .LBB22_316
.LBB22_291:
	s_wait_alu 0xfffe
	s_or_b32 exec_lo, exec_lo, s0
	s_and_saveexec_b32 s0, s3
.LBB22_292:
	; divergent unreachable
.LBB22_293:
	s_endpgm
.LBB22_294:
	s_and_saveexec_b32 s3, s5
	s_wait_alu 0xfffe
	s_xor_b32 s3, exec_lo, s3
	s_cbranch_execz .LBB22_314
; %bb.295:
	s_and_saveexec_b32 s5, s4
	s_wait_alu 0xfffe
	s_xor_b32 s4, exec_lo, s5
; %bb.296:
	v_xor_b32_e32 v27, 0x80000000, v40
; %bb.297:
	s_wait_alu 0xfffe
	s_or_b32 exec_lo, exec_lo, s4
	s_and_saveexec_b32 s4, s2
; %bb.298:
	v_dual_mov_b32 v2, 0 :: v_dual_mov_b32 v3, s36
	ds_store_b32 v2, v3 offset:5140
; %bb.299:
	s_wait_alu 0xfffe
	s_or_b32 exec_lo, exec_lo, s4
	s_wait_loadcnt_dscnt 0x0
	s_barrier_signal -1
	s_barrier_wait -1
	global_inv scope:SCOPE_SE
	s_and_saveexec_b32 s4, s0
	s_cbranch_execz .LBB22_311
; %bb.300:
	v_mov_b32_e32 v2, 0
	s_mov_b32 s5, 0
                                        ; implicit-def: $sgpr6
                                        ; implicit-def: $sgpr7
                                        ; implicit-def: $sgpr8
	ds_load_b32 v4, v2 offset:5140
	s_wait_dscnt 0x0
	v_ashrrev_i32_e32 v5, 31, v4
	s_branch .LBB22_303
.LBB22_301:                             ;   in Loop: Header=BB22_303 Depth=1
	s_wait_alu 0xfffe
	s_or_b32 exec_lo, exec_lo, s11
	s_delay_alu instid0(SALU_CYCLE_1)
	s_and_not1_b32 s8, s8, exec_lo
	s_and_b32 s10, s10, exec_lo
	s_and_not1_b32 s7, s7, exec_lo
	s_and_b32 s0, s0, exec_lo
	s_wait_alu 0xfffe
	s_or_b32 s8, s8, s10
	s_or_b32 s7, s7, s0
.LBB22_302:                             ;   in Loop: Header=BB22_303 Depth=1
	s_wait_alu 0xfffe
	s_or_b32 exec_lo, exec_lo, s9
	s_delay_alu instid0(SALU_CYCLE_1)
	s_and_b32 s0, exec_lo, s7
	s_wait_alu 0xfffe
	s_or_b32 s5, s0, s5
	s_and_not1_b32 s0, s6, exec_lo
	s_and_b32 s6, s8, exec_lo
	s_wait_alu 0xfffe
	s_or_b32 s6, s0, s6
	s_and_not1_b32 exec_lo, exec_lo, s5
	s_cbranch_execz .LBB22_306
.LBB22_303:                             ; =>This Inner Loop Header: Depth=1
	v_dual_mov_b32 v3, v1 :: v_dual_mov_b32 v2, v0
	s_or_b32 s8, s8, exec_lo
	s_or_b32 s7, s7, exec_lo
	s_mov_b32 s9, exec_lo
                                        ; implicit-def: $vgpr0_vgpr1
	s_delay_alu instid0(VALU_DEP_1)
	v_cmpx_lt_i64_e64 v[2:3], v[4:5]
	s_cbranch_execz .LBB22_302
; %bb.304:                              ;   in Loop: Header=BB22_303 Depth=1
	global_load_b32 v0, v[10:11], off
	s_mov_b32 s0, -1
	s_mov_b32 s10, 0
	s_wait_loadcnt 0x0
	v_cmp_ne_u32_e32 vcc_lo, v0, v27
                                        ; implicit-def: $vgpr0_vgpr1
	s_and_saveexec_b32 s11, vcc_lo
	s_cbranch_execz .LBB22_301
; %bb.305:                              ;   in Loop: Header=BB22_303 Depth=1
	v_add_co_u32 v0, vcc_lo, v2, s68
	s_wait_alu 0xfffd
	v_add_co_ci_u32_e64 v1, null, 0, v3, vcc_lo
	v_add_co_u32 v10, s0, v10, s70
	s_wait_alu 0xf1fe
	v_add_co_ci_u32_e64 v11, null, s71, v11, s0
	s_delay_alu instid0(VALU_DEP_3)
	v_cmp_le_i64_e32 vcc_lo, s[36:37], v[0:1]
	s_mov_b32 s10, exec_lo
	s_or_not1_b32 s0, vcc_lo, exec_lo
	s_branch .LBB22_301
.LBB22_306:
	s_or_b32 exec_lo, exec_lo, s5
	s_wait_alu 0xfffe
	s_xor_b32 s0, s6, -1
	s_wait_alu 0xfffe
	s_and_saveexec_b32 s5, s0
	s_wait_alu 0xfffe
	s_xor_b32 s5, exec_lo, s5
	s_cbranch_execz .LBB22_311
; %bb.307:
	s_mov_b32 s5, exec_lo
	s_brev_b32 s0, -2
.LBB22_308:                             ; =>This Inner Loop Header: Depth=1
	s_wait_alu 0xfffe
	s_ctz_i32_b32 s6, s5
	s_wait_alu 0xfffe
	v_readlane_b32 s7, v2, s6
	s_lshl_b32 s6, 1, s6
	s_wait_alu 0xfffe
	s_and_not1_b32 s5, s5, s6
	s_min_i32 s0, s0, s7
	s_wait_alu 0xfffe
	s_cmp_lg_u32 s5, 0
	s_cbranch_scc1 .LBB22_308
; %bb.309:
	v_mbcnt_lo_u32_b32 v0, exec_lo, 0
	s_mov_b32 s5, exec_lo
	s_delay_alu instid0(VALU_DEP_1)
	v_cmpx_eq_u32_e32 0, v0
	s_wait_alu 0xfffe
	s_xor_b32 s5, exec_lo, s5
; %bb.310:
	v_dual_mov_b32 v0, 0 :: v_dual_mov_b32 v1, s0
	ds_min_i32 v0, v1 offset:5140
.LBB22_311:
	s_wait_alu 0xfffe
	s_or_b32 exec_lo, exec_lo, s4
	s_wait_loadcnt_dscnt 0x0
	s_barrier_signal -1
	s_barrier_wait -1
	global_inv scope:SCOPE_SE
	s_and_saveexec_b32 s0, s2
	s_cbranch_execz .LBB22_313
; %bb.312:
	v_readlane_b32 s16, v52, 2
	v_readlane_b32 s17, v52, 3
	v_mov_b32_e32 v2, 0
	s_mul_u64 s[4:5], s[56:57], s[46:47]
	s_mul_u64 s[10:11], s[34:35], s[30:31]
	s_wait_alu 0xfffe
	s_sub_nc_u64 s[4:5], s[26:27], s[4:5]
	s_mul_u64 s[14:15], s[62:63], s[16:17]
	v_readlane_b32 s16, v52, 0
	v_readlane_b32 s17, v52, 1
	ds_load_b32 v0, v2 offset:5140
	s_sub_nc_u64 s[10:11], s[26:27], s[10:11]
	s_mul_u64 s[8:9], s[40:41], s[52:53]
	v_readlane_b32 s18, v52, 4
	s_wait_alu 0xfffe
	s_mul_u64 s[4:5], s[4:5], s[16:17]
	v_readlane_b32 s16, v52, 6
	v_readlane_b32 s17, v52, 7
	s_lshl_b64 s[8:9], s[8:9], 2
	v_readlane_b32 s19, v52, 5
	s_mul_u64 s[12:13], s[62:63], s[44:45]
	s_mul_u64 s[6:7], s[40:41], s[28:29]
	;; [unrolled: 1-line block ×3, first 2 shown]
	v_readlane_b32 s16, v52, 10
	v_readlane_b32 s17, v52, 11
	s_wait_alu 0xfffe
	s_sub_nc_u64 s[12:13], s[56:57], s[12:13]
	s_sub_nc_u64 s[6:7], s[34:35], s[6:7]
	s_lshl_b64 s[14:15], s[14:15], 3
	s_wait_alu 0xfffe
	s_mul_u64 s[12:13], s[12:13], s[18:19]
	s_add_nc_u64 s[8:9], s[16:17], s[8:9]
	v_readlane_b32 s16, v52, 8
	v_readlane_b32 s17, v52, 9
	s_mul_u64 s[6:7], s[6:7], s[54:55]
	s_wait_alu 0xfffe
	s_lshl_b64 s[12:13], s[12:13], 3
	s_lshl_b64 s[6:7], s[6:7], 2
	s_wait_dscnt 0x0
	v_ashrrev_i32_e32 v1, 31, v0
	s_add_nc_u64 s[14:15], s[16:17], s[14:15]
	s_lshl_b64 s[4:5], s[4:5], 3
	s_wait_alu 0xfffe
	s_add_nc_u64 s[12:13], s[14:15], s[12:13]
	s_lshl_b64 s[10:11], s[10:11], 2
	s_add_nc_u64 s[6:7], s[8:9], s[6:7]
	s_wait_alu 0xfffe
	s_add_nc_u64 s[4:5], s[12:13], s[4:5]
	s_add_nc_u64 s[6:7], s[6:7], s[10:11]
	s_clause 0x1
	global_store_b64 v2, v[0:1], s[4:5]
	global_store_b32 v2, v27, s[6:7]
.LBB22_313:
	s_wait_alu 0xfffe
	s_or_b32 exec_lo, exec_lo, s0
.LBB22_314:
	s_wait_alu 0xfffe
	s_or_saveexec_b32 s0, s3
	s_mov_b32 s2, 0
	s_wait_alu 0xfffe
	s_xor_b32 exec_lo, exec_lo, s0
	s_cbranch_execnz .LBB22_317
.LBB22_315:
	s_or_b32 exec_lo, exec_lo, s0
	s_wait_alu 0xfffe
	s_and_b32 s3, s2, exec_lo
	s_and_not1_saveexec_b32 s0, s1
	s_cbranch_execz .LBB22_291
.LBB22_316:
	s_wait_alu 0xfffe
	s_or_b32 s3, s3, exec_lo
	s_trap 2
	s_or_b32 exec_lo, exec_lo, s0
	s_wait_alu 0xfffe
	s_and_saveexec_b32 s0, s3
	s_cbranch_execnz .LBB22_292
	s_branch .LBB22_293
.LBB22_317:
	s_mov_b32 s2, exec_lo
	s_trap 2
	s_branch .LBB22_315
	.section	.rodata,"a",@progbits
	.p2align	6, 0x0
	.amdhsa_kernel _ZN2at6native12_GLOBAL__N_114gatherKthValueIilLi3EEEvNS_4cuda6detail10TensorInfoIKT_T0_EES8_S8_S8_S8_NS5_IS6_S8_EENS5_IlS8_EE
		.amdhsa_group_segment_fixed_size 5144
		.amdhsa_private_segment_fixed_size 0
		.amdhsa_kernarg_size 1536
		.amdhsa_user_sgpr_count 2
		.amdhsa_user_sgpr_dispatch_ptr 0
		.amdhsa_user_sgpr_queue_ptr 0
		.amdhsa_user_sgpr_kernarg_segment_ptr 1
		.amdhsa_user_sgpr_dispatch_id 0
		.amdhsa_user_sgpr_private_segment_size 0
		.amdhsa_wavefront_size32 1
		.amdhsa_uses_dynamic_stack 0
		.amdhsa_enable_private_segment 0
		.amdhsa_system_sgpr_workgroup_id_x 1
		.amdhsa_system_sgpr_workgroup_id_y 1
		.amdhsa_system_sgpr_workgroup_id_z 1
		.amdhsa_system_sgpr_workgroup_info 0
		.amdhsa_system_vgpr_workitem_id 0
		.amdhsa_next_free_vgpr 53
		.amdhsa_next_free_sgpr 105
		.amdhsa_reserve_vcc 1
		.amdhsa_float_round_mode_32 0
		.amdhsa_float_round_mode_16_64 0
		.amdhsa_float_denorm_mode_32 3
		.amdhsa_float_denorm_mode_16_64 3
		.amdhsa_fp16_overflow 0
		.amdhsa_workgroup_processor_mode 1
		.amdhsa_memory_ordered 1
		.amdhsa_forward_progress 1
		.amdhsa_inst_pref_size 182
		.amdhsa_round_robin_scheduling 0
		.amdhsa_exception_fp_ieee_invalid_op 0
		.amdhsa_exception_fp_denorm_src 0
		.amdhsa_exception_fp_ieee_div_zero 0
		.amdhsa_exception_fp_ieee_overflow 0
		.amdhsa_exception_fp_ieee_underflow 0
		.amdhsa_exception_fp_ieee_inexact 0
		.amdhsa_exception_int_div_zero 0
	.end_amdhsa_kernel
	.section	.text._ZN2at6native12_GLOBAL__N_114gatherKthValueIilLi3EEEvNS_4cuda6detail10TensorInfoIKT_T0_EES8_S8_S8_S8_NS5_IS6_S8_EENS5_IlS8_EE,"axG",@progbits,_ZN2at6native12_GLOBAL__N_114gatherKthValueIilLi3EEEvNS_4cuda6detail10TensorInfoIKT_T0_EES8_S8_S8_S8_NS5_IS6_S8_EENS5_IlS8_EE,comdat
.Lfunc_end22:
	.size	_ZN2at6native12_GLOBAL__N_114gatherKthValueIilLi3EEEvNS_4cuda6detail10TensorInfoIKT_T0_EES8_S8_S8_S8_NS5_IS6_S8_EENS5_IlS8_EE, .Lfunc_end22-_ZN2at6native12_GLOBAL__N_114gatherKthValueIilLi3EEEvNS_4cuda6detail10TensorInfoIKT_T0_EES8_S8_S8_S8_NS5_IS6_S8_EENS5_IlS8_EE
                                        ; -- End function
	.set _ZN2at6native12_GLOBAL__N_114gatherKthValueIilLi3EEEvNS_4cuda6detail10TensorInfoIKT_T0_EES8_S8_S8_S8_NS5_IS6_S8_EENS5_IlS8_EE.num_vgpr, 53
	.set _ZN2at6native12_GLOBAL__N_114gatherKthValueIilLi3EEEvNS_4cuda6detail10TensorInfoIKT_T0_EES8_S8_S8_S8_NS5_IS6_S8_EENS5_IlS8_EE.num_agpr, 0
	.set _ZN2at6native12_GLOBAL__N_114gatherKthValueIilLi3EEEvNS_4cuda6detail10TensorInfoIKT_T0_EES8_S8_S8_S8_NS5_IS6_S8_EENS5_IlS8_EE.numbered_sgpr, 105
	.set _ZN2at6native12_GLOBAL__N_114gatherKthValueIilLi3EEEvNS_4cuda6detail10TensorInfoIKT_T0_EES8_S8_S8_S8_NS5_IS6_S8_EENS5_IlS8_EE.num_named_barrier, 0
	.set _ZN2at6native12_GLOBAL__N_114gatherKthValueIilLi3EEEvNS_4cuda6detail10TensorInfoIKT_T0_EES8_S8_S8_S8_NS5_IS6_S8_EENS5_IlS8_EE.private_seg_size, 0
	.set _ZN2at6native12_GLOBAL__N_114gatherKthValueIilLi3EEEvNS_4cuda6detail10TensorInfoIKT_T0_EES8_S8_S8_S8_NS5_IS6_S8_EENS5_IlS8_EE.uses_vcc, 1
	.set _ZN2at6native12_GLOBAL__N_114gatherKthValueIilLi3EEEvNS_4cuda6detail10TensorInfoIKT_T0_EES8_S8_S8_S8_NS5_IS6_S8_EENS5_IlS8_EE.uses_flat_scratch, 0
	.set _ZN2at6native12_GLOBAL__N_114gatherKthValueIilLi3EEEvNS_4cuda6detail10TensorInfoIKT_T0_EES8_S8_S8_S8_NS5_IS6_S8_EENS5_IlS8_EE.has_dyn_sized_stack, 0
	.set _ZN2at6native12_GLOBAL__N_114gatherKthValueIilLi3EEEvNS_4cuda6detail10TensorInfoIKT_T0_EES8_S8_S8_S8_NS5_IS6_S8_EENS5_IlS8_EE.has_recursion, 0
	.set _ZN2at6native12_GLOBAL__N_114gatherKthValueIilLi3EEEvNS_4cuda6detail10TensorInfoIKT_T0_EES8_S8_S8_S8_NS5_IS6_S8_EENS5_IlS8_EE.has_indirect_call, 0
	.section	.AMDGPU.csdata,"",@progbits
; Kernel info:
; codeLenInByte = 23180
; TotalNumSgprs: 107
; NumVgprs: 53
; ScratchSize: 0
; MemoryBound: 0
; FloatMode: 240
; IeeeMode: 1
; LDSByteSize: 5144 bytes/workgroup (compile time only)
; SGPRBlocks: 0
; VGPRBlocks: 6
; NumSGPRsForWavesPerEU: 107
; NumVGPRsForWavesPerEU: 53
; Occupancy: 16
; WaveLimiterHint : 1
; COMPUTE_PGM_RSRC2:SCRATCH_EN: 0
; COMPUTE_PGM_RSRC2:USER_SGPR: 2
; COMPUTE_PGM_RSRC2:TRAP_HANDLER: 0
; COMPUTE_PGM_RSRC2:TGID_X_EN: 1
; COMPUTE_PGM_RSRC2:TGID_Y_EN: 1
; COMPUTE_PGM_RSRC2:TGID_Z_EN: 1
; COMPUTE_PGM_RSRC2:TIDIG_COMP_CNT: 0
	.section	.text._ZN2at6native12_GLOBAL__N_114gatherKthValueIilLin1EEEvNS_4cuda6detail10TensorInfoIKT_T0_EES8_S8_S8_S8_NS5_IS6_S8_EENS5_IlS8_EE,"axG",@progbits,_ZN2at6native12_GLOBAL__N_114gatherKthValueIilLin1EEEvNS_4cuda6detail10TensorInfoIKT_T0_EES8_S8_S8_S8_NS5_IS6_S8_EENS5_IlS8_EE,comdat
	.globl	_ZN2at6native12_GLOBAL__N_114gatherKthValueIilLin1EEEvNS_4cuda6detail10TensorInfoIKT_T0_EES8_S8_S8_S8_NS5_IS6_S8_EENS5_IlS8_EE ; -- Begin function _ZN2at6native12_GLOBAL__N_114gatherKthValueIilLin1EEEvNS_4cuda6detail10TensorInfoIKT_T0_EES8_S8_S8_S8_NS5_IS6_S8_EENS5_IlS8_EE
	.p2align	8
	.type	_ZN2at6native12_GLOBAL__N_114gatherKthValueIilLin1EEEvNS_4cuda6detail10TensorInfoIKT_T0_EES8_S8_S8_S8_NS5_IS6_S8_EENS5_IlS8_EE,@function
_ZN2at6native12_GLOBAL__N_114gatherKthValueIilLin1EEEvNS_4cuda6detail10TensorInfoIKT_T0_EES8_S8_S8_S8_NS5_IS6_S8_EENS5_IlS8_EE: ; @_ZN2at6native12_GLOBAL__N_114gatherKthValueIilLin1EEEvNS_4cuda6detail10TensorInfoIKT_T0_EES8_S8_S8_S8_NS5_IS6_S8_EENS5_IlS8_EE
; %bb.0:
	s_clause 0x1
	s_load_b64 s[6:7], s[0:1], 0x500
	s_load_b256 s[36:43], s[0:1], 0x1a0
	s_lshr_b32 s2, ttmp7, 16
	s_and_b32 s3, ttmp7, 0xffff
	s_wait_kmcnt 0x0
	s_mul_i32 s2, s7, s2
	s_delay_alu instid0(SALU_CYCLE_1) | instskip(SKIP_2) | instid1(SALU_CYCLE_1)
	s_add_co_i32 s2, s2, s3
	s_mov_b32 s3, 0
	s_mul_i32 s2, s2, s6
	s_add_co_i32 s2, s2, ttmp9
	s_delay_alu instid0(SALU_CYCLE_1)
	v_cmp_le_i64_e64 s4, s[40:41], s[2:3]
	s_and_b32 vcc_lo, exec_lo, s4
	s_cbranch_vccnz .LBB23_293
; %bb.1:
	s_load_b32 s7, s[0:1], 0x198
	s_mov_b64 s[4:5], 0
	s_mov_b64 s[10:11], s[2:3]
	s_wait_kmcnt 0x0
	s_cmp_lt_i32 s7, 2
	s_cbranch_scc1 .LBB23_9
; %bb.2:
	s_mov_b32 s8, 0
	s_add_co_i32 s4, s7, -1
	s_mov_b32 s5, s8
	s_add_co_i32 s7, s7, 1
	s_lshl_b64 s[4:5], s[4:5], 3
	s_mov_b64 s[14:15], s[2:3]
	s_add_nc_u64 s[10:11], s[0:1], s[4:5]
	s_mov_b64 s[4:5], 0
	s_add_nc_u64 s[12:13], s[10:11], 8
.LBB23_3:                               ; =>This Inner Loop Header: Depth=1
	s_load_b64 s[16:17], s[12:13], 0x0
	s_wait_kmcnt 0x0
	s_or_b64 s[10:11], s[14:15], s[16:17]
	s_delay_alu instid0(SALU_CYCLE_1)
	s_mov_b32 s9, s11
                                        ; implicit-def: $sgpr10_sgpr11
	s_wait_alu 0xfffe
	s_cmp_lg_u64 s[8:9], 0
	s_mov_b32 s9, -1
	s_cbranch_scc0 .LBB23_5
; %bb.4:                                ;   in Loop: Header=BB23_3 Depth=1
	s_ashr_i32 s10, s17, 31
	s_mov_b32 s25, s8
	s_mov_b32 s11, s10
	;; [unrolled: 1-line block ×3, first 2 shown]
	s_add_nc_u64 s[18:19], s[16:17], s[10:11]
	s_delay_alu instid0(SALU_CYCLE_1) | instskip(NEXT) | instid1(SALU_CYCLE_1)
	s_xor_b64 s[18:19], s[18:19], s[10:11]
	s_cvt_f32_u32 s9, s18
	s_cvt_f32_u32 s20, s19
	s_sub_nc_u64 s[22:23], 0, s[18:19]
	s_wait_alu 0xfffe
	s_delay_alu instid0(SALU_CYCLE_1) | instskip(SKIP_1) | instid1(SALU_CYCLE_2)
	s_fmamk_f32 s9, s20, 0x4f800000, s9
	s_wait_alu 0xfffe
	v_s_rcp_f32 s9, s9
	s_delay_alu instid0(TRANS32_DEP_1) | instskip(SKIP_1) | instid1(SALU_CYCLE_2)
	s_mul_f32 s9, s9, 0x5f7ffffc
	s_wait_alu 0xfffe
	s_mul_f32 s20, s9, 0x2f800000
	s_delay_alu instid0(SALU_CYCLE_3) | instskip(NEXT) | instid1(SALU_CYCLE_3)
	s_trunc_f32 s20, s20
	s_fmamk_f32 s9, s20, 0xcf800000, s9
	s_cvt_u32_f32 s21, s20
	s_wait_alu 0xfffe
	s_delay_alu instid0(SALU_CYCLE_1) | instskip(NEXT) | instid1(SALU_CYCLE_3)
	s_cvt_u32_f32 s20, s9
	s_mul_u64 s[26:27], s[22:23], s[20:21]
	s_delay_alu instid0(SALU_CYCLE_1)
	s_mul_hi_u32 s31, s20, s27
	s_mul_i32 s30, s20, s27
	s_mul_hi_u32 s24, s20, s26
	s_mul_i32 s28, s21, s26
	s_add_nc_u64 s[24:25], s[24:25], s[30:31]
	s_mul_hi_u32 s9, s21, s26
	s_mul_hi_u32 s33, s21, s27
	s_add_co_u32 s24, s24, s28
	s_wait_alu 0xfffe
	s_add_co_ci_u32 s28, s25, s9
	s_mul_i32 s26, s21, s27
	s_add_co_ci_u32 s27, s33, 0
	s_delay_alu instid0(SALU_CYCLE_1)
	s_add_nc_u64 s[24:25], s[28:29], s[26:27]
	s_mov_b32 s27, s8
	s_add_co_u32 s20, s20, s24
	s_cselect_b32 s9, -1, 0
	s_wait_alu 0xfffe
	s_cmp_lg_u32 s9, 0
	s_add_co_ci_u32 s21, s21, s25
	s_mov_b32 s25, s8
	s_mul_u64 s[22:23], s[22:23], s[20:21]
	s_delay_alu instid0(SALU_CYCLE_1)
	s_mul_hi_u32 s29, s20, s23
	s_mul_i32 s28, s20, s23
	s_mul_hi_u32 s24, s20, s22
	s_mul_i32 s26, s21, s22
	s_add_nc_u64 s[24:25], s[24:25], s[28:29]
	s_mul_hi_u32 s9, s21, s22
	s_mul_hi_u32 s30, s21, s23
	s_mul_i32 s22, s21, s23
	s_add_co_u32 s23, s24, s26
	s_wait_alu 0xfffe
	s_add_co_ci_u32 s26, s25, s9
	s_add_co_ci_u32 s23, s30, 0
	s_mov_b32 s25, s8
	s_add_nc_u64 s[22:23], s[26:27], s[22:23]
	s_delay_alu instid0(SALU_CYCLE_1) | instskip(SKIP_1) | instid1(SALU_CYCLE_1)
	s_add_co_u32 s9, s20, s22
	s_cselect_b32 s20, -1, 0
	s_cmp_lg_u32 s20, 0
	s_add_co_ci_u32 s26, s21, s23
	s_ashr_i32 s20, s15, 31
	s_delay_alu instid0(SALU_CYCLE_1) | instskip(NEXT) | instid1(SALU_CYCLE_1)
	s_mov_b32 s21, s20
	s_add_nc_u64 s[22:23], s[14:15], s[20:21]
	s_delay_alu instid0(SALU_CYCLE_1) | instskip(NEXT) | instid1(SALU_CYCLE_1)
	s_xor_b64 s[22:23], s[22:23], s[20:21]
	s_mul_hi_u32 s29, s22, s26
	s_mul_i32 s28, s22, s26
	s_wait_alu 0xfffe
	s_mul_hi_u32 s24, s22, s9
	s_mul_hi_u32 s31, s23, s9
	s_mul_i32 s9, s23, s9
	s_add_nc_u64 s[24:25], s[24:25], s[28:29]
	s_mul_hi_u32 s30, s23, s26
	s_wait_alu 0xfffe
	s_add_co_u32 s9, s24, s9
	s_mul_i32 s28, s23, s26
	s_add_co_ci_u32 s26, s25, s31
	s_add_co_ci_u32 s29, s30, 0
	s_delay_alu instid0(SALU_CYCLE_1) | instskip(NEXT) | instid1(SALU_CYCLE_1)
	s_add_nc_u64 s[24:25], s[26:27], s[28:29]
	s_mul_u64 s[26:27], s[18:19], s[24:25]
	s_delay_alu instid0(SALU_CYCLE_1)
	s_sub_co_u32 s9, s22, s26
	s_cselect_b32 s22, -1, 0
	s_sub_co_i32 s26, s23, s27
	s_cmp_lg_u32 s22, 0
	s_sub_co_ci_u32 s26, s26, s19
	s_wait_alu 0xfffe
	s_sub_co_u32 s28, s9, s18
	s_cselect_b32 s29, -1, 0
	s_delay_alu instid0(SALU_CYCLE_1) | instskip(SKIP_1) | instid1(SALU_CYCLE_1)
	s_cmp_lg_u32 s29, 0
	s_sub_co_ci_u32 s26, s26, 0
	s_cmp_ge_u32 s26, s19
	s_cselect_b32 s30, -1, 0
	s_cmp_ge_u32 s28, s18
	s_add_nc_u64 s[28:29], s[24:25], 1
	s_cselect_b32 s31, -1, 0
	s_cmp_eq_u32 s26, s19
	s_cselect_b32 s26, s31, s30
	s_add_nc_u64 s[30:31], s[24:25], 2
	s_cmp_lg_u32 s26, 0
	s_cselect_b32 s26, s30, s28
	s_cselect_b32 s28, s31, s29
	s_cmp_lg_u32 s22, 0
	s_sub_co_ci_u32 s22, s23, s27
	s_delay_alu instid0(SALU_CYCLE_1)
	s_cmp_ge_u32 s22, s19
	s_cselect_b32 s23, -1, 0
	s_cmp_ge_u32 s9, s18
	s_cselect_b32 s9, -1, 0
	s_cmp_eq_u32 s22, s19
	s_wait_alu 0xfffe
	s_cselect_b32 s9, s9, s23
	s_wait_alu 0xfffe
	s_cmp_lg_u32 s9, 0
	s_mov_b32 s9, 0
	s_cselect_b32 s19, s28, s25
	s_cselect_b32 s18, s26, s24
	s_xor_b64 s[10:11], s[20:21], s[10:11]
	s_delay_alu instid0(SALU_CYCLE_1) | instskip(NEXT) | instid1(SALU_CYCLE_1)
	s_xor_b64 s[18:19], s[18:19], s[10:11]
	s_sub_nc_u64 s[10:11], s[18:19], s[10:11]
.LBB23_5:                               ;   in Loop: Header=BB23_3 Depth=1
	s_wait_alu 0xfffe
	s_and_not1_b32 vcc_lo, exec_lo, s9
	s_cbranch_vccnz .LBB23_7
; %bb.6:                                ;   in Loop: Header=BB23_3 Depth=1
	v_cvt_f32_u32_e32 v1, s16
	s_sub_co_i32 s10, 0, s16
	s_delay_alu instid0(VALU_DEP_1) | instskip(NEXT) | instid1(TRANS32_DEP_1)
	v_rcp_iflag_f32_e32 v1, v1
	v_mul_f32_e32 v1, 0x4f7ffffe, v1
	s_delay_alu instid0(VALU_DEP_1) | instskip(NEXT) | instid1(VALU_DEP_1)
	v_cvt_u32_f32_e32 v1, v1
	v_readfirstlane_b32 s9, v1
	s_mul_i32 s10, s10, s9
	s_delay_alu instid0(SALU_CYCLE_1) | instskip(NEXT) | instid1(SALU_CYCLE_1)
	s_mul_hi_u32 s10, s9, s10
	s_add_co_i32 s9, s9, s10
	s_wait_alu 0xfffe
	s_mul_hi_u32 s9, s14, s9
	s_wait_alu 0xfffe
	s_mul_i32 s10, s9, s16
	s_add_co_i32 s11, s9, 1
	s_sub_co_i32 s10, s14, s10
	s_delay_alu instid0(SALU_CYCLE_1)
	s_sub_co_i32 s18, s10, s16
	s_cmp_ge_u32 s10, s16
	s_cselect_b32 s9, s11, s9
	s_cselect_b32 s10, s18, s10
	s_wait_alu 0xfffe
	s_add_co_i32 s11, s9, 1
	s_cmp_ge_u32 s10, s16
	s_cselect_b32 s10, s11, s9
	s_mov_b32 s11, s8
.LBB23_7:                               ;   in Loop: Header=BB23_3 Depth=1
	s_load_b64 s[18:19], s[12:13], 0xc8
	s_mul_u64 s[16:17], s[10:11], s[16:17]
	s_add_co_i32 s7, s7, -1
	s_wait_alu 0xfffe
	s_sub_nc_u64 s[14:15], s[14:15], s[16:17]
	s_cmp_gt_u32 s7, 2
	s_add_nc_u64 s[12:13], s[12:13], -8
	s_wait_kmcnt 0x0
	s_mul_u64 s[14:15], s[18:19], s[14:15]
	s_delay_alu instid0(SALU_CYCLE_1)
	s_add_nc_u64 s[4:5], s[14:15], s[4:5]
	s_cbranch_scc0 .LBB23_9
; %bb.8:                                ;   in Loop: Header=BB23_3 Depth=1
	s_mov_b64 s[14:15], s[10:11]
	s_branch .LBB23_3
.LBB23_9:
	s_load_b32 s7, s[0:1], 0x358
	s_add_nc_u64 s[8:9], s[0:1], 0x500
	s_add_nc_u64 s[12:13], s[0:1], 0x1c0
	s_mov_b64 s[26:27], 0
	s_mov_b64 s[28:29], s[2:3]
	s_wait_kmcnt 0x0
	s_cmp_lt_i32 s7, 2
	s_cbranch_scc1 .LBB23_17
; %bb.10:
	s_mov_b32 s14, 0
	s_add_co_i32 s16, s7, -1
	s_mov_b32 s17, s14
	s_add_co_i32 s7, s7, 1
	s_wait_alu 0xfffe
	s_lshl_b64 s[16:17], s[16:17], 3
	s_mov_b64 s[18:19], s[2:3]
	s_wait_alu 0xfffe
	s_add_nc_u64 s[16:17], s[12:13], s[16:17]
	s_wait_alu 0xfffe
	s_add_nc_u64 s[16:17], s[16:17], 8
.LBB23_11:                              ; =>This Inner Loop Header: Depth=1
	s_load_b64 s[20:21], s[16:17], 0x0
                                        ; implicit-def: $sgpr28_sgpr29
	s_wait_kmcnt 0x0
	s_or_b64 s[22:23], s[18:19], s[20:21]
	s_delay_alu instid0(SALU_CYCLE_1)
	s_mov_b32 s15, s23
	s_wait_alu 0xfffe
	s_cmp_lg_u64 s[14:15], 0
	s_mov_b32 s15, -1
	s_cbranch_scc0 .LBB23_13
; %bb.12:                               ;   in Loop: Header=BB23_11 Depth=1
	s_ashr_i32 s22, s21, 31
	s_mov_b32 s35, s14
	s_mov_b32 s23, s22
	s_mov_b32 s45, s14
	s_add_nc_u64 s[24:25], s[20:21], s[22:23]
	s_delay_alu instid0(SALU_CYCLE_1) | instskip(NEXT) | instid1(SALU_CYCLE_1)
	s_xor_b64 s[24:25], s[24:25], s[22:23]
	s_cvt_f32_u32 s15, s24
	s_cvt_f32_u32 s28, s25
	s_sub_nc_u64 s[30:31], 0, s[24:25]
	s_wait_alu 0xfffe
	s_delay_alu instid0(SALU_CYCLE_1) | instskip(SKIP_1) | instid1(SALU_CYCLE_2)
	s_fmamk_f32 s15, s28, 0x4f800000, s15
	s_wait_alu 0xfffe
	v_s_rcp_f32 s15, s15
	s_delay_alu instid0(TRANS32_DEP_1) | instskip(SKIP_1) | instid1(SALU_CYCLE_2)
	s_mul_f32 s15, s15, 0x5f7ffffc
	s_wait_alu 0xfffe
	s_mul_f32 s28, s15, 0x2f800000
	s_delay_alu instid0(SALU_CYCLE_3) | instskip(NEXT) | instid1(SALU_CYCLE_3)
	s_trunc_f32 s28, s28
	s_fmamk_f32 s15, s28, 0xcf800000, s15
	s_cvt_u32_f32 s29, s28
	s_wait_alu 0xfffe
	s_delay_alu instid0(SALU_CYCLE_1) | instskip(NEXT) | instid1(SALU_CYCLE_3)
	s_cvt_u32_f32 s28, s15
	s_mul_u64 s[40:41], s[30:31], s[28:29]
	s_wait_alu 0xfffe
	s_mul_hi_u32 s47, s28, s41
	s_mul_i32 s46, s28, s41
	s_mul_hi_u32 s34, s28, s40
	s_mul_i32 s33, s29, s40
	s_add_nc_u64 s[34:35], s[34:35], s[46:47]
	s_mul_hi_u32 s15, s29, s40
	s_mul_hi_u32 s48, s29, s41
	s_add_co_u32 s33, s34, s33
	s_wait_alu 0xfffe
	s_add_co_ci_u32 s44, s35, s15
	s_mul_i32 s40, s29, s41
	s_add_co_ci_u32 s41, s48, 0
	s_wait_alu 0xfffe
	s_add_nc_u64 s[34:35], s[44:45], s[40:41]
	s_mov_b32 s41, s14
	s_add_co_u32 s28, s28, s34
	s_cselect_b32 s15, -1, 0
	s_wait_alu 0xfffe
	s_cmp_lg_u32 s15, 0
	s_add_co_ci_u32 s29, s29, s35
	s_mov_b32 s35, s14
	s_mul_u64 s[30:31], s[30:31], s[28:29]
	s_delay_alu instid0(SALU_CYCLE_1)
	s_mul_hi_u32 s45, s28, s31
	s_mul_i32 s44, s28, s31
	s_mul_hi_u32 s34, s28, s30
	s_mul_i32 s33, s29, s30
	s_add_nc_u64 s[34:35], s[34:35], s[44:45]
	s_mul_hi_u32 s15, s29, s30
	s_mul_hi_u32 s46, s29, s31
	s_mul_i32 s30, s29, s31
	s_add_co_u32 s31, s34, s33
	s_wait_alu 0xfffe
	s_add_co_ci_u32 s40, s35, s15
	s_add_co_ci_u32 s31, s46, 0
	s_mov_b32 s35, s14
	s_wait_alu 0xfffe
	s_add_nc_u64 s[30:31], s[40:41], s[30:31]
	s_delay_alu instid0(SALU_CYCLE_1) | instskip(SKIP_1) | instid1(SALU_CYCLE_1)
	s_add_co_u32 s15, s28, s30
	s_cselect_b32 s28, -1, 0
	s_cmp_lg_u32 s28, 0
	s_add_co_ci_u32 s33, s29, s31
	s_ashr_i32 s28, s19, 31
	s_delay_alu instid0(SALU_CYCLE_1) | instskip(NEXT) | instid1(SALU_CYCLE_1)
	s_mov_b32 s29, s28
	s_add_nc_u64 s[30:31], s[18:19], s[28:29]
	s_delay_alu instid0(SALU_CYCLE_1) | instskip(NEXT) | instid1(SALU_CYCLE_1)
	s_xor_b64 s[30:31], s[30:31], s[28:29]
	s_mul_hi_u32 s45, s30, s33
	s_mul_i32 s44, s30, s33
	s_wait_alu 0xfffe
	s_mul_hi_u32 s34, s30, s15
	s_mul_hi_u32 s40, s31, s15
	s_mul_i32 s15, s31, s15
	s_add_nc_u64 s[34:35], s[34:35], s[44:45]
	s_mul_hi_u32 s46, s31, s33
	s_wait_alu 0xfffe
	s_add_co_u32 s15, s34, s15
	s_add_co_ci_u32 s40, s35, s40
	s_mul_i32 s44, s31, s33
	s_add_co_ci_u32 s45, s46, 0
	s_wait_alu 0xfffe
	s_add_nc_u64 s[34:35], s[40:41], s[44:45]
	s_delay_alu instid0(SALU_CYCLE_1)
	s_mul_u64 s[40:41], s[24:25], s[34:35]
	s_wait_alu 0xfffe
	s_sub_co_u32 s15, s30, s40
	s_cselect_b32 s30, -1, 0
	s_sub_co_i32 s33, s31, s41
	s_cmp_lg_u32 s30, 0
	s_sub_co_ci_u32 s33, s33, s25
	s_wait_alu 0xfffe
	s_sub_co_u32 s40, s15, s24
	s_cselect_b32 s44, -1, 0
	s_delay_alu instid0(SALU_CYCLE_1) | instskip(SKIP_2) | instid1(SALU_CYCLE_1)
	s_cmp_lg_u32 s44, 0
	s_add_nc_u64 s[44:45], s[34:35], 1
	s_sub_co_ci_u32 s33, s33, 0
	s_cmp_ge_u32 s33, s25
	s_cselect_b32 s46, -1, 0
	s_wait_alu 0xfffe
	s_cmp_ge_u32 s40, s24
	s_cselect_b32 s40, -1, 0
	s_cmp_eq_u32 s33, s25
	s_wait_alu 0xfffe
	s_cselect_b32 s33, s40, s46
	s_add_nc_u64 s[46:47], s[34:35], 2
	s_cmp_lg_u32 s33, 0
	s_cselect_b32 s33, s46, s44
	s_cselect_b32 s40, s47, s45
	s_cmp_lg_u32 s30, 0
	s_sub_co_ci_u32 s30, s31, s41
	s_delay_alu instid0(SALU_CYCLE_1)
	s_cmp_ge_u32 s30, s25
	s_cselect_b32 s31, -1, 0
	s_cmp_ge_u32 s15, s24
	s_cselect_b32 s15, -1, 0
	s_cmp_eq_u32 s30, s25
	s_wait_alu 0xfffe
	s_cselect_b32 s15, s15, s31
	s_wait_alu 0xfffe
	s_cmp_lg_u32 s15, 0
	s_mov_b32 s15, 0
	s_cselect_b32 s25, s40, s35
	s_cselect_b32 s24, s33, s34
	s_xor_b64 s[22:23], s[28:29], s[22:23]
	s_delay_alu instid0(SALU_CYCLE_1) | instskip(NEXT) | instid1(SALU_CYCLE_1)
	s_xor_b64 s[24:25], s[24:25], s[22:23]
	s_sub_nc_u64 s[28:29], s[24:25], s[22:23]
.LBB23_13:                              ;   in Loop: Header=BB23_11 Depth=1
	s_wait_alu 0xfffe
	s_and_not1_b32 vcc_lo, exec_lo, s15
	s_cbranch_vccnz .LBB23_15
; %bb.14:                               ;   in Loop: Header=BB23_11 Depth=1
	v_cvt_f32_u32_e32 v1, s20
	s_sub_co_i32 s22, 0, s20
	s_mov_b32 s29, s14
	s_delay_alu instid0(VALU_DEP_1) | instskip(NEXT) | instid1(TRANS32_DEP_1)
	v_rcp_iflag_f32_e32 v1, v1
	v_mul_f32_e32 v1, 0x4f7ffffe, v1
	s_delay_alu instid0(VALU_DEP_1) | instskip(NEXT) | instid1(VALU_DEP_1)
	v_cvt_u32_f32_e32 v1, v1
	v_readfirstlane_b32 s15, v1
	s_mul_i32 s22, s22, s15
	s_delay_alu instid0(SALU_CYCLE_1) | instskip(NEXT) | instid1(SALU_CYCLE_1)
	s_mul_hi_u32 s22, s15, s22
	s_add_co_i32 s15, s15, s22
	s_wait_alu 0xfffe
	s_mul_hi_u32 s15, s18, s15
	s_wait_alu 0xfffe
	s_mul_i32 s22, s15, s20
	s_add_co_i32 s23, s15, 1
	s_sub_co_i32 s22, s18, s22
	s_delay_alu instid0(SALU_CYCLE_1)
	s_sub_co_i32 s24, s22, s20
	s_cmp_ge_u32 s22, s20
	s_cselect_b32 s15, s23, s15
	s_cselect_b32 s22, s24, s22
	s_wait_alu 0xfffe
	s_add_co_i32 s23, s15, 1
	s_cmp_ge_u32 s22, s20
	s_cselect_b32 s28, s23, s15
.LBB23_15:                              ;   in Loop: Header=BB23_11 Depth=1
	s_load_b64 s[22:23], s[16:17], 0xc8
	s_mul_u64 s[20:21], s[28:29], s[20:21]
	s_add_co_i32 s7, s7, -1
	s_wait_alu 0xfffe
	s_sub_nc_u64 s[18:19], s[18:19], s[20:21]
	s_cmp_gt_u32 s7, 2
	s_add_nc_u64 s[16:17], s[16:17], -8
	s_wait_kmcnt 0x0
	s_mul_u64 s[18:19], s[22:23], s[18:19]
	s_delay_alu instid0(SALU_CYCLE_1)
	s_add_nc_u64 s[26:27], s[18:19], s[26:27]
	s_cbranch_scc0 .LBB23_17
; %bb.16:                               ;   in Loop: Header=BB23_11 Depth=1
	s_mov_b64 s[18:19], s[28:29]
	s_branch .LBB23_11
.LBB23_17:
	s_clause 0x1
	s_load_b64 s[14:15], s[0:1], 0xd0
	s_load_b32 s7, s[0:1], 0x4f8
	s_mov_b64 s[30:31], 0
	s_wait_kmcnt 0x0
	s_cmp_lt_i32 s7, 2
	s_cbranch_scc1 .LBB23_25
; %bb.18:
	s_mov_b32 s16, 0
	s_add_co_i32 s18, s7, -1
	s_wait_alu 0xfffe
	s_mov_b32 s19, s16
	s_add_nc_u64 s[20:21], s[0:1], 0x360
	s_lshl_b64 s[18:19], s[18:19], 3
	s_add_co_i32 s7, s7, 1
	s_wait_alu 0xfffe
	s_add_nc_u64 s[18:19], s[20:21], s[18:19]
	s_delay_alu instid0(SALU_CYCLE_1)
	s_add_nc_u64 s[18:19], s[18:19], 8
.LBB23_19:                              ; =>This Inner Loop Header: Depth=1
	s_load_b64 s[20:21], s[18:19], 0x0
                                        ; implicit-def: $sgpr34_sgpr35
	s_wait_kmcnt 0x0
	s_or_b64 s[22:23], s[2:3], s[20:21]
	s_delay_alu instid0(SALU_CYCLE_1)
	s_mov_b32 s17, s23
	s_wait_alu 0xfffe
	s_cmp_lg_u64 s[16:17], 0
	s_mov_b32 s17, -1
	s_cbranch_scc0 .LBB23_21
; %bb.20:                               ;   in Loop: Header=BB23_19 Depth=1
	s_ashr_i32 s22, s21, 31
	s_mov_b32 s45, s16
	s_mov_b32 s23, s22
	;; [unrolled: 1-line block ×3, first 2 shown]
	s_add_nc_u64 s[24:25], s[20:21], s[22:23]
	s_delay_alu instid0(SALU_CYCLE_1) | instskip(NEXT) | instid1(SALU_CYCLE_1)
	s_xor_b64 s[24:25], s[24:25], s[22:23]
	s_cvt_f32_u32 s17, s24
	s_cvt_f32_u32 s33, s25
	s_sub_nc_u64 s[40:41], 0, s[24:25]
	s_wait_alu 0xfffe
	s_delay_alu instid0(SALU_CYCLE_1) | instskip(SKIP_1) | instid1(SALU_CYCLE_2)
	s_fmamk_f32 s17, s33, 0x4f800000, s17
	s_wait_alu 0xfffe
	v_s_rcp_f32 s17, s17
	s_delay_alu instid0(TRANS32_DEP_1) | instskip(SKIP_1) | instid1(SALU_CYCLE_2)
	s_mul_f32 s17, s17, 0x5f7ffffc
	s_wait_alu 0xfffe
	s_mul_f32 s33, s17, 0x2f800000
	s_delay_alu instid0(SALU_CYCLE_3) | instskip(NEXT) | instid1(SALU_CYCLE_3)
	s_trunc_f32 s33, s33
	s_fmamk_f32 s17, s33, 0xcf800000, s17
	s_cvt_u32_f32 s35, s33
	s_wait_alu 0xfffe
	s_delay_alu instid0(SALU_CYCLE_1) | instskip(NEXT) | instid1(SALU_CYCLE_3)
	s_cvt_u32_f32 s34, s17
	s_mul_u64 s[46:47], s[40:41], s[34:35]
	s_delay_alu instid0(SALU_CYCLE_1)
	s_mul_hi_u32 s51, s34, s47
	s_mul_i32 s50, s34, s47
	s_mul_hi_u32 s44, s34, s46
	s_mul_i32 s33, s35, s46
	s_add_nc_u64 s[44:45], s[44:45], s[50:51]
	s_mul_hi_u32 s17, s35, s46
	s_mul_hi_u32 s52, s35, s47
	s_add_co_u32 s33, s44, s33
	s_wait_alu 0xfffe
	s_add_co_ci_u32 s48, s45, s17
	s_mul_i32 s46, s35, s47
	s_add_co_ci_u32 s47, s52, 0
	s_delay_alu instid0(SALU_CYCLE_1)
	s_add_nc_u64 s[44:45], s[48:49], s[46:47]
	s_mov_b32 s47, s16
	s_add_co_u32 s34, s34, s44
	s_cselect_b32 s17, -1, 0
	s_wait_alu 0xfffe
	s_cmp_lg_u32 s17, 0
	s_add_co_ci_u32 s35, s35, s45
	s_mov_b32 s45, s16
	s_mul_u64 s[40:41], s[40:41], s[34:35]
	s_wait_alu 0xfffe
	s_mul_hi_u32 s49, s34, s41
	s_mul_i32 s48, s34, s41
	s_mul_hi_u32 s44, s34, s40
	s_mul_i32 s33, s35, s40
	s_add_nc_u64 s[44:45], s[44:45], s[48:49]
	s_mul_hi_u32 s17, s35, s40
	s_mul_hi_u32 s50, s35, s41
	s_add_co_u32 s33, s44, s33
	s_wait_alu 0xfffe
	s_add_co_ci_u32 s46, s45, s17
	s_mul_i32 s40, s35, s41
	s_add_co_ci_u32 s41, s50, 0
	s_mov_b32 s45, s16
	s_wait_alu 0xfffe
	s_add_nc_u64 s[40:41], s[46:47], s[40:41]
	s_wait_alu 0xfffe
	s_add_co_u32 s17, s34, s40
	s_cselect_b32 s33, -1, 0
	s_delay_alu instid0(SALU_CYCLE_1) | instskip(SKIP_2) | instid1(SALU_CYCLE_1)
	s_cmp_lg_u32 s33, 0
	s_add_co_ci_u32 s33, s35, s41
	s_ashr_i32 s34, s3, 31
	s_mov_b32 s35, s34
	s_delay_alu instid0(SALU_CYCLE_1)
	s_add_nc_u64 s[40:41], s[2:3], s[34:35]
	s_wait_alu 0xfffe
	s_xor_b64 s[40:41], s[40:41], s[34:35]
	s_wait_alu 0xfffe
	s_mul_hi_u32 s49, s40, s33
	s_mul_i32 s48, s40, s33
	s_mul_hi_u32 s44, s40, s17
	s_mul_hi_u32 s46, s41, s17
	s_mul_i32 s17, s41, s17
	s_add_nc_u64 s[44:45], s[44:45], s[48:49]
	s_mul_hi_u32 s50, s41, s33
	s_wait_alu 0xfffe
	s_add_co_u32 s17, s44, s17
	s_add_co_ci_u32 s46, s45, s46
	s_mul_i32 s48, s41, s33
	s_add_co_ci_u32 s49, s50, 0
	s_delay_alu instid0(SALU_CYCLE_1) | instskip(NEXT) | instid1(SALU_CYCLE_1)
	s_add_nc_u64 s[44:45], s[46:47], s[48:49]
	s_mul_u64 s[46:47], s[24:25], s[44:45]
	s_delay_alu instid0(SALU_CYCLE_1)
	s_sub_co_u32 s17, s40, s46
	s_cselect_b32 s33, -1, 0
	s_sub_co_i32 s40, s41, s47
	s_cmp_lg_u32 s33, 0
	s_wait_alu 0xfffe
	s_sub_co_ci_u32 s40, s40, s25
	s_sub_co_u32 s46, s17, s24
	s_cselect_b32 s48, -1, 0
	s_delay_alu instid0(SALU_CYCLE_1)
	s_cmp_lg_u32 s48, 0
	s_add_nc_u64 s[48:49], s[44:45], 1
	s_wait_alu 0xfffe
	s_sub_co_ci_u32 s40, s40, 0
	s_wait_alu 0xfffe
	s_cmp_ge_u32 s40, s25
	s_cselect_b32 s50, -1, 0
	s_cmp_ge_u32 s46, s24
	s_cselect_b32 s46, -1, 0
	s_cmp_eq_u32 s40, s25
	s_cselect_b32 s40, s46, s50
	s_add_nc_u64 s[50:51], s[44:45], 2
	s_wait_alu 0xfffe
	s_cmp_lg_u32 s40, 0
	s_cselect_b32 s40, s50, s48
	s_cselect_b32 s46, s51, s49
	s_cmp_lg_u32 s33, 0
	s_sub_co_ci_u32 s33, s41, s47
	s_delay_alu instid0(SALU_CYCLE_1)
	s_cmp_ge_u32 s33, s25
	s_cselect_b32 s41, -1, 0
	s_cmp_ge_u32 s17, s24
	s_cselect_b32 s17, -1, 0
	s_cmp_eq_u32 s33, s25
	s_wait_alu 0xfffe
	s_cselect_b32 s17, s17, s41
	s_wait_alu 0xfffe
	s_cmp_lg_u32 s17, 0
	s_mov_b32 s17, 0
	s_cselect_b32 s25, s46, s45
	s_cselect_b32 s24, s40, s44
	s_xor_b64 s[22:23], s[34:35], s[22:23]
	s_delay_alu instid0(SALU_CYCLE_1) | instskip(NEXT) | instid1(SALU_CYCLE_1)
	s_xor_b64 s[24:25], s[24:25], s[22:23]
	s_sub_nc_u64 s[34:35], s[24:25], s[22:23]
.LBB23_21:                              ;   in Loop: Header=BB23_19 Depth=1
	s_wait_alu 0xfffe
	s_and_not1_b32 vcc_lo, exec_lo, s17
	s_cbranch_vccnz .LBB23_23
; %bb.22:                               ;   in Loop: Header=BB23_19 Depth=1
	v_cvt_f32_u32_e32 v1, s20
	s_sub_co_i32 s22, 0, s20
	s_mov_b32 s35, s16
	s_delay_alu instid0(VALU_DEP_1) | instskip(NEXT) | instid1(TRANS32_DEP_1)
	v_rcp_iflag_f32_e32 v1, v1
	v_mul_f32_e32 v1, 0x4f7ffffe, v1
	s_delay_alu instid0(VALU_DEP_1) | instskip(NEXT) | instid1(VALU_DEP_1)
	v_cvt_u32_f32_e32 v1, v1
	v_readfirstlane_b32 s17, v1
	s_mul_i32 s22, s22, s17
	s_delay_alu instid0(SALU_CYCLE_1) | instskip(NEXT) | instid1(SALU_CYCLE_1)
	s_mul_hi_u32 s22, s17, s22
	s_add_co_i32 s17, s17, s22
	s_wait_alu 0xfffe
	s_mul_hi_u32 s17, s2, s17
	s_wait_alu 0xfffe
	s_mul_i32 s22, s17, s20
	s_add_co_i32 s23, s17, 1
	s_sub_co_i32 s22, s2, s22
	s_delay_alu instid0(SALU_CYCLE_1)
	s_sub_co_i32 s24, s22, s20
	s_cmp_ge_u32 s22, s20
	s_cselect_b32 s17, s23, s17
	s_cselect_b32 s22, s24, s22
	s_wait_alu 0xfffe
	s_add_co_i32 s23, s17, 1
	s_cmp_ge_u32 s22, s20
	s_cselect_b32 s34, s23, s17
.LBB23_23:                              ;   in Loop: Header=BB23_19 Depth=1
	s_load_b64 s[22:23], s[18:19], 0xc8
	s_mul_u64 s[20:21], s[34:35], s[20:21]
	s_add_co_i32 s7, s7, -1
	s_wait_alu 0xfffe
	s_sub_nc_u64 s[2:3], s[2:3], s[20:21]
	s_cmp_gt_u32 s7, 2
	s_add_nc_u64 s[18:19], s[18:19], -8
	s_wait_kmcnt 0x0
	s_wait_alu 0xfffe
	s_mul_u64 s[2:3], s[22:23], s[2:3]
	s_wait_alu 0xfffe
	s_add_nc_u64 s[30:31], s[2:3], s[30:31]
	s_cbranch_scc0 .LBB23_26
; %bb.24:                               ;   in Loop: Header=BB23_19 Depth=1
	s_mov_b64 s[2:3], s[34:35]
	s_branch .LBB23_19
.LBB23_25:
	s_mov_b64 s[34:35], s[2:3]
.LBB23_26:
	s_clause 0x1
	s_load_b64 s[40:41], s[12:13], 0xd0
	s_load_b64 s[12:13], s[0:1], 0x0
	v_cmp_eq_u32_e64 s2, 0, v0
	s_mov_b32 s25, 0
	s_and_saveexec_b32 s3, s2
	s_cbranch_execz .LBB23_28
; %bb.27:
	v_dual_mov_b32 v1, 0 :: v_dual_mov_b32 v4, s37
	s_delay_alu instid0(VALU_DEP_1)
	v_dual_mov_b32 v3, s36 :: v_dual_mov_b32 v2, v1
	ds_store_b32 v1, v1 offset:5136
	ds_store_b128 v1, v[1:4] offset:5120
.LBB23_28:
	s_wait_alu 0xfffe
	s_or_b32 exec_lo, exec_lo, s3
	v_mad_co_u64_u32 v[2:3], null, s42, v0, 0
	s_lshl_b64 s[54:55], s[4:5], 2
	s_clause 0x2
	s_load_b64 s[48:49], s[0:1], 0x430
	s_load_b64 s[44:45], s[0:1], 0x1c0
	;; [unrolled: 1-line block ×3, first 2 shown]
	s_wait_dscnt 0x0
	s_barrier_signal -1
	s_barrier_wait -1
	global_inv scope:SCOPE_SE
	v_dual_mov_b32 v1, v3 :: v_dual_lshlrev_b32 v14, 2, v0
	v_mov_b32_e32 v13, 0
	s_load_b32 s5, s[8:9], 0xc
	s_mul_u64 s[10:11], s[14:15], s[10:11]
	s_delay_alu instid0(VALU_DEP_2) | instskip(NEXT) | instid1(VALU_DEP_2)
	v_mad_co_u64_u32 v[3:4], null, s43, v0, v[1:2]
	v_dual_mov_b32 v1, v13 :: v_dual_add_nc_u32 v42, 0xc00, v14
	v_lshlrev_b32_e32 v44, 4, v0
	s_lshl_b64 s[10:11], s[10:11], 2
	v_mbcnt_lo_u32_b32 v41, -1, 0
	s_wait_kmcnt 0x0
	s_add_nc_u64 s[14:15], s[12:13], s[10:11]
	v_cmp_gt_u32_e32 vcc_lo, 32, v0
	v_or_b32_e32 v9, 12, v44
	v_or_b32_e32 v11, 8, v44
	v_or_b32_e32 v12, 4, v44
	v_lshlrev_b64_e64 v[6:7], v41, -1
	v_cmp_gt_i32_e64 s0, 4, v41
	s_wait_alu 0xfffe
	v_mad_co_u64_u32 v[18:19], null, s42, v9, s[14:15]
	v_mad_co_u64_u32 v[20:21], null, s42, v11, s[14:15]
	;; [unrolled: 1-line block ×3, first 2 shown]
	v_mov_b32_e32 v15, v13
	v_not_b32_e32 v43, v6
	v_mov_b32_e32 v6, v19
	s_and_b32 s50, s5, 0xffff
	v_mov_b32_e32 v7, v21
	s_and_b32 s33, vcc_lo, s0
	s_bfe_u32 s5, s5, 0xb0005
	s_cmp_gt_u32 s50, 31
	v_mov_b32_e32 v8, v23
	s_cselect_b32 s85, -1, 0
	s_cmp_lt_u32 ttmp9, s6
	v_mad_co_u64_u32 v[9:10], null, s43, v9, v[6:7]
	s_cselect_b32 s24, 12, 18
	s_add_co_i32 s6, s5, -1
	v_lshlrev_b64_e32 v[4:5], 2, v[2:3]
	s_and_b32 s6, s6, 0xffff
	s_bfe_u32 s86, s50, 0x30005
	s_movk_i32 s7, 0x3e0
	s_cmp_gt_u32 s6, 6
	v_lshlrev_b64_e32 v[2:3], 4, v[2:3]
	v_mad_co_u64_u32 v[6:7], null, s43, v11, v[7:8]
	s_add_nc_u64 s[56:57], s[14:15], s[54:55]
	v_and_or_b32 v45, v0, s7, 0xc00
	s_cselect_b32 s87, -1, 0
	s_and_b32 s88, s5, 0x7f8
	s_add_nc_u64 s[6:7], s[10:11], s[54:55]
	v_mad_co_u64_u32 v[7:8], null, s43, v12, v[8:9]
	s_cmp_lg_u32 s86, 0
	v_add_co_u32 v16, vcc_lo, s56, v4
	s_wait_alu 0xfffe
	s_add_nc_u64 s[62:63], s[12:13], s[6:7]
	s_add_nc_u64 s[6:7], s[12:13], s[54:55]
	s_cselect_b32 s89, -1, 0
	s_lshl_b64 s[64:65], s[42:43], 2
	s_lshl_b64 s[66:67], s[42:43], 4
	v_add_co_ci_u32_e64 v17, null, s57, v5, vcc_lo
	v_add_co_u32 v24, vcc_lo, s14, v2
	s_wait_alu 0xfffe
	s_add_nc_u64 s[6:7], s[6:7], s[10:11]
	v_mul_lo_u32 v50, 0, s64
	v_mul_lo_u32 v51, 0, s66
	s_wait_alu 0xfffd
	v_add_co_ci_u32_e64 v25, null, s15, v3, vcc_lo
	v_add_co_u32 v46, s5, s36, v0
	s_wait_alu 0xfffe
	v_add_co_u32 v10, vcc_lo, s6, v4
	v_cmp_lt_i64_e64 s84, 0x300, s[36:37]
	v_cmp_gt_u64_e64 s4, s[36:37], v[0:1]
	v_cmp_gt_i64_e64 s0, s[36:37], v[0:1]
	s_mov_b32 s51, s25
	v_dual_mov_b32 v29, s38 :: v_dual_mov_b32 v48, 0
	v_cmp_eq_u32_e64 s1, 0, v41
	v_cmp_gt_u32_e64 s3, 2, v0
	v_dual_mov_b32 v19, v9 :: v_dual_mov_b32 v30, s39
	v_dual_mov_b32 v21, v6 :: v_dual_mov_b32 v26, 1
	v_dual_mov_b32 v23, v7 :: v_dual_mov_b32 v28, 0
	v_add_co_ci_u32_e64 v47, null, s37, 0, s5
	v_lshl_or_b32 v49, v41, 3, 0xc00
	s_wait_alu 0xfffd
	v_add_co_ci_u32_e64 v11, null, s7, v5, vcc_lo
	v_mov_b32_e32 v52, 0
	s_add_nc_u64 s[58:59], s[50:51], -1
	s_mul_u64 s[10:11], s[42:43], s[50:51]
	s_add_nc_u64 s[60:61], s[58:59], s[36:37]
	s_lshl_b64 s[52:53], s[10:11], 2
	s_lshl_b32 s90, s50, 2
	s_mov_b32 s91, 30
	s_add_nc_u64 s[38:39], s[8:9], s[24:25]
	s_mov_b32 s92, 0
	s_mov_b32 s93, 0
                                        ; implicit-def: $sgpr97
                                        ; implicit-def: $sgpr99
                                        ; implicit-def: $sgpr94
                                        ; implicit-def: $sgpr96
                                        ; implicit-def: $sgpr98
                                        ; implicit-def: $sgpr95
	s_branch .LBB23_32
.LBB23_29:                              ;   in Loop: Header=BB23_32 Depth=1
	s_wait_alu 0xfffe
	s_or_b32 exec_lo, exec_lo, s8
	s_delay_alu instid0(SALU_CYCLE_1)
	s_and_b32 s6, s6, exec_lo
	s_and_not1_b32 s22, s22, exec_lo
	s_and_not1_b32 s21, s21, exec_lo
	s_or_not1_b32 s18, s7, exec_lo
.LBB23_30:                              ;   in Loop: Header=BB23_32 Depth=1
	s_wait_alu 0xfffe
	s_or_b32 exec_lo, exec_lo, s5
	s_delay_alu instid0(SALU_CYCLE_1)
	s_and_not1_b32 s5, s95, exec_lo
	s_and_b32 s6, s6, exec_lo
	s_and_not1_b32 s7, s96, exec_lo
	s_wait_alu 0xfffe
	s_or_b32 s95, s5, s6
	s_and_not1_b32 s5, s98, exec_lo
	s_and_b32 s6, s22, exec_lo
	s_and_b32 s8, s21, exec_lo
	s_wait_alu 0xfffe
	s_or_b32 s98, s5, s6
	s_or_b32 s96, s7, s8
	s_or_not1_b32 s18, s18, exec_lo
.LBB23_31:                              ;   in Loop: Header=BB23_32 Depth=1
	s_wait_alu 0xfffe
	s_or_b32 exec_lo, exec_lo, s17
	s_delay_alu instid0(SALU_CYCLE_1)
	s_and_b32 s5, exec_lo, s18
	v_dual_mov_b32 v30, v7 :: v_dual_mov_b32 v29, v6
	s_wait_alu 0xfffe
	s_or_b32 s92, s5, s92
	s_and_not1_b32 s5, s94, exec_lo
	s_and_b32 s6, s95, exec_lo
	s_and_not1_b32 s7, s99, exec_lo
	s_wait_alu 0xfffe
	s_or_b32 s94, s5, s6
	s_and_b32 s5, s98, exec_lo
	s_and_not1_b32 s6, s97, exec_lo
	s_and_b32 s8, s96, exec_lo
	s_wait_alu 0xfffe
	s_or_b32 s99, s7, s5
	s_or_b32 s97, s6, s8
	s_and_not1_b32 exec_lo, exec_lo, s92
	s_cbranch_execz .LBB23_289
.LBB23_32:                              ; =>This Loop Header: Depth=1
                                        ;     Child Loop BB23_38 Depth 2
                                        ;     Child Loop BB23_51 Depth 2
	;; [unrolled: 1-line block ×16, first 2 shown]
	ds_load_b128 v[2:5], v13 offset:5120
	s_wait_dscnt 0x0
	v_readfirstlane_b32 s69, v3
	v_readfirstlane_b32 s68, v2
	s_wait_alu 0xf1ff
	s_delay_alu instid0(VALU_DEP_1)
	v_cmp_gt_i64_e64 s5, s[68:69], 0
	s_and_b32 vcc_lo, exec_lo, s5
	s_wait_alu 0xfffe
	s_cbranch_vccnz .LBB23_59
; %bb.33:                               ;   in Loop: Header=BB23_32 Depth=1
	s_and_b32 vcc_lo, exec_lo, s84
	s_wait_alu 0xfffe
	s_cbranch_vccz .LBB23_46
; %bb.34:                               ;   in Loop: Header=BB23_32 Depth=1
	v_cmp_gt_i64_e32 vcc_lo, 0x301, v[4:5]
	s_mov_b32 s7, 0
	s_mov_b32 s5, 0
	s_cbranch_vccz .LBB23_47
; %bb.35:                               ;   in Loop: Header=BB23_32 Depth=1
	s_and_saveexec_b32 s8, s4
	s_cbranch_execz .LBB23_93
; %bb.36:                               ;   in Loop: Header=BB23_32 Depth=1
	global_load_u16 v2, v13, s[38:39]
	global_load_b32 v7, v[16:17], off
	s_mov_b32 s9, 0
	s_wait_loadcnt 0x1
	v_and_b32_e32 v6, 0xffff, v2
	s_delay_alu instid0(VALU_DEP_1) | instskip(SKIP_2) | instid1(VALU_DEP_3)
	v_add_nc_u32_e32 v4, v0, v6
	v_mul_lo_u32 v5, v6, s65
	v_mul_hi_u32 v9, v6, s64
	v_mad_co_u64_u32 v[2:3], null, s64, v4, s[62:63]
	s_delay_alu instid0(VALU_DEP_1) | instskip(NEXT) | instid1(VALU_DEP_4)
	v_mad_co_u64_u32 v[3:4], null, s65, v4, v[3:4]
	v_add_nc_u32_e32 v4, v5, v50
	s_delay_alu instid0(VALU_DEP_1)
	v_add_nc_u32_e32 v9, v4, v9
	v_mov_b32_e32 v5, v1
	v_mul_lo_u32 v8, v6, s64
	v_mov_b32_e32 v4, v0
	s_branch .LBB23_38
.LBB23_37:                              ;   in Loop: Header=BB23_38 Depth=2
	s_wait_alu 0xfffe
	s_or_b32 exec_lo, exec_lo, s6
	v_add_co_u32 v2, vcc_lo, v2, v8
	s_wait_alu 0xfffd
	v_add_co_ci_u32_e64 v3, null, v3, v9, vcc_lo
	v_mov_b32_e32 v7, v12
	s_and_not1_b32 exec_lo, exec_lo, s9
	s_cbranch_execz .LBB23_93
.LBB23_38:                              ;   Parent Loop BB23_32 Depth=1
                                        ; =>  This Inner Loop Header: Depth=2
	s_delay_alu instid0(VALU_DEP_1)
	v_add_co_u32 v4, vcc_lo, v4, v6
	s_wait_alu 0xfffd
	v_add_co_ci_u32_e64 v5, null, 0, v5, vcc_lo
	s_wait_dscnt 0x0
	v_dual_mov_b32 v27, 0 :: v_dual_mov_b32 v12, 0
	s_mov_b32 s6, exec_lo
	s_delay_alu instid0(VALU_DEP_2)
	v_cmp_le_i64_e32 vcc_lo, s[36:37], v[4:5]
	v_cmpx_gt_i64_e64 s[36:37], v[4:5]
	s_cbranch_execz .LBB23_40
; %bb.39:                               ;   in Loop: Header=BB23_38 Depth=2
	global_load_b32 v12, v[2:3], off
.LBB23_40:                              ;   in Loop: Header=BB23_38 Depth=2
	s_wait_alu 0xfffe
	s_or_b32 exec_lo, exec_lo, s6
	s_wait_loadcnt 0x0
	v_xor_b32_e32 v31, 0x80000000, v7
	s_delay_alu instid0(VALU_DEP_1) | instskip(NEXT) | instid1(VALU_DEP_1)
	v_and_b32_e32 v31, v31, v52
	v_cmp_eq_u32_e64 s5, v31, v48
	s_cmp_lg_u32 s5, 0
	s_cselect_b32 s6, -1, 0
	s_wait_alu 0xfffe
	s_and_b32 s6, s1, s6
	s_wait_alu 0xfffe
	s_and_saveexec_b32 s10, s6
	s_cbranch_execz .LBB23_44
; %bb.41:                               ;   in Loop: Header=BB23_38 Depth=2
	s_mov_b32 s13, exec_lo
	s_bcnt1_i32_b32 s11, s5
	s_wait_alu 0xfffe
	v_mbcnt_lo_u32_b32 v27, s13, 0
	s_mov_b32 s12, exec_lo
                                        ; implicit-def: $vgpr31
	s_delay_alu instid0(VALU_DEP_1)
	v_cmpx_eq_u32_e32 0, v27
; %bb.42:                               ;   in Loop: Header=BB23_38 Depth=2
	s_bcnt1_i32_b32 s6, s13
	s_wait_alu 0xfffe
	s_mul_i32 s6, s11, s6
	s_wait_alu 0xfffe
	v_mov_b32_e32 v31, s6
	ds_add_rtn_u32 v31, v13, v31 offset:5136
; %bb.43:                               ;   in Loop: Header=BB23_38 Depth=2
	s_or_b32 exec_lo, exec_lo, s12
	s_wait_dscnt 0x0
	v_readfirstlane_b32 s6, v31
	s_wait_alu 0xf1ff
	s_delay_alu instid0(VALU_DEP_1)
	v_mad_u32_u24 v27, s11, v27, s6
.LBB23_44:                              ;   in Loop: Header=BB23_38 Depth=2
	s_wait_alu 0xfffe
	s_or_b32 exec_lo, exec_lo, s10
	ds_bpermute_b32 v27, v13, v27
	s_and_b32 s6, exec_lo, vcc_lo
	s_wait_alu 0xfffe
	s_or_b32 s9, s6, s9
	s_and_saveexec_b32 s6, s5
	s_cbranch_execz .LBB23_37
; %bb.45:                               ;   in Loop: Header=BB23_38 Depth=2
	v_and_b32_e32 v31, s5, v43
	s_delay_alu instid0(VALU_DEP_1) | instskip(NEXT) | instid1(VALU_DEP_1)
	v_bcnt_u32_b32 v31, v31, 0
	v_lshlrev_b32_e32 v31, 2, v31
	s_wait_dscnt 0x0
	s_delay_alu instid0(VALU_DEP_1)
	v_lshl_add_u32 v27, v27, 2, v31
	ds_store_b32 v27, v7
	s_branch .LBB23_37
.LBB23_46:                              ;   in Loop: Header=BB23_32 Depth=1
	s_mov_b32 s7, -1
	s_mov_b32 s5, 0
.LBB23_47:                              ;   in Loop: Header=BB23_32 Depth=1
	s_wait_alu 0xfffe
	s_and_b32 vcc_lo, exec_lo, s7
	s_wait_alu 0xfffe
	s_cbranch_vccz .LBB23_57
.LBB23_48:                              ;   in Loop: Header=BB23_32 Depth=1
	s_and_saveexec_b32 s6, s0
	s_cbranch_execz .LBB23_54
; %bb.49:                               ;   in Loop: Header=BB23_32 Depth=1
	global_load_u16 v2, v13, s[38:39]
	global_load_b32 v8, v[16:17], off
	s_mov_b32 s7, exec_lo
	s_wait_loadcnt 0x1
	v_dual_mov_b32 v2, v0 :: v_dual_and_b32 v9, 0xffff, v2
	s_delay_alu instid0(VALU_DEP_1) | instskip(NEXT) | instid1(VALU_DEP_1)
	v_add_nc_u32_e32 v12, v9, v0
	v_cmpx_gt_i64_e64 s[36:37], v[12:13]
	s_cbranch_execz .LBB23_53
; %bb.50:                               ;   in Loop: Header=BB23_32 Depth=1
	v_mul_lo_u32 v5, v9, s65
	v_mad_co_u64_u32 v[2:3], null, s64, v12, s[62:63]
	v_mul_hi_u32 v6, v9, s64
	v_mul_lo_u32 v27, v9, s64
	s_mov_b32 s8, 0
	s_delay_alu instid0(VALU_DEP_4) | instskip(NEXT) | instid1(VALU_DEP_4)
	v_add_nc_u32_e32 v7, v5, v50
	v_mad_co_u64_u32 v[3:4], null, s65, v12, v[3:4]
	v_dual_mov_b32 v4, v12 :: v_dual_mov_b32 v5, v13
	s_delay_alu instid0(VALU_DEP_3)
	v_dual_mov_b32 v7, v1 :: v_dual_add_nc_u32 v12, v7, v6
	v_mov_b32_e32 v6, v0
.LBB23_51:                              ;   Parent Loop BB23_32 Depth=1
                                        ; =>  This Inner Loop Header: Depth=2
	global_load_b32 v31, v[2:3], off
	v_dual_mov_b32 v33, v5 :: v_dual_mov_b32 v32, v4
	v_lshlrev_b32_e32 v6, 2, v6
	s_delay_alu instid0(VALU_DEP_2) | instskip(SKIP_1) | instid1(VALU_DEP_3)
	v_add_co_u32 v4, vcc_lo, v32, v9
	s_wait_alu 0xfffd
	v_add_co_ci_u32_e64 v5, null, 0, v33, vcc_lo
	v_add_co_u32 v2, vcc_lo, v2, v27
	s_wait_alu 0xfffd
	v_add_co_ci_u32_e64 v3, null, v3, v12, vcc_lo
	s_delay_alu instid0(VALU_DEP_3)
	v_cmp_le_i64_e64 s5, s[36:37], v[4:5]
	s_wait_loadcnt 0x1
	ds_store_b32 v6, v8
	v_dual_mov_b32 v6, v32 :: v_dual_mov_b32 v7, v33
	s_wait_alu 0xfffe
	s_or_b32 s8, s5, s8
	s_wait_loadcnt 0x0
	v_mov_b32_e32 v8, v31
	s_wait_alu 0xfffe
	s_and_not1_b32 exec_lo, exec_lo, s8
	s_cbranch_execnz .LBB23_51
; %bb.52:                               ;   in Loop: Header=BB23_32 Depth=1
	s_or_b32 exec_lo, exec_lo, s8
	v_sub_nc_u32_e32 v2, v4, v9
	v_mov_b32_e32 v8, v31
.LBB23_53:                              ;   in Loop: Header=BB23_32 Depth=1
	s_wait_alu 0xfffe
	s_or_b32 exec_lo, exec_lo, s7
	s_delay_alu instid0(VALU_DEP_2)
	v_lshlrev_b32_e32 v2, 2, v2
	s_wait_loadcnt 0x0
	ds_store_b32 v2, v8
.LBB23_54:                              ;   in Loop: Header=BB23_32 Depth=1
	s_wait_alu 0xfffe
	s_or_b32 exec_lo, exec_lo, s6
	s_wait_loadcnt_dscnt 0x0
	s_barrier_signal -1
	s_barrier_wait -1
	global_inv scope:SCOPE_SE
	s_and_saveexec_b32 s5, s2
; %bb.55:                               ;   in Loop: Header=BB23_32 Depth=1
	v_dual_mov_b32 v2, s36 :: v_dual_mov_b32 v3, s37
	ds_store_b64 v13, v[2:3] offset:5120
; %bb.56:                               ;   in Loop: Header=BB23_32 Depth=1
	s_wait_alu 0xfffe
	s_or_b32 exec_lo, exec_lo, s5
	s_wait_loadcnt_dscnt 0x0
	s_barrier_signal -1
	s_mov_b32 s5, -1
	s_barrier_wait -1
.LBB23_57:                              ;   in Loop: Header=BB23_32 Depth=1
	s_wait_alu 0xfffe
	s_and_b32 vcc_lo, exec_lo, s5
	s_wait_alu 0xfffe
	s_cbranch_vccz .LBB23_59
; %bb.58:                               ;   in Loop: Header=BB23_32 Depth=1
	s_wait_loadcnt 0x0
	global_inv scope:SCOPE_SE
	ds_load_b64 v[2:3], v13 offset:5120
	s_wait_dscnt 0x0
	v_readfirstlane_b32 s68, v2
.LBB23_59:                              ;   in Loop: Header=BB23_32 Depth=1
	s_delay_alu instid0(VALU_DEP_1)
	s_cmp_lt_i32 s68, 1
	s_mov_b32 s5, -1
                                        ; implicit-def: $vgpr2_vgpr3
                                        ; implicit-def: $vgpr6_vgpr7
	s_cbranch_scc1 .LBB23_69
; %bb.60:                               ;   in Loop: Header=BB23_32 Depth=1
	s_wait_alu 0xfffe
	s_and_b32 vcc_lo, exec_lo, s5
	s_wait_alu 0xfffe
	s_cbranch_vccnz .LBB23_83
.LBB23_61:                              ;   in Loop: Header=BB23_32 Depth=1
	s_lshl_b32 s5, s93, 7
	s_and_saveexec_b32 s6, s1
	s_cbranch_execz .LBB23_63
.LBB23_62:                              ;   in Loop: Header=BB23_32 Depth=1
	s_wait_alu 0xfffe
	v_lshl_add_u32 v12, s5, 3, v45
	ds_store_b128 v12, v[2:5]
	ds_store_b128 v12, v[6:9] offset:16
.LBB23_63:                              ;   in Loop: Header=BB23_32 Depth=1
	s_wait_alu 0xfffe
	s_or_b32 exec_lo, exec_lo, s6
	s_wait_loadcnt_dscnt 0x0
	s_barrier_signal -1
	s_barrier_wait -1
	global_inv scope:SCOPE_SE
	s_and_saveexec_b32 s6, s33
	s_cbranch_execz .LBB23_100
; %bb.64:                               ;   in Loop: Header=BB23_32 Depth=1
	v_mov_b32_e32 v2, 0
	v_mov_b32_e32 v3, 0
	s_and_not1_b32 vcc_lo, exec_lo, s85
	s_wait_alu 0xfffe
	s_cbranch_vccnz .LBB23_99
; %bb.65:                               ;   in Loop: Header=BB23_32 Depth=1
	v_mov_b32_e32 v2, 0
	v_mov_b32_e32 v3, 0
	s_and_not1_b32 vcc_lo, exec_lo, s87
	s_wait_alu 0xfffe
	s_cbranch_vccnz .LBB23_96
; %bb.66:                               ;   in Loop: Header=BB23_32 Depth=1
	v_lshl_add_u32 v4, s93, 10, v49
	s_mov_b32 s7, 0
.LBB23_67:                              ;   Parent Loop BB23_32 Depth=1
                                        ; =>  This Inner Loop Header: Depth=2
	ds_load_2addr_b64 v[5:8], v4 offset1:4
	ds_load_2addr_b64 v[31:34], v4 offset0:8 offset1:12
	ds_load_2addr_b64 v[35:38], v4 offset0:16 offset1:20
	s_wait_alu 0xfffe
	s_add_co_i32 s7, s7, 8
	s_wait_alu 0xfffe
	s_cmp_eq_u32 s88, s7
	s_wait_dscnt 0x2
	v_add_co_u32 v2, vcc_lo, v5, v2
	s_wait_alu 0xfffd
	v_add_co_ci_u32_e64 v3, null, v6, v3, vcc_lo
	s_delay_alu instid0(VALU_DEP_2) | instskip(SKIP_1) | instid1(VALU_DEP_2)
	v_add_co_u32 v2, vcc_lo, v7, v2
	s_wait_alu 0xfffd
	v_add_co_ci_u32_e64 v3, null, v8, v3, vcc_lo
	ds_load_2addr_b64 v[5:8], v4 offset0:24 offset1:28
	s_wait_dscnt 0x2
	v_add_co_u32 v2, vcc_lo, v31, v2
	s_wait_alu 0xfffd
	v_add_co_ci_u32_e64 v3, null, v32, v3, vcc_lo
	v_add_nc_u32_e32 v4, 0x100, v4
	s_delay_alu instid0(VALU_DEP_3) | instskip(SKIP_1) | instid1(VALU_DEP_3)
	v_add_co_u32 v2, vcc_lo, v33, v2
	s_wait_alu 0xfffd
	v_add_co_ci_u32_e64 v3, null, v34, v3, vcc_lo
	s_wait_dscnt 0x1
	s_delay_alu instid0(VALU_DEP_2) | instskip(SKIP_1) | instid1(VALU_DEP_2)
	v_add_co_u32 v2, vcc_lo, v35, v2
	s_wait_alu 0xfffd
	v_add_co_ci_u32_e64 v3, null, v36, v3, vcc_lo
	s_delay_alu instid0(VALU_DEP_2) | instskip(SKIP_1) | instid1(VALU_DEP_2)
	v_add_co_u32 v2, vcc_lo, v37, v2
	s_wait_alu 0xfffd
	v_add_co_ci_u32_e64 v3, null, v38, v3, vcc_lo
	s_wait_dscnt 0x0
	s_delay_alu instid0(VALU_DEP_2) | instskip(SKIP_1) | instid1(VALU_DEP_2)
	v_add_co_u32 v2, vcc_lo, v5, v2
	s_wait_alu 0xfffd
	v_add_co_ci_u32_e64 v3, null, v6, v3, vcc_lo
	s_delay_alu instid0(VALU_DEP_2) | instskip(SKIP_1) | instid1(VALU_DEP_2)
	v_add_co_u32 v2, vcc_lo, v7, v2
	s_wait_alu 0xfffd
	v_add_co_ci_u32_e64 v3, null, v8, v3, vcc_lo
	s_cbranch_scc0 .LBB23_67
; %bb.68:                               ;   in Loop: Header=BB23_32 Depth=1
	s_mov_b32 s7, s88
	s_and_not1_b32 vcc_lo, exec_lo, s89
	s_wait_alu 0xfffe
	s_cbranch_vccz .LBB23_97
	s_branch .LBB23_99
.LBB23_69:                              ;   in Loop: Header=BB23_32 Depth=1
	global_load_u16 v12, v13, s[38:39]
	s_mov_b32 s6, s25
	s_mov_b32 s7, s37
	s_wait_loadcnt 0x0
	v_readfirstlane_b32 s5, v12
	s_wait_alu 0xfffe
	s_and_b32 s5, 0xffff, s5
	s_wait_alu 0xfffe
	s_lshl_b32 s70, s5, 2
	s_cmp_lg_u64 s[6:7], 0
	s_cbranch_scc0 .LBB23_92
; %bb.70:                               ;   in Loop: Header=BB23_32 Depth=1
	s_mov_b32 s71, s25
	s_wait_alu 0xfffe
	s_add_nc_u64 s[6:7], s[70:71], 0
	s_wait_alu 0xfffe
	s_xor_b64 s[6:7], s[6:7], 0
	s_wait_alu 0xfffe
	s_cvt_f32_u32 s5, s6
	s_cvt_f32_u32 s8, s7
	s_sub_nc_u64 s[10:11], 0, s[6:7]
	s_wait_alu 0xfffe
	s_delay_alu instid0(SALU_CYCLE_1) | instskip(SKIP_1) | instid1(SALU_CYCLE_2)
	s_fmamk_f32 s5, s8, 0x4f800000, s5
	s_wait_alu 0xfffe
	v_s_rcp_f32 s5, s5
	s_delay_alu instid0(TRANS32_DEP_1) | instskip(SKIP_1) | instid1(SALU_CYCLE_2)
	s_mul_f32 s5, s5, 0x5f7ffffc
	s_wait_alu 0xfffe
	s_mul_f32 s8, s5, 0x2f800000
	s_wait_alu 0xfffe
	s_delay_alu instid0(SALU_CYCLE_2) | instskip(SKIP_1) | instid1(SALU_CYCLE_2)
	s_trunc_f32 s8, s8
	s_wait_alu 0xfffe
	s_fmamk_f32 s5, s8, 0xcf800000, s5
	s_cvt_u32_f32 s9, s8
	s_wait_alu 0xfffe
	s_delay_alu instid0(SALU_CYCLE_1) | instskip(SKIP_1) | instid1(SALU_CYCLE_2)
	s_cvt_u32_f32 s8, s5
	s_wait_alu 0xfffe
	s_mul_u64 s[12:13], s[10:11], s[8:9]
	s_wait_alu 0xfffe
	s_mul_hi_u32 s15, s8, s13
	s_mul_i32 s14, s8, s13
	s_mul_hi_u32 s24, s8, s12
	s_mul_i32 s16, s9, s12
	s_wait_alu 0xfffe
	s_add_nc_u64 s[14:15], s[24:25], s[14:15]
	s_mul_hi_u32 s5, s9, s12
	s_mul_hi_u32 s17, s9, s13
	s_mul_i32 s12, s9, s13
	s_wait_alu 0xfffe
	s_add_co_u32 s13, s14, s16
	s_add_co_ci_u32 s24, s15, s5
	s_add_co_ci_u32 s13, s17, 0
	s_wait_alu 0xfffe
	s_add_nc_u64 s[12:13], s[24:25], s[12:13]
	s_wait_alu 0xfffe
	s_add_co_u32 s8, s8, s12
	s_cselect_b32 s5, -1, 0
	s_wait_alu 0xfffe
	s_cmp_lg_u32 s5, 0
	s_add_co_ci_u32 s9, s9, s13
	s_wait_alu 0xfffe
	s_mul_u64 s[10:11], s[10:11], s[8:9]
	s_wait_alu 0xfffe
	s_mul_hi_u32 s13, s8, s11
	s_mul_i32 s12, s8, s11
	s_mul_hi_u32 s24, s8, s10
	s_mul_i32 s14, s9, s10
	s_wait_alu 0xfffe
	s_add_nc_u64 s[12:13], s[24:25], s[12:13]
	s_mul_hi_u32 s5, s9, s10
	s_mul_hi_u32 s15, s9, s11
	s_mul_i32 s10, s9, s11
	s_wait_alu 0xfffe
	s_add_co_u32 s11, s12, s14
	s_add_co_ci_u32 s24, s13, s5
	s_add_co_ci_u32 s11, s15, 0
	s_wait_alu 0xfffe
	s_add_nc_u64 s[10:11], s[24:25], s[10:11]
	s_wait_alu 0xfffe
	s_add_co_u32 s5, s8, s10
	s_cselect_b32 s8, -1, 0
	s_wait_alu 0xfffe
	s_cmp_lg_u32 s8, 0
	s_add_co_ci_u32 s14, s9, s11
	s_ashr_i32 s8, s37, 31
	s_wait_alu 0xfffe
	s_mov_b32 s9, s8
	s_wait_alu 0xfffe
	s_add_nc_u64 s[10:11], s[36:37], s[8:9]
	s_wait_alu 0xfffe
	s_xor_b64 s[10:11], s[10:11], s[8:9]
	s_wait_alu 0xfffe
	s_mul_hi_u32 s13, s10, s14
	s_mul_i32 s12, s10, s14
	s_mul_hi_u32 s24, s10, s5
	s_mul_hi_u32 s16, s11, s5
	s_mul_i32 s5, s11, s5
	s_wait_alu 0xfffe
	s_add_nc_u64 s[12:13], s[24:25], s[12:13]
	s_mul_hi_u32 s15, s11, s14
	s_wait_alu 0xfffe
	s_add_co_u32 s5, s12, s5
	s_add_co_ci_u32 s24, s13, s16
	s_mul_i32 s14, s11, s14
	s_add_co_ci_u32 s15, s15, 0
	s_wait_alu 0xfffe
	s_add_nc_u64 s[12:13], s[24:25], s[14:15]
	s_wait_alu 0xfffe
	s_mul_u64 s[12:13], s[6:7], s[12:13]
	s_wait_alu 0xfffe
	s_sub_co_u32 s5, s10, s12
	s_cselect_b32 s10, -1, 0
	s_sub_co_i32 s12, s11, s13
	s_wait_alu 0xfffe
	s_cmp_lg_u32 s10, 0
	s_sub_co_ci_u32 s12, s12, s7
	s_sub_co_u32 s14, s5, s6
	s_cselect_b32 s15, -1, 0
	s_wait_alu 0xfffe
	s_cmp_lg_u32 s15, 0
	s_sub_co_ci_u32 s16, s12, 0
	s_wait_alu 0xfffe
	s_cmp_ge_u32 s16, s7
	s_cselect_b32 s17, -1, 0
	s_cmp_ge_u32 s14, s6
	s_cselect_b32 s18, -1, 0
	s_cmp_eq_u32 s16, s7
	s_wait_alu 0xfffe
	s_cselect_b32 s17, s18, s17
	s_cmp_lg_u32 s15, 0
	s_sub_co_ci_u32 s12, s12, s7
	s_sub_co_u32 s15, s14, s6
	s_cselect_b32 s18, -1, 0
	s_delay_alu instid0(SALU_CYCLE_1)
	s_cmp_lg_u32 s18, 0
	s_wait_alu 0xfffe
	s_sub_co_ci_u32 s12, s12, 0
	s_cmp_lg_u32 s17, 0
	s_cselect_b32 s14, s15, s14
	s_wait_alu 0xfffe
	s_cselect_b32 s12, s12, s16
	s_cmp_lg_u32 s10, 0
	s_sub_co_ci_u32 s10, s11, s13
	s_wait_alu 0xfffe
	s_cmp_ge_u32 s10, s7
	s_cselect_b32 s11, -1, 0
	s_cmp_ge_u32 s5, s6
	s_cselect_b32 s6, -1, 0
	s_cmp_eq_u32 s10, s7
	s_wait_alu 0xfffe
	s_cselect_b32 s6, s6, s11
	s_wait_alu 0xfffe
	s_cmp_lg_u32 s6, 0
	s_cselect_b32 s7, s12, s10
	s_cselect_b32 s6, s14, s5
	s_wait_alu 0xfffe
	s_xor_b64 s[6:7], s[6:7], s[8:9]
	s_wait_alu 0xfffe
	s_sub_nc_u64 s[72:73], s[6:7], s[8:9]
	s_cbranch_execnz .LBB23_72
.LBB23_71:                              ;   in Loop: Header=BB23_32 Depth=1
	s_wait_alu 0xfffe
	v_cvt_f32_u32_e32 v2, s70
	s_sub_co_i32 s6, 0, s70
	s_delay_alu instid0(VALU_DEP_1) | instskip(NEXT) | instid1(TRANS32_DEP_1)
	v_rcp_iflag_f32_e32 v2, v2
	v_mul_f32_e32 v2, 0x4f7ffffe, v2
	s_delay_alu instid0(VALU_DEP_1) | instskip(NEXT) | instid1(VALU_DEP_1)
	v_cvt_u32_f32_e32 v2, v2
	v_readfirstlane_b32 s5, v2
	s_wait_alu 0xfffe
	s_mul_i32 s6, s6, s5
	s_wait_alu 0xfffe
	s_mul_hi_u32 s6, s5, s6
	s_wait_alu 0xfffe
	s_add_co_i32 s5, s5, s6
	s_wait_alu 0xfffe
	s_mul_hi_u32 s5, s36, s5
	s_wait_alu 0xfffe
	s_mul_i32 s5, s5, s70
	s_wait_alu 0xfffe
	s_sub_co_i32 s5, s36, s5
	s_wait_alu 0xfffe
	s_sub_co_i32 s6, s5, s70
	s_cmp_ge_u32 s5, s70
	s_wait_alu 0xfffe
	s_cselect_b32 s5, s6, s5
	s_wait_alu 0xfffe
	s_sub_co_i32 s6, s5, s70
	s_cmp_ge_u32 s5, s70
	s_wait_alu 0xfffe
	s_cselect_b32 s24, s6, s5
	s_wait_alu 0xfffe
	s_mov_b64 s[72:73], s[24:25]
.LBB23_72:                              ;   in Loop: Header=BB23_32 Depth=1
	v_mov_b32_e32 v2, 0
	v_dual_mov_b32 v6, 0 :: v_dual_mov_b32 v3, 0
	v_dual_mov_b32 v4, 0 :: v_dual_mov_b32 v7, 0
	;; [unrolled: 1-line block ×3, first 2 shown]
	v_dual_mov_b32 v9, 0 :: v_dual_and_b32 v12, 0xffff, v12
	s_wait_alu 0xfffe
	s_sub_nc_u64 s[74:75], s[36:37], s[72:73]
	s_mov_b32 s69, exec_lo
	s_wait_alu 0xfffe
	v_cmpx_gt_i64_e64 s[74:75], v[14:15]
	s_cbranch_execz .LBB23_76
; %bb.73:                               ;   in Loop: Header=BB23_32 Depth=1
	v_mul_lo_u32 v2, v12, s67
	v_mul_hi_u32 v3, v12, s66
	v_mul_lo_u32 v27, v12, s66
	v_mov_b32_e32 v32, v25
	v_mov_b32_e32 v34, v23
	v_dual_mov_b32 v36, v21 :: v_dual_mov_b32 v33, v22
	v_dual_mov_b32 v35, v20 :: v_dual_add_nc_u32 v2, v2, v51
	v_dual_mov_b32 v31, v24 :: v_dual_mov_b32 v38, v19
	v_dual_mov_b32 v37, v18 :: v_dual_mov_b32 v40, v15
	v_mov_b32_e32 v39, v14
	s_delay_alu instid0(VALU_DEP_4)
	v_add_nc_u32_e32 v53, v2, v3
	s_mov_b64 s[76:77], 0
	s_mov_b32 s71, 0
	s_mov_b64 s[78:79], 0
	s_mov_b64 s[80:81], 0
	;; [unrolled: 1-line block ×3, first 2 shown]
.LBB23_74:                              ;   Parent Loop BB23_32 Depth=1
                                        ; =>  This Inner Loop Header: Depth=2
	v_add_co_u32 v2, vcc_lo, v31, s54
	s_wait_alu 0xfffd
	v_add_co_ci_u32_e64 v3, null, s55, v32, vcc_lo
	v_add_co_u32 v4, vcc_lo, v33, s54
	s_wait_alu 0xfffd
	v_add_co_ci_u32_e64 v5, null, s55, v34, vcc_lo
	;; [unrolled: 3-line block ×4, first 2 shown]
	global_load_b32 v2, v[2:3], off
	global_load_b32 v3, v[4:5], off
	;; [unrolled: 1-line block ×4, first 2 shown]
	v_add_co_u32 v39, vcc_lo, v39, s70
	s_wait_alu 0xfffd
	v_add_co_ci_u32_e64 v40, null, 0, v40, vcc_lo
	v_add_co_u32 v37, vcc_lo, v37, v27
	s_wait_alu 0xfffd
	v_add_co_ci_u32_e64 v38, null, v38, v53, vcc_lo
	;; [unrolled: 3-line block ×5, first 2 shown]
	v_cmp_le_i64_e32 vcc_lo, s[74:75], v[39:40]
	s_wait_loadcnt 0x3
	v_xor_b32_e32 v2, 0x80000000, v2
	s_wait_loadcnt 0x2
	v_xor_b32_e32 v3, 0x80000000, v3
	;; [unrolled: 2-line block ×4, first 2 shown]
	v_and_b32_e32 v6, v2, v52
	v_bfe_u32 v2, v2, s91, 2
	v_and_b32_e32 v7, v3, v52
	v_bfe_u32 v3, v3, s91, 2
	;; [unrolled: 2-line block ×3, first 2 shown]
	v_cmp_eq_u32_e64 s5, v6, v48
	v_cmp_eq_u32_e64 s9, 0, v2
	v_and_b32_e32 v9, v5, v52
	v_bfe_u32 v5, v5, s91, 2
	v_cmp_eq_u32_e64 s6, v7, v48
	v_cmp_eq_u32_e64 s10, 0, v3
	;; [unrolled: 1-line block ×4, first 2 shown]
	s_and_b32 s9, s5, s9
	v_cmp_eq_u32_e64 s8, v9, v48
	v_cmp_eq_u32_e64 s12, 0, v5
	;; [unrolled: 1-line block ×5, first 2 shown]
	s_wait_alu 0xfffe
	v_cndmask_b32_e64 v2, 0, 1, s9
	s_and_b32 s9, s6, s10
	v_cmp_eq_u32_e64 s14, 1, v3
	v_cmp_eq_u32_e64 s18, 2, v3
	v_cmp_eq_u32_e64 s22, 3, v3
	s_wait_alu 0xfffe
	v_cndmask_b32_e64 v3, 0, 1, s9
	s_and_b32 s9, s7, s11
	v_cmp_eq_u32_e64 s15, 1, v4
	v_cmp_eq_u32_e64 s19, 2, v4
	v_cmp_eq_u32_e64 s23, 3, v4
	;; [unrolled: 6-line block ×3, first 2 shown]
	s_wait_alu 0xfffe
	v_cndmask_b32_e64 v5, 0, 1, s9
	s_and_b32 s9, s5, s13
	s_wait_alu 0xfffe
	v_cndmask_b32_e64 v6, 0, 1, s9
	s_and_b32 s9, s6, s14
	;; [unrolled: 3-line block ×4, first 2 shown]
	v_cmp_ne_u32_e64 s10, 0, v7
	s_wait_alu 0xfffe
	v_cndmask_b32_e64 v9, 0, 1, s9
	s_and_b32 s9, s5, s17
	s_and_b32 s5, s5, s21
	s_wait_alu 0xfffe
	v_cndmask_b32_e64 v54, 0, 1, s9
	v_cndmask_b32_e64 v58, 0, 1, s5
	s_and_b32 s5, s6, s22
	s_and_b32 s9, s6, s18
	s_wait_alu 0xfffe
	v_cndmask_b32_e64 v59, 0, 1, s5
	s_and_b32 s5, s7, s23
	v_cndmask_b32_e64 v55, 0, 1, s9
	s_and_b32 s9, s7, s19
	s_wait_alu 0xfffe
	v_cndmask_b32_e64 v60, 0, 1, s5
	s_and_b32 s5, s8, s24
	v_cndmask_b32_e64 v56, 0, 1, s9
	s_and_b32 s9, s8, s20
	s_wait_alu 0xfffe
	v_cndmask_b32_e64 v61, 0, 1, s5
	v_cmp_ne_u32_e64 s5, 0, v2
	v_cmp_ne_u32_e64 s6, 0, v3
	v_cndmask_b32_e64 v57, 0, 1, s9
	v_cmp_ne_u32_e64 s7, 0, v4
	v_cmp_ne_u32_e64 s9, 0, v6
	;; [unrolled: 1-line block ×6, first 2 shown]
	s_bcnt1_i32_b32 s5, s5
	s_bcnt1_i32_b32 s6, s6
	v_cmp_ne_u32_e64 s12, 0, v9
	v_cmp_ne_u32_e64 s15, 0, v56
	;; [unrolled: 1-line block ×4, first 2 shown]
	s_bcnt1_i32_b32 s7, s7
	s_bcnt1_i32_b32 s9, s9
	;; [unrolled: 1-line block ×3, first 2 shown]
	s_wait_alu 0xfffe
	s_add_co_i32 s5, s6, s5
	v_cmp_ne_u32_e64 s16, 0, v57
	v_cmp_ne_u32_e64 s19, 0, v60
	s_bcnt1_i32_b32 s8, s8
	s_bcnt1_i32_b32 s11, s11
	;; [unrolled: 1-line block ×4, first 2 shown]
	s_add_co_i32 s6, s10, s9
	s_wait_alu 0xfffe
	s_add_co_i32 s5, s5, s7
	v_cmp_ne_u32_e64 s20, 0, v61
	s_bcnt1_i32_b32 s12, s12
	s_bcnt1_i32_b32 s15, s15
	;; [unrolled: 1-line block ×4, first 2 shown]
	s_add_co_i32 s9, s14, s13
	s_add_co_i32 s6, s6, s11
	s_wait_alu 0xfffe
	s_add_co_i32 s24, s5, s8
	s_bcnt1_i32_b32 s16, s16
	s_bcnt1_i32_b32 s19, s19
	s_add_co_i32 s10, s18, s17
	s_add_co_i32 s7, s9, s15
	s_wait_alu 0xfffe
	s_add_nc_u64 s[82:83], s[82:83], s[24:25]
	s_add_co_i32 s24, s6, s12
	s_bcnt1_i32_b32 s20, s20
	s_add_co_i32 s9, s10, s19
	s_wait_alu 0xfffe
	s_add_nc_u64 s[80:81], s[80:81], s[24:25]
	s_add_co_i32 s24, s7, s16
	v_mov_b32_e32 v2, s82
	s_wait_alu 0xfffe
	s_add_nc_u64 s[78:79], s[78:79], s[24:25]
	s_add_co_i32 s24, s9, s20
	v_mov_b32_e32 v4, s80
	s_wait_alu 0xfffe
	s_add_nc_u64 s[76:77], s[76:77], s[24:25]
	v_mov_b32_e32 v3, s83
	v_dual_mov_b32 v5, s81 :: v_dual_mov_b32 v6, s78
	s_wait_alu 0xfffe
	v_dual_mov_b32 v7, s79 :: v_dual_mov_b32 v8, s76
	v_mov_b32_e32 v9, s77
	s_or_b32 s71, vcc_lo, s71
	s_wait_alu 0xfffe
	s_and_not1_b32 exec_lo, exec_lo, s71
	s_cbranch_execnz .LBB23_74
; %bb.75:                               ;   in Loop: Header=BB23_32 Depth=1
	s_or_b32 exec_lo, exec_lo, s71
.LBB23_76:                              ;   in Loop: Header=BB23_32 Depth=1
	s_wait_alu 0xfffe
	s_or_b32 exec_lo, exec_lo, s69
	v_add_co_u32 v31, s5, s74, v0
	s_wait_alu 0xf1ff
	v_add_co_ci_u32_e64 v32, null, s75, 0, s5
	s_mov_b32 s8, exec_lo
	v_cmpx_gt_i64_e64 s[36:37], v[31:32]
	s_cbranch_execz .LBB23_82
; %bb.77:                               ;   in Loop: Header=BB23_32 Depth=1
	v_mul_lo_u32 v27, v32, s42
	v_mul_lo_u32 v35, v31, s43
	v_mad_co_u64_u32 v[33:34], null, v31, s42, 0
	v_mul_hi_u32 v39, v12, s64
	s_mov_b32 s9, 0
	s_delay_alu instid0(VALU_DEP_2) | instskip(SKIP_1) | instid1(VALU_DEP_2)
	v_add3_u32 v34, v34, v35, v27
	v_mul_lo_u32 v35, v12, s65
	v_lshlrev_b64_e32 v[33:34], 2, v[33:34]
	s_delay_alu instid0(VALU_DEP_2) | instskip(NEXT) | instid1(VALU_DEP_2)
	v_add_nc_u32_e32 v35, v35, v50
	v_add_co_u32 v33, vcc_lo, s56, v33
	s_wait_alu 0xfffd
	s_delay_alu instid0(VALU_DEP_3)
	v_add_co_ci_u32_e64 v34, null, s57, v34, vcc_lo
	v_add_co_u32 v27, vcc_lo, v46, v12
	v_add_nc_u32_e32 v35, v35, v39
	global_load_b32 v37, v[33:34], off
	s_wait_alu 0xfffd
	v_add_co_ci_u32_e64 v33, null, 0, v47, vcc_lo
	v_sub_co_u32 v27, vcc_lo, v27, s72
	s_wait_alu 0xfffd
	s_delay_alu instid0(VALU_DEP_2) | instskip(NEXT) | instid1(VALU_DEP_2)
	v_subrev_co_ci_u32_e64 v33, null, s73, v33, vcc_lo
	v_mul_lo_u32 v38, s65, v27
	s_delay_alu instid0(VALU_DEP_2) | instskip(SKIP_2) | instid1(VALU_DEP_2)
	v_mul_lo_u32 v36, s64, v33
	v_mad_co_u64_u32 v[33:34], null, s64, v27, s[62:63]
	v_mul_lo_u32 v27, v12, s64
	v_add3_u32 v34, v38, v34, v36
	s_branch .LBB23_79
.LBB23_78:                              ;   in Loop: Header=BB23_79 Depth=2
	s_wait_alu 0xfffe
	s_or_b32 exec_lo, exec_lo, s6
	s_wait_loadcnt 0x0
	v_xor_b32_e32 v37, 0x80000000, v37
	s_and_b32 s7, exec_lo, vcc_lo
	s_wait_alu 0xfffe
	s_or_b32 s9, s7, s9
	s_delay_alu instid0(VALU_DEP_1) | instskip(SKIP_1) | instid1(VALU_DEP_2)
	v_and_b32_e32 v38, v37, v52
	v_bfe_u32 v37, v37, s91, 2
	v_cmp_eq_u32_e64 s5, v38, v48
	s_delay_alu instid0(VALU_DEP_2)
	v_cmp_eq_u32_e64 s6, 0, v37
	v_cmp_eq_u32_e32 vcc_lo, 1, v37
	v_cmp_eq_u32_e64 s7, 2, v37
	s_and_b32 s6, s5, s6
	s_wait_alu 0xfffe
	v_cndmask_b32_e64 v38, 0, 1, s6
	s_and_b32 s6, s5, vcc_lo
	v_cmp_eq_u32_e32 vcc_lo, 3, v37
	s_wait_alu 0xfffe
	v_cndmask_b32_e64 v39, 0, 1, s6
	s_and_b32 s6, s5, s7
	s_wait_alu 0xfffe
	v_cndmask_b32_e64 v37, 0, 1, s6
	v_cmp_ne_u32_e64 s6, 0, v38
	v_cmp_ne_u32_e64 s7, 0, v39
	s_and_b32 s5, s5, vcc_lo
	s_wait_alu 0xfffe
	v_cndmask_b32_e64 v38, 0, 1, s5
	s_bcnt1_i32_b32 s5, s6
	v_cmp_ne_u32_e32 vcc_lo, 0, v37
	s_bcnt1_i32_b32 s6, s7
	s_wait_alu 0xfffe
	v_add_co_u32 v2, s5, v2, s5
	s_wait_alu 0xf1ff
	v_add_co_ci_u32_e64 v3, null, 0, v3, s5
	v_add_co_u32 v4, s5, v4, s6
	s_wait_alu 0xf1ff
	v_add_co_ci_u32_e64 v5, null, 0, v5, s5
	s_bcnt1_i32_b32 s5, vcc_lo
	v_cmp_ne_u32_e32 vcc_lo, 0, v38
	s_wait_alu 0xfffe
	v_add_co_u32 v6, s5, v6, s5
	s_wait_alu 0xf1ff
	v_add_co_ci_u32_e64 v7, null, 0, v7, s5
	s_bcnt1_i32_b32 s5, vcc_lo
	v_mov_b32_e32 v37, v36
	s_wait_alu 0xfffe
	v_add_co_u32 v8, vcc_lo, v8, s5
	s_wait_alu 0xfffd
	v_add_co_ci_u32_e64 v9, null, 0, v9, vcc_lo
	v_add_co_u32 v33, vcc_lo, v33, v27
	s_wait_alu 0xfffd
	v_add_co_ci_u32_e64 v34, null, v34, v35, vcc_lo
	s_and_not1_b32 exec_lo, exec_lo, s9
	s_cbranch_execz .LBB23_81
.LBB23_79:                              ;   Parent Loop BB23_32 Depth=1
                                        ; =>  This Inner Loop Header: Depth=2
	v_add_co_u32 v31, vcc_lo, v31, v12
	s_wait_alu 0xfffd
	v_add_co_ci_u32_e64 v32, null, 0, v32, vcc_lo
	v_mov_b32_e32 v36, 0
	s_mov_b32 s6, exec_lo
	s_delay_alu instid0(VALU_DEP_2)
	v_cmp_le_i64_e32 vcc_lo, s[36:37], v[31:32]
	v_cmpx_gt_i64_e64 s[36:37], v[31:32]
	s_cbranch_execz .LBB23_78
; %bb.80:                               ;   in Loop: Header=BB23_79 Depth=2
	global_load_b32 v36, v[33:34], off
	s_branch .LBB23_78
.LBB23_81:                              ;   in Loop: Header=BB23_32 Depth=1
	s_or_b32 exec_lo, exec_lo, s9
.LBB23_82:                              ;   in Loop: Header=BB23_32 Depth=1
	s_wait_alu 0xfffe
	s_or_b32 exec_lo, exec_lo, s8
	s_branch .LBB23_61
.LBB23_83:                              ;   in Loop: Header=BB23_32 Depth=1
	global_load_u16 v2, v13, s[38:39]
	v_mov_b32_e32 v4, 0
	v_mov_b32_e32 v6, 0
	v_dual_mov_b32 v8, 0 :: v_dual_mov_b32 v7, 0
	v_mov_b32_e32 v9, 0
	s_mov_b32 s80, exec_lo
	v_mov_b32_e32 v5, 0
	s_wait_loadcnt 0x0
	v_readfirstlane_b32 s5, v2
	v_and_b32_e32 v12, 0xffff, v2
	s_and_b32 s78, 0xffff, s5
	s_wait_alu 0xfffe
	s_lshl_b32 s69, s78, 2
	s_wait_alu 0xfffe
	s_cvt_f32_u32 s5, s69
	s_sub_co_i32 s6, 0, s69
	s_wait_alu 0xfffe
	s_delay_alu instid0(SALU_CYCLE_1) | instskip(NEXT) | instid1(TRANS32_DEP_1)
	v_rcp_iflag_f32_e32 v3, s5
	v_readfirstlane_b32 s5, v3
	s_mul_f32 s5, s5, 0x4f7ffffe
	s_wait_alu 0xfffe
	s_delay_alu instid0(SALU_CYCLE_2) | instskip(SKIP_1) | instid1(SALU_CYCLE_2)
	s_cvt_u32_f32 s5, s5
	s_wait_alu 0xfffe
	s_mul_i32 s6, s6, s5
	s_wait_alu 0xfffe
	s_mul_hi_u32 s6, s5, s6
	s_wait_alu 0xfffe
	s_add_co_i32 s5, s5, s6
	s_wait_alu 0xfffe
	s_mul_hi_u32 s5, s68, s5
	s_wait_alu 0xfffe
	s_mul_i32 s6, s5, s69
	s_add_co_i32 s7, s5, 1
	s_wait_alu 0xfffe
	s_sub_co_i32 s6, s68, s6
	s_wait_alu 0xfffe
	s_sub_co_i32 s8, s6, s69
	s_cmp_ge_u32 s6, s69
	s_cselect_b32 s5, s7, s5
	s_wait_alu 0xfffe
	s_cselect_b32 s6, s8, s6
	s_add_co_i32 s7, s5, 1
	s_wait_alu 0xfffe
	s_cmp_ge_u32 s6, s69
	s_cselect_b32 s79, s7, s5
	s_wait_alu 0xfffe
	v_mul_hi_u32 v3, s79, v12
	v_mul_lo_u32 v2, s79, v12
	s_delay_alu instid0(VALU_DEP_1) | instskip(SKIP_2) | instid1(VALU_DEP_3)
	v_lshlrev_b64_e32 v[31:32], 2, v[2:3]
	v_mov_b32_e32 v2, 0
	v_mov_b32_e32 v3, 0
	v_cmpx_gt_u64_e64 v[31:32], v[14:15]
	s_cbranch_execz .LBB23_87
; %bb.84:                               ;   in Loop: Header=BB23_32 Depth=1
	v_dual_mov_b32 v27, v44 :: v_dual_mov_b32 v34, v15
	v_mov_b32_e32 v33, v14
	s_lshl_b32 s81, s78, 4
	s_mov_b64 s[70:71], 0
	s_mov_b32 s82, 0
	s_mov_b64 s[72:73], 0
	s_mov_b64 s[74:75], 0
	;; [unrolled: 1-line block ×3, first 2 shown]
.LBB23_85:                              ;   Parent Loop BB23_32 Depth=1
                                        ; =>  This Inner Loop Header: Depth=2
	ds_load_b128 v[2:5], v27
	v_add_co_u32 v33, vcc_lo, v33, s69
	s_wait_alu 0xfffd
	v_add_co_ci_u32_e64 v34, null, 0, v34, vcc_lo
	s_delay_alu instid0(VALU_DEP_1)
	v_cmp_ge_u64_e32 vcc_lo, v[33:34], v[31:32]
	s_wait_dscnt 0x0
	v_xor_b32_e32 v2, 0x80000000, v2
	v_xor_b32_e32 v3, 0x80000000, v3
	;; [unrolled: 1-line block ×4, first 2 shown]
	s_delay_alu instid0(VALU_DEP_4)
	v_and_b32_e32 v6, v2, v52
	v_bfe_u32 v2, v2, s91, 2
	v_and_b32_e32 v7, v3, v52
	v_bfe_u32 v3, v3, s91, 2
	;; [unrolled: 2-line block ×3, first 2 shown]
	v_cmp_eq_u32_e64 s5, v6, v48
	v_cmp_eq_u32_e64 s9, 0, v2
	v_and_b32_e32 v9, v5, v52
	v_bfe_u32 v5, v5, s91, 2
	v_cmp_eq_u32_e64 s6, v7, v48
	v_cmp_eq_u32_e64 s10, 0, v3
	;; [unrolled: 1-line block ×4, first 2 shown]
	s_and_b32 s9, s5, s9
	v_cmp_eq_u32_e64 s8, v9, v48
	v_cmp_eq_u32_e64 s12, 0, v5
	v_cmp_eq_u32_e64 s13, 1, v2
	v_cmp_eq_u32_e64 s17, 2, v2
	v_cmp_eq_u32_e64 s21, 3, v2
	s_wait_alu 0xfffe
	v_cndmask_b32_e64 v2, 0, 1, s9
	s_and_b32 s9, s6, s10
	v_cmp_eq_u32_e64 s14, 1, v3
	v_cmp_eq_u32_e64 s18, 2, v3
	v_cmp_eq_u32_e64 s22, 3, v3
	s_wait_alu 0xfffe
	v_cndmask_b32_e64 v3, 0, 1, s9
	s_and_b32 s9, s7, s11
	v_cmp_eq_u32_e64 s15, 1, v4
	v_cmp_eq_u32_e64 s19, 2, v4
	v_cmp_eq_u32_e64 s23, 3, v4
	;; [unrolled: 6-line block ×3, first 2 shown]
	s_wait_alu 0xfffe
	v_cndmask_b32_e64 v5, 0, 1, s9
	s_and_b32 s9, s5, s13
	s_wait_alu 0xfffe
	v_cndmask_b32_e64 v6, 0, 1, s9
	s_and_b32 s9, s6, s14
	;; [unrolled: 3-line block ×4, first 2 shown]
	v_cmp_ne_u32_e64 s10, 0, v7
	s_wait_alu 0xfffe
	v_cndmask_b32_e64 v9, 0, 1, s9
	s_and_b32 s9, s5, s17
	s_and_b32 s5, s5, s21
	s_wait_alu 0xfffe
	v_cndmask_b32_e64 v35, 0, 1, s9
	v_cndmask_b32_e64 v39, 0, 1, s5
	s_and_b32 s5, s6, s22
	s_and_b32 s9, s6, s18
	s_wait_alu 0xfffe
	v_cndmask_b32_e64 v40, 0, 1, s5
	s_and_b32 s5, s7, s23
	v_cndmask_b32_e64 v36, 0, 1, s9
	s_and_b32 s9, s7, s19
	s_wait_alu 0xfffe
	v_cndmask_b32_e64 v53, 0, 1, s5
	s_and_b32 s5, s8, s24
	v_cndmask_b32_e64 v37, 0, 1, s9
	s_and_b32 s9, s8, s20
	s_wait_alu 0xfffe
	v_cndmask_b32_e64 v54, 0, 1, s5
	v_cmp_ne_u32_e64 s5, 0, v2
	v_cmp_ne_u32_e64 s6, 0, v3
	v_cndmask_b32_e64 v38, 0, 1, s9
	v_cmp_ne_u32_e64 s7, 0, v4
	v_cmp_ne_u32_e64 s9, 0, v6
	;; [unrolled: 1-line block ×6, first 2 shown]
	s_bcnt1_i32_b32 s5, s5
	s_bcnt1_i32_b32 s6, s6
	v_cmp_ne_u32_e64 s12, 0, v9
	v_cmp_ne_u32_e64 s15, 0, v37
	v_cmp_ne_u32_e64 s17, 0, v39
	v_cmp_ne_u32_e64 s18, 0, v40
	s_bcnt1_i32_b32 s7, s7
	s_bcnt1_i32_b32 s9, s9
	;; [unrolled: 1-line block ×3, first 2 shown]
	s_wait_alu 0xfffe
	s_add_co_i32 s5, s6, s5
	v_cmp_ne_u32_e64 s16, 0, v38
	v_cmp_ne_u32_e64 s19, 0, v53
	s_bcnt1_i32_b32 s8, s8
	s_bcnt1_i32_b32 s11, s11
	;; [unrolled: 1-line block ×4, first 2 shown]
	s_add_co_i32 s6, s10, s9
	s_wait_alu 0xfffe
	s_add_co_i32 s5, s5, s7
	v_cmp_ne_u32_e64 s20, 0, v54
	s_bcnt1_i32_b32 s12, s12
	s_bcnt1_i32_b32 s15, s15
	s_bcnt1_i32_b32 s17, s17
	s_bcnt1_i32_b32 s18, s18
	s_add_co_i32 s9, s14, s13
	s_add_co_i32 s6, s6, s11
	s_wait_alu 0xfffe
	s_add_co_i32 s24, s5, s8
	s_bcnt1_i32_b32 s16, s16
	s_bcnt1_i32_b32 s19, s19
	s_add_co_i32 s10, s18, s17
	s_add_co_i32 s7, s9, s15
	s_wait_alu 0xfffe
	s_add_nc_u64 s[76:77], s[76:77], s[24:25]
	s_add_co_i32 s24, s6, s12
	s_bcnt1_i32_b32 s20, s20
	s_add_co_i32 s9, s10, s19
	s_wait_alu 0xfffe
	s_add_nc_u64 s[74:75], s[74:75], s[24:25]
	s_add_co_i32 s24, s7, s16
	v_dual_mov_b32 v2, s76 :: v_dual_add_nc_u32 v27, s81, v27
	s_wait_alu 0xfffe
	s_add_nc_u64 s[72:73], s[72:73], s[24:25]
	s_add_co_i32 s24, s9, s20
	s_wait_alu 0xfffe
	v_mov_b32_e32 v6, s72
	s_add_nc_u64 s[70:71], s[70:71], s[24:25]
	v_dual_mov_b32 v4, s74 :: v_dual_mov_b32 v7, s73
	s_wait_alu 0xfffe
	v_dual_mov_b32 v8, s70 :: v_dual_mov_b32 v3, s77
	v_mov_b32_e32 v5, s75
	v_mov_b32_e32 v9, s71
	s_or_b32 s82, vcc_lo, s82
	s_wait_alu 0xfffe
	s_and_not1_b32 exec_lo, exec_lo, s82
	s_cbranch_execnz .LBB23_85
; %bb.86:                               ;   in Loop: Header=BB23_32 Depth=1
	s_or_b32 exec_lo, exec_lo, s82
.LBB23_87:                              ;   in Loop: Header=BB23_32 Depth=1
	s_delay_alu instid0(SALU_CYCLE_1)
	s_or_b32 exec_lo, exec_lo, s80
	v_add_co_u32 v31, vcc_lo, v31, v0
	s_wait_alu 0xfffd
	v_add_co_ci_u32_e64 v32, null, 0, v32, vcc_lo
	s_and_b32 s24, s68, 0x7fffffff
	s_mov_b32 s10, exec_lo
	s_wait_alu 0xfffe
	v_cmpx_gt_u64_e64 s[24:25], v[31:32]
	s_cbranch_execz .LBB23_91
; %bb.88:                               ;   in Loop: Header=BB23_32 Depth=1
	s_mul_i32 s79, s79, s78
	s_mov_b32 s11, 0
	s_wait_alu 0xfffe
	v_lshl_add_u32 v27, s79, 4, v14
.LBB23_89:                              ;   Parent Loop BB23_32 Depth=1
                                        ; =>  This Inner Loop Header: Depth=2
	ds_load_b32 v33, v27
	v_add_co_u32 v31, vcc_lo, v31, v12
	s_wait_alu 0xfffd
	v_add_co_ci_u32_e64 v32, null, 0, v32, vcc_lo
	v_add_nc_u32_e32 v27, s69, v27
	s_delay_alu instid0(VALU_DEP_2) | instskip(SKIP_2) | instid1(VALU_DEP_1)
	v_cmp_le_u64_e32 vcc_lo, s[24:25], v[31:32]
	s_wait_dscnt 0x0
	v_xor_b32_e32 v33, 0x80000000, v33
	v_and_b32_e32 v34, v33, v52
	v_bfe_u32 v33, v33, s91, 2
	s_delay_alu instid0(VALU_DEP_2) | instskip(NEXT) | instid1(VALU_DEP_2)
	v_cmp_eq_u32_e64 s5, v34, v48
	v_cmp_eq_u32_e64 s6, 0, v33
	;; [unrolled: 1-line block ×5, first 2 shown]
	s_and_b32 s6, s5, s6
	s_wait_alu 0xfffe
	v_cndmask_b32_e64 v33, 0, 1, s6
	s_and_b32 s6, s5, s7
	s_wait_alu 0xfffe
	v_cndmask_b32_e64 v34, 0, 1, s6
	s_and_b32 s6, s5, s8
	s_and_b32 s5, s5, s9
	s_wait_alu 0xfffe
	v_cndmask_b32_e64 v35, 0, 1, s6
	v_cndmask_b32_e64 v36, 0, 1, s5
	v_cmp_ne_u32_e64 s5, 0, v33
	v_cmp_ne_u32_e64 s6, 0, v34
	s_delay_alu instid0(VALU_DEP_4) | instskip(NEXT) | instid1(VALU_DEP_4)
	v_cmp_ne_u32_e64 s7, 0, v35
	v_cmp_ne_u32_e64 s8, 0, v36
	s_bcnt1_i32_b32 s5, s5
	s_bcnt1_i32_b32 s6, s6
	s_wait_alu 0xfffe
	v_add_co_u32 v2, s5, v2, s5
	s_bcnt1_i32_b32 s7, s7
	v_add_co_ci_u32_e64 v3, null, 0, v3, s5
	v_add_co_u32 v4, s5, v4, s6
	s_bcnt1_i32_b32 s8, s8
	v_add_co_ci_u32_e64 v5, null, 0, v5, s5
	s_wait_alu 0xfffe
	v_add_co_u32 v6, s5, v6, s7
	s_wait_alu 0xf1ff
	v_add_co_ci_u32_e64 v7, null, 0, v7, s5
	v_add_co_u32 v8, s5, v8, s8
	s_wait_alu 0xf1ff
	v_add_co_ci_u32_e64 v9, null, 0, v9, s5
	s_or_b32 s11, vcc_lo, s11
	s_wait_alu 0xfffe
	s_and_not1_b32 exec_lo, exec_lo, s11
	s_cbranch_execnz .LBB23_89
; %bb.90:                               ;   in Loop: Header=BB23_32 Depth=1
	s_or_b32 exec_lo, exec_lo, s11
.LBB23_91:                              ;   in Loop: Header=BB23_32 Depth=1
	s_wait_alu 0xfffe
	s_or_b32 exec_lo, exec_lo, s10
	s_lshl_b32 s5, s93, 7
	s_and_saveexec_b32 s6, s1
	s_cbranch_execnz .LBB23_62
	s_branch .LBB23_63
.LBB23_92:                              ;   in Loop: Header=BB23_32 Depth=1
                                        ; implicit-def: $sgpr72_sgpr73
	s_branch .LBB23_71
.LBB23_93:                              ;   in Loop: Header=BB23_32 Depth=1
	s_wait_alu 0xfffe
	s_or_b32 exec_lo, exec_lo, s8
	s_wait_loadcnt_dscnt 0x0
	s_barrier_signal -1
	s_barrier_wait -1
	global_inv scope:SCOPE_SE
	s_and_saveexec_b32 s5, s2
	s_cbranch_execz .LBB23_95
; %bb.94:                               ;   in Loop: Header=BB23_32 Depth=1
	ds_load_b32 v2, v13 offset:5136
	s_wait_dscnt 0x0
	v_ashrrev_i32_e32 v3, 31, v2
	ds_store_b64 v13, v[2:3] offset:5120
.LBB23_95:                              ;   in Loop: Header=BB23_32 Depth=1
	s_wait_alu 0xfffe
	s_or_b32 exec_lo, exec_lo, s5
	s_wait_loadcnt_dscnt 0x0
	s_barrier_signal -1
	s_mov_b32 s5, -1
	s_barrier_wait -1
	s_and_b32 vcc_lo, exec_lo, s7
	s_wait_alu 0xfffe
	s_cbranch_vccnz .LBB23_48
	s_branch .LBB23_57
.LBB23_96:                              ;   in Loop: Header=BB23_32 Depth=1
	s_mov_b32 s7, 0
	s_and_not1_b32 vcc_lo, exec_lo, s89
	s_wait_alu 0xfffe
	s_cbranch_vccnz .LBB23_99
.LBB23_97:                              ;   in Loop: Header=BB23_32 Depth=1
	s_lshl_b32 s8, s93, 10
	s_lshl_b32 s7, s7, 5
	s_wait_alu 0xfffe
	v_add3_u32 v4, s8, s7, v49
	s_mov_b32 s7, s86
.LBB23_98:                              ;   Parent Loop BB23_32 Depth=1
                                        ; =>  This Inner Loop Header: Depth=2
	ds_load_b64 v[5:6], v4
	v_add_nc_u32_e32 v4, 32, v4
	s_wait_alu 0xfffe
	s_add_co_i32 s7, s7, -1
	s_wait_alu 0xfffe
	s_cmp_lg_u32 s7, 0
	s_wait_dscnt 0x0
	v_add_co_u32 v2, vcc_lo, v5, v2
	s_wait_alu 0xfffd
	v_add_co_ci_u32_e64 v3, null, v6, v3, vcc_lo
	s_cbranch_scc1 .LBB23_98
.LBB23_99:                              ;   in Loop: Header=BB23_32 Depth=1
	v_add_lshl_u32 v4, s5, v41, 3
	ds_store_b64 v4, v[2:3] offset:3072
.LBB23_100:                             ;   in Loop: Header=BB23_32 Depth=1
	s_wait_alu 0xfffe
	s_or_b32 exec_lo, exec_lo, s6
	s_lshl_b32 s5, s5, 3
	s_wait_loadcnt_dscnt 0x0
	s_wait_alu 0xfffe
	v_mov_b32_e32 v6, s5
	s_barrier_signal -1
	s_barrier_wait -1
	global_inv scope:SCOPE_SE
	v_cmp_eq_u64_e32 vcc_lo, 1, v[29:30]
	ds_load_b128 v[2:5], v6 offset:3072
	ds_load_b128 v[6:9], v6 offset:3088
	s_lshl_b32 s16, 3, s91
	s_mov_b32 s18, -1
	s_wait_alu 0xfffe
	s_not_b32 s20, s16
                                        ; implicit-def: $sgpr15
                                        ; implicit-def: $sgpr14
	s_wait_dscnt 0x1
	v_cmp_eq_u64_e64 s5, 1, v[2:3]
	s_wait_dscnt 0x0
	v_readfirstlane_b32 s8, v6
	v_readfirstlane_b32 s9, v7
	;; [unrolled: 1-line block ×4, first 2 shown]
	s_and_b32 s19, s5, vcc_lo
	s_mov_b32 s5, -1
	s_and_saveexec_b32 s17, s19
	s_cbranch_execz .LBB23_132
; %bb.101:                              ;   in Loop: Header=BB23_32 Depth=1
	ds_load_b64 v[6:7], v13 offset:5120
	s_wait_loadcnt_dscnt 0x0
	s_barrier_signal -1
	s_barrier_wait -1
	global_inv scope:SCOPE_SE
	v_readfirstlane_b32 s10, v6
	v_readfirstlane_b32 s11, v7
	s_and_saveexec_b32 s5, s3
; %bb.102:                              ;   in Loop: Header=BB23_32 Depth=1
	ds_store_b32 v42, v13
; %bb.103:                              ;   in Loop: Header=BB23_32 Depth=1
	s_wait_alu 0xfffe
	s_or_b32 exec_lo, exec_lo, s5
	v_cmp_lt_i64_e64 s5, s[10:11], 1
	v_and_b32_e32 v48, s20, v48
	v_or_b32_e32 v52, s16, v52
	s_mov_b32 s14, -1
	s_mov_b32 s15, 0
	s_mov_b32 s21, -1
	s_and_b32 vcc_lo, exec_lo, s5
	s_mov_b32 s5, 0
	s_wait_loadcnt_dscnt 0x0
	s_barrier_signal -1
	s_barrier_wait -1
	global_inv scope:SCOPE_SE
                                        ; implicit-def: $vgpr28
	s_wait_alu 0xfffe
	s_cbranch_vccz .LBB23_117
; %bb.104:                              ;   in Loop: Header=BB23_32 Depth=1
	s_mov_b32 s12, s25
	s_mov_b32 s13, s61
	s_wait_alu 0xfffe
	s_cmp_lg_u64 s[12:13], 0
	s_cbranch_scc0 .LBB23_158
; %bb.105:                              ;   in Loop: Header=BB23_32 Depth=1
	s_add_nc_u64 s[12:13], s[50:51], 0
	s_wait_alu 0xfffe
	s_xor_b64 s[12:13], s[12:13], 0
	s_wait_alu 0xfffe
	s_cvt_f32_u32 s5, s12
	s_cvt_f32_u32 s21, s13
	s_sub_nc_u64 s[68:69], 0, s[12:13]
	s_wait_alu 0xfffe
	s_delay_alu instid0(SALU_CYCLE_1) | instskip(SKIP_1) | instid1(SALU_CYCLE_2)
	s_fmamk_f32 s5, s21, 0x4f800000, s5
	s_wait_alu 0xfffe
	v_s_rcp_f32 s5, s5
	s_delay_alu instid0(TRANS32_DEP_1) | instskip(SKIP_1) | instid1(SALU_CYCLE_2)
	s_mul_f32 s5, s5, 0x5f7ffffc
	s_wait_alu 0xfffe
	s_mul_f32 s21, s5, 0x2f800000
	s_wait_alu 0xfffe
	s_delay_alu instid0(SALU_CYCLE_2) | instskip(SKIP_1) | instid1(SALU_CYCLE_2)
	s_trunc_f32 s21, s21
	s_wait_alu 0xfffe
	s_fmamk_f32 s5, s21, 0xcf800000, s5
	s_cvt_u32_f32 s23, s21
	s_wait_alu 0xfffe
	s_delay_alu instid0(SALU_CYCLE_1) | instskip(NEXT) | instid1(SALU_CYCLE_3)
	s_cvt_u32_f32 s22, s5
	s_mul_u64 s[70:71], s[68:69], s[22:23]
	s_wait_alu 0xfffe
	s_mul_hi_u32 s73, s22, s71
	s_mul_i32 s72, s22, s71
	s_mul_hi_u32 s24, s22, s70
	s_mul_i32 s21, s23, s70
	s_wait_alu 0xfffe
	s_add_nc_u64 s[72:73], s[24:25], s[72:73]
	s_mul_hi_u32 s5, s23, s70
	s_mul_hi_u32 s74, s23, s71
	s_wait_alu 0xfffe
	s_add_co_u32 s21, s72, s21
	s_add_co_ci_u32 s24, s73, s5
	s_mul_i32 s70, s23, s71
	s_add_co_ci_u32 s71, s74, 0
	s_wait_alu 0xfffe
	s_add_nc_u64 s[70:71], s[24:25], s[70:71]
	s_wait_alu 0xfffe
	s_add_co_u32 s22, s22, s70
	s_cselect_b32 s5, -1, 0
	s_wait_alu 0xfffe
	s_cmp_lg_u32 s5, 0
	s_add_co_ci_u32 s23, s23, s71
	s_delay_alu instid0(SALU_CYCLE_1)
	s_mul_u64 s[68:69], s[68:69], s[22:23]
	s_wait_alu 0xfffe
	s_mul_hi_u32 s71, s22, s69
	s_mul_i32 s70, s22, s69
	s_mul_hi_u32 s24, s22, s68
	s_mul_i32 s21, s23, s68
	s_wait_alu 0xfffe
	s_add_nc_u64 s[70:71], s[24:25], s[70:71]
	s_mul_hi_u32 s5, s23, s68
	s_mul_hi_u32 s72, s23, s69
	s_wait_alu 0xfffe
	s_add_co_u32 s21, s70, s21
	s_add_co_ci_u32 s24, s71, s5
	s_mul_i32 s68, s23, s69
	s_add_co_ci_u32 s69, s72, 0
	s_wait_alu 0xfffe
	s_add_nc_u64 s[68:69], s[24:25], s[68:69]
	s_wait_alu 0xfffe
	s_add_co_u32 s5, s22, s68
	s_cselect_b32 s21, -1, 0
	s_wait_alu 0xfffe
	s_cmp_lg_u32 s21, 0
	s_add_co_ci_u32 s21, s23, s69
	s_ashr_i32 s22, s61, 31
	s_delay_alu instid0(SALU_CYCLE_1) | instskip(NEXT) | instid1(SALU_CYCLE_1)
	s_mov_b32 s23, s22
	s_add_nc_u64 s[68:69], s[60:61], s[22:23]
	s_wait_alu 0xfffe
	s_xor_b64 s[68:69], s[68:69], s[22:23]
	s_wait_alu 0xfffe
	s_mul_hi_u32 s71, s68, s21
	s_mul_i32 s70, s68, s21
	s_mul_hi_u32 s24, s68, s5
	s_mul_hi_u32 s74, s69, s5
	s_mul_i32 s5, s69, s5
	s_wait_alu 0xfffe
	s_add_nc_u64 s[70:71], s[24:25], s[70:71]
	s_mul_hi_u32 s73, s69, s21
	s_wait_alu 0xfffe
	s_add_co_u32 s5, s70, s5
	s_add_co_ci_u32 s24, s71, s74
	s_mul_i32 s72, s69, s21
	s_add_co_ci_u32 s73, s73, 0
	s_wait_alu 0xfffe
	s_add_nc_u64 s[70:71], s[24:25], s[72:73]
	s_wait_alu 0xfffe
	s_mul_u64 s[70:71], s[12:13], s[70:71]
	s_wait_alu 0xfffe
	s_sub_co_u32 s5, s68, s70
	s_cselect_b32 s21, -1, 0
	s_sub_co_i32 s24, s69, s71
	s_wait_alu 0xfffe
	s_cmp_lg_u32 s21, 0
	s_sub_co_ci_u32 s24, s24, s13
	s_sub_co_u32 s68, s5, s12
	s_cselect_b32 s70, -1, 0
	s_wait_alu 0xfffe
	s_cmp_lg_u32 s70, 0
	s_sub_co_ci_u32 s72, s24, 0
	s_wait_alu 0xfffe
	s_cmp_ge_u32 s72, s13
	s_cselect_b32 s73, -1, 0
	s_cmp_ge_u32 s68, s12
	s_cselect_b32 s74, -1, 0
	s_cmp_eq_u32 s72, s13
	s_wait_alu 0xfffe
	s_cselect_b32 s73, s74, s73
	s_cmp_lg_u32 s70, 0
	s_sub_co_ci_u32 s24, s24, s13
	s_sub_co_u32 s70, s68, s12
	s_cselect_b32 s74, -1, 0
	s_wait_alu 0xfffe
	s_cmp_lg_u32 s74, 0
	s_sub_co_ci_u32 s24, s24, 0
	s_cmp_lg_u32 s73, 0
	s_cselect_b32 s68, s70, s68
	s_wait_alu 0xfffe
	s_cselect_b32 s24, s24, s72
	s_cmp_lg_u32 s21, 0
	s_sub_co_ci_u32 s21, s69, s71
	s_wait_alu 0xfffe
	s_cmp_ge_u32 s21, s13
	s_cselect_b32 s69, -1, 0
	s_cmp_ge_u32 s5, s12
	s_cselect_b32 s12, -1, 0
	s_cmp_eq_u32 s21, s13
	s_wait_alu 0xfffe
	s_cselect_b32 s12, s12, s69
	s_wait_alu 0xfffe
	s_cmp_lg_u32 s12, 0
	s_cselect_b32 s13, s24, s21
	s_cselect_b32 s12, s68, s5
	s_wait_alu 0xfffe
	s_xor_b64 s[12:13], s[12:13], s[22:23]
	s_wait_alu 0xfffe
	s_sub_nc_u64 s[12:13], s[12:13], s[22:23]
	s_cbranch_execnz .LBB23_107
.LBB23_106:                             ;   in Loop: Header=BB23_32 Depth=1
	v_cvt_f32_u32_e32 v6, s50
	s_sub_co_i32 s12, 0, s50
	s_delay_alu instid0(VALU_DEP_1) | instskip(NEXT) | instid1(TRANS32_DEP_1)
	v_rcp_iflag_f32_e32 v6, v6
	v_mul_f32_e32 v6, 0x4f7ffffe, v6
	s_delay_alu instid0(VALU_DEP_1) | instskip(NEXT) | instid1(VALU_DEP_1)
	v_cvt_u32_f32_e32 v6, v6
	v_readfirstlane_b32 s5, v6
	s_wait_alu 0xfffe
	s_mul_i32 s12, s12, s5
	s_wait_alu 0xfffe
	s_mul_hi_u32 s12, s5, s12
	s_wait_alu 0xfffe
	s_add_co_i32 s5, s5, s12
	s_wait_alu 0xfffe
	s_mul_hi_u32 s5, s60, s5
	s_wait_alu 0xfffe
	s_mul_i32 s5, s5, s50
	s_wait_alu 0xfffe
	s_sub_co_i32 s5, s60, s5
	s_wait_alu 0xfffe
	s_sub_co_i32 s12, s5, s50
	s_cmp_ge_u32 s5, s50
	s_wait_alu 0xfffe
	s_cselect_b32 s5, s12, s5
	s_wait_alu 0xfffe
	s_sub_co_i32 s12, s5, s50
	s_cmp_ge_u32 s5, s50
	s_wait_alu 0xfffe
	s_cselect_b32 s24, s12, s5
	s_wait_alu 0xfffe
	s_mov_b64 s[12:13], s[24:25]
.LBB23_107:                             ;   in Loop: Header=BB23_32 Depth=1
	s_wait_alu 0xfffe
	s_sub_nc_u64 s[12:13], s[60:61], s[12:13]
	s_mov_b32 s21, 0
	s_mov_b32 s5, 0
	s_mov_b32 s22, exec_lo
                                        ; implicit-def: $vgpr28
	s_wait_alu 0xfffe
	v_cmpx_gt_i64_e64 s[12:13], v[0:1]
	s_cbranch_execz .LBB23_116
; %bb.108:                              ;   in Loop: Header=BB23_32 Depth=1
	v_dual_mov_b32 v6, v10 :: v_dual_mov_b32 v7, v11
	v_dual_mov_b32 v9, v1 :: v_dual_mov_b32 v8, v0
	s_mov_b32 s23, 0
                                        ; implicit-def: $sgpr24
	s_branch .LBB23_111
.LBB23_109:                             ;   in Loop: Header=BB23_111 Depth=2
	s_wait_alu 0xfffe
	s_or_b32 exec_lo, exec_lo, s5
	s_wait_loadcnt_dscnt 0x0
	s_barrier_signal -1
	s_barrier_wait -1
	global_inv scope:SCOPE_SE
	ds_load_b64 v[27:28], v13 offset:3072
	s_mov_b32 s5, -1
	s_mov_b32 s68, -1
	s_wait_loadcnt_dscnt 0x0
	s_barrier_signal -1
	s_barrier_wait -1
	global_inv scope:SCOPE_SE
	v_cmp_ne_u32_e32 vcc_lo, 0, v27
	s_cbranch_vccz .LBB23_114
.LBB23_110:                             ;   in Loop: Header=BB23_111 Depth=2
	s_wait_alu 0xfffe
	s_and_b32 s5, exec_lo, s5
	s_wait_alu 0xfffe
	s_or_b32 s23, s5, s23
	s_and_not1_b32 s5, s24, exec_lo
	s_and_b32 s24, s68, exec_lo
	s_wait_alu 0xfffe
	s_or_b32 s24, s5, s24
	s_and_not1_b32 exec_lo, exec_lo, s23
	s_cbranch_execz .LBB23_115
.LBB23_111:                             ;   Parent Loop BB23_32 Depth=1
                                        ; =>  This Inner Loop Header: Depth=2
	s_mov_b32 s5, exec_lo
	s_delay_alu instid0(VALU_DEP_1)
	v_cmpx_gt_i64_e64 s[36:37], v[8:9]
	s_cbranch_execz .LBB23_109
; %bb.112:                              ;   in Loop: Header=BB23_111 Depth=2
	global_load_b32 v27, v[6:7], off
	s_wait_loadcnt 0x0
	v_xor_b32_e32 v12, 0x80000000, v27
	s_delay_alu instid0(VALU_DEP_1) | instskip(NEXT) | instid1(VALU_DEP_1)
	v_and_b32_e32 v12, v12, v52
	v_cmp_eq_u32_e32 vcc_lo, v12, v48
	s_and_b32 exec_lo, exec_lo, vcc_lo
	s_cbranch_execz .LBB23_109
; %bb.113:                              ;   in Loop: Header=BB23_111 Depth=2
	ds_store_b64 v13, v[26:27] offset:3072
	s_branch .LBB23_109
.LBB23_114:                             ;   in Loop: Header=BB23_111 Depth=2
	v_add_co_u32 v8, vcc_lo, v8, s50
	s_wait_alu 0xfffd
	v_add_co_ci_u32_e64 v9, null, 0, v9, vcc_lo
	v_add_co_u32 v6, s5, v6, s52
	s_wait_alu 0xf1fe
	v_add_co_ci_u32_e64 v7, null, s53, v7, s5
	s_delay_alu instid0(VALU_DEP_3)
	v_cmp_le_i64_e32 vcc_lo, s[12:13], v[8:9]
	s_mov_b32 s68, 0
	s_or_not1_b32 s5, vcc_lo, exec_lo
	s_branch .LBB23_110
.LBB23_115:                             ;   in Loop: Header=BB23_32 Depth=1
	s_or_b32 exec_lo, exec_lo, s23
	s_wait_alu 0xfffe
	s_and_b32 s5, s24, exec_lo
.LBB23_116:                             ;   in Loop: Header=BB23_32 Depth=1
	s_or_b32 exec_lo, exec_lo, s22
.LBB23_117:                             ;   in Loop: Header=BB23_32 Depth=1
	s_delay_alu instid0(SALU_CYCLE_1)
	s_and_b32 vcc_lo, exec_lo, s21
	s_wait_alu 0xfffe
	s_cbranch_vccz .LBB23_131
; %bb.118:                              ;   in Loop: Header=BB23_32 Depth=1
	s_add_nc_u64 s[12:13], s[10:11], s[58:59]
	s_mov_b32 s14, s25
	s_wait_alu 0xfffe
	s_mov_b32 s15, s13
	s_wait_alu 0xfffe
	s_cmp_lg_u64 s[14:15], 0
	s_cbranch_scc0 .LBB23_159
; %bb.119:                              ;   in Loop: Header=BB23_32 Depth=1
	s_add_nc_u64 s[14:15], s[50:51], 0
	s_wait_alu 0xfffe
	s_xor_b64 s[14:15], s[14:15], 0
	s_wait_alu 0xfffe
	s_cvt_f32_u32 s21, s14
	s_cvt_f32_u32 s22, s15
	s_sub_nc_u64 s[68:69], 0, s[14:15]
	s_wait_alu 0xfffe
	s_delay_alu instid0(SALU_CYCLE_1) | instskip(SKIP_1) | instid1(SALU_CYCLE_2)
	s_fmamk_f32 s21, s22, 0x4f800000, s21
	s_wait_alu 0xfffe
	v_s_rcp_f32 s21, s21
	s_delay_alu instid0(TRANS32_DEP_1) | instskip(SKIP_1) | instid1(SALU_CYCLE_2)
	s_mul_f32 s21, s21, 0x5f7ffffc
	s_wait_alu 0xfffe
	s_mul_f32 s22, s21, 0x2f800000
	s_delay_alu instid0(SALU_CYCLE_3) | instskip(NEXT) | instid1(SALU_CYCLE_3)
	s_trunc_f32 s22, s22
	s_fmamk_f32 s21, s22, 0xcf800000, s21
	s_cvt_u32_f32 s23, s22
	s_wait_alu 0xfffe
	s_delay_alu instid0(SALU_CYCLE_1) | instskip(NEXT) | instid1(SALU_CYCLE_3)
	s_cvt_u32_f32 s22, s21
	s_mul_u64 s[70:71], s[68:69], s[22:23]
	s_wait_alu 0xfffe
	s_mul_hi_u32 s73, s22, s71
	s_mul_i32 s72, s22, s71
	s_mul_hi_u32 s24, s22, s70
	s_mul_i32 s74, s23, s70
	s_wait_alu 0xfffe
	s_add_nc_u64 s[72:73], s[24:25], s[72:73]
	s_mul_hi_u32 s21, s23, s70
	s_mul_hi_u32 s75, s23, s71
	s_wait_alu 0xfffe
	s_add_co_u32 s24, s72, s74
	s_add_co_ci_u32 s24, s73, s21
	s_mul_i32 s70, s23, s71
	s_add_co_ci_u32 s71, s75, 0
	s_wait_alu 0xfffe
	s_add_nc_u64 s[70:71], s[24:25], s[70:71]
	s_wait_alu 0xfffe
	s_add_co_u32 s22, s22, s70
	s_cselect_b32 s21, -1, 0
	s_wait_alu 0xfffe
	s_cmp_lg_u32 s21, 0
	s_add_co_ci_u32 s23, s23, s71
	s_delay_alu instid0(SALU_CYCLE_1)
	s_mul_u64 s[68:69], s[68:69], s[22:23]
	s_wait_alu 0xfffe
	s_mul_hi_u32 s71, s22, s69
	s_mul_i32 s70, s22, s69
	s_mul_hi_u32 s24, s22, s68
	s_mul_i32 s72, s23, s68
	s_wait_alu 0xfffe
	s_add_nc_u64 s[70:71], s[24:25], s[70:71]
	s_mul_hi_u32 s21, s23, s68
	s_mul_hi_u32 s73, s23, s69
	s_wait_alu 0xfffe
	s_add_co_u32 s24, s70, s72
	s_add_co_ci_u32 s24, s71, s21
	s_mul_i32 s68, s23, s69
	s_add_co_ci_u32 s69, s73, 0
	s_wait_alu 0xfffe
	s_add_nc_u64 s[68:69], s[24:25], s[68:69]
	s_wait_alu 0xfffe
	s_add_co_u32 s21, s22, s68
	s_cselect_b32 s22, -1, 0
	s_delay_alu instid0(SALU_CYCLE_1) | instskip(SKIP_2) | instid1(SALU_CYCLE_1)
	s_cmp_lg_u32 s22, 0
	s_add_co_ci_u32 s72, s23, s69
	s_ashr_i32 s22, s13, 31
	s_mov_b32 s23, s22
	s_delay_alu instid0(SALU_CYCLE_1)
	s_add_nc_u64 s[68:69], s[12:13], s[22:23]
	s_wait_alu 0xfffe
	s_xor_b64 s[68:69], s[68:69], s[22:23]
	s_wait_alu 0xfffe
	s_mul_hi_u32 s71, s68, s72
	s_mul_i32 s70, s68, s72
	s_mul_hi_u32 s24, s68, s21
	s_mul_hi_u32 s74, s69, s21
	s_mul_i32 s21, s69, s21
	s_wait_alu 0xfffe
	s_add_nc_u64 s[70:71], s[24:25], s[70:71]
	s_mul_hi_u32 s73, s69, s72
	s_wait_alu 0xfffe
	s_add_co_u32 s21, s70, s21
	s_add_co_ci_u32 s24, s71, s74
	s_mul_i32 s72, s69, s72
	s_add_co_ci_u32 s73, s73, 0
	s_wait_alu 0xfffe
	s_add_nc_u64 s[70:71], s[24:25], s[72:73]
	s_wait_alu 0xfffe
	s_mul_u64 s[70:71], s[14:15], s[70:71]
	s_wait_alu 0xfffe
	s_sub_co_u32 s21, s68, s70
	s_cselect_b32 s24, -1, 0
	s_sub_co_i32 s68, s69, s71
	s_wait_alu 0xfffe
	s_cmp_lg_u32 s24, 0
	s_sub_co_ci_u32 s68, s68, s15
	s_sub_co_u32 s70, s21, s14
	s_cselect_b32 s72, -1, 0
	s_wait_alu 0xfffe
	s_cmp_lg_u32 s72, 0
	s_sub_co_ci_u32 s73, s68, 0
	s_wait_alu 0xfffe
	s_cmp_ge_u32 s73, s15
	s_cselect_b32 s74, -1, 0
	s_cmp_ge_u32 s70, s14
	s_cselect_b32 s75, -1, 0
	s_cmp_eq_u32 s73, s15
	s_wait_alu 0xfffe
	s_cselect_b32 s74, s75, s74
	s_cmp_lg_u32 s72, 0
	s_sub_co_ci_u32 s68, s68, s15
	s_sub_co_u32 s72, s70, s14
	s_cselect_b32 s75, -1, 0
	s_wait_alu 0xfffe
	s_cmp_lg_u32 s75, 0
	s_sub_co_ci_u32 s68, s68, 0
	s_cmp_lg_u32 s74, 0
	s_cselect_b32 s70, s72, s70
	s_wait_alu 0xfffe
	s_cselect_b32 s68, s68, s73
	s_cmp_lg_u32 s24, 0
	s_sub_co_ci_u32 s24, s69, s71
	s_wait_alu 0xfffe
	s_cmp_ge_u32 s24, s15
	s_cselect_b32 s69, -1, 0
	s_cmp_ge_u32 s21, s14
	s_cselect_b32 s14, -1, 0
	s_cmp_eq_u32 s24, s15
	s_wait_alu 0xfffe
	s_cselect_b32 s14, s14, s69
	s_wait_alu 0xfffe
	s_cmp_lg_u32 s14, 0
	s_cselect_b32 s15, s68, s24
	s_cselect_b32 s14, s70, s21
	s_wait_alu 0xfffe
	s_xor_b64 s[14:15], s[14:15], s[22:23]
	s_wait_alu 0xfffe
	s_sub_nc_u64 s[14:15], s[14:15], s[22:23]
	s_cbranch_execnz .LBB23_121
.LBB23_120:                             ;   in Loop: Header=BB23_32 Depth=1
	v_cvt_f32_u32_e32 v6, s50
	s_sub_co_i32 s15, 0, s50
	s_delay_alu instid0(VALU_DEP_1) | instskip(NEXT) | instid1(TRANS32_DEP_1)
	v_rcp_iflag_f32_e32 v6, v6
	v_mul_f32_e32 v6, 0x4f7ffffe, v6
	s_delay_alu instid0(VALU_DEP_1) | instskip(NEXT) | instid1(VALU_DEP_1)
	v_cvt_u32_f32_e32 v6, v6
	v_readfirstlane_b32 s14, v6
	s_wait_alu 0xfffe
	s_mul_i32 s15, s15, s14
	s_wait_alu 0xfffe
	s_mul_hi_u32 s15, s14, s15
	s_wait_alu 0xfffe
	s_add_co_i32 s14, s14, s15
	s_wait_alu 0xfffe
	s_mul_hi_u32 s14, s12, s14
	s_wait_alu 0xfffe
	s_mul_i32 s14, s14, s50
	s_wait_alu 0xfffe
	s_sub_co_i32 s14, s12, s14
	s_wait_alu 0xfffe
	s_sub_co_i32 s15, s14, s50
	s_cmp_ge_u32 s14, s50
	s_wait_alu 0xfffe
	s_cselect_b32 s14, s15, s14
	s_wait_alu 0xfffe
	s_sub_co_i32 s15, s14, s50
	s_cmp_ge_u32 s14, s50
	s_wait_alu 0xfffe
	s_cselect_b32 s24, s15, s14
	s_wait_alu 0xfffe
	s_mov_b64 s[14:15], s[24:25]
.LBB23_121:                             ;   in Loop: Header=BB23_32 Depth=1
	s_wait_alu 0xfffe
	s_sub_nc_u64 s[12:13], s[12:13], s[14:15]
	s_mov_b32 s14, exec_lo
                                        ; implicit-def: $vgpr28
	s_wait_alu 0xfffe
	v_cmpx_gt_i64_e64 s[12:13], v[0:1]
	s_cbranch_execz .LBB23_130
; %bb.122:                              ;   in Loop: Header=BB23_32 Depth=1
	v_dual_mov_b32 v8, v14 :: v_dual_mov_b32 v7, v1
	v_mov_b32_e32 v6, v0
	s_mov_b32 s15, 0
                                        ; implicit-def: $sgpr21
	s_branch .LBB23_125
.LBB23_123:                             ;   in Loop: Header=BB23_125 Depth=2
	s_or_b32 exec_lo, exec_lo, s22
	s_wait_loadcnt_dscnt 0x0
	s_barrier_signal -1
	s_barrier_wait -1
	global_inv scope:SCOPE_SE
	ds_load_b64 v[27:28], v13 offset:3072
	s_mov_b32 s22, -1
	s_mov_b32 s23, -1
	s_wait_loadcnt_dscnt 0x0
	s_barrier_signal -1
	s_barrier_wait -1
	global_inv scope:SCOPE_SE
	v_cmp_ne_u32_e32 vcc_lo, 0, v27
	s_cbranch_vccz .LBB23_128
.LBB23_124:                             ;   in Loop: Header=BB23_125 Depth=2
	s_and_b32 s22, exec_lo, s22
	s_wait_alu 0xfffe
	s_or_b32 s15, s22, s15
	s_and_not1_b32 s21, s21, exec_lo
	s_and_b32 s22, s23, exec_lo
	s_wait_alu 0xfffe
	s_or_b32 s21, s21, s22
	s_and_not1_b32 exec_lo, exec_lo, s15
	s_cbranch_execz .LBB23_129
.LBB23_125:                             ;   Parent Loop BB23_32 Depth=1
                                        ; =>  This Inner Loop Header: Depth=2
	s_mov_b32 s22, exec_lo
	s_delay_alu instid0(VALU_DEP_1)
	v_cmpx_gt_u64_e64 s[10:11], v[6:7]
	s_cbranch_execz .LBB23_123
; %bb.126:                              ;   in Loop: Header=BB23_125 Depth=2
	ds_load_b32 v27, v8
	s_wait_dscnt 0x0
	v_xor_b32_e32 v9, 0x80000000, v27
	s_delay_alu instid0(VALU_DEP_1) | instskip(NEXT) | instid1(VALU_DEP_1)
	v_and_b32_e32 v9, v9, v52
	v_cmp_eq_u32_e32 vcc_lo, v9, v48
	s_and_b32 exec_lo, exec_lo, vcc_lo
	s_cbranch_execz .LBB23_123
; %bb.127:                              ;   in Loop: Header=BB23_125 Depth=2
	ds_store_b64 v13, v[26:27] offset:3072
	s_branch .LBB23_123
.LBB23_128:                             ;   in Loop: Header=BB23_125 Depth=2
	v_add_co_u32 v6, vcc_lo, v6, s50
	s_wait_alu 0xfffd
	v_add_co_ci_u32_e64 v7, null, 0, v7, vcc_lo
	v_add_nc_u32_e32 v8, s90, v8
	s_mov_b32 s23, 0
	s_delay_alu instid0(VALU_DEP_2)
	v_cmp_le_i64_e32 vcc_lo, s[12:13], v[6:7]
	s_or_not1_b32 s22, vcc_lo, exec_lo
	s_branch .LBB23_124
.LBB23_129:                             ;   in Loop: Header=BB23_32 Depth=1
	s_or_b32 exec_lo, exec_lo, s15
	s_delay_alu instid0(SALU_CYCLE_1)
	s_and_not1_b32 s5, s5, exec_lo
	s_wait_alu 0xfffe
	s_and_b32 s10, s21, exec_lo
	s_wait_alu 0xfffe
	s_or_b32 s5, s5, s10
.LBB23_130:                             ;   in Loop: Header=BB23_32 Depth=1
	s_or_b32 exec_lo, exec_lo, s14
	s_mov_b32 s14, 0
	s_mov_b32 s15, -1
.LBB23_131:                             ;   in Loop: Header=BB23_32 Depth=1
	s_wait_alu 0xfffe
	s_or_not1_b32 s5, s5, exec_lo
.LBB23_132:                             ;   in Loop: Header=BB23_32 Depth=1
	s_wait_alu 0xfffe
	s_or_b32 exec_lo, exec_lo, s17
	s_delay_alu instid0(SALU_CYCLE_1)
	s_and_not1_b32 s10, s98, exec_lo
	s_and_b32 s11, s15, exec_lo
	s_and_not1_b32 s12, s96, exec_lo
	s_and_b32 s13, s14, exec_lo
	s_and_not1_b32 s95, s95, exec_lo
	s_wait_alu 0xfffe
	s_or_b32 s98, s10, s11
	s_or_b32 s96, s12, s13
                                        ; implicit-def: $vgpr6_vgpr7
	s_and_saveexec_b32 s17, s5
	s_cbranch_execz .LBB23_31
; %bb.133:                              ;   in Loop: Header=BB23_32 Depth=1
	v_mov_b32_e32 v6, 1
	v_dual_mov_b32 v7, 0 :: v_dual_mov_b32 v12, 1
	s_xor_b32 s11, s19, -1
	s_mov_b32 s10, 0
	s_wait_alu 0xfffe
	s_and_saveexec_b32 s5, s11
	s_cbranch_execz .LBB23_142
; %bb.134:                              ;   in Loop: Header=BB23_32 Depth=1
	s_mov_b32 s10, exec_lo
	v_cmpx_le_i64_e64 v[29:30], v[2:3]
	s_wait_alu 0xfffe
	s_xor_b32 s10, exec_lo, s10
	s_cbranch_execz .LBB23_139
; %bb.135:                              ;   in Loop: Header=BB23_32 Depth=1
	ds_load_b64 v[6:7], v13 offset:5120
	v_and_b32_e32 v48, s20, v48
	v_or_b32_e32 v52, s16, v52
	s_wait_dscnt 0x0
	v_cmp_ne_u64_e32 vcc_lo, 0, v[6:7]
	s_cbranch_vccnz .LBB23_139
; %bb.136:                              ;   in Loop: Header=BB23_32 Depth=1
	s_and_saveexec_b32 s11, s2
; %bb.137:                              ;   in Loop: Header=BB23_32 Depth=1
	ds_store_b64 v13, v[2:3] offset:5128
; %bb.138:                              ;   in Loop: Header=BB23_32 Depth=1
	s_wait_alu 0xfffe
	s_or_b32 exec_lo, exec_lo, s11
	s_wait_loadcnt_dscnt 0x0
	s_barrier_signal -1
	s_barrier_wait -1
	global_inv scope:SCOPE_SE
.LBB23_139:                             ;   in Loop: Header=BB23_32 Depth=1
	s_wait_alu 0xfffe
	s_or_saveexec_b32 s10, s10
	v_mov_b32_e32 v12, 8
	s_mov_b32 s11, 0
	s_wait_alu 0xfffe
	s_xor_b32 exec_lo, exec_lo, s10
; %bb.140:                              ;   in Loop: Header=BB23_32 Depth=1
	v_sub_co_u32 v29, vcc_lo, v29, v2
	s_wait_alu 0xfffd
	v_sub_co_ci_u32_e64 v30, null, v30, v3, vcc_lo
	v_mov_b32_e32 v12, 0
	s_mov_b32 s11, exec_lo
; %bb.141:                              ;   in Loop: Header=BB23_32 Depth=1
	s_or_b32 exec_lo, exec_lo, s10
	s_delay_alu instid0(VALU_DEP_2)
	v_dual_mov_b32 v6, v29 :: v_dual_mov_b32 v7, v30
	s_wait_alu 0xfffe
	s_and_b32 s10, s11, exec_lo
.LBB23_142:                             ;   in Loop: Header=BB23_32 Depth=1
	s_wait_alu 0xfffe
	s_or_b32 exec_lo, exec_lo, s5
	s_mov_b32 s18, -1
	s_mov_b32 s5, -1
                                        ; implicit-def: $sgpr21
                                        ; implicit-def: $sgpr22
	s_and_saveexec_b32 s11, s10
	s_wait_alu 0xfffe
	s_xor_b32 s19, exec_lo, s11
	s_cbranch_execz .LBB23_284
; %bb.143:                              ;   in Loop: Header=BB23_32 Depth=1
	v_cmp_eq_u64_e32 vcc_lo, 1, v[4:5]
	v_cmp_eq_u64_e64 s5, 1, v[6:7]
                                        ; implicit-def: $sgpr22
                                        ; implicit-def: $sgpr21
	s_and_b32 s68, vcc_lo, s5
	s_mov_b32 s5, -1
	s_wait_alu 0xfffe
	s_and_saveexec_b32 s23, s68
	s_cbranch_execz .LBB23_177
; %bb.144:                              ;   in Loop: Header=BB23_32 Depth=1
	ds_load_b64 v[2:3], v13 offset:5120
	s_wait_loadcnt_dscnt 0x0
	s_barrier_signal -1
	s_barrier_wait -1
	global_inv scope:SCOPE_SE
	v_readfirstlane_b32 s10, v2
	v_readfirstlane_b32 s11, v3
	s_and_saveexec_b32 s5, s3
; %bb.145:                              ;   in Loop: Header=BB23_32 Depth=1
	ds_store_b32 v42, v13
; %bb.146:                              ;   in Loop: Header=BB23_32 Depth=1
	s_wait_alu 0xfffe
	s_or_b32 exec_lo, exec_lo, s5
	s_lshl_b32 s5, 1, s91
	v_or_b32_e32 v52, s16, v52
	s_wait_alu 0xfffe
	v_and_or_b32 v48, v48, s20, s5
	v_cmp_gt_i64_e64 s5, s[10:11], 0
	s_mov_b32 s21, -1
	s_mov_b32 s22, 0
	s_mov_b32 s14, -1
	s_wait_loadcnt_dscnt 0x0
	s_barrier_signal -1
	s_and_b32 vcc_lo, exec_lo, s5
	s_mov_b32 s5, 0
	s_barrier_wait -1
	global_inv scope:SCOPE_SE
                                        ; implicit-def: $vgpr28
	s_wait_alu 0xfffe
	s_cbranch_vccnz .LBB23_162
; %bb.147:                              ;   in Loop: Header=BB23_32 Depth=1
	s_mov_b32 s12, s25
	s_mov_b32 s13, s61
	s_wait_alu 0xfffe
	s_cmp_lg_u64 s[12:13], 0
	s_cbranch_scc0 .LBB23_204
; %bb.148:                              ;   in Loop: Header=BB23_32 Depth=1
	s_add_nc_u64 s[12:13], s[50:51], 0
	s_wait_alu 0xfffe
	s_xor_b64 s[12:13], s[12:13], 0
	s_wait_alu 0xfffe
	s_cvt_f32_u32 s5, s12
	s_cvt_f32_u32 s14, s13
	s_sub_nc_u64 s[70:71], 0, s[12:13]
	s_wait_alu 0xfffe
	s_delay_alu instid0(SALU_CYCLE_1) | instskip(SKIP_1) | instid1(SALU_CYCLE_2)
	s_fmamk_f32 s5, s14, 0x4f800000, s5
	s_wait_alu 0xfffe
	v_s_rcp_f32 s5, s5
	s_delay_alu instid0(TRANS32_DEP_1) | instskip(SKIP_1) | instid1(SALU_CYCLE_2)
	s_mul_f32 s5, s5, 0x5f7ffffc
	s_wait_alu 0xfffe
	s_mul_f32 s14, s5, 0x2f800000
	s_wait_alu 0xfffe
	s_delay_alu instid0(SALU_CYCLE_2) | instskip(SKIP_1) | instid1(SALU_CYCLE_2)
	s_trunc_f32 s14, s14
	s_wait_alu 0xfffe
	s_fmamk_f32 s5, s14, 0xcf800000, s5
	s_cvt_u32_f32 s15, s14
	s_wait_alu 0xfffe
	s_delay_alu instid0(SALU_CYCLE_1) | instskip(SKIP_1) | instid1(SALU_CYCLE_2)
	s_cvt_u32_f32 s14, s5
	s_wait_alu 0xfffe
	s_mul_u64 s[72:73], s[70:71], s[14:15]
	s_wait_alu 0xfffe
	s_mul_hi_u32 s75, s14, s73
	s_mul_i32 s74, s14, s73
	s_mul_hi_u32 s24, s14, s72
	s_mul_i32 s69, s15, s72
	s_wait_alu 0xfffe
	s_add_nc_u64 s[74:75], s[24:25], s[74:75]
	s_mul_hi_u32 s5, s15, s72
	s_mul_hi_u32 s76, s15, s73
	s_wait_alu 0xfffe
	s_add_co_u32 s24, s74, s69
	s_add_co_ci_u32 s24, s75, s5
	s_mul_i32 s72, s15, s73
	s_add_co_ci_u32 s73, s76, 0
	s_wait_alu 0xfffe
	s_add_nc_u64 s[72:73], s[24:25], s[72:73]
	s_wait_alu 0xfffe
	s_add_co_u32 s14, s14, s72
	s_cselect_b32 s5, -1, 0
	s_wait_alu 0xfffe
	s_cmp_lg_u32 s5, 0
	s_add_co_ci_u32 s15, s15, s73
	s_wait_alu 0xfffe
	s_mul_u64 s[70:71], s[70:71], s[14:15]
	s_wait_alu 0xfffe
	s_mul_hi_u32 s73, s14, s71
	s_mul_i32 s72, s14, s71
	s_mul_hi_u32 s24, s14, s70
	s_mul_i32 s69, s15, s70
	s_wait_alu 0xfffe
	s_add_nc_u64 s[72:73], s[24:25], s[72:73]
	s_mul_hi_u32 s5, s15, s70
	s_mul_hi_u32 s74, s15, s71
	s_wait_alu 0xfffe
	s_add_co_u32 s24, s72, s69
	s_add_co_ci_u32 s24, s73, s5
	s_mul_i32 s70, s15, s71
	s_add_co_ci_u32 s71, s74, 0
	s_wait_alu 0xfffe
	s_add_nc_u64 s[70:71], s[24:25], s[70:71]
	s_wait_alu 0xfffe
	s_add_co_u32 s5, s14, s70
	s_cselect_b32 s14, -1, 0
	s_wait_alu 0xfffe
	s_cmp_lg_u32 s14, 0
	s_add_co_ci_u32 s69, s15, s71
	s_ashr_i32 s14, s61, 31
	s_wait_alu 0xfffe
	s_mov_b32 s15, s14
	s_wait_alu 0xfffe
	s_add_nc_u64 s[70:71], s[60:61], s[14:15]
	s_wait_alu 0xfffe
	s_xor_b64 s[70:71], s[70:71], s[14:15]
	s_wait_alu 0xfffe
	s_mul_hi_u32 s73, s70, s69
	s_mul_i32 s72, s70, s69
	s_mul_hi_u32 s24, s70, s5
	s_mul_hi_u32 s76, s71, s5
	s_mul_i32 s5, s71, s5
	s_wait_alu 0xfffe
	s_add_nc_u64 s[72:73], s[24:25], s[72:73]
	s_mul_hi_u32 s75, s71, s69
	s_wait_alu 0xfffe
	s_add_co_u32 s5, s72, s5
	s_add_co_ci_u32 s24, s73, s76
	s_mul_i32 s74, s71, s69
	s_add_co_ci_u32 s75, s75, 0
	s_wait_alu 0xfffe
	s_add_nc_u64 s[72:73], s[24:25], s[74:75]
	s_wait_alu 0xfffe
	s_mul_u64 s[72:73], s[12:13], s[72:73]
	s_wait_alu 0xfffe
	s_sub_co_u32 s5, s70, s72
	s_cselect_b32 s24, -1, 0
	s_sub_co_i32 s69, s71, s73
	s_wait_alu 0xfffe
	s_cmp_lg_u32 s24, 0
	s_sub_co_ci_u32 s69, s69, s13
	s_sub_co_u32 s70, s5, s12
	s_cselect_b32 s72, -1, 0
	s_wait_alu 0xfffe
	s_cmp_lg_u32 s72, 0
	s_sub_co_ci_u32 s74, s69, 0
	s_wait_alu 0xfffe
	s_cmp_ge_u32 s74, s13
	s_cselect_b32 s75, -1, 0
	s_cmp_ge_u32 s70, s12
	s_cselect_b32 s76, -1, 0
	s_cmp_eq_u32 s74, s13
	s_wait_alu 0xfffe
	s_cselect_b32 s75, s76, s75
	s_cmp_lg_u32 s72, 0
	s_sub_co_ci_u32 s69, s69, s13
	s_sub_co_u32 s72, s70, s12
	s_cselect_b32 s76, -1, 0
	s_wait_alu 0xfffe
	s_cmp_lg_u32 s76, 0
	s_sub_co_ci_u32 s69, s69, 0
	s_cmp_lg_u32 s75, 0
	s_cselect_b32 s70, s72, s70
	s_wait_alu 0xfffe
	s_cselect_b32 s69, s69, s74
	s_cmp_lg_u32 s24, 0
	s_sub_co_ci_u32 s24, s71, s73
	s_wait_alu 0xfffe
	s_cmp_ge_u32 s24, s13
	s_cselect_b32 s71, -1, 0
	s_cmp_ge_u32 s5, s12
	s_cselect_b32 s12, -1, 0
	s_cmp_eq_u32 s24, s13
	s_wait_alu 0xfffe
	s_cselect_b32 s12, s12, s71
	s_wait_alu 0xfffe
	s_cmp_lg_u32 s12, 0
	s_cselect_b32 s13, s69, s24
	s_cselect_b32 s12, s70, s5
	s_wait_alu 0xfffe
	s_xor_b64 s[12:13], s[12:13], s[14:15]
	s_wait_alu 0xfffe
	s_sub_nc_u64 s[12:13], s[12:13], s[14:15]
	s_cbranch_execnz .LBB23_150
.LBB23_149:                             ;   in Loop: Header=BB23_32 Depth=1
	v_cvt_f32_u32_e32 v2, s50
	s_sub_co_i32 s12, 0, s50
	s_delay_alu instid0(VALU_DEP_1) | instskip(NEXT) | instid1(TRANS32_DEP_1)
	v_rcp_iflag_f32_e32 v2, v2
	v_mul_f32_e32 v2, 0x4f7ffffe, v2
	s_delay_alu instid0(VALU_DEP_1) | instskip(NEXT) | instid1(VALU_DEP_1)
	v_cvt_u32_f32_e32 v2, v2
	v_readfirstlane_b32 s5, v2
	s_wait_alu 0xfffe
	s_mul_i32 s12, s12, s5
	s_wait_alu 0xfffe
	s_mul_hi_u32 s12, s5, s12
	s_wait_alu 0xfffe
	s_add_co_i32 s5, s5, s12
	s_wait_alu 0xfffe
	s_mul_hi_u32 s5, s60, s5
	s_wait_alu 0xfffe
	s_mul_i32 s5, s5, s50
	s_wait_alu 0xfffe
	s_sub_co_i32 s5, s60, s5
	s_wait_alu 0xfffe
	s_sub_co_i32 s12, s5, s50
	s_cmp_ge_u32 s5, s50
	s_wait_alu 0xfffe
	s_cselect_b32 s5, s12, s5
	s_wait_alu 0xfffe
	s_sub_co_i32 s12, s5, s50
	s_cmp_ge_u32 s5, s50
	s_wait_alu 0xfffe
	s_cselect_b32 s24, s12, s5
	s_wait_alu 0xfffe
	s_mov_b64 s[12:13], s[24:25]
.LBB23_150:                             ;   in Loop: Header=BB23_32 Depth=1
	s_wait_alu 0xfffe
	s_sub_nc_u64 s[12:13], s[60:61], s[12:13]
	s_mov_b32 s14, 0
	s_mov_b32 s5, 0
	s_mov_b32 s15, exec_lo
                                        ; implicit-def: $vgpr28
	s_wait_alu 0xfffe
	v_cmpx_gt_i64_e64 s[12:13], v[0:1]
	s_cbranch_execz .LBB23_161
; %bb.151:                              ;   in Loop: Header=BB23_32 Depth=1
	v_dual_mov_b32 v2, v10 :: v_dual_mov_b32 v3, v11
	v_dual_mov_b32 v9, v1 :: v_dual_mov_b32 v8, v0
	s_mov_b32 s24, 0
                                        ; implicit-def: $sgpr69
	s_branch .LBB23_154
.LBB23_152:                             ;   in Loop: Header=BB23_154 Depth=2
	s_wait_alu 0xfffe
	s_or_b32 exec_lo, exec_lo, s5
	s_wait_loadcnt_dscnt 0x0
	s_barrier_signal -1
	s_barrier_wait -1
	global_inv scope:SCOPE_SE
	ds_load_b64 v[27:28], v13 offset:3072
	s_mov_b32 s5, -1
	s_mov_b32 s70, -1
	s_wait_loadcnt_dscnt 0x0
	s_barrier_signal -1
	s_barrier_wait -1
	global_inv scope:SCOPE_SE
	v_cmp_ne_u32_e32 vcc_lo, 0, v27
	s_cbranch_vccz .LBB23_157
.LBB23_153:                             ;   in Loop: Header=BB23_154 Depth=2
	s_wait_alu 0xfffe
	s_and_b32 s5, exec_lo, s5
	s_wait_alu 0xfffe
	s_or_b32 s24, s5, s24
	s_and_not1_b32 s5, s69, exec_lo
	s_and_b32 s69, s70, exec_lo
	s_wait_alu 0xfffe
	s_or_b32 s69, s5, s69
	s_and_not1_b32 exec_lo, exec_lo, s24
	s_cbranch_execz .LBB23_160
.LBB23_154:                             ;   Parent Loop BB23_32 Depth=1
                                        ; =>  This Inner Loop Header: Depth=2
	s_mov_b32 s5, exec_lo
	s_delay_alu instid0(VALU_DEP_1)
	v_cmpx_gt_i64_e64 s[36:37], v[8:9]
	s_cbranch_execz .LBB23_152
; %bb.155:                              ;   in Loop: Header=BB23_154 Depth=2
	global_load_b32 v27, v[2:3], off
	s_wait_loadcnt 0x0
	v_xor_b32_e32 v28, 0x80000000, v27
	s_delay_alu instid0(VALU_DEP_1) | instskip(NEXT) | instid1(VALU_DEP_1)
	v_and_b32_e32 v28, v28, v52
	v_cmp_eq_u32_e32 vcc_lo, v28, v48
	s_and_b32 exec_lo, exec_lo, vcc_lo
	s_cbranch_execz .LBB23_152
; %bb.156:                              ;   in Loop: Header=BB23_154 Depth=2
	ds_store_b64 v13, v[26:27] offset:3072
	s_branch .LBB23_152
.LBB23_157:                             ;   in Loop: Header=BB23_154 Depth=2
	v_add_co_u32 v8, vcc_lo, v8, s50
	s_wait_alu 0xfffd
	v_add_co_ci_u32_e64 v9, null, 0, v9, vcc_lo
	v_add_co_u32 v2, s5, v2, s52
	s_wait_alu 0xf1fe
	v_add_co_ci_u32_e64 v3, null, s53, v3, s5
	s_delay_alu instid0(VALU_DEP_3)
	v_cmp_le_i64_e32 vcc_lo, s[12:13], v[8:9]
	s_mov_b32 s70, 0
	s_or_not1_b32 s5, vcc_lo, exec_lo
	s_branch .LBB23_153
.LBB23_158:                             ;   in Loop: Header=BB23_32 Depth=1
                                        ; implicit-def: $sgpr12_sgpr13
	s_branch .LBB23_106
.LBB23_159:                             ;   in Loop: Header=BB23_32 Depth=1
                                        ; implicit-def: $sgpr14_sgpr15
	s_branch .LBB23_120
.LBB23_160:                             ;   in Loop: Header=BB23_32 Depth=1
	s_or_b32 exec_lo, exec_lo, s24
	s_wait_alu 0xfffe
	s_and_b32 s5, s69, exec_lo
.LBB23_161:                             ;   in Loop: Header=BB23_32 Depth=1
	s_or_b32 exec_lo, exec_lo, s15
.LBB23_162:                             ;   in Loop: Header=BB23_32 Depth=1
	s_delay_alu instid0(SALU_CYCLE_1)
	s_and_b32 vcc_lo, exec_lo, s14
	s_wait_alu 0xfffe
	s_cbranch_vccz .LBB23_176
; %bb.163:                              ;   in Loop: Header=BB23_32 Depth=1
	s_add_nc_u64 s[12:13], s[10:11], s[58:59]
	s_mov_b32 s14, s25
	s_wait_alu 0xfffe
	s_mov_b32 s15, s13
	s_wait_alu 0xfffe
	s_cmp_lg_u64 s[14:15], 0
	s_cbranch_scc0 .LBB23_205
; %bb.164:                              ;   in Loop: Header=BB23_32 Depth=1
	s_add_nc_u64 s[14:15], s[50:51], 0
	s_wait_alu 0xfffe
	s_xor_b64 s[14:15], s[14:15], 0
	s_wait_alu 0xfffe
	s_cvt_f32_u32 s21, s14
	s_cvt_f32_u32 s22, s15
	s_sub_nc_u64 s[72:73], 0, s[14:15]
	s_wait_alu 0xfffe
	s_delay_alu instid0(SALU_CYCLE_1) | instskip(SKIP_1) | instid1(SALU_CYCLE_2)
	s_fmamk_f32 s21, s22, 0x4f800000, s21
	s_wait_alu 0xfffe
	v_s_rcp_f32 s21, s21
	s_delay_alu instid0(TRANS32_DEP_1) | instskip(SKIP_1) | instid1(SALU_CYCLE_2)
	s_mul_f32 s21, s21, 0x5f7ffffc
	s_wait_alu 0xfffe
	s_mul_f32 s22, s21, 0x2f800000
	s_delay_alu instid0(SALU_CYCLE_3) | instskip(NEXT) | instid1(SALU_CYCLE_3)
	s_trunc_f32 s22, s22
	s_fmamk_f32 s21, s22, 0xcf800000, s21
	s_cvt_u32_f32 s71, s22
	s_wait_alu 0xfffe
	s_delay_alu instid0(SALU_CYCLE_1) | instskip(SKIP_1) | instid1(SALU_CYCLE_2)
	s_cvt_u32_f32 s70, s21
	s_wait_alu 0xfffe
	s_mul_u64 s[74:75], s[72:73], s[70:71]
	s_wait_alu 0xfffe
	s_mul_hi_u32 s77, s70, s75
	s_mul_i32 s76, s70, s75
	s_mul_hi_u32 s24, s70, s74
	s_mul_i32 s22, s71, s74
	s_wait_alu 0xfffe
	s_add_nc_u64 s[76:77], s[24:25], s[76:77]
	s_mul_hi_u32 s21, s71, s74
	s_mul_hi_u32 s69, s71, s75
	s_wait_alu 0xfffe
	s_add_co_u32 s22, s76, s22
	s_add_co_ci_u32 s24, s77, s21
	s_mul_i32 s74, s71, s75
	s_add_co_ci_u32 s75, s69, 0
	s_wait_alu 0xfffe
	s_add_nc_u64 s[74:75], s[24:25], s[74:75]
	s_wait_alu 0xfffe
	s_add_co_u32 s70, s70, s74
	s_cselect_b32 s21, -1, 0
	s_wait_alu 0xfffe
	s_cmp_lg_u32 s21, 0
	s_add_co_ci_u32 s71, s71, s75
	s_wait_alu 0xfffe
	s_mul_u64 s[72:73], s[72:73], s[70:71]
	s_wait_alu 0xfffe
	s_mul_hi_u32 s75, s70, s73
	s_mul_i32 s74, s70, s73
	s_mul_hi_u32 s24, s70, s72
	s_mul_i32 s22, s71, s72
	s_wait_alu 0xfffe
	s_add_nc_u64 s[74:75], s[24:25], s[74:75]
	s_mul_hi_u32 s21, s71, s72
	s_mul_hi_u32 s69, s71, s73
	s_wait_alu 0xfffe
	s_add_co_u32 s22, s74, s22
	s_add_co_ci_u32 s24, s75, s21
	s_mul_i32 s72, s71, s73
	s_add_co_ci_u32 s73, s69, 0
	s_wait_alu 0xfffe
	s_add_nc_u64 s[72:73], s[24:25], s[72:73]
	s_wait_alu 0xfffe
	s_add_co_u32 s21, s70, s72
	s_cselect_b32 s22, -1, 0
	s_delay_alu instid0(SALU_CYCLE_1)
	s_cmp_lg_u32 s22, 0
	s_add_co_ci_u32 s22, s71, s73
	s_ashr_i32 s70, s13, 31
	s_wait_alu 0xfffe
	s_mov_b32 s71, s70
	s_wait_alu 0xfffe
	s_add_nc_u64 s[72:73], s[12:13], s[70:71]
	s_wait_alu 0xfffe
	s_xor_b64 s[72:73], s[72:73], s[70:71]
	s_wait_alu 0xfffe
	s_mul_hi_u32 s75, s72, s22
	s_mul_i32 s74, s72, s22
	s_mul_hi_u32 s24, s72, s21
	s_mul_hi_u32 s77, s73, s21
	s_mul_i32 s21, s73, s21
	s_wait_alu 0xfffe
	s_add_nc_u64 s[74:75], s[24:25], s[74:75]
	s_mul_hi_u32 s69, s73, s22
	s_wait_alu 0xfffe
	s_add_co_u32 s21, s74, s21
	s_add_co_ci_u32 s24, s75, s77
	s_mul_i32 s76, s73, s22
	s_add_co_ci_u32 s77, s69, 0
	s_wait_alu 0xfffe
	s_add_nc_u64 s[74:75], s[24:25], s[76:77]
	s_wait_alu 0xfffe
	s_mul_u64 s[74:75], s[14:15], s[74:75]
	s_wait_alu 0xfffe
	s_sub_co_u32 s21, s72, s74
	s_cselect_b32 s22, -1, 0
	s_sub_co_i32 s24, s73, s75
	s_cmp_lg_u32 s22, 0
	s_wait_alu 0xfffe
	s_sub_co_ci_u32 s24, s24, s15
	s_sub_co_u32 s69, s21, s14
	s_cselect_b32 s72, -1, 0
	s_wait_alu 0xfffe
	s_cmp_lg_u32 s72, 0
	s_sub_co_ci_u32 s74, s24, 0
	s_wait_alu 0xfffe
	s_cmp_ge_u32 s74, s15
	s_cselect_b32 s76, -1, 0
	s_cmp_ge_u32 s69, s14
	s_cselect_b32 s77, -1, 0
	s_cmp_eq_u32 s74, s15
	s_wait_alu 0xfffe
	s_cselect_b32 s76, s77, s76
	s_cmp_lg_u32 s72, 0
	s_sub_co_ci_u32 s24, s24, s15
	s_sub_co_u32 s72, s69, s14
	s_cselect_b32 s77, -1, 0
	s_wait_alu 0xfffe
	s_cmp_lg_u32 s77, 0
	s_sub_co_ci_u32 s24, s24, 0
	s_cmp_lg_u32 s76, 0
	s_cselect_b32 s69, s72, s69
	s_wait_alu 0xfffe
	s_cselect_b32 s24, s24, s74
	s_cmp_lg_u32 s22, 0
	s_sub_co_ci_u32 s22, s73, s75
	s_delay_alu instid0(SALU_CYCLE_1)
	s_cmp_ge_u32 s22, s15
	s_cselect_b32 s72, -1, 0
	s_cmp_ge_u32 s21, s14
	s_cselect_b32 s14, -1, 0
	s_cmp_eq_u32 s22, s15
	s_wait_alu 0xfffe
	s_cselect_b32 s14, s14, s72
	s_wait_alu 0xfffe
	s_cmp_lg_u32 s14, 0
	s_cselect_b32 s15, s24, s22
	s_cselect_b32 s14, s69, s21
	s_wait_alu 0xfffe
	s_xor_b64 s[14:15], s[14:15], s[70:71]
	s_wait_alu 0xfffe
	s_sub_nc_u64 s[14:15], s[14:15], s[70:71]
	s_cbranch_execnz .LBB23_166
.LBB23_165:                             ;   in Loop: Header=BB23_32 Depth=1
	v_cvt_f32_u32_e32 v2, s50
	s_sub_co_i32 s15, 0, s50
	s_delay_alu instid0(VALU_DEP_1) | instskip(NEXT) | instid1(TRANS32_DEP_1)
	v_rcp_iflag_f32_e32 v2, v2
	v_mul_f32_e32 v2, 0x4f7ffffe, v2
	s_delay_alu instid0(VALU_DEP_1) | instskip(NEXT) | instid1(VALU_DEP_1)
	v_cvt_u32_f32_e32 v2, v2
	v_readfirstlane_b32 s14, v2
	s_wait_alu 0xfffe
	s_mul_i32 s15, s15, s14
	s_wait_alu 0xfffe
	s_mul_hi_u32 s15, s14, s15
	s_wait_alu 0xfffe
	s_add_co_i32 s14, s14, s15
	s_wait_alu 0xfffe
	s_mul_hi_u32 s14, s12, s14
	s_wait_alu 0xfffe
	s_mul_i32 s14, s14, s50
	s_wait_alu 0xfffe
	s_sub_co_i32 s14, s12, s14
	s_wait_alu 0xfffe
	s_sub_co_i32 s15, s14, s50
	s_cmp_ge_u32 s14, s50
	s_wait_alu 0xfffe
	s_cselect_b32 s14, s15, s14
	s_wait_alu 0xfffe
	s_sub_co_i32 s15, s14, s50
	s_cmp_ge_u32 s14, s50
	s_wait_alu 0xfffe
	s_cselect_b32 s24, s15, s14
	s_wait_alu 0xfffe
	s_mov_b64 s[14:15], s[24:25]
.LBB23_166:                             ;   in Loop: Header=BB23_32 Depth=1
	s_wait_alu 0xfffe
	s_sub_nc_u64 s[12:13], s[12:13], s[14:15]
	s_mov_b32 s14, exec_lo
                                        ; implicit-def: $vgpr28
	s_wait_alu 0xfffe
	v_cmpx_gt_i64_e64 s[12:13], v[0:1]
	s_cbranch_execz .LBB23_175
; %bb.167:                              ;   in Loop: Header=BB23_32 Depth=1
	v_dual_mov_b32 v8, v14 :: v_dual_mov_b32 v3, v1
	v_mov_b32_e32 v2, v0
	s_mov_b32 s15, 0
                                        ; implicit-def: $sgpr21
	s_branch .LBB23_170
.LBB23_168:                             ;   in Loop: Header=BB23_170 Depth=2
	s_or_b32 exec_lo, exec_lo, s22
	s_wait_loadcnt_dscnt 0x0
	s_barrier_signal -1
	s_barrier_wait -1
	global_inv scope:SCOPE_SE
	ds_load_b64 v[27:28], v13 offset:3072
	s_mov_b32 s22, -1
	s_mov_b32 s24, -1
	s_wait_loadcnt_dscnt 0x0
	s_barrier_signal -1
	s_barrier_wait -1
	global_inv scope:SCOPE_SE
	v_cmp_eq_u32_e32 vcc_lo, 0, v27
	s_cbranch_vccnz .LBB23_173
.LBB23_169:                             ;   in Loop: Header=BB23_170 Depth=2
	s_and_b32 s22, exec_lo, s22
	s_wait_alu 0xfffe
	s_or_b32 s15, s22, s15
	s_and_not1_b32 s21, s21, exec_lo
	s_and_b32 s22, s24, exec_lo
	s_wait_alu 0xfffe
	s_or_b32 s21, s21, s22
	s_and_not1_b32 exec_lo, exec_lo, s15
	s_cbranch_execz .LBB23_174
.LBB23_170:                             ;   Parent Loop BB23_32 Depth=1
                                        ; =>  This Inner Loop Header: Depth=2
	s_mov_b32 s22, exec_lo
	s_delay_alu instid0(VALU_DEP_1)
	v_cmpx_gt_u64_e64 s[10:11], v[2:3]
	s_cbranch_execz .LBB23_168
; %bb.171:                              ;   in Loop: Header=BB23_170 Depth=2
	ds_load_b32 v27, v8
	s_wait_dscnt 0x0
	v_xor_b32_e32 v9, 0x80000000, v27
	s_delay_alu instid0(VALU_DEP_1) | instskip(NEXT) | instid1(VALU_DEP_1)
	v_and_b32_e32 v9, v9, v52
	v_cmp_eq_u32_e32 vcc_lo, v9, v48
	s_and_b32 exec_lo, exec_lo, vcc_lo
	s_cbranch_execz .LBB23_168
; %bb.172:                              ;   in Loop: Header=BB23_170 Depth=2
	ds_store_b64 v13, v[26:27] offset:3072
	s_branch .LBB23_168
.LBB23_173:                             ;   in Loop: Header=BB23_170 Depth=2
	v_add_co_u32 v2, vcc_lo, v2, s50
	s_wait_alu 0xfffd
	v_add_co_ci_u32_e64 v3, null, 0, v3, vcc_lo
	v_add_nc_u32_e32 v8, s90, v8
	s_mov_b32 s24, 0
	s_delay_alu instid0(VALU_DEP_2)
	v_cmp_le_i64_e32 vcc_lo, s[12:13], v[2:3]
	s_or_not1_b32 s22, vcc_lo, exec_lo
	s_branch .LBB23_169
.LBB23_174:                             ;   in Loop: Header=BB23_32 Depth=1
	s_or_b32 exec_lo, exec_lo, s15
	s_delay_alu instid0(SALU_CYCLE_1)
	s_and_not1_b32 s5, s5, exec_lo
	s_wait_alu 0xfffe
	s_and_b32 s10, s21, exec_lo
	s_wait_alu 0xfffe
	s_or_b32 s5, s5, s10
.LBB23_175:                             ;   in Loop: Header=BB23_32 Depth=1
	s_or_b32 exec_lo, exec_lo, s14
	s_mov_b32 s21, 0
	s_mov_b32 s22, -1
.LBB23_176:                             ;   in Loop: Header=BB23_32 Depth=1
	s_wait_alu 0xfffe
	s_or_not1_b32 s5, s5, exec_lo
.LBB23_177:                             ;   in Loop: Header=BB23_32 Depth=1
	s_or_b32 exec_lo, exec_lo, s23
	s_mov_b32 s10, 0
	s_wait_alu 0xfffe
	s_and_saveexec_b32 s23, s5
	s_cbranch_execz .LBB23_283
; %bb.178:                              ;   in Loop: Header=BB23_32 Depth=1
	v_mov_b32_e32 v2, 1
	v_dual_mov_b32 v3, 0 :: v_dual_mov_b32 v12, 1
	s_xor_b32 s11, s68, -1
	s_wait_alu 0xfffe
	s_and_saveexec_b32 s5, s11
	s_cbranch_execz .LBB23_188
; %bb.179:                              ;   in Loop: Header=BB23_32 Depth=1
	s_mov_b32 s10, exec_lo
	v_cmpx_le_i64_e64 v[6:7], v[4:5]
	s_wait_alu 0xfffe
	s_xor_b32 s10, exec_lo, s10
	s_cbranch_execz .LBB23_185
; %bb.180:                              ;   in Loop: Header=BB23_32 Depth=1
	ds_load_b64 v[2:3], v13 offset:5120
	s_lshl_b32 s11, 1, s91
	v_or_b32_e32 v52, s16, v52
	s_wait_alu 0xfffe
	v_and_or_b32 v48, v48, s20, s11
	s_wait_dscnt 0x0
	v_cmp_ne_u64_e32 vcc_lo, 0, v[2:3]
	s_cbranch_vccnz .LBB23_184
; %bb.181:                              ;   in Loop: Header=BB23_32 Depth=1
	s_and_saveexec_b32 s11, s2
; %bb.182:                              ;   in Loop: Header=BB23_32 Depth=1
	ds_store_b64 v13, v[4:5] offset:5128
; %bb.183:                              ;   in Loop: Header=BB23_32 Depth=1
	s_wait_alu 0xfffe
	s_or_b32 exec_lo, exec_lo, s11
	s_wait_loadcnt_dscnt 0x0
	s_barrier_signal -1
	s_barrier_wait -1
	global_inv scope:SCOPE_SE
.LBB23_184:                             ;   in Loop: Header=BB23_32 Depth=1
                                        ; implicit-def: $vgpr2_vgpr3_vgpr4_vgpr5
.LBB23_185:                             ;   in Loop: Header=BB23_32 Depth=1
	s_wait_alu 0xfffe
	s_or_saveexec_b32 s10, s10
	v_mov_b32_e32 v12, 8
	s_mov_b32 s11, 0
	s_wait_alu 0xfffe
	s_xor_b32 exec_lo, exec_lo, s10
; %bb.186:                              ;   in Loop: Header=BB23_32 Depth=1
	v_sub_co_u32 v6, vcc_lo, v6, v4
	s_wait_alu 0xfffd
	v_sub_co_ci_u32_e64 v7, null, v7, v5, vcc_lo
	v_mov_b32_e32 v12, 0
	s_mov_b32 s11, exec_lo
; %bb.187:                              ;   in Loop: Header=BB23_32 Depth=1
	s_or_b32 exec_lo, exec_lo, s10
	s_delay_alu instid0(VALU_DEP_2)
	v_dual_mov_b32 v2, v6 :: v_dual_mov_b32 v3, v7
	s_wait_alu 0xfffe
	s_and_b32 s10, s11, exec_lo
.LBB23_188:                             ;   in Loop: Header=BB23_32 Depth=1
	s_wait_alu 0xfffe
	s_or_b32 exec_lo, exec_lo, s5
	s_mov_b32 s5, -1
                                        ; implicit-def: $sgpr14
                                        ; implicit-def: $sgpr15
	s_and_saveexec_b32 s68, s10
	s_cbranch_execz .LBB23_282
; %bb.189:                              ;   in Loop: Header=BB23_32 Depth=1
	v_cmp_eq_u64_e32 vcc_lo, 1, v[2:3]
	s_cmp_eq_u64 s[8:9], 1
                                        ; implicit-def: $sgpr15
                                        ; implicit-def: $sgpr14
	s_cselect_b32 s5, -1, 0
	s_wait_alu 0xfffe
	s_and_b32 s70, s5, vcc_lo
	s_mov_b32 s5, -1
	s_wait_alu 0xfffe
	s_and_saveexec_b32 s69, s70
	s_cbranch_execz .LBB23_223
; %bb.190:                              ;   in Loop: Header=BB23_32 Depth=1
	ds_load_b64 v[4:5], v13 offset:5120
	s_wait_loadcnt_dscnt 0x0
	s_barrier_signal -1
	s_barrier_wait -1
	global_inv scope:SCOPE_SE
	v_readfirstlane_b32 s10, v4
	v_readfirstlane_b32 s11, v5
	s_and_saveexec_b32 s5, s3
; %bb.191:                              ;   in Loop: Header=BB23_32 Depth=1
	ds_store_b32 v42, v13
; %bb.192:                              ;   in Loop: Header=BB23_32 Depth=1
	s_wait_alu 0xfffe
	s_or_b32 exec_lo, exec_lo, s5
	s_lshl_b32 s5, 2, s91
	v_or_b32_e32 v52, s16, v52
	s_wait_alu 0xfffe
	v_and_or_b32 v48, v48, s20, s5
	v_cmp_gt_i64_e64 s5, s[10:11], 0
	s_mov_b32 s14, -1
	s_mov_b32 s15, 0
	s_mov_b32 s24, -1
	s_wait_loadcnt_dscnt 0x0
	s_barrier_signal -1
	s_and_b32 vcc_lo, exec_lo, s5
	s_mov_b32 s5, 0
	s_barrier_wait -1
	global_inv scope:SCOPE_SE
                                        ; implicit-def: $vgpr28
	s_wait_alu 0xfffe
	s_cbranch_vccnz .LBB23_208
; %bb.193:                              ;   in Loop: Header=BB23_32 Depth=1
	s_mov_b32 s12, s25
	s_mov_b32 s13, s61
	s_wait_alu 0xfffe
	s_cmp_lg_u64 s[12:13], 0
	s_cbranch_scc0 .LBB23_249
; %bb.194:                              ;   in Loop: Header=BB23_32 Depth=1
	s_add_nc_u64 s[12:13], s[50:51], 0
	s_wait_alu 0xfffe
	s_xor_b64 s[12:13], s[12:13], 0
	s_wait_alu 0xfffe
	s_cvt_f32_u32 s5, s12
	s_cvt_f32_u32 s24, s13
	s_sub_nc_u64 s[74:75], 0, s[12:13]
	s_wait_alu 0xfffe
	s_delay_alu instid0(SALU_CYCLE_1) | instskip(SKIP_1) | instid1(SALU_CYCLE_2)
	s_fmamk_f32 s5, s24, 0x4f800000, s5
	s_wait_alu 0xfffe
	v_s_rcp_f32 s5, s5
	s_delay_alu instid0(TRANS32_DEP_1) | instskip(SKIP_1) | instid1(SALU_CYCLE_2)
	s_mul_f32 s5, s5, 0x5f7ffffc
	s_wait_alu 0xfffe
	s_mul_f32 s24, s5, 0x2f800000
	s_wait_alu 0xfffe
	s_delay_alu instid0(SALU_CYCLE_2) | instskip(SKIP_1) | instid1(SALU_CYCLE_2)
	s_trunc_f32 s24, s24
	s_wait_alu 0xfffe
	s_fmamk_f32 s5, s24, 0xcf800000, s5
	s_cvt_u32_f32 s73, s24
	s_wait_alu 0xfffe
	s_delay_alu instid0(SALU_CYCLE_1) | instskip(SKIP_1) | instid1(SALU_CYCLE_2)
	s_cvt_u32_f32 s72, s5
	s_wait_alu 0xfffe
	s_mul_u64 s[76:77], s[74:75], s[72:73]
	s_wait_alu 0xfffe
	s_mul_hi_u32 s79, s72, s77
	s_mul_i32 s78, s72, s77
	s_mul_hi_u32 s24, s72, s76
	s_mul_i32 s71, s73, s76
	s_wait_alu 0xfffe
	s_add_nc_u64 s[78:79], s[24:25], s[78:79]
	s_mul_hi_u32 s5, s73, s76
	s_mul_hi_u32 s80, s73, s77
	s_wait_alu 0xfffe
	s_add_co_u32 s24, s78, s71
	s_add_co_ci_u32 s24, s79, s5
	s_mul_i32 s76, s73, s77
	s_add_co_ci_u32 s77, s80, 0
	s_wait_alu 0xfffe
	s_add_nc_u64 s[76:77], s[24:25], s[76:77]
	s_wait_alu 0xfffe
	s_add_co_u32 s72, s72, s76
	s_cselect_b32 s5, -1, 0
	s_wait_alu 0xfffe
	s_cmp_lg_u32 s5, 0
	s_add_co_ci_u32 s73, s73, s77
	s_wait_alu 0xfffe
	s_mul_u64 s[74:75], s[74:75], s[72:73]
	s_wait_alu 0xfffe
	s_mul_hi_u32 s77, s72, s75
	s_mul_i32 s76, s72, s75
	s_mul_hi_u32 s24, s72, s74
	s_mul_i32 s71, s73, s74
	s_wait_alu 0xfffe
	s_add_nc_u64 s[76:77], s[24:25], s[76:77]
	s_mul_hi_u32 s5, s73, s74
	s_mul_hi_u32 s78, s73, s75
	s_wait_alu 0xfffe
	s_add_co_u32 s24, s76, s71
	s_add_co_ci_u32 s24, s77, s5
	s_mul_i32 s74, s73, s75
	s_add_co_ci_u32 s75, s78, 0
	s_wait_alu 0xfffe
	s_add_nc_u64 s[74:75], s[24:25], s[74:75]
	s_wait_alu 0xfffe
	s_add_co_u32 s5, s72, s74
	s_cselect_b32 s24, -1, 0
	s_wait_alu 0xfffe
	s_cmp_lg_u32 s24, 0
	s_add_co_ci_u32 s71, s73, s75
	s_ashr_i32 s72, s61, 31
	s_wait_alu 0xfffe
	s_mov_b32 s73, s72
	s_wait_alu 0xfffe
	s_add_nc_u64 s[74:75], s[60:61], s[72:73]
	s_wait_alu 0xfffe
	s_xor_b64 s[74:75], s[74:75], s[72:73]
	s_wait_alu 0xfffe
	s_mul_hi_u32 s77, s74, s71
	s_mul_i32 s76, s74, s71
	s_mul_hi_u32 s24, s74, s5
	s_mul_hi_u32 s80, s75, s5
	s_mul_i32 s5, s75, s5
	s_wait_alu 0xfffe
	s_add_nc_u64 s[76:77], s[24:25], s[76:77]
	s_mul_hi_u32 s79, s75, s71
	s_wait_alu 0xfffe
	s_add_co_u32 s5, s76, s5
	s_add_co_ci_u32 s24, s77, s80
	s_mul_i32 s78, s75, s71
	s_add_co_ci_u32 s79, s79, 0
	s_wait_alu 0xfffe
	s_add_nc_u64 s[76:77], s[24:25], s[78:79]
	s_wait_alu 0xfffe
	s_mul_u64 s[76:77], s[12:13], s[76:77]
	s_wait_alu 0xfffe
	s_sub_co_u32 s5, s74, s76
	s_cselect_b32 s24, -1, 0
	s_sub_co_i32 s71, s75, s77
	s_wait_alu 0xfffe
	s_cmp_lg_u32 s24, 0
	s_sub_co_ci_u32 s71, s71, s13
	s_sub_co_u32 s74, s5, s12
	s_cselect_b32 s76, -1, 0
	s_wait_alu 0xfffe
	s_cmp_lg_u32 s76, 0
	s_sub_co_ci_u32 s78, s71, 0
	s_wait_alu 0xfffe
	s_cmp_ge_u32 s78, s13
	s_cselect_b32 s79, -1, 0
	s_cmp_ge_u32 s74, s12
	s_cselect_b32 s80, -1, 0
	s_cmp_eq_u32 s78, s13
	s_wait_alu 0xfffe
	s_cselect_b32 s79, s80, s79
	s_cmp_lg_u32 s76, 0
	s_sub_co_ci_u32 s71, s71, s13
	s_sub_co_u32 s76, s74, s12
	s_cselect_b32 s80, -1, 0
	s_wait_alu 0xfffe
	s_cmp_lg_u32 s80, 0
	s_sub_co_ci_u32 s71, s71, 0
	s_cmp_lg_u32 s79, 0
	s_cselect_b32 s74, s76, s74
	s_wait_alu 0xfffe
	s_cselect_b32 s71, s71, s78
	s_cmp_lg_u32 s24, 0
	s_sub_co_ci_u32 s24, s75, s77
	s_wait_alu 0xfffe
	s_cmp_ge_u32 s24, s13
	s_cselect_b32 s75, -1, 0
	s_cmp_ge_u32 s5, s12
	s_cselect_b32 s12, -1, 0
	s_cmp_eq_u32 s24, s13
	s_wait_alu 0xfffe
	s_cselect_b32 s12, s12, s75
	s_wait_alu 0xfffe
	s_cmp_lg_u32 s12, 0
	s_cselect_b32 s13, s71, s24
	s_cselect_b32 s12, s74, s5
	s_wait_alu 0xfffe
	s_xor_b64 s[12:13], s[12:13], s[72:73]
	s_wait_alu 0xfffe
	s_sub_nc_u64 s[12:13], s[12:13], s[72:73]
	s_cbranch_execnz .LBB23_196
.LBB23_195:                             ;   in Loop: Header=BB23_32 Depth=1
	v_cvt_f32_u32_e32 v4, s50
	s_sub_co_i32 s12, 0, s50
	s_delay_alu instid0(VALU_DEP_1) | instskip(NEXT) | instid1(TRANS32_DEP_1)
	v_rcp_iflag_f32_e32 v4, v4
	v_mul_f32_e32 v4, 0x4f7ffffe, v4
	s_delay_alu instid0(VALU_DEP_1) | instskip(NEXT) | instid1(VALU_DEP_1)
	v_cvt_u32_f32_e32 v4, v4
	v_readfirstlane_b32 s5, v4
	s_wait_alu 0xfffe
	s_mul_i32 s12, s12, s5
	s_wait_alu 0xfffe
	s_mul_hi_u32 s12, s5, s12
	s_wait_alu 0xfffe
	s_add_co_i32 s5, s5, s12
	s_wait_alu 0xfffe
	s_mul_hi_u32 s5, s60, s5
	s_wait_alu 0xfffe
	s_mul_i32 s5, s5, s50
	s_wait_alu 0xfffe
	s_sub_co_i32 s5, s60, s5
	s_wait_alu 0xfffe
	s_sub_co_i32 s12, s5, s50
	s_cmp_ge_u32 s5, s50
	s_wait_alu 0xfffe
	s_cselect_b32 s5, s12, s5
	s_wait_alu 0xfffe
	s_sub_co_i32 s12, s5, s50
	s_cmp_ge_u32 s5, s50
	s_wait_alu 0xfffe
	s_cselect_b32 s24, s12, s5
	s_wait_alu 0xfffe
	s_mov_b64 s[12:13], s[24:25]
.LBB23_196:                             ;   in Loop: Header=BB23_32 Depth=1
	s_wait_alu 0xfffe
	s_sub_nc_u64 s[12:13], s[60:61], s[12:13]
	s_mov_b32 s24, 0
	s_mov_b32 s5, 0
	s_mov_b32 s71, exec_lo
                                        ; implicit-def: $vgpr28
	s_wait_alu 0xfffe
	v_cmpx_gt_i64_e64 s[12:13], v[0:1]
	s_cbranch_execz .LBB23_207
; %bb.197:                              ;   in Loop: Header=BB23_32 Depth=1
	v_dual_mov_b32 v4, v10 :: v_dual_mov_b32 v5, v11
	v_dual_mov_b32 v7, v1 :: v_dual_mov_b32 v6, v0
	s_mov_b32 s72, 0
                                        ; implicit-def: $sgpr73
	s_branch .LBB23_200
.LBB23_198:                             ;   in Loop: Header=BB23_200 Depth=2
	s_wait_alu 0xfffe
	s_or_b32 exec_lo, exec_lo, s5
	s_wait_loadcnt_dscnt 0x0
	s_barrier_signal -1
	s_barrier_wait -1
	global_inv scope:SCOPE_SE
	ds_load_b64 v[27:28], v13 offset:3072
	s_mov_b32 s5, -1
	s_mov_b32 s74, -1
	s_wait_loadcnt_dscnt 0x0
	s_barrier_signal -1
	s_barrier_wait -1
	global_inv scope:SCOPE_SE
	v_cmp_ne_u32_e32 vcc_lo, 0, v27
	s_cbranch_vccz .LBB23_203
.LBB23_199:                             ;   in Loop: Header=BB23_200 Depth=2
	s_wait_alu 0xfffe
	s_and_b32 s5, exec_lo, s5
	s_wait_alu 0xfffe
	s_or_b32 s72, s5, s72
	s_and_not1_b32 s5, s73, exec_lo
	s_and_b32 s73, s74, exec_lo
	s_wait_alu 0xfffe
	s_or_b32 s73, s5, s73
	s_and_not1_b32 exec_lo, exec_lo, s72
	s_cbranch_execz .LBB23_206
.LBB23_200:                             ;   Parent Loop BB23_32 Depth=1
                                        ; =>  This Inner Loop Header: Depth=2
	s_mov_b32 s5, exec_lo
	s_delay_alu instid0(VALU_DEP_1)
	v_cmpx_gt_i64_e64 s[36:37], v[6:7]
	s_cbranch_execz .LBB23_198
; %bb.201:                              ;   in Loop: Header=BB23_200 Depth=2
	global_load_b32 v27, v[4:5], off
	s_wait_loadcnt 0x0
	v_xor_b32_e32 v8, 0x80000000, v27
	s_delay_alu instid0(VALU_DEP_1) | instskip(NEXT) | instid1(VALU_DEP_1)
	v_and_b32_e32 v8, v8, v52
	v_cmp_eq_u32_e32 vcc_lo, v8, v48
	s_and_b32 exec_lo, exec_lo, vcc_lo
	s_cbranch_execz .LBB23_198
; %bb.202:                              ;   in Loop: Header=BB23_200 Depth=2
	ds_store_b64 v13, v[26:27] offset:3072
	s_branch .LBB23_198
.LBB23_203:                             ;   in Loop: Header=BB23_200 Depth=2
	v_add_co_u32 v6, vcc_lo, v6, s50
	s_wait_alu 0xfffd
	v_add_co_ci_u32_e64 v7, null, 0, v7, vcc_lo
	v_add_co_u32 v4, s5, v4, s52
	s_wait_alu 0xf1fe
	v_add_co_ci_u32_e64 v5, null, s53, v5, s5
	s_delay_alu instid0(VALU_DEP_3)
	v_cmp_le_i64_e32 vcc_lo, s[12:13], v[6:7]
	s_mov_b32 s74, 0
	s_or_not1_b32 s5, vcc_lo, exec_lo
	s_branch .LBB23_199
.LBB23_204:                             ;   in Loop: Header=BB23_32 Depth=1
                                        ; implicit-def: $sgpr12_sgpr13
	s_branch .LBB23_149
.LBB23_205:                             ;   in Loop: Header=BB23_32 Depth=1
                                        ; implicit-def: $sgpr14_sgpr15
	s_branch .LBB23_165
.LBB23_206:                             ;   in Loop: Header=BB23_32 Depth=1
	s_or_b32 exec_lo, exec_lo, s72
	s_wait_alu 0xfffe
	s_and_b32 s5, s73, exec_lo
.LBB23_207:                             ;   in Loop: Header=BB23_32 Depth=1
	s_or_b32 exec_lo, exec_lo, s71
.LBB23_208:                             ;   in Loop: Header=BB23_32 Depth=1
	s_delay_alu instid0(SALU_CYCLE_1)
	s_and_b32 vcc_lo, exec_lo, s24
	s_wait_alu 0xfffe
	s_cbranch_vccz .LBB23_222
; %bb.209:                              ;   in Loop: Header=BB23_32 Depth=1
	s_add_nc_u64 s[12:13], s[10:11], s[58:59]
	s_mov_b32 s14, s25
	s_wait_alu 0xfffe
	s_mov_b32 s15, s13
	s_wait_alu 0xfffe
	s_cmp_lg_u64 s[14:15], 0
	s_cbranch_scc0 .LBB23_250
; %bb.210:                              ;   in Loop: Header=BB23_32 Depth=1
	s_add_nc_u64 s[14:15], s[50:51], 0
	s_wait_alu 0xfffe
	s_xor_b64 s[14:15], s[14:15], 0
	s_wait_alu 0xfffe
	s_cvt_f32_u32 s24, s14
	s_cvt_f32_u32 s71, s15
	s_sub_nc_u64 s[74:75], 0, s[14:15]
	s_wait_alu 0xfffe
	s_delay_alu instid0(SALU_CYCLE_1) | instskip(SKIP_1) | instid1(SALU_CYCLE_2)
	s_fmamk_f32 s24, s71, 0x4f800000, s24
	s_wait_alu 0xfffe
	v_s_rcp_f32 s24, s24
	s_delay_alu instid0(TRANS32_DEP_1) | instskip(SKIP_1) | instid1(SALU_CYCLE_2)
	s_mul_f32 s24, s24, 0x5f7ffffc
	s_wait_alu 0xfffe
	s_mul_f32 s71, s24, 0x2f800000
	s_wait_alu 0xfffe
	s_delay_alu instid0(SALU_CYCLE_2) | instskip(SKIP_1) | instid1(SALU_CYCLE_2)
	s_trunc_f32 s71, s71
	s_wait_alu 0xfffe
	s_fmamk_f32 s24, s71, 0xcf800000, s24
	s_cvt_u32_f32 s73, s71
	s_wait_alu 0xfffe
	s_delay_alu instid0(SALU_CYCLE_1) | instskip(SKIP_1) | instid1(SALU_CYCLE_2)
	s_cvt_u32_f32 s72, s24
	s_wait_alu 0xfffe
	s_mul_u64 s[76:77], s[74:75], s[72:73]
	s_wait_alu 0xfffe
	s_mul_hi_u32 s79, s72, s77
	s_mul_i32 s78, s72, s77
	s_mul_hi_u32 s24, s72, s76
	s_mul_i32 s80, s73, s76
	s_wait_alu 0xfffe
	s_add_nc_u64 s[78:79], s[24:25], s[78:79]
	s_mul_hi_u32 s71, s73, s76
	s_mul_hi_u32 s81, s73, s77
	s_wait_alu 0xfffe
	s_add_co_u32 s24, s78, s80
	s_add_co_ci_u32 s24, s79, s71
	s_mul_i32 s76, s73, s77
	s_add_co_ci_u32 s77, s81, 0
	s_wait_alu 0xfffe
	s_add_nc_u64 s[76:77], s[24:25], s[76:77]
	s_wait_alu 0xfffe
	s_add_co_u32 s72, s72, s76
	s_cselect_b32 s24, -1, 0
	s_wait_alu 0xfffe
	s_cmp_lg_u32 s24, 0
	s_add_co_ci_u32 s73, s73, s77
	s_wait_alu 0xfffe
	s_mul_u64 s[74:75], s[74:75], s[72:73]
	s_wait_alu 0xfffe
	s_mul_hi_u32 s77, s72, s75
	s_mul_i32 s76, s72, s75
	s_mul_hi_u32 s24, s72, s74
	s_mul_i32 s78, s73, s74
	s_wait_alu 0xfffe
	s_add_nc_u64 s[76:77], s[24:25], s[76:77]
	s_mul_hi_u32 s71, s73, s74
	s_mul_hi_u32 s79, s73, s75
	s_wait_alu 0xfffe
	s_add_co_u32 s24, s76, s78
	s_add_co_ci_u32 s24, s77, s71
	s_mul_i32 s74, s73, s75
	s_add_co_ci_u32 s75, s79, 0
	s_wait_alu 0xfffe
	s_add_nc_u64 s[74:75], s[24:25], s[74:75]
	s_wait_alu 0xfffe
	s_add_co_u32 s71, s72, s74
	s_cselect_b32 s24, -1, 0
	s_wait_alu 0xfffe
	s_cmp_lg_u32 s24, 0
	s_add_co_ci_u32 s78, s73, s75
	s_ashr_i32 s72, s13, 31
	s_wait_alu 0xfffe
	s_mov_b32 s73, s72
	s_wait_alu 0xfffe
	s_add_nc_u64 s[74:75], s[12:13], s[72:73]
	s_wait_alu 0xfffe
	s_xor_b64 s[74:75], s[74:75], s[72:73]
	s_wait_alu 0xfffe
	s_mul_hi_u32 s77, s74, s78
	s_mul_i32 s76, s74, s78
	s_mul_hi_u32 s24, s74, s71
	s_mul_hi_u32 s80, s75, s71
	s_mul_i32 s71, s75, s71
	s_wait_alu 0xfffe
	s_add_nc_u64 s[76:77], s[24:25], s[76:77]
	s_mul_hi_u32 s79, s75, s78
	s_wait_alu 0xfffe
	s_add_co_u32 s24, s76, s71
	s_add_co_ci_u32 s24, s77, s80
	s_mul_i32 s78, s75, s78
	s_add_co_ci_u32 s79, s79, 0
	s_wait_alu 0xfffe
	s_add_nc_u64 s[76:77], s[24:25], s[78:79]
	s_wait_alu 0xfffe
	s_mul_u64 s[76:77], s[14:15], s[76:77]
	s_wait_alu 0xfffe
	s_sub_co_u32 s24, s74, s76
	s_cselect_b32 s71, -1, 0
	s_sub_co_i32 s74, s75, s77
	s_wait_alu 0xfffe
	s_cmp_lg_u32 s71, 0
	s_sub_co_ci_u32 s74, s74, s15
	s_sub_co_u32 s76, s24, s14
	s_cselect_b32 s78, -1, 0
	s_wait_alu 0xfffe
	s_cmp_lg_u32 s78, 0
	s_sub_co_ci_u32 s79, s74, 0
	s_wait_alu 0xfffe
	s_cmp_ge_u32 s79, s15
	s_cselect_b32 s80, -1, 0
	s_cmp_ge_u32 s76, s14
	s_cselect_b32 s81, -1, 0
	s_cmp_eq_u32 s79, s15
	s_wait_alu 0xfffe
	s_cselect_b32 s80, s81, s80
	s_cmp_lg_u32 s78, 0
	s_sub_co_ci_u32 s74, s74, s15
	s_sub_co_u32 s78, s76, s14
	s_cselect_b32 s81, -1, 0
	s_wait_alu 0xfffe
	s_cmp_lg_u32 s81, 0
	s_sub_co_ci_u32 s74, s74, 0
	s_cmp_lg_u32 s80, 0
	s_cselect_b32 s76, s78, s76
	s_wait_alu 0xfffe
	s_cselect_b32 s74, s74, s79
	s_cmp_lg_u32 s71, 0
	s_sub_co_ci_u32 s71, s75, s77
	s_wait_alu 0xfffe
	s_cmp_ge_u32 s71, s15
	s_cselect_b32 s75, -1, 0
	s_cmp_ge_u32 s24, s14
	s_cselect_b32 s14, -1, 0
	s_cmp_eq_u32 s71, s15
	s_wait_alu 0xfffe
	s_cselect_b32 s14, s14, s75
	s_wait_alu 0xfffe
	s_cmp_lg_u32 s14, 0
	s_cselect_b32 s15, s74, s71
	s_cselect_b32 s14, s76, s24
	s_wait_alu 0xfffe
	s_xor_b64 s[14:15], s[14:15], s[72:73]
	s_wait_alu 0xfffe
	s_sub_nc_u64 s[14:15], s[14:15], s[72:73]
	s_cbranch_execnz .LBB23_212
.LBB23_211:                             ;   in Loop: Header=BB23_32 Depth=1
	v_cvt_f32_u32_e32 v4, s50
	s_sub_co_i32 s15, 0, s50
	s_delay_alu instid0(VALU_DEP_1) | instskip(NEXT) | instid1(TRANS32_DEP_1)
	v_rcp_iflag_f32_e32 v4, v4
	v_mul_f32_e32 v4, 0x4f7ffffe, v4
	s_delay_alu instid0(VALU_DEP_1) | instskip(NEXT) | instid1(VALU_DEP_1)
	v_cvt_u32_f32_e32 v4, v4
	v_readfirstlane_b32 s14, v4
	s_wait_alu 0xfffe
	s_mul_i32 s15, s15, s14
	s_wait_alu 0xfffe
	s_mul_hi_u32 s15, s14, s15
	s_wait_alu 0xfffe
	s_add_co_i32 s14, s14, s15
	s_wait_alu 0xfffe
	s_mul_hi_u32 s14, s12, s14
	s_wait_alu 0xfffe
	s_mul_i32 s14, s14, s50
	s_wait_alu 0xfffe
	s_sub_co_i32 s14, s12, s14
	s_wait_alu 0xfffe
	s_sub_co_i32 s15, s14, s50
	s_cmp_ge_u32 s14, s50
	s_wait_alu 0xfffe
	s_cselect_b32 s14, s15, s14
	s_wait_alu 0xfffe
	s_sub_co_i32 s15, s14, s50
	s_cmp_ge_u32 s14, s50
	s_wait_alu 0xfffe
	s_cselect_b32 s24, s15, s14
	s_wait_alu 0xfffe
	s_mov_b64 s[14:15], s[24:25]
.LBB23_212:                             ;   in Loop: Header=BB23_32 Depth=1
	s_wait_alu 0xfffe
	s_sub_nc_u64 s[12:13], s[12:13], s[14:15]
	s_mov_b32 s14, exec_lo
                                        ; implicit-def: $vgpr28
	s_wait_alu 0xfffe
	v_cmpx_gt_i64_e64 s[12:13], v[0:1]
	s_cbranch_execz .LBB23_221
; %bb.213:                              ;   in Loop: Header=BB23_32 Depth=1
	v_dual_mov_b32 v6, v14 :: v_dual_mov_b32 v5, v1
	v_mov_b32_e32 v4, v0
	s_mov_b32 s15, 0
                                        ; implicit-def: $sgpr24
	s_branch .LBB23_216
.LBB23_214:                             ;   in Loop: Header=BB23_216 Depth=2
	s_wait_alu 0xfffe
	s_or_b32 exec_lo, exec_lo, s71
	s_wait_loadcnt_dscnt 0x0
	s_barrier_signal -1
	s_barrier_wait -1
	global_inv scope:SCOPE_SE
	ds_load_b64 v[27:28], v13 offset:3072
	s_mov_b32 s71, -1
	s_mov_b32 s72, -1
	s_wait_loadcnt_dscnt 0x0
	s_barrier_signal -1
	s_barrier_wait -1
	global_inv scope:SCOPE_SE
	v_cmp_eq_u32_e32 vcc_lo, 0, v27
	s_cbranch_vccnz .LBB23_219
.LBB23_215:                             ;   in Loop: Header=BB23_216 Depth=2
	s_wait_alu 0xfffe
	s_and_b32 s71, exec_lo, s71
	s_wait_alu 0xfffe
	s_or_b32 s15, s71, s15
	s_and_not1_b32 s24, s24, exec_lo
	s_and_b32 s71, s72, exec_lo
	s_wait_alu 0xfffe
	s_or_b32 s24, s24, s71
	s_and_not1_b32 exec_lo, exec_lo, s15
	s_cbranch_execz .LBB23_220
.LBB23_216:                             ;   Parent Loop BB23_32 Depth=1
                                        ; =>  This Inner Loop Header: Depth=2
	s_mov_b32 s71, exec_lo
	s_delay_alu instid0(VALU_DEP_1)
	v_cmpx_gt_u64_e64 s[10:11], v[4:5]
	s_cbranch_execz .LBB23_214
; %bb.217:                              ;   in Loop: Header=BB23_216 Depth=2
	ds_load_b32 v27, v6
	s_wait_dscnt 0x0
	v_xor_b32_e32 v7, 0x80000000, v27
	s_delay_alu instid0(VALU_DEP_1) | instskip(NEXT) | instid1(VALU_DEP_1)
	v_and_b32_e32 v7, v7, v52
	v_cmp_eq_u32_e32 vcc_lo, v7, v48
	s_and_b32 exec_lo, exec_lo, vcc_lo
	s_cbranch_execz .LBB23_214
; %bb.218:                              ;   in Loop: Header=BB23_216 Depth=2
	ds_store_b64 v13, v[26:27] offset:3072
	s_branch .LBB23_214
.LBB23_219:                             ;   in Loop: Header=BB23_216 Depth=2
	v_add_co_u32 v4, vcc_lo, v4, s50
	s_wait_alu 0xfffd
	v_add_co_ci_u32_e64 v5, null, 0, v5, vcc_lo
	v_add_nc_u32_e32 v6, s90, v6
	s_mov_b32 s72, 0
	s_delay_alu instid0(VALU_DEP_2)
	v_cmp_le_i64_e32 vcc_lo, s[12:13], v[4:5]
	s_or_not1_b32 s71, vcc_lo, exec_lo
	s_branch .LBB23_215
.LBB23_220:                             ;   in Loop: Header=BB23_32 Depth=1
	s_or_b32 exec_lo, exec_lo, s15
	s_delay_alu instid0(SALU_CYCLE_1)
	s_and_not1_b32 s5, s5, exec_lo
	s_wait_alu 0xfffe
	s_and_b32 s10, s24, exec_lo
	s_wait_alu 0xfffe
	s_or_b32 s5, s5, s10
.LBB23_221:                             ;   in Loop: Header=BB23_32 Depth=1
	s_or_b32 exec_lo, exec_lo, s14
	s_mov_b32 s14, 0
	s_mov_b32 s15, -1
.LBB23_222:                             ;   in Loop: Header=BB23_32 Depth=1
	s_wait_alu 0xfffe
	s_or_not1_b32 s5, s5, exec_lo
.LBB23_223:                             ;   in Loop: Header=BB23_32 Depth=1
	s_wait_alu 0xfffe
	s_or_b32 exec_lo, exec_lo, s69
	s_mov_b32 s10, 0
	s_and_saveexec_b32 s69, s5
	s_cbranch_execz .LBB23_281
; %bb.224:                              ;   in Loop: Header=BB23_32 Depth=1
	v_mov_b32_e32 v4, 1
	v_dual_mov_b32 v5, 0 :: v_dual_mov_b32 v12, 1
	s_xor_b32 s11, s70, -1
	s_wait_alu 0xfffe
	s_and_saveexec_b32 s5, s11
	s_cbranch_execz .LBB23_233
; %bb.225:                              ;   in Loop: Header=BB23_32 Depth=1
	s_mov_b32 s10, exec_lo
	v_cmpx_ge_i64_e64 s[8:9], v[2:3]
	s_wait_alu 0xfffe
	s_xor_b32 s10, exec_lo, s10
	s_cbranch_execz .LBB23_230
; %bb.226:                              ;   in Loop: Header=BB23_32 Depth=1
	ds_load_b64 v[4:5], v13 offset:5120
	s_lshl_b32 s11, 2, s91
	v_or_b32_e32 v52, s16, v52
	s_wait_alu 0xfffe
	v_and_or_b32 v48, v48, s20, s11
	s_wait_dscnt 0x0
	v_cmp_ne_u64_e32 vcc_lo, 0, v[4:5]
	s_cbranch_vccnz .LBB23_230
; %bb.227:                              ;   in Loop: Header=BB23_32 Depth=1
	s_and_saveexec_b32 s11, s2
; %bb.228:                              ;   in Loop: Header=BB23_32 Depth=1
	v_dual_mov_b32 v4, s8 :: v_dual_mov_b32 v5, s9
	ds_store_b64 v13, v[4:5] offset:5128
; %bb.229:                              ;   in Loop: Header=BB23_32 Depth=1
	s_wait_alu 0xfffe
	s_or_b32 exec_lo, exec_lo, s11
	s_wait_loadcnt_dscnt 0x0
	s_barrier_signal -1
	s_barrier_wait -1
	global_inv scope:SCOPE_SE
.LBB23_230:                             ;   in Loop: Header=BB23_32 Depth=1
	s_wait_alu 0xfffe
	s_or_saveexec_b32 s10, s10
	v_mov_b32_e32 v12, 8
	s_mov_b32 s11, 0
	s_wait_alu 0xfffe
	s_xor_b32 exec_lo, exec_lo, s10
; %bb.231:                              ;   in Loop: Header=BB23_32 Depth=1
	v_sub_co_u32 v2, vcc_lo, v2, s8
	s_wait_alu 0xfffd
	v_subrev_co_ci_u32_e64 v3, null, s9, v3, vcc_lo
	v_mov_b32_e32 v12, 0
	s_mov_b32 s11, exec_lo
; %bb.232:                              ;   in Loop: Header=BB23_32 Depth=1
	s_or_b32 exec_lo, exec_lo, s10
	s_delay_alu instid0(VALU_DEP_2)
	v_dual_mov_b32 v5, v3 :: v_dual_mov_b32 v4, v2
	s_wait_alu 0xfffe
	s_and_b32 s10, s11, exec_lo
.LBB23_233:                             ;   in Loop: Header=BB23_32 Depth=1
	s_wait_alu 0xfffe
	s_or_b32 exec_lo, exec_lo, s5
	s_mov_b32 s5, -1
                                        ; implicit-def: $sgpr13
                                        ; implicit-def: $sgpr12
	s_and_saveexec_b32 s20, s10
	s_cbranch_execz .LBB23_280
; %bb.234:                              ;   in Loop: Header=BB23_32 Depth=1
	v_cmp_eq_u64_e32 vcc_lo, 1, v[4:5]
	s_cmp_eq_u64 s[6:7], 1
	s_mov_b32 s8, -1
	s_cselect_b32 s5, -1, 0
                                        ; implicit-def: $sgpr13
                                        ; implicit-def: $sgpr12
	s_wait_alu 0xfffe
	s_and_b32 s70, s5, vcc_lo
	s_wait_alu 0xfffe
	s_and_saveexec_b32 s71, s70
	s_cbranch_execz .LBB23_268
; %bb.235:                              ;   in Loop: Header=BB23_32 Depth=1
	ds_load_b64 v[2:3], v13 offset:5120
	s_wait_loadcnt_dscnt 0x0
	s_barrier_signal -1
	s_barrier_wait -1
	global_inv scope:SCOPE_SE
	v_readfirstlane_b32 s8, v2
	v_readfirstlane_b32 s9, v3
	s_and_saveexec_b32 s5, s3
; %bb.236:                              ;   in Loop: Header=BB23_32 Depth=1
	ds_store_b32 v42, v13
; %bb.237:                              ;   in Loop: Header=BB23_32 Depth=1
	s_wait_alu 0xfffe
	s_or_b32 exec_lo, exec_lo, s5
	v_cmp_gt_i64_e64 s5, s[8:9], 0
	v_or_b32_e32 v48, s16, v48
	v_or_b32_e32 v52, s16, v52
	s_mov_b32 s12, -1
	s_mov_b32 s13, 0
	s_mov_b32 s24, -1
	s_and_b32 vcc_lo, exec_lo, s5
	s_mov_b32 s5, 0
	s_wait_loadcnt_dscnt 0x0
	s_barrier_signal -1
	s_barrier_wait -1
	global_inv scope:SCOPE_SE
                                        ; implicit-def: $vgpr28
	s_wait_alu 0xfffe
	s_cbranch_vccnz .LBB23_253
; %bb.238:                              ;   in Loop: Header=BB23_32 Depth=1
	s_mov_b32 s10, s25
	s_mov_b32 s11, s61
	s_wait_alu 0xfffe
	s_cmp_lg_u64 s[10:11], 0
	s_cbranch_scc0 .LBB23_287
; %bb.239:                              ;   in Loop: Header=BB23_32 Depth=1
	s_add_nc_u64 s[10:11], s[50:51], 0
	s_wait_alu 0xfffe
	s_xor_b64 s[10:11], s[10:11], 0
	s_wait_alu 0xfffe
	s_cvt_f32_u32 s5, s10
	s_cvt_f32_u32 s24, s11
	s_sub_nc_u64 s[74:75], 0, s[10:11]
	s_wait_alu 0xfffe
	s_delay_alu instid0(SALU_CYCLE_1) | instskip(SKIP_1) | instid1(SALU_CYCLE_2)
	s_fmamk_f32 s5, s24, 0x4f800000, s5
	s_wait_alu 0xfffe
	v_s_rcp_f32 s5, s5
	s_delay_alu instid0(TRANS32_DEP_1) | instskip(SKIP_1) | instid1(SALU_CYCLE_2)
	s_mul_f32 s5, s5, 0x5f7ffffc
	s_wait_alu 0xfffe
	s_mul_f32 s24, s5, 0x2f800000
	s_wait_alu 0xfffe
	s_delay_alu instid0(SALU_CYCLE_2) | instskip(SKIP_1) | instid1(SALU_CYCLE_2)
	s_trunc_f32 s24, s24
	s_wait_alu 0xfffe
	s_fmamk_f32 s5, s24, 0xcf800000, s5
	s_cvt_u32_f32 s73, s24
	s_wait_alu 0xfffe
	s_delay_alu instid0(SALU_CYCLE_1) | instskip(SKIP_1) | instid1(SALU_CYCLE_2)
	s_cvt_u32_f32 s72, s5
	s_wait_alu 0xfffe
	s_mul_u64 s[76:77], s[74:75], s[72:73]
	s_wait_alu 0xfffe
	s_mul_hi_u32 s79, s72, s77
	s_mul_i32 s78, s72, s77
	s_mul_hi_u32 s24, s72, s76
	s_mul_i32 s80, s73, s76
	s_wait_alu 0xfffe
	s_add_nc_u64 s[78:79], s[24:25], s[78:79]
	s_mul_hi_u32 s5, s73, s76
	s_mul_hi_u32 s81, s73, s77
	s_wait_alu 0xfffe
	s_add_co_u32 s24, s78, s80
	s_add_co_ci_u32 s24, s79, s5
	s_mul_i32 s76, s73, s77
	s_add_co_ci_u32 s77, s81, 0
	s_wait_alu 0xfffe
	s_add_nc_u64 s[76:77], s[24:25], s[76:77]
	s_wait_alu 0xfffe
	s_add_co_u32 s72, s72, s76
	s_cselect_b32 s5, -1, 0
	s_wait_alu 0xfffe
	s_cmp_lg_u32 s5, 0
	s_add_co_ci_u32 s73, s73, s77
	s_wait_alu 0xfffe
	s_mul_u64 s[74:75], s[74:75], s[72:73]
	s_wait_alu 0xfffe
	s_mul_hi_u32 s77, s72, s75
	s_mul_i32 s76, s72, s75
	s_mul_hi_u32 s24, s72, s74
	s_mul_i32 s78, s73, s74
	s_wait_alu 0xfffe
	s_add_nc_u64 s[76:77], s[24:25], s[76:77]
	s_mul_hi_u32 s5, s73, s74
	s_mul_hi_u32 s79, s73, s75
	s_wait_alu 0xfffe
	s_add_co_u32 s24, s76, s78
	s_add_co_ci_u32 s24, s77, s5
	s_mul_i32 s74, s73, s75
	s_add_co_ci_u32 s75, s79, 0
	s_wait_alu 0xfffe
	s_add_nc_u64 s[74:75], s[24:25], s[74:75]
	s_wait_alu 0xfffe
	s_add_co_u32 s5, s72, s74
	s_cselect_b32 s24, -1, 0
	s_wait_alu 0xfffe
	s_cmp_lg_u32 s24, 0
	s_add_co_ci_u32 s78, s73, s75
	s_ashr_i32 s72, s61, 31
	s_wait_alu 0xfffe
	s_mov_b32 s73, s72
	s_wait_alu 0xfffe
	s_add_nc_u64 s[74:75], s[60:61], s[72:73]
	s_wait_alu 0xfffe
	s_xor_b64 s[74:75], s[74:75], s[72:73]
	s_wait_alu 0xfffe
	s_mul_hi_u32 s77, s74, s78
	s_mul_i32 s76, s74, s78
	s_mul_hi_u32 s24, s74, s5
	s_mul_hi_u32 s80, s75, s5
	s_mul_i32 s5, s75, s5
	s_wait_alu 0xfffe
	s_add_nc_u64 s[76:77], s[24:25], s[76:77]
	s_mul_hi_u32 s79, s75, s78
	s_wait_alu 0xfffe
	s_add_co_u32 s5, s76, s5
	s_add_co_ci_u32 s24, s77, s80
	s_mul_i32 s78, s75, s78
	s_add_co_ci_u32 s79, s79, 0
	s_wait_alu 0xfffe
	s_add_nc_u64 s[76:77], s[24:25], s[78:79]
	s_wait_alu 0xfffe
	s_mul_u64 s[76:77], s[10:11], s[76:77]
	s_wait_alu 0xfffe
	s_sub_co_u32 s5, s74, s76
	s_cselect_b32 s24, -1, 0
	s_sub_co_i32 s74, s75, s77
	s_wait_alu 0xfffe
	s_cmp_lg_u32 s24, 0
	s_sub_co_ci_u32 s74, s74, s11
	s_sub_co_u32 s76, s5, s10
	s_cselect_b32 s78, -1, 0
	s_wait_alu 0xfffe
	s_cmp_lg_u32 s78, 0
	s_sub_co_ci_u32 s79, s74, 0
	s_wait_alu 0xfffe
	s_cmp_ge_u32 s79, s11
	s_cselect_b32 s80, -1, 0
	s_cmp_ge_u32 s76, s10
	s_cselect_b32 s81, -1, 0
	s_cmp_eq_u32 s79, s11
	s_wait_alu 0xfffe
	s_cselect_b32 s80, s81, s80
	s_cmp_lg_u32 s78, 0
	s_sub_co_ci_u32 s74, s74, s11
	s_sub_co_u32 s78, s76, s10
	s_cselect_b32 s81, -1, 0
	s_wait_alu 0xfffe
	s_cmp_lg_u32 s81, 0
	s_sub_co_ci_u32 s74, s74, 0
	s_cmp_lg_u32 s80, 0
	s_cselect_b32 s76, s78, s76
	s_wait_alu 0xfffe
	s_cselect_b32 s74, s74, s79
	s_cmp_lg_u32 s24, 0
	s_sub_co_ci_u32 s24, s75, s77
	s_wait_alu 0xfffe
	s_cmp_ge_u32 s24, s11
	s_cselect_b32 s75, -1, 0
	s_cmp_ge_u32 s5, s10
	s_cselect_b32 s10, -1, 0
	s_cmp_eq_u32 s24, s11
	s_wait_alu 0xfffe
	s_cselect_b32 s10, s10, s75
	s_wait_alu 0xfffe
	s_cmp_lg_u32 s10, 0
	s_cselect_b32 s11, s74, s24
	s_cselect_b32 s10, s76, s5
	s_wait_alu 0xfffe
	s_xor_b64 s[10:11], s[10:11], s[72:73]
	s_wait_alu 0xfffe
	s_sub_nc_u64 s[10:11], s[10:11], s[72:73]
	s_cbranch_execnz .LBB23_241
.LBB23_240:                             ;   in Loop: Header=BB23_32 Depth=1
	v_cvt_f32_u32_e32 v2, s50
	s_sub_co_i32 s10, 0, s50
	s_delay_alu instid0(VALU_DEP_1) | instskip(NEXT) | instid1(TRANS32_DEP_1)
	v_rcp_iflag_f32_e32 v2, v2
	v_mul_f32_e32 v2, 0x4f7ffffe, v2
	s_delay_alu instid0(VALU_DEP_1) | instskip(NEXT) | instid1(VALU_DEP_1)
	v_cvt_u32_f32_e32 v2, v2
	v_readfirstlane_b32 s5, v2
	s_wait_alu 0xfffe
	s_mul_i32 s10, s10, s5
	s_wait_alu 0xfffe
	s_mul_hi_u32 s10, s5, s10
	s_wait_alu 0xfffe
	s_add_co_i32 s5, s5, s10
	s_wait_alu 0xfffe
	s_mul_hi_u32 s5, s60, s5
	s_wait_alu 0xfffe
	s_mul_i32 s5, s5, s50
	s_wait_alu 0xfffe
	s_sub_co_i32 s5, s60, s5
	s_wait_alu 0xfffe
	s_sub_co_i32 s10, s5, s50
	s_cmp_ge_u32 s5, s50
	s_wait_alu 0xfffe
	s_cselect_b32 s5, s10, s5
	s_wait_alu 0xfffe
	s_sub_co_i32 s10, s5, s50
	s_cmp_ge_u32 s5, s50
	s_wait_alu 0xfffe
	s_cselect_b32 s24, s10, s5
	s_wait_alu 0xfffe
	s_mov_b64 s[10:11], s[24:25]
.LBB23_241:                             ;   in Loop: Header=BB23_32 Depth=1
	s_wait_alu 0xfffe
	s_sub_nc_u64 s[10:11], s[60:61], s[10:11]
	s_mov_b32 s24, 0
	s_mov_b32 s5, 0
	s_mov_b32 s72, exec_lo
                                        ; implicit-def: $vgpr28
	s_wait_alu 0xfffe
	v_cmpx_gt_i64_e64 s[10:11], v[0:1]
	s_cbranch_execz .LBB23_252
; %bb.242:                              ;   in Loop: Header=BB23_32 Depth=1
	v_dual_mov_b32 v2, v10 :: v_dual_mov_b32 v3, v11
	v_dual_mov_b32 v7, v1 :: v_dual_mov_b32 v6, v0
	s_mov_b32 s73, 0
                                        ; implicit-def: $sgpr74
	s_branch .LBB23_245
.LBB23_243:                             ;   in Loop: Header=BB23_245 Depth=2
	s_wait_alu 0xfffe
	s_or_b32 exec_lo, exec_lo, s5
	s_wait_loadcnt_dscnt 0x0
	s_barrier_signal -1
	s_barrier_wait -1
	global_inv scope:SCOPE_SE
	ds_load_b64 v[27:28], v13 offset:3072
	s_mov_b32 s5, -1
	s_mov_b32 s75, -1
	s_wait_loadcnt_dscnt 0x0
	s_barrier_signal -1
	s_barrier_wait -1
	global_inv scope:SCOPE_SE
	v_cmp_ne_u32_e32 vcc_lo, 0, v27
	s_cbranch_vccz .LBB23_248
.LBB23_244:                             ;   in Loop: Header=BB23_245 Depth=2
	s_wait_alu 0xfffe
	s_and_b32 s5, exec_lo, s5
	s_wait_alu 0xfffe
	s_or_b32 s73, s5, s73
	s_and_not1_b32 s5, s74, exec_lo
	s_and_b32 s74, s75, exec_lo
	s_wait_alu 0xfffe
	s_or_b32 s74, s5, s74
	s_and_not1_b32 exec_lo, exec_lo, s73
	s_cbranch_execz .LBB23_251
.LBB23_245:                             ;   Parent Loop BB23_32 Depth=1
                                        ; =>  This Inner Loop Header: Depth=2
	s_mov_b32 s5, exec_lo
	s_delay_alu instid0(VALU_DEP_1)
	v_cmpx_gt_i64_e64 s[36:37], v[6:7]
	s_cbranch_execz .LBB23_243
; %bb.246:                              ;   in Loop: Header=BB23_245 Depth=2
	global_load_b32 v27, v[2:3], off
	s_wait_loadcnt 0x0
	v_xor_b32_e32 v8, 0x80000000, v27
	s_delay_alu instid0(VALU_DEP_1) | instskip(NEXT) | instid1(VALU_DEP_1)
	v_and_b32_e32 v8, v8, v52
	v_cmp_eq_u32_e32 vcc_lo, v8, v48
	s_and_b32 exec_lo, exec_lo, vcc_lo
	s_cbranch_execz .LBB23_243
; %bb.247:                              ;   in Loop: Header=BB23_245 Depth=2
	ds_store_b64 v13, v[26:27] offset:3072
	s_branch .LBB23_243
.LBB23_248:                             ;   in Loop: Header=BB23_245 Depth=2
	v_add_co_u32 v6, vcc_lo, v6, s50
	s_wait_alu 0xfffd
	v_add_co_ci_u32_e64 v7, null, 0, v7, vcc_lo
	v_add_co_u32 v2, s5, v2, s52
	s_wait_alu 0xf1fe
	v_add_co_ci_u32_e64 v3, null, s53, v3, s5
	s_delay_alu instid0(VALU_DEP_3)
	v_cmp_le_i64_e32 vcc_lo, s[10:11], v[6:7]
	s_mov_b32 s75, 0
	s_or_not1_b32 s5, vcc_lo, exec_lo
	s_branch .LBB23_244
.LBB23_249:                             ;   in Loop: Header=BB23_32 Depth=1
                                        ; implicit-def: $sgpr12_sgpr13
	s_branch .LBB23_195
.LBB23_250:                             ;   in Loop: Header=BB23_32 Depth=1
                                        ; implicit-def: $sgpr14_sgpr15
	s_branch .LBB23_211
.LBB23_251:                             ;   in Loop: Header=BB23_32 Depth=1
	s_or_b32 exec_lo, exec_lo, s73
	s_wait_alu 0xfffe
	s_and_b32 s5, s74, exec_lo
.LBB23_252:                             ;   in Loop: Header=BB23_32 Depth=1
	s_or_b32 exec_lo, exec_lo, s72
.LBB23_253:                             ;   in Loop: Header=BB23_32 Depth=1
	s_delay_alu instid0(SALU_CYCLE_1)
	s_and_b32 vcc_lo, exec_lo, s24
	s_wait_alu 0xfffe
	s_cbranch_vccz .LBB23_267
; %bb.254:                              ;   in Loop: Header=BB23_32 Depth=1
	s_add_nc_u64 s[10:11], s[8:9], s[58:59]
	s_mov_b32 s12, s25
	s_wait_alu 0xfffe
	s_mov_b32 s13, s11
	s_wait_alu 0xfffe
	s_cmp_lg_u64 s[12:13], 0
	s_cbranch_scc0 .LBB23_288
; %bb.255:                              ;   in Loop: Header=BB23_32 Depth=1
	s_add_nc_u64 s[12:13], s[50:51], 0
	s_wait_alu 0xfffe
	s_xor_b64 s[12:13], s[12:13], 0
	s_wait_alu 0xfffe
	s_cvt_f32_u32 s24, s12
	s_cvt_f32_u32 s72, s13
	s_sub_nc_u64 s[74:75], 0, s[12:13]
	s_wait_alu 0xfffe
	s_delay_alu instid0(SALU_CYCLE_1) | instskip(SKIP_1) | instid1(SALU_CYCLE_2)
	s_fmamk_f32 s24, s72, 0x4f800000, s24
	s_wait_alu 0xfffe
	v_s_rcp_f32 s24, s24
	s_delay_alu instid0(TRANS32_DEP_1) | instskip(SKIP_1) | instid1(SALU_CYCLE_2)
	s_mul_f32 s24, s24, 0x5f7ffffc
	s_wait_alu 0xfffe
	s_mul_f32 s72, s24, 0x2f800000
	s_wait_alu 0xfffe
	s_delay_alu instid0(SALU_CYCLE_2) | instskip(SKIP_1) | instid1(SALU_CYCLE_2)
	s_trunc_f32 s72, s72
	s_wait_alu 0xfffe
	s_fmamk_f32 s24, s72, 0xcf800000, s24
	s_cvt_u32_f32 s73, s72
	s_wait_alu 0xfffe
	s_delay_alu instid0(SALU_CYCLE_1) | instskip(SKIP_1) | instid1(SALU_CYCLE_2)
	s_cvt_u32_f32 s72, s24
	s_wait_alu 0xfffe
	s_mul_u64 s[76:77], s[74:75], s[72:73]
	s_wait_alu 0xfffe
	s_mul_hi_u32 s79, s72, s77
	s_mul_i32 s78, s72, s77
	s_mul_hi_u32 s24, s72, s76
	s_mul_i32 s81, s73, s76
	s_wait_alu 0xfffe
	s_add_nc_u64 s[78:79], s[24:25], s[78:79]
	s_mul_hi_u32 s80, s73, s76
	s_mul_hi_u32 s82, s73, s77
	s_wait_alu 0xfffe
	s_add_co_u32 s24, s78, s81
	s_add_co_ci_u32 s24, s79, s80
	s_mul_i32 s76, s73, s77
	s_add_co_ci_u32 s77, s82, 0
	s_wait_alu 0xfffe
	s_add_nc_u64 s[76:77], s[24:25], s[76:77]
	s_wait_alu 0xfffe
	s_add_co_u32 s72, s72, s76
	s_cselect_b32 s24, -1, 0
	s_wait_alu 0xfffe
	s_cmp_lg_u32 s24, 0
	s_add_co_ci_u32 s73, s73, s77
	s_wait_alu 0xfffe
	s_mul_u64 s[74:75], s[74:75], s[72:73]
	s_wait_alu 0xfffe
	s_mul_hi_u32 s77, s72, s75
	s_mul_i32 s76, s72, s75
	s_mul_hi_u32 s24, s72, s74
	s_mul_i32 s79, s73, s74
	s_wait_alu 0xfffe
	s_add_nc_u64 s[76:77], s[24:25], s[76:77]
	s_mul_hi_u32 s78, s73, s74
	s_mul_hi_u32 s80, s73, s75
	s_wait_alu 0xfffe
	s_add_co_u32 s24, s76, s79
	s_add_co_ci_u32 s24, s77, s78
	s_mul_i32 s74, s73, s75
	s_add_co_ci_u32 s75, s80, 0
	s_wait_alu 0xfffe
	s_add_nc_u64 s[74:75], s[24:25], s[74:75]
	s_wait_alu 0xfffe
	s_add_co_u32 s78, s72, s74
	s_cselect_b32 s24, -1, 0
	s_wait_alu 0xfffe
	s_cmp_lg_u32 s24, 0
	s_add_co_ci_u32 s79, s73, s75
	s_ashr_i32 s72, s11, 31
	s_wait_alu 0xfffe
	s_mov_b32 s73, s72
	s_wait_alu 0xfffe
	s_add_nc_u64 s[74:75], s[10:11], s[72:73]
	s_wait_alu 0xfffe
	s_xor_b64 s[74:75], s[74:75], s[72:73]
	s_wait_alu 0xfffe
	s_mul_hi_u32 s77, s74, s79
	s_mul_i32 s76, s74, s79
	s_mul_hi_u32 s24, s74, s78
	s_mul_i32 s82, s75, s78
	s_wait_alu 0xfffe
	s_add_nc_u64 s[76:77], s[24:25], s[76:77]
	s_mul_hi_u32 s81, s75, s78
	s_mul_hi_u32 s80, s75, s79
	s_wait_alu 0xfffe
	s_add_co_u32 s24, s76, s82
	s_add_co_ci_u32 s24, s77, s81
	s_mul_i32 s78, s75, s79
	s_add_co_ci_u32 s79, s80, 0
	s_wait_alu 0xfffe
	s_add_nc_u64 s[76:77], s[24:25], s[78:79]
	s_wait_alu 0xfffe
	s_mul_u64 s[76:77], s[12:13], s[76:77]
	s_wait_alu 0xfffe
	s_sub_co_u32 s24, s74, s76
	s_cselect_b32 s74, -1, 0
	s_sub_co_i32 s76, s75, s77
	s_wait_alu 0xfffe
	s_cmp_lg_u32 s74, 0
	s_sub_co_ci_u32 s76, s76, s13
	s_sub_co_u32 s78, s24, s12
	s_cselect_b32 s79, -1, 0
	s_wait_alu 0xfffe
	s_cmp_lg_u32 s79, 0
	s_sub_co_ci_u32 s80, s76, 0
	s_wait_alu 0xfffe
	s_cmp_ge_u32 s80, s13
	s_cselect_b32 s81, -1, 0
	s_cmp_ge_u32 s78, s12
	s_cselect_b32 s82, -1, 0
	s_cmp_eq_u32 s80, s13
	s_wait_alu 0xfffe
	s_cselect_b32 s81, s82, s81
	s_cmp_lg_u32 s79, 0
	s_sub_co_ci_u32 s76, s76, s13
	s_sub_co_u32 s79, s78, s12
	s_cselect_b32 s82, -1, 0
	s_wait_alu 0xfffe
	s_cmp_lg_u32 s82, 0
	s_sub_co_ci_u32 s76, s76, 0
	s_cmp_lg_u32 s81, 0
	s_cselect_b32 s78, s79, s78
	s_wait_alu 0xfffe
	s_cselect_b32 s76, s76, s80
	s_cmp_lg_u32 s74, 0
	s_sub_co_ci_u32 s74, s75, s77
	s_wait_alu 0xfffe
	s_cmp_ge_u32 s74, s13
	s_cselect_b32 s75, -1, 0
	s_cmp_ge_u32 s24, s12
	s_cselect_b32 s12, -1, 0
	s_cmp_eq_u32 s74, s13
	s_wait_alu 0xfffe
	s_cselect_b32 s12, s12, s75
	s_wait_alu 0xfffe
	s_cmp_lg_u32 s12, 0
	s_cselect_b32 s13, s76, s74
	s_cselect_b32 s12, s78, s24
	s_wait_alu 0xfffe
	s_xor_b64 s[12:13], s[12:13], s[72:73]
	s_wait_alu 0xfffe
	s_sub_nc_u64 s[12:13], s[12:13], s[72:73]
	s_cbranch_execnz .LBB23_257
.LBB23_256:                             ;   in Loop: Header=BB23_32 Depth=1
	v_cvt_f32_u32_e32 v2, s50
	s_sub_co_i32 s13, 0, s50
	s_delay_alu instid0(VALU_DEP_1) | instskip(NEXT) | instid1(TRANS32_DEP_1)
	v_rcp_iflag_f32_e32 v2, v2
	v_mul_f32_e32 v2, 0x4f7ffffe, v2
	s_delay_alu instid0(VALU_DEP_1) | instskip(NEXT) | instid1(VALU_DEP_1)
	v_cvt_u32_f32_e32 v2, v2
	v_readfirstlane_b32 s12, v2
	s_wait_alu 0xfffe
	s_mul_i32 s13, s13, s12
	s_wait_alu 0xfffe
	s_mul_hi_u32 s13, s12, s13
	s_wait_alu 0xfffe
	s_add_co_i32 s12, s12, s13
	s_wait_alu 0xfffe
	s_mul_hi_u32 s12, s10, s12
	s_wait_alu 0xfffe
	s_mul_i32 s12, s12, s50
	s_wait_alu 0xfffe
	s_sub_co_i32 s12, s10, s12
	s_wait_alu 0xfffe
	s_sub_co_i32 s13, s12, s50
	s_cmp_ge_u32 s12, s50
	s_wait_alu 0xfffe
	s_cselect_b32 s12, s13, s12
	s_wait_alu 0xfffe
	s_sub_co_i32 s13, s12, s50
	s_cmp_ge_u32 s12, s50
	s_wait_alu 0xfffe
	s_cselect_b32 s24, s13, s12
	s_wait_alu 0xfffe
	s_mov_b64 s[12:13], s[24:25]
.LBB23_257:                             ;   in Loop: Header=BB23_32 Depth=1
	s_wait_alu 0xfffe
	s_sub_nc_u64 s[10:11], s[10:11], s[12:13]
	s_mov_b32 s12, exec_lo
                                        ; implicit-def: $vgpr28
	s_wait_alu 0xfffe
	v_cmpx_gt_i64_e64 s[10:11], v[0:1]
	s_cbranch_execz .LBB23_266
; %bb.258:                              ;   in Loop: Header=BB23_32 Depth=1
	v_dual_mov_b32 v6, v14 :: v_dual_mov_b32 v3, v1
	v_mov_b32_e32 v2, v0
	s_mov_b32 s13, 0
                                        ; implicit-def: $sgpr24
	s_branch .LBB23_261
.LBB23_259:                             ;   in Loop: Header=BB23_261 Depth=2
	s_wait_alu 0xfffe
	s_or_b32 exec_lo, exec_lo, s72
	s_wait_loadcnt_dscnt 0x0
	s_barrier_signal -1
	s_barrier_wait -1
	global_inv scope:SCOPE_SE
	ds_load_b64 v[27:28], v13 offset:3072
	s_mov_b32 s72, -1
	s_mov_b32 s73, -1
	s_wait_loadcnt_dscnt 0x0
	s_barrier_signal -1
	s_barrier_wait -1
	global_inv scope:SCOPE_SE
	v_cmp_eq_u32_e32 vcc_lo, 0, v27
	s_cbranch_vccnz .LBB23_264
.LBB23_260:                             ;   in Loop: Header=BB23_261 Depth=2
	s_wait_alu 0xfffe
	s_and_b32 s72, exec_lo, s72
	s_wait_alu 0xfffe
	s_or_b32 s13, s72, s13
	s_and_not1_b32 s24, s24, exec_lo
	s_and_b32 s72, s73, exec_lo
	s_wait_alu 0xfffe
	s_or_b32 s24, s24, s72
	s_and_not1_b32 exec_lo, exec_lo, s13
	s_cbranch_execz .LBB23_265
.LBB23_261:                             ;   Parent Loop BB23_32 Depth=1
                                        ; =>  This Inner Loop Header: Depth=2
	s_mov_b32 s72, exec_lo
	s_delay_alu instid0(VALU_DEP_1)
	v_cmpx_gt_u64_e64 s[8:9], v[2:3]
	s_cbranch_execz .LBB23_259
; %bb.262:                              ;   in Loop: Header=BB23_261 Depth=2
	ds_load_b32 v27, v6
	s_wait_dscnt 0x0
	v_xor_b32_e32 v7, 0x80000000, v27
	s_delay_alu instid0(VALU_DEP_1) | instskip(NEXT) | instid1(VALU_DEP_1)
	v_and_b32_e32 v7, v7, v52
	v_cmp_eq_u32_e32 vcc_lo, v7, v48
	s_and_b32 exec_lo, exec_lo, vcc_lo
	s_cbranch_execz .LBB23_259
; %bb.263:                              ;   in Loop: Header=BB23_261 Depth=2
	ds_store_b64 v13, v[26:27] offset:3072
	s_branch .LBB23_259
.LBB23_264:                             ;   in Loop: Header=BB23_261 Depth=2
	v_add_co_u32 v2, vcc_lo, v2, s50
	s_wait_alu 0xfffd
	v_add_co_ci_u32_e64 v3, null, 0, v3, vcc_lo
	v_add_nc_u32_e32 v6, s90, v6
	s_mov_b32 s73, 0
	s_delay_alu instid0(VALU_DEP_2)
	v_cmp_le_i64_e32 vcc_lo, s[10:11], v[2:3]
	s_or_not1_b32 s72, vcc_lo, exec_lo
	s_branch .LBB23_260
.LBB23_265:                             ;   in Loop: Header=BB23_32 Depth=1
	s_or_b32 exec_lo, exec_lo, s13
	s_delay_alu instid0(SALU_CYCLE_1)
	s_and_not1_b32 s5, s5, exec_lo
	s_wait_alu 0xfffe
	s_and_b32 s8, s24, exec_lo
	s_wait_alu 0xfffe
	s_or_b32 s5, s5, s8
.LBB23_266:                             ;   in Loop: Header=BB23_32 Depth=1
	s_or_b32 exec_lo, exec_lo, s12
	s_mov_b32 s12, 0
	s_mov_b32 s13, -1
.LBB23_267:                             ;   in Loop: Header=BB23_32 Depth=1
	s_wait_alu 0xfffe
	s_or_not1_b32 s8, s5, exec_lo
.LBB23_268:                             ;   in Loop: Header=BB23_32 Depth=1
	s_wait_alu 0xfffe
	s_or_b32 exec_lo, exec_lo, s71
	s_mov_b32 s9, 0
	s_and_saveexec_b32 s5, s8
	s_cbranch_execz .LBB23_279
; %bb.269:                              ;   in Loop: Header=BB23_32 Depth=1
	v_mov_b32_e32 v2, 1
	v_dual_mov_b32 v3, 0 :: v_dual_mov_b32 v12, 1
	s_xor_b32 s9, s70, -1
	s_wait_alu 0xfffe
	s_and_saveexec_b32 s8, s9
	s_cbranch_execz .LBB23_278
; %bb.270:                              ;   in Loop: Header=BB23_32 Depth=1
	s_mov_b32 s9, exec_lo
	v_cmpx_ge_i64_e64 s[6:7], v[4:5]
	s_wait_alu 0xfffe
	s_xor_b32 s9, exec_lo, s9
	s_cbranch_execz .LBB23_275
; %bb.271:                              ;   in Loop: Header=BB23_32 Depth=1
	ds_load_b64 v[2:3], v13 offset:5120
	v_or_b32_e32 v48, s16, v48
	v_or_b32_e32 v52, s16, v52
	s_wait_dscnt 0x0
	v_cmp_ne_u64_e32 vcc_lo, 0, v[2:3]
	s_cbranch_vccnz .LBB23_275
; %bb.272:                              ;   in Loop: Header=BB23_32 Depth=1
	s_and_saveexec_b32 s10, s2
; %bb.273:                              ;   in Loop: Header=BB23_32 Depth=1
	v_dual_mov_b32 v2, s6 :: v_dual_mov_b32 v3, s7
	ds_store_b64 v13, v[2:3] offset:5128
; %bb.274:                              ;   in Loop: Header=BB23_32 Depth=1
	s_wait_alu 0xfffe
	s_or_b32 exec_lo, exec_lo, s10
	s_wait_loadcnt_dscnt 0x0
	s_barrier_signal -1
	s_barrier_wait -1
	global_inv scope:SCOPE_SE
.LBB23_275:                             ;   in Loop: Header=BB23_32 Depth=1
	s_wait_alu 0xfffe
	s_and_not1_saveexec_b32 s9, s9
; %bb.276:                              ;   in Loop: Header=BB23_32 Depth=1
	v_sub_co_u32 v4, vcc_lo, v4, s6
	s_wait_alu 0xfffd
	v_subrev_co_ci_u32_e64 v5, null, s7, v5, vcc_lo
; %bb.277:                              ;   in Loop: Header=BB23_32 Depth=1
	s_wait_alu 0xfffe
	s_or_b32 exec_lo, exec_lo, s9
	v_mov_b32_e32 v2, v4
	s_delay_alu instid0(VALU_DEP_2)
	v_dual_mov_b32 v12, 8 :: v_dual_mov_b32 v3, v5
.LBB23_278:                             ;   in Loop: Header=BB23_32 Depth=1
	s_wait_alu 0xfffe
	s_or_b32 exec_lo, exec_lo, s8
	s_delay_alu instid0(VALU_DEP_1)
	v_dual_mov_b32 v5, v3 :: v_dual_mov_b32 v4, v2
	s_mov_b32 s9, exec_lo
.LBB23_279:                             ;   in Loop: Header=BB23_32 Depth=1
	s_wait_alu 0xfffe
	s_or_b32 exec_lo, exec_lo, s5
	s_delay_alu instid0(SALU_CYCLE_1)
	s_or_not1_b32 s5, s9, exec_lo
.LBB23_280:                             ;   in Loop: Header=BB23_32 Depth=1
	s_wait_alu 0xfffe
	s_or_b32 exec_lo, exec_lo, s20
	v_dual_mov_b32 v2, v4 :: v_dual_mov_b32 v3, v5
	s_and_not1_b32 s6, s15, exec_lo
	s_and_b32 s7, s13, exec_lo
	s_and_not1_b32 s8, s14, exec_lo
	s_and_b32 s9, s12, exec_lo
	s_wait_alu 0xfffe
	s_or_b32 s15, s6, s7
	s_or_b32 s14, s8, s9
	s_and_b32 s10, s5, exec_lo
.LBB23_281:                             ;   in Loop: Header=BB23_32 Depth=1
	s_wait_alu 0xfffe
	s_or_b32 exec_lo, exec_lo, s69
	s_delay_alu instid0(SALU_CYCLE_1)
	s_or_not1_b32 s5, s10, exec_lo
.LBB23_282:                             ;   in Loop: Header=BB23_32 Depth=1
	s_wait_alu 0xfffe
	s_or_b32 exec_lo, exec_lo, s68
	v_dual_mov_b32 v7, v3 :: v_dual_mov_b32 v6, v2
	s_and_not1_b32 s6, s22, exec_lo
	s_and_b32 s7, s15, exec_lo
	s_and_not1_b32 s8, s21, exec_lo
	s_and_b32 s9, s14, exec_lo
	s_wait_alu 0xfffe
	s_or_b32 s22, s6, s7
	s_or_b32 s21, s8, s9
	s_and_b32 s10, s5, exec_lo
.LBB23_283:                             ;   in Loop: Header=BB23_32 Depth=1
	s_or_b32 exec_lo, exec_lo, s23
	s_wait_alu 0xfffe
	s_or_not1_b32 s5, s10, exec_lo
.LBB23_284:                             ;   in Loop: Header=BB23_32 Depth=1
	s_or_b32 exec_lo, exec_lo, s19
	s_mov_b32 s6, 0
	s_wait_alu 0xfffe
	s_and_saveexec_b32 s7, s5
	s_wait_alu 0xfffe
	s_xor_b32 s5, exec_lo, s7
	s_cbranch_execz .LBB23_30
; %bb.285:                              ;   in Loop: Header=BB23_32 Depth=1
	v_and_b32_e32 v2, 7, v12
	s_mov_b32 s7, -1
	s_mov_b32 s6, -1
	s_mov_b32 s8, exec_lo
	s_delay_alu instid0(VALU_DEP_1)
	v_cmpx_eq_u32_e32 0, v2
	s_cbranch_execz .LBB23_29
; %bb.286:                              ;   in Loop: Header=BB23_32 Depth=1
	s_xor_b32 s93, s93, 1
	s_add_co_i32 s9, s91, -2
	s_cmp_eq_u32 s91, 0
	s_wait_alu 0xfffe
	s_mov_b32 s91, s9
	s_cselect_b32 s7, -1, 0
	s_xor_b32 s6, exec_lo, -1
	s_wait_alu 0xfffe
	s_or_not1_b32 s7, s7, exec_lo
	s_branch .LBB23_29
.LBB23_287:                             ;   in Loop: Header=BB23_32 Depth=1
                                        ; implicit-def: $sgpr10_sgpr11
	s_branch .LBB23_240
.LBB23_288:                             ;   in Loop: Header=BB23_32 Depth=1
                                        ; implicit-def: $sgpr12_sgpr13
	s_branch .LBB23_256
.LBB23_289:
	s_or_b32 exec_lo, exec_lo, s92
	s_xor_b32 s5, s99, -1
	s_xor_b32 s1, s97, -1
	;; [unrolled: 1-line block ×3, first 2 shown]
	s_mov_b32 s3, 0
	s_and_saveexec_b32 s6, s1
	s_wait_alu 0xfffe
	s_xor_b32 s1, exec_lo, s6
	s_cbranch_execnz .LBB23_294
; %bb.290:
	s_and_not1_saveexec_b32 s0, s1
	s_cbranch_execnz .LBB23_316
.LBB23_291:
	s_wait_alu 0xfffe
	s_or_b32 exec_lo, exec_lo, s0
	s_and_saveexec_b32 s0, s3
.LBB23_292:
	; divergent unreachable
.LBB23_293:
	s_endpgm
.LBB23_294:
	s_and_saveexec_b32 s3, s5
	s_wait_alu 0xfffe
	s_xor_b32 s3, exec_lo, s3
	s_cbranch_execz .LBB23_314
; %bb.295:
	s_and_saveexec_b32 s5, s4
	s_wait_alu 0xfffe
	s_xor_b32 s4, exec_lo, s5
; %bb.296:
	v_xor_b32_e32 v28, 0x80000000, v48
; %bb.297:
	s_wait_alu 0xfffe
	s_or_b32 exec_lo, exec_lo, s4
	s_and_saveexec_b32 s4, s2
; %bb.298:
	v_dual_mov_b32 v2, 0 :: v_dual_mov_b32 v3, s36
	ds_store_b32 v2, v3 offset:5140
; %bb.299:
	s_wait_alu 0xfffe
	s_or_b32 exec_lo, exec_lo, s4
	s_wait_loadcnt_dscnt 0x0
	s_barrier_signal -1
	s_barrier_wait -1
	global_inv scope:SCOPE_SE
	s_and_saveexec_b32 s4, s0
	s_cbranch_execz .LBB23_311
; %bb.300:
	v_mov_b32_e32 v2, 0
	s_mov_b32 s5, 0
                                        ; implicit-def: $sgpr6
                                        ; implicit-def: $sgpr7
                                        ; implicit-def: $sgpr8
	ds_load_b32 v4, v2 offset:5140
	s_wait_dscnt 0x0
	v_ashrrev_i32_e32 v5, 31, v4
	s_branch .LBB23_303
.LBB23_301:                             ;   in Loop: Header=BB23_303 Depth=1
	s_wait_alu 0xfffe
	s_or_b32 exec_lo, exec_lo, s11
	s_delay_alu instid0(SALU_CYCLE_1)
	s_and_not1_b32 s8, s8, exec_lo
	s_and_b32 s10, s10, exec_lo
	s_and_not1_b32 s7, s7, exec_lo
	s_and_b32 s0, s0, exec_lo
	s_wait_alu 0xfffe
	s_or_b32 s8, s8, s10
	s_or_b32 s7, s7, s0
.LBB23_302:                             ;   in Loop: Header=BB23_303 Depth=1
	s_wait_alu 0xfffe
	s_or_b32 exec_lo, exec_lo, s9
	s_delay_alu instid0(SALU_CYCLE_1)
	s_and_b32 s0, exec_lo, s7
	s_wait_alu 0xfffe
	s_or_b32 s5, s0, s5
	s_and_not1_b32 s0, s6, exec_lo
	s_and_b32 s6, s8, exec_lo
	s_wait_alu 0xfffe
	s_or_b32 s6, s0, s6
	s_and_not1_b32 exec_lo, exec_lo, s5
	s_cbranch_execz .LBB23_306
.LBB23_303:                             ; =>This Inner Loop Header: Depth=1
	v_dual_mov_b32 v3, v1 :: v_dual_mov_b32 v2, v0
	s_or_b32 s8, s8, exec_lo
	s_or_b32 s7, s7, exec_lo
	s_mov_b32 s9, exec_lo
                                        ; implicit-def: $vgpr0_vgpr1
	s_delay_alu instid0(VALU_DEP_1)
	v_cmpx_lt_i64_e64 v[2:3], v[4:5]
	s_cbranch_execz .LBB23_302
; %bb.304:                              ;   in Loop: Header=BB23_303 Depth=1
	global_load_b32 v0, v[10:11], off
	s_mov_b32 s0, -1
	s_mov_b32 s10, 0
	s_wait_loadcnt 0x0
	v_cmp_ne_u32_e32 vcc_lo, v0, v28
                                        ; implicit-def: $vgpr0_vgpr1
	s_and_saveexec_b32 s11, vcc_lo
	s_cbranch_execz .LBB23_301
; %bb.305:                              ;   in Loop: Header=BB23_303 Depth=1
	v_add_co_u32 v0, vcc_lo, v2, s50
	s_wait_alu 0xfffd
	v_add_co_ci_u32_e64 v1, null, 0, v3, vcc_lo
	v_add_co_u32 v10, s0, v10, s52
	s_wait_alu 0xf1fe
	v_add_co_ci_u32_e64 v11, null, s53, v11, s0
	s_delay_alu instid0(VALU_DEP_3)
	v_cmp_le_i64_e32 vcc_lo, s[36:37], v[0:1]
	s_mov_b32 s10, exec_lo
	s_or_not1_b32 s0, vcc_lo, exec_lo
	s_branch .LBB23_301
.LBB23_306:
	s_or_b32 exec_lo, exec_lo, s5
	s_wait_alu 0xfffe
	s_xor_b32 s0, s6, -1
	s_wait_alu 0xfffe
	s_and_saveexec_b32 s5, s0
	s_wait_alu 0xfffe
	s_xor_b32 s5, exec_lo, s5
	s_cbranch_execz .LBB23_311
; %bb.307:
	s_mov_b32 s5, exec_lo
	s_brev_b32 s0, -2
.LBB23_308:                             ; =>This Inner Loop Header: Depth=1
	s_wait_alu 0xfffe
	s_ctz_i32_b32 s6, s5
	s_wait_alu 0xfffe
	v_readlane_b32 s7, v2, s6
	s_lshl_b32 s6, 1, s6
	s_wait_alu 0xfffe
	s_and_not1_b32 s5, s5, s6
	s_min_i32 s0, s0, s7
	s_wait_alu 0xfffe
	s_cmp_lg_u32 s5, 0
	s_cbranch_scc1 .LBB23_308
; %bb.309:
	v_mbcnt_lo_u32_b32 v0, exec_lo, 0
	s_mov_b32 s5, exec_lo
	s_delay_alu instid0(VALU_DEP_1)
	v_cmpx_eq_u32_e32 0, v0
	s_wait_alu 0xfffe
	s_xor_b32 s5, exec_lo, s5
; %bb.310:
	v_dual_mov_b32 v0, 0 :: v_dual_mov_b32 v1, s0
	ds_min_i32 v0, v1 offset:5140
.LBB23_311:
	s_wait_alu 0xfffe
	s_or_b32 exec_lo, exec_lo, s4
	s_wait_loadcnt_dscnt 0x0
	s_barrier_signal -1
	s_barrier_wait -1
	global_inv scope:SCOPE_SE
	s_and_saveexec_b32 s0, s2
	s_cbranch_execz .LBB23_313
; %bb.312:
	v_mov_b32_e32 v2, 0
	s_mul_u64 s[6:7], s[48:49], s[34:35]
	s_mul_u64 s[4:5], s[40:41], s[28:29]
	s_wait_alu 0xfffe
	s_lshl_b64 s[6:7], s[6:7], 3
	s_lshl_b64 s[4:5], s[4:5], 2
	ds_load_b32 v0, v2 offset:5140
	s_lshl_b64 s[10:11], s[30:31], 3
	s_wait_alu 0xfffe
	s_add_nc_u64 s[6:7], s[46:47], s[6:7]
	s_lshl_b64 s[8:9], s[26:27], 2
	s_add_nc_u64 s[4:5], s[44:45], s[4:5]
	s_wait_alu 0xfffe
	s_add_nc_u64 s[6:7], s[6:7], s[10:11]
	s_add_nc_u64 s[4:5], s[4:5], s[8:9]
	s_wait_dscnt 0x0
	v_ashrrev_i32_e32 v1, 31, v0
	s_clause 0x1
	global_store_b64 v2, v[0:1], s[6:7]
	global_store_b32 v2, v28, s[4:5]
.LBB23_313:
	s_wait_alu 0xfffe
	s_or_b32 exec_lo, exec_lo, s0
.LBB23_314:
	s_wait_alu 0xfffe
	s_or_saveexec_b32 s0, s3
	s_mov_b32 s2, 0
	s_wait_alu 0xfffe
	s_xor_b32 exec_lo, exec_lo, s0
	s_cbranch_execnz .LBB23_317
.LBB23_315:
	s_or_b32 exec_lo, exec_lo, s0
	s_wait_alu 0xfffe
	s_and_b32 s3, s2, exec_lo
	s_and_not1_saveexec_b32 s0, s1
	s_cbranch_execz .LBB23_291
.LBB23_316:
	s_wait_alu 0xfffe
	s_or_b32 s3, s3, exec_lo
	s_trap 2
	s_or_b32 exec_lo, exec_lo, s0
	s_wait_alu 0xfffe
	s_and_saveexec_b32 s0, s3
	s_cbranch_execnz .LBB23_292
	s_branch .LBB23_293
.LBB23_317:
	s_mov_b32 s2, exec_lo
	s_trap 2
	s_branch .LBB23_315
	.section	.rodata,"a",@progbits
	.p2align	6, 0x0
	.amdhsa_kernel _ZN2at6native12_GLOBAL__N_114gatherKthValueIilLin1EEEvNS_4cuda6detail10TensorInfoIKT_T0_EES8_S8_S8_S8_NS5_IS6_S8_EENS5_IlS8_EE
		.amdhsa_group_segment_fixed_size 5144
		.amdhsa_private_segment_fixed_size 0
		.amdhsa_kernarg_size 1536
		.amdhsa_user_sgpr_count 2
		.amdhsa_user_sgpr_dispatch_ptr 0
		.amdhsa_user_sgpr_queue_ptr 0
		.amdhsa_user_sgpr_kernarg_segment_ptr 1
		.amdhsa_user_sgpr_dispatch_id 0
		.amdhsa_user_sgpr_private_segment_size 0
		.amdhsa_wavefront_size32 1
		.amdhsa_uses_dynamic_stack 0
		.amdhsa_enable_private_segment 0
		.amdhsa_system_sgpr_workgroup_id_x 1
		.amdhsa_system_sgpr_workgroup_id_y 1
		.amdhsa_system_sgpr_workgroup_id_z 1
		.amdhsa_system_sgpr_workgroup_info 0
		.amdhsa_system_vgpr_workitem_id 0
		.amdhsa_next_free_vgpr 62
		.amdhsa_next_free_sgpr 100
		.amdhsa_reserve_vcc 1
		.amdhsa_float_round_mode_32 0
		.amdhsa_float_round_mode_16_64 0
		.amdhsa_float_denorm_mode_32 3
		.amdhsa_float_denorm_mode_16_64 3
		.amdhsa_fp16_overflow 0
		.amdhsa_workgroup_processor_mode 1
		.amdhsa_memory_ordered 1
		.amdhsa_forward_progress 1
		.amdhsa_inst_pref_size 166
		.amdhsa_round_robin_scheduling 0
		.amdhsa_exception_fp_ieee_invalid_op 0
		.amdhsa_exception_fp_denorm_src 0
		.amdhsa_exception_fp_ieee_div_zero 0
		.amdhsa_exception_fp_ieee_overflow 0
		.amdhsa_exception_fp_ieee_underflow 0
		.amdhsa_exception_fp_ieee_inexact 0
		.amdhsa_exception_int_div_zero 0
	.end_amdhsa_kernel
	.section	.text._ZN2at6native12_GLOBAL__N_114gatherKthValueIilLin1EEEvNS_4cuda6detail10TensorInfoIKT_T0_EES8_S8_S8_S8_NS5_IS6_S8_EENS5_IlS8_EE,"axG",@progbits,_ZN2at6native12_GLOBAL__N_114gatherKthValueIilLin1EEEvNS_4cuda6detail10TensorInfoIKT_T0_EES8_S8_S8_S8_NS5_IS6_S8_EENS5_IlS8_EE,comdat
.Lfunc_end23:
	.size	_ZN2at6native12_GLOBAL__N_114gatherKthValueIilLin1EEEvNS_4cuda6detail10TensorInfoIKT_T0_EES8_S8_S8_S8_NS5_IS6_S8_EENS5_IlS8_EE, .Lfunc_end23-_ZN2at6native12_GLOBAL__N_114gatherKthValueIilLin1EEEvNS_4cuda6detail10TensorInfoIKT_T0_EES8_S8_S8_S8_NS5_IS6_S8_EENS5_IlS8_EE
                                        ; -- End function
	.set _ZN2at6native12_GLOBAL__N_114gatherKthValueIilLin1EEEvNS_4cuda6detail10TensorInfoIKT_T0_EES8_S8_S8_S8_NS5_IS6_S8_EENS5_IlS8_EE.num_vgpr, 62
	.set _ZN2at6native12_GLOBAL__N_114gatherKthValueIilLin1EEEvNS_4cuda6detail10TensorInfoIKT_T0_EES8_S8_S8_S8_NS5_IS6_S8_EENS5_IlS8_EE.num_agpr, 0
	.set _ZN2at6native12_GLOBAL__N_114gatherKthValueIilLin1EEEvNS_4cuda6detail10TensorInfoIKT_T0_EES8_S8_S8_S8_NS5_IS6_S8_EENS5_IlS8_EE.numbered_sgpr, 100
	.set _ZN2at6native12_GLOBAL__N_114gatherKthValueIilLin1EEEvNS_4cuda6detail10TensorInfoIKT_T0_EES8_S8_S8_S8_NS5_IS6_S8_EENS5_IlS8_EE.num_named_barrier, 0
	.set _ZN2at6native12_GLOBAL__N_114gatherKthValueIilLin1EEEvNS_4cuda6detail10TensorInfoIKT_T0_EES8_S8_S8_S8_NS5_IS6_S8_EENS5_IlS8_EE.private_seg_size, 0
	.set _ZN2at6native12_GLOBAL__N_114gatherKthValueIilLin1EEEvNS_4cuda6detail10TensorInfoIKT_T0_EES8_S8_S8_S8_NS5_IS6_S8_EENS5_IlS8_EE.uses_vcc, 1
	.set _ZN2at6native12_GLOBAL__N_114gatherKthValueIilLin1EEEvNS_4cuda6detail10TensorInfoIKT_T0_EES8_S8_S8_S8_NS5_IS6_S8_EENS5_IlS8_EE.uses_flat_scratch, 0
	.set _ZN2at6native12_GLOBAL__N_114gatherKthValueIilLin1EEEvNS_4cuda6detail10TensorInfoIKT_T0_EES8_S8_S8_S8_NS5_IS6_S8_EENS5_IlS8_EE.has_dyn_sized_stack, 0
	.set _ZN2at6native12_GLOBAL__N_114gatherKthValueIilLin1EEEvNS_4cuda6detail10TensorInfoIKT_T0_EES8_S8_S8_S8_NS5_IS6_S8_EENS5_IlS8_EE.has_recursion, 0
	.set _ZN2at6native12_GLOBAL__N_114gatherKthValueIilLin1EEEvNS_4cuda6detail10TensorInfoIKT_T0_EES8_S8_S8_S8_NS5_IS6_S8_EENS5_IlS8_EE.has_indirect_call, 0
	.section	.AMDGPU.csdata,"",@progbits
; Kernel info:
; codeLenInByte = 21184
; TotalNumSgprs: 102
; NumVgprs: 62
; ScratchSize: 0
; MemoryBound: 0
; FloatMode: 240
; IeeeMode: 1
; LDSByteSize: 5144 bytes/workgroup (compile time only)
; SGPRBlocks: 0
; VGPRBlocks: 7
; NumSGPRsForWavesPerEU: 102
; NumVGPRsForWavesPerEU: 62
; Occupancy: 16
; WaveLimiterHint : 1
; COMPUTE_PGM_RSRC2:SCRATCH_EN: 0
; COMPUTE_PGM_RSRC2:USER_SGPR: 2
; COMPUTE_PGM_RSRC2:TRAP_HANDLER: 0
; COMPUTE_PGM_RSRC2:TGID_X_EN: 1
; COMPUTE_PGM_RSRC2:TGID_Y_EN: 1
; COMPUTE_PGM_RSRC2:TGID_Z_EN: 1
; COMPUTE_PGM_RSRC2:TIDIG_COMP_CNT: 0
	.section	.text._ZN2at6native12_GLOBAL__N_114gatherKthValueIliLi1EEEvNS_4cuda6detail10TensorInfoIKT_T0_EES8_S8_S8_S8_NS5_IS6_S8_EENS5_IlS8_EE,"axG",@progbits,_ZN2at6native12_GLOBAL__N_114gatherKthValueIliLi1EEEvNS_4cuda6detail10TensorInfoIKT_T0_EES8_S8_S8_S8_NS5_IS6_S8_EENS5_IlS8_EE,comdat
	.globl	_ZN2at6native12_GLOBAL__N_114gatherKthValueIliLi1EEEvNS_4cuda6detail10TensorInfoIKT_T0_EES8_S8_S8_S8_NS5_IS6_S8_EENS5_IlS8_EE ; -- Begin function _ZN2at6native12_GLOBAL__N_114gatherKthValueIliLi1EEEvNS_4cuda6detail10TensorInfoIKT_T0_EES8_S8_S8_S8_NS5_IS6_S8_EENS5_IlS8_EE
	.p2align	8
	.type	_ZN2at6native12_GLOBAL__N_114gatherKthValueIliLi1EEEvNS_4cuda6detail10TensorInfoIKT_T0_EES8_S8_S8_S8_NS5_IS6_S8_EENS5_IlS8_EE,@function
_ZN2at6native12_GLOBAL__N_114gatherKthValueIliLi1EEEvNS_4cuda6detail10TensorInfoIKT_T0_EES8_S8_S8_S8_NS5_IS6_S8_EENS5_IlS8_EE: ; @_ZN2at6native12_GLOBAL__N_114gatherKthValueIliLi1EEEvNS_4cuda6detail10TensorInfoIKT_T0_EES8_S8_S8_S8_NS5_IS6_S8_EENS5_IlS8_EE
; %bb.0:
	s_clause 0x1
	s_load_b64 s[4:5], s[0:1], 0x298
	s_load_b128 s[36:39], s[0:1], 0xd8
	s_lshr_b32 s2, ttmp7, 16
	s_and_b32 s3, ttmp7, 0xffff
	s_wait_kmcnt 0x0
	s_mul_i32 s2, s5, s2
	s_delay_alu instid0(SALU_CYCLE_1) | instskip(NEXT) | instid1(SALU_CYCLE_1)
	s_add_co_i32 s2, s2, s3
	s_mul_i32 s29, s2, s4
	s_delay_alu instid0(SALU_CYCLE_1) | instskip(NEXT) | instid1(SALU_CYCLE_1)
	s_add_co_i32 s29, s29, ttmp9
	s_cmp_ge_i32 s29, s38
	s_cbranch_scc1 .LBB24_234
; %bb.1:
	s_clause 0x1
	s_load_b32 s3, s[0:1], 0x6c
	s_load_b64 s[6:7], s[0:1], 0x0
	v_cmp_eq_u32_e64 s2, 0, v0
	s_add_nc_u64 s[10:11], s[0:1], 0x298
	s_mov_b32 s41, 0
	s_and_saveexec_b32 s5, s2
; %bb.2:
	v_dual_mov_b32 v1, 0 :: v_dual_mov_b32 v2, s36
	s_delay_alu instid0(VALU_DEP_1)
	v_mov_b32_e32 v3, v1
	ds_store_b96 v1, v[1:3] offset:4096
; %bb.3:
	s_or_b32 exec_lo, exec_lo, s5
	s_wait_dscnt 0x0
	s_barrier_signal -1
	s_barrier_wait -1
	global_inv scope:SCOPE_SE
	s_load_b32 s5, s[10:11], 0xc
	v_mbcnt_lo_u32_b32 v26, -1, 0
	s_clause 0x3
	s_load_b32 s33, s[0:1], 0x22c
	s_load_b64 s[30:31], s[0:1], 0x1c0
	s_load_b32 s38, s[0:1], 0x154
	s_load_b64 s[34:35], s[0:1], 0xe8
	v_cmp_gt_u32_e32 vcc_lo, 32, v0
	s_wait_kmcnt 0x0
	s_mul_i32 s8, s3, s29
	v_dual_mov_b32 v12, 0 :: v_dual_lshlrev_b32 v27, 2, v0
	v_cmp_gt_i32_e64 s1, 4, v26
	s_ashr_i32 s9, s8, 31
	v_mul_lo_u32 v10, s39, v0
	s_lshl_b64 s[8:9], s[8:9], 3
	v_dual_mov_b32 v11, v12 :: v_dual_lshlrev_b32 v28, 3, v0
	s_and_b32 s51, vcc_lo, s1
	s_add_nc_u64 s[42:43], s[6:7], s[8:9]
	v_lshlrev_b32_e32 v37, 5, v0
	s_delay_alu instid0(VALU_DEP_2)
	v_add_nc_u32_e32 v29, 0xc00, v28
	v_cmp_gt_u32_e64 s0, 2, v0
	v_dual_mov_b32 v40, s37 :: v_dual_lshlrev_b32 v35, 2, v10
	s_and_b32 s50, s5, 0xffff
	s_bfe_u32 s3, s5, 0xb0005
	s_lshl_b32 s52, s50, 2
	s_add_co_i32 s53, s50, -1
	s_cvt_f32_u32 s1, s52
	s_add_co_i32 s62, s53, s36
	s_cmp_gt_i32 s36, 0x180
	s_cvt_f32_u32 s12, s50
	v_rcp_iflag_f32_e32 v1, s1
	s_cselect_b32 s55, -1, 0
	s_cmp_gt_u32 s50, 31
	v_rcp_iflag_f32_e32 v4, s12
	s_cselect_b32 s56, -1, 0
	s_cmp_lt_u32 ttmp9, s4
	v_cmp_gt_u32_e64 s1, s36, v0
	s_cselect_b32 s40, 12, 18
	s_add_co_i32 s4, s3, -1
	s_bfe_u32 s57, s50, 0x30005
	v_readfirstlane_b32 s5, v1
	s_and_b32 s4, s4, 0xffff
	v_lshlrev_b64_e64 v[1:2], v26, -1
	s_cmp_gt_u32 s4, 6
	v_lshlrev_b64_e32 v[2:3], 3, v[10:11]
	s_mul_f32 s4, s5, 0x4f7ffffe
	s_cselect_b32 s58, -1, 0
	s_and_b32 s59, s3, 0x7f8
	s_cmp_lg_u32 s57, 0
	s_cvt_u32_f32 s5, s4
	s_cselect_b32 s60, -1, 0
	s_sub_co_i32 s4, 0, s52
	v_not_b32_e32 v31, v1
	s_mul_i32 s4, s4, s5
	v_add_co_u32 v13, vcc_lo, s42, v2
	s_mul_hi_u32 s13, s5, s4
	v_lshrrev_b32_e32 v2, 1, v0
	s_wait_alu 0xfffe
	s_add_co_i32 s44, s5, s13
	v_add_co_ci_u32_e64 v14, null, s43, v3, vcc_lo
	s_mul_hi_u32 s5, s36, s44
	v_or_b32_e32 v3, 3, v27
	s_mul_i32 s5, s5, s52
	v_cmp_gt_i32_e64 s3, s36, v0
	s_sub_co_i32 s5, s36, s5
	v_cmp_eq_u32_e64 s4, 0, v26
	s_sub_co_i32 s12, s5, s52
	s_cmp_ge_u32 s5, s52
	v_mul_lo_u32 v34, s39, v3
	s_wait_alu 0xfffe
	s_cselect_b32 s5, s12, s5
	v_readfirstlane_b32 s12, v4
	s_sub_co_i32 s13, s5, s52
	s_cmp_ge_u32 s5, s52
	v_mov_b32_e32 v4, 0
	s_wait_alu 0xfffe
	s_cselect_b32 s9, s13, s5
	s_mul_f32 s5, s12, 0x4f7ffffe
	s_sub_co_i32 s61, s36, s9
	s_sub_co_i32 s6, 0, s50
	v_dual_mov_b32 v5, 0 :: v_dual_add_nc_u32 v30, s61, v0
	s_cvt_u32_f32 s5, s5
	s_abs_i32 s7, s62
	s_mov_b32 s12, s39
	s_delay_alu instid0(VALU_DEP_1)
	v_mul_lo_u32 v1, v30, s39
	s_mul_i32 s6, s6, s5
	s_wait_alu 0xfffe
	v_mad_co_u64_u32 v[17:18], null, s39, v27, s[12:13]
	s_mul_hi_u32 s6, s5, s6
	v_mov_b32_e32 v18, 0
	s_add_co_i32 s46, s5, s6
	s_movk_i32 s5, 0x1f0
	s_mul_hi_u32 s6, s7, s46
	v_and_or_b32 v32, v2, s5, 0xc00
	v_ashrrev_i32_e32 v2, 31, v1
	s_mul_i32 s6, s6, s50
	v_lshl_or_b32 v38, v26, 2, 0xc00
	s_sub_co_i32 s5, s7, s6
	s_ashr_i32 s7, s62, 31
	v_lshlrev_b64_e32 v[1:2], 3, v[1:2]
	s_wait_alu 0xfffe
	s_sub_co_i32 s6, s5, s50
	s_cmp_ge_u32 s5, s50
	v_mov_b32_e32 v19, 0
	s_cselect_b32 s6, s6, s5
	v_cmp_gt_i32_e64 s5, s61, v27
	v_add_co_u32 v15, vcc_lo, s42, v1
	v_add3_u32 v1, s50, s36, v0
	s_sub_co_i32 s8, s6, s50
	s_cmp_ge_u32 s6, s50
	s_wait_alu 0xfffd
	v_add_co_ci_u32_e64 v16, null, s43, v2, vcc_lo
	s_cselect_b32 s8, s8, s6
	v_or_b32_e32 v2, 2, v27
	v_subrev_nc_u32_e32 v1, s9, v1
	s_xor_b32 s8, s8, s7
	v_mov_b32_e32 v20, 0
	s_wait_alu 0xfffe
	s_sub_co_i32 s8, s7, s8
	v_mul_lo_u32 v33, s39, v2
	v_mul_lo_u32 v36, s39, v1
	s_wait_alu 0xfffe
	s_add_co_i32 s62, s62, s8
	v_mov_b32_e32 v1, 1
	v_cmp_gt_u32_e64 s6, s36, v30
	v_cmp_gt_i32_e64 s7, s36, v30
	v_cmp_gt_i32_e64 s8, s62, v0
	v_mov_b32_e32 v21, 0
	v_mov_b32_e32 v39, 0
	s_mul_i32 s54, s39, s50
	s_mov_b32 s45, s41
	s_mov_b32 s47, s41
	s_lshl_b32 s63, s54, 2
	s_lshl_b32 s64, s50, 5
	;; [unrolled: 1-line block ×3, first 2 shown]
	s_mov_b32 s72, 62
	s_add_nc_u64 s[48:49], s[10:11], s[40:41]
	s_mov_b32 s37, 0
                                        ; implicit-def: $sgpr69
                                        ; implicit-def: $sgpr71
                                        ; implicit-def: $sgpr66
                                        ; implicit-def: $sgpr68
                                        ; implicit-def: $sgpr70
                                        ; implicit-def: $sgpr67
	s_branch .LBB24_7
.LBB24_4:                               ;   in Loop: Header=BB24_7 Depth=1
	s_wait_alu 0xfffe
	s_or_b32 exec_lo, exec_lo, s12
	s_delay_alu instid0(SALU_CYCLE_1)
	s_and_b32 s10, s10, exec_lo
	s_and_not1_b32 s18, s18, exec_lo
	s_and_not1_b32 s17, s17, exec_lo
	s_or_not1_b32 s15, s11, exec_lo
.LBB24_5:                               ;   in Loop: Header=BB24_7 Depth=1
	s_wait_alu 0xfffe
	s_or_b32 exec_lo, exec_lo, s9
	s_delay_alu instid0(SALU_CYCLE_1)
	s_and_not1_b32 s9, s67, exec_lo
	s_and_b32 s10, s10, exec_lo
	s_and_not1_b32 s11, s68, exec_lo
	s_wait_alu 0xfffe
	s_or_b32 s67, s9, s10
	s_and_not1_b32 s9, s70, exec_lo
	s_and_b32 s10, s18, exec_lo
	s_and_b32 s12, s17, exec_lo
	s_wait_alu 0xfffe
	s_or_b32 s70, s9, s10
	s_or_b32 s68, s11, s12
	s_or_not1_b32 s16, s15, exec_lo
.LBB24_6:                               ;   in Loop: Header=BB24_7 Depth=1
	s_wait_alu 0xfffe
	s_or_b32 exec_lo, exec_lo, s14
	s_delay_alu instid0(SALU_CYCLE_1)
	s_and_b32 s9, exec_lo, s16
	v_mov_b32_e32 v40, v9
	s_wait_alu 0xfffe
	s_or_b32 s37, s9, s37
	s_and_not1_b32 s9, s66, exec_lo
	s_and_b32 s10, s67, exec_lo
	s_and_not1_b32 s11, s71, exec_lo
	s_wait_alu 0xfffe
	s_or_b32 s66, s9, s10
	s_and_b32 s9, s70, exec_lo
	s_and_not1_b32 s10, s69, exec_lo
	s_and_b32 s12, s68, exec_lo
	s_wait_alu 0xfffe
	s_or_b32 s71, s11, s9
	s_or_b32 s69, s10, s12
	s_mov_b32 s72, s23
	s_and_not1_b32 exec_lo, exec_lo, s37
	s_cbranch_execz .LBB24_230
.LBB24_7:                               ; =>This Loop Header: Depth=1
                                        ;     Child Loop BB24_13 Depth 2
                                        ;     Child Loop BB24_28 Depth 2
                                        ;     Child Loop BB24_60 Depth 2
                                        ;     Child Loop BB24_64 Depth 2
                                        ;     Child Loop BB24_47 Depth 2
                                        ;     Child Loop BB24_54 Depth 2
                                        ;     Child Loop BB24_43 Depth 2
                                        ;     Child Loop BB24_72 Depth 2
                                        ;     Child Loop BB24_82 Depth 2
                                        ;     Child Loop BB24_93 Depth 2
                                        ;     Child Loop BB24_119 Depth 2
                                        ;     Child Loop BB24_130 Depth 2
                                        ;     Child Loop BB24_156 Depth 2
                                        ;     Child Loop BB24_167 Depth 2
                                        ;     Child Loop BB24_193 Depth 2
                                        ;     Child Loop BB24_204 Depth 2
	ds_load_b64 v[2:3], v12 offset:4096
	s_wait_dscnt 0x0
	v_readfirstlane_b32 s40, v2
	s_cmp_gt_i32 s40, 0
	s_cbranch_scc1 .LBB24_35
; %bb.8:                                ;   in Loop: Header=BB24_7 Depth=1
	s_and_b32 vcc_lo, exec_lo, s55
	s_wait_alu 0xfffe
	s_cbranch_vccz .LBB24_21
; %bb.9:                                ;   in Loop: Header=BB24_7 Depth=1
	v_cmp_gt_i32_e32 vcc_lo, 0x181, v3
	s_mov_b32 s10, 0
	s_mov_b32 s9, 0
	s_cbranch_vccz .LBB24_22
; %bb.10:                               ;   in Loop: Header=BB24_7 Depth=1
	s_and_saveexec_b32 s11, s1
	s_cbranch_execz .LBB24_67
; %bb.11:                               ;   in Loop: Header=BB24_7 Depth=1
	global_load_b64 v[2:3], v[13:14], off
	s_load_u16 s12, s[48:49], 0x0
	v_mov_b32_e32 v8, v0
	s_mov_b32 s14, 0
	s_wait_kmcnt 0x0
	v_add_nc_u32_e32 v6, s12, v0
	s_mul_i32 s13, s39, s12
	s_delay_alu instid0(VALU_DEP_1)
	v_mul_lo_u32 v11, s39, v6
	s_branch .LBB24_13
.LBB24_12:                              ;   in Loop: Header=BB24_13 Depth=2
	s_wait_alu 0xfffe
	s_or_b32 exec_lo, exec_lo, s9
	v_cmp_le_i32_e32 vcc_lo, s36, v8
	v_dual_mov_b32 v2, v6 :: v_dual_add_nc_u32 v11, s13, v11
	v_mov_b32_e32 v3, v7
	s_or_b32 s14, vcc_lo, s14
	s_wait_alu 0xfffe
	s_and_not1_b32 exec_lo, exec_lo, s14
	s_cbranch_execz .LBB24_67
.LBB24_13:                              ;   Parent Loop BB24_7 Depth=1
                                        ; =>  This Inner Loop Header: Depth=2
	v_mov_b32_e32 v6, 0
	v_dual_mov_b32 v7, 0 :: v_dual_add_nc_u32 v8, s12, v8
	s_mov_b32 s9, exec_lo
	s_delay_alu instid0(VALU_DEP_1)
	v_cmpx_gt_u32_e64 s36, v8
	s_cbranch_execz .LBB24_15
; %bb.14:                               ;   in Loop: Header=BB24_13 Depth=2
	s_delay_alu instid0(VALU_DEP_4) | instskip(NEXT) | instid1(VALU_DEP_1)
	v_lshlrev_b64_e32 v[6:7], 3, v[11:12]
	v_add_co_u32 v6, vcc_lo, s42, v6
	s_wait_alu 0xfffd
	s_delay_alu instid0(VALU_DEP_2)
	v_add_co_ci_u32_e64 v7, null, s43, v7, vcc_lo
	global_load_b64 v[6:7], v[6:7], off
.LBB24_15:                              ;   in Loop: Header=BB24_13 Depth=2
	s_wait_alu 0xfffe
	s_or_b32 exec_lo, exec_lo, s9
	s_wait_loadcnt_dscnt 0x0
	v_xor_b32_e32 v9, 0x80000000, v3
	v_and_b32_e32 v22, v2, v20
	s_delay_alu instid0(VALU_DEP_2) | instskip(SKIP_1) | instid1(VALU_DEP_2)
	v_and_b32_e32 v23, v9, v21
	v_mov_b32_e32 v9, 0
	v_cmp_eq_u64_e32 vcc_lo, v[22:23], v[18:19]
	s_cmp_lg_u32 vcc_lo, 0
	s_cselect_b32 s9, -1, 0
	s_wait_alu 0xfffe
	s_and_b32 s9, s4, s9
	s_wait_alu 0xfffe
	s_and_saveexec_b32 s15, s9
	s_cbranch_execz .LBB24_19
; %bb.16:                               ;   in Loop: Header=BB24_13 Depth=2
	s_mov_b32 s18, exec_lo
	s_bcnt1_i32_b32 s16, vcc_lo
	s_wait_alu 0xfffe
	v_mbcnt_lo_u32_b32 v9, s18, 0
	s_mov_b32 s17, exec_lo
                                        ; implicit-def: $vgpr22
	s_delay_alu instid0(VALU_DEP_1)
	v_cmpx_eq_u32_e32 0, v9
; %bb.17:                               ;   in Loop: Header=BB24_13 Depth=2
	s_bcnt1_i32_b32 s9, s18
	s_wait_alu 0xfffe
	s_mul_i32 s9, s16, s9
	s_wait_alu 0xfffe
	v_mov_b32_e32 v22, s9
	ds_add_rtn_u32 v22, v12, v22 offset:4104
; %bb.18:                               ;   in Loop: Header=BB24_13 Depth=2
	s_or_b32 exec_lo, exec_lo, s17
	s_wait_dscnt 0x0
	v_readfirstlane_b32 s9, v22
	s_wait_alu 0xf1ff
	s_delay_alu instid0(VALU_DEP_1)
	v_mad_u32_u24 v9, s16, v9, s9
.LBB24_19:                              ;   in Loop: Header=BB24_13 Depth=2
	s_wait_alu 0xfffe
	s_or_b32 exec_lo, exec_lo, s15
	ds_bpermute_b32 v9, v12, v9
	s_and_saveexec_b32 s9, vcc_lo
	s_cbranch_execz .LBB24_12
; %bb.20:                               ;   in Loop: Header=BB24_13 Depth=2
	v_and_b32_e32 v22, vcc_lo, v31
	s_delay_alu instid0(VALU_DEP_1) | instskip(NEXT) | instid1(VALU_DEP_1)
	v_bcnt_u32_b32 v22, v22, 0
	v_lshlrev_b32_e32 v22, 3, v22
	s_wait_dscnt 0x0
	s_delay_alu instid0(VALU_DEP_1)
	v_lshl_add_u32 v9, v9, 3, v22
	ds_store_b64 v9, v[2:3]
	s_branch .LBB24_12
.LBB24_21:                              ;   in Loop: Header=BB24_7 Depth=1
	s_mov_b32 s10, -1
	s_mov_b32 s9, 0
.LBB24_22:                              ;   in Loop: Header=BB24_7 Depth=1
	s_wait_alu 0xfffe
	s_and_b32 vcc_lo, exec_lo, s10
	s_wait_alu 0xfffe
	s_cbranch_vccz .LBB24_33
.LBB24_23:                              ;   in Loop: Header=BB24_7 Depth=1
	v_mov_b32_e32 v2, 0
	v_mov_b32_e32 v3, 0
	s_and_saveexec_b32 s9, s1
	s_cbranch_execz .LBB24_25
; %bb.24:                               ;   in Loop: Header=BB24_7 Depth=1
	global_load_b64 v[2:3], v[13:14], off
.LBB24_25:                              ;   in Loop: Header=BB24_7 Depth=1
	s_wait_alu 0xfffe
	s_or_b32 exec_lo, exec_lo, s9
	s_and_saveexec_b32 s9, s3
	s_cbranch_execz .LBB24_30
; %bb.26:                               ;   in Loop: Header=BB24_7 Depth=1
	s_load_u16 s10, s[48:49], 0x0
	v_mov_b32_e32 v8, v28
	s_mov_b32 s13, 0
	s_wait_kmcnt 0x0
	v_dual_mov_b32 v9, v0 :: v_dual_add_nc_u32 v6, s10, v0
	s_lshl_b32 s11, s10, 3
	s_mul_i32 s12, s39, s10
	s_delay_alu instid0(VALU_DEP_1)
	v_mul_lo_u32 v11, s39, v6
	s_branch .LBB24_28
.LBB24_27:                              ;   in Loop: Header=BB24_28 Depth=2
	s_wait_alu 0xfffe
	s_or_b32 exec_lo, exec_lo, s14
	v_cmp_le_i32_e32 vcc_lo, s36, v9
	s_wait_loadcnt 0x0
	ds_store_b64 v8, v[2:3]
	v_dual_mov_b32 v2, v6 :: v_dual_add_nc_u32 v11, s12, v11
	v_dual_mov_b32 v3, v7 :: v_dual_add_nc_u32 v8, s11, v8
	s_or_b32 s13, vcc_lo, s13
	s_wait_alu 0xfffe
	s_and_not1_b32 exec_lo, exec_lo, s13
	s_cbranch_execz .LBB24_30
.LBB24_28:                              ;   Parent Loop BB24_7 Depth=1
                                        ; =>  This Inner Loop Header: Depth=2
	v_dual_mov_b32 v6, 0 :: v_dual_add_nc_u32 v9, s10, v9
	v_mov_b32_e32 v7, 0
	s_mov_b32 s14, exec_lo
	s_delay_alu instid0(VALU_DEP_2)
	v_cmpx_gt_u32_e64 s36, v9
	s_cbranch_execz .LBB24_27
; %bb.29:                               ;   in Loop: Header=BB24_28 Depth=2
	s_delay_alu instid0(VALU_DEP_4) | instskip(NEXT) | instid1(VALU_DEP_1)
	v_lshlrev_b64_e32 v[6:7], 3, v[11:12]
	v_add_co_u32 v6, vcc_lo, s42, v6
	s_wait_alu 0xfffd
	s_delay_alu instid0(VALU_DEP_2)
	v_add_co_ci_u32_e64 v7, null, s43, v7, vcc_lo
	global_load_b64 v[6:7], v[6:7], off
	s_branch .LBB24_27
.LBB24_30:                              ;   in Loop: Header=BB24_7 Depth=1
	s_wait_alu 0xfffe
	s_or_b32 exec_lo, exec_lo, s9
	s_wait_loadcnt_dscnt 0x0
	s_barrier_signal -1
	s_barrier_wait -1
	global_inv scope:SCOPE_SE
	s_and_saveexec_b32 s9, s2
; %bb.31:                               ;   in Loop: Header=BB24_7 Depth=1
	v_mov_b32_e32 v2, s36
	ds_store_b32 v12, v2 offset:4096
; %bb.32:                               ;   in Loop: Header=BB24_7 Depth=1
	s_wait_alu 0xfffe
	s_or_b32 exec_lo, exec_lo, s9
	s_mov_b32 s9, -1
	s_wait_loadcnt_dscnt 0x0
	s_barrier_signal -1
	s_barrier_wait -1
.LBB24_33:                              ;   in Loop: Header=BB24_7 Depth=1
	s_wait_alu 0xfffe
	s_and_b32 vcc_lo, exec_lo, s9
	s_wait_alu 0xfffe
	s_cbranch_vccz .LBB24_35
; %bb.34:                               ;   in Loop: Header=BB24_7 Depth=1
	s_wait_loadcnt 0x0
	global_inv scope:SCOPE_SE
	ds_load_b32 v2, v12 offset:4096
	s_wait_dscnt 0x0
	v_readfirstlane_b32 s40, v2
.LBB24_35:                              ;   in Loop: Header=BB24_7 Depth=1
	s_delay_alu instid0(VALU_DEP_1)
	s_cmp_lt_i32 s40, 1
	s_mov_b32 s9, -1
                                        ; implicit-def: $vgpr6
	s_cbranch_scc1 .LBB24_45
; %bb.36:                               ;   in Loop: Header=BB24_7 Depth=1
	s_wait_alu 0xfffe
	s_and_b32 vcc_lo, exec_lo, s9
	s_wait_alu 0xfffe
	s_cbranch_vccnz .LBB24_58
.LBB24_37:                              ;   in Loop: Header=BB24_7 Depth=1
	v_lshlrev_b32_e32 v2, 7, v39
	s_and_saveexec_b32 s9, s4
.LBB24_38:                              ;   in Loop: Header=BB24_7 Depth=1
	s_delay_alu instid0(VALU_DEP_1)
	v_lshl_add_u32 v3, v2, 2, v32
	ds_store_b128 v3, v[6:9]
.LBB24_39:                              ;   in Loop: Header=BB24_7 Depth=1
	s_wait_alu 0xfffe
	s_or_b32 exec_lo, exec_lo, s9
	s_wait_loadcnt_dscnt 0x0
	s_barrier_signal -1
	s_barrier_wait -1
	global_inv scope:SCOPE_SE
	s_and_saveexec_b32 s9, s51
	s_cbranch_execz .LBB24_74
; %bb.40:                               ;   in Loop: Header=BB24_7 Depth=1
	v_mov_b32_e32 v3, 0
	s_and_not1_b32 vcc_lo, exec_lo, s56
	s_wait_alu 0xfffe
	s_cbranch_vccnz .LBB24_73
; %bb.41:                               ;   in Loop: Header=BB24_7 Depth=1
	s_and_not1_b32 vcc_lo, exec_lo, s58
	s_wait_alu 0xfffe
	s_cbranch_vccnz .LBB24_70
; %bb.42:                               ;   in Loop: Header=BB24_7 Depth=1
	v_lshl_add_u32 v6, v39, 9, v38
	v_mov_b32_e32 v3, 0
	s_mov_b32 s10, 0
.LBB24_43:                              ;   Parent Loop BB24_7 Depth=1
                                        ; =>  This Inner Loop Header: Depth=2
	ds_load_2addr_b32 v[7:8], v6 offset1:4
	ds_load_2addr_b32 v[22:23], v6 offset0:8 offset1:12
	ds_load_2addr_b32 v[24:25], v6 offset0:16 offset1:20
	;; [unrolled: 1-line block ×3, first 2 shown]
	v_add_nc_u32_e32 v6, 0x80, v6
	s_wait_alu 0xfffe
	s_add_co_i32 s10, s10, 8
	s_wait_alu 0xfffe
	s_cmp_eq_u32 s59, s10
	s_wait_dscnt 0x3
	v_add3_u32 v3, v7, v3, v8
	s_wait_dscnt 0x2
	s_delay_alu instid0(VALU_DEP_1) | instskip(SKIP_1) | instid1(VALU_DEP_1)
	v_add3_u32 v3, v22, v3, v23
	s_wait_dscnt 0x1
	v_add3_u32 v3, v24, v3, v25
	s_wait_dscnt 0x0
	s_delay_alu instid0(VALU_DEP_1)
	v_add3_u32 v3, v41, v3, v42
	s_cbranch_scc0 .LBB24_43
; %bb.44:                               ;   in Loop: Header=BB24_7 Depth=1
	s_mov_b32 s10, s59
	s_and_not1_b32 vcc_lo, exec_lo, s60
	s_wait_alu 0xfffe
	s_cbranch_vccz .LBB24_71
	s_branch .LBB24_73
.LBB24_45:                              ;   in Loop: Header=BB24_7 Depth=1
	v_dual_mov_b32 v6, 0 :: v_dual_mov_b32 v7, 0
	v_dual_mov_b32 v8, 0 :: v_dual_mov_b32 v9, 0
	s_and_saveexec_b32 s73, s5
	s_cbranch_execz .LBB24_49
; %bb.46:                               ;   in Loop: Header=BB24_7 Depth=1
	v_mov_b32_e32 v2, v27
	s_mov_b32 s74, 0
	s_mov_b32 s75, 0
	;; [unrolled: 1-line block ×6, first 2 shown]
.LBB24_47:                              ;   Parent Loop BB24_7 Depth=1
                                        ; =>  This Inner Loop Header: Depth=2
	s_wait_alu 0xfffe
	v_add_nc_u32_e32 v6, s75, v35
	v_add_nc_u32_e32 v8, s75, v17
	;; [unrolled: 1-line block ×5, first 2 shown]
	v_ashrrev_i32_e32 v7, 31, v6
	v_ashrrev_i32_e32 v9, 31, v8
	;; [unrolled: 1-line block ×4, first 2 shown]
	s_add_co_i32 s75, s75, s63
	v_lshlrev_b64_e32 v[6:7], 3, v[6:7]
	v_lshlrev_b64_e32 v[8:9], 3, v[8:9]
	;; [unrolled: 1-line block ×4, first 2 shown]
	s_delay_alu instid0(VALU_DEP_4)
	v_add_co_u32 v6, vcc_lo, s42, v6
	s_wait_alu 0xfffd
	v_add_co_ci_u32_e64 v7, null, s43, v7, vcc_lo
	v_add_co_u32 v8, vcc_lo, s42, v8
	s_wait_alu 0xfffd
	v_add_co_ci_u32_e64 v9, null, s43, v9, vcc_lo
	;; [unrolled: 3-line block ×4, first 2 shown]
	s_clause 0x3
	global_load_b64 v[6:7], v[6:7], off
	global_load_b64 v[8:9], v[8:9], off
	;; [unrolled: 1-line block ×4, first 2 shown]
	v_mov_b32_e32 v42, v12
	v_mov_b32_e32 v44, v12
	v_cmp_le_i32_e32 vcc_lo, s61, v2
	s_wait_loadcnt 0x3
	v_xor_b32_e32 v7, 0x80000000, v7
	s_wait_loadcnt 0x2
	v_xor_b32_e32 v9, 0x80000000, v9
	;; [unrolled: 2-line block ×3, first 2 shown]
	v_and_b32_e32 v47, v6, v20
	s_wait_loadcnt 0x0
	v_xor_b32_e32 v25, 0x80000000, v25
	v_and_b32_e32 v48, v7, v21
	v_lshrrev_b64 v[6:7], s72, v[6:7]
	v_and_b32_e32 v49, v8, v20
	v_lshrrev_b64 v[7:8], s72, v[8:9]
	;; [unrolled: 2-line block ×3, first 2 shown]
	v_dual_mov_b32 v46, v12 :: v_dual_and_b32 v11, 3, v6
	v_and_b32_e32 v51, v22, v20
	v_and_b32_e32 v52, v23, v21
	v_lshrrev_b64 v[22:23], s72, v[24:25]
	v_and_b32_e32 v41, 3, v7
	v_and_b32_e32 v43, 3, v8
	v_cmp_eq_u64_e64 s9, v[47:48], v[18:19]
	v_cmp_eq_u64_e64 s13, 0, v[11:12]
	v_and_b32_e32 v53, v24, v20
	v_and_b32_e32 v54, v25, v21
	;; [unrolled: 1-line block ×3, first 2 shown]
	v_cmp_eq_u64_e64 s10, v[49:50], v[18:19]
	v_cmp_eq_u64_e64 s14, 0, v[41:42]
	;; [unrolled: 1-line block ×6, first 2 shown]
	s_and_b32 s13, s9, s13
	v_cmp_eq_u64_e64 s17, 1, v[11:12]
	s_wait_alu 0xfffe
	v_cndmask_b32_e64 v3, 0, 1, s13
	s_and_b32 s13, s10, s14
	v_cmp_eq_u64_e64 s18, 1, v[41:42]
	s_wait_alu 0xfffe
	v_cndmask_b32_e64 v6, 0, 1, s13
	;; [unrolled: 4-line block ×4, first 2 shown]
	s_and_b32 s13, s9, s17
	v_cmp_eq_u64_e64 s21, 2, v[11:12]
	v_cmp_eq_u64_e64 s25, 3, v[11:12]
	s_wait_alu 0xfffe
	v_cndmask_b32_e64 v9, 0, 1, s13
	s_and_b32 s13, s10, s18
	v_cmp_eq_u64_e64 s22, 2, v[41:42]
	v_cmp_eq_u64_e64 s26, 3, v[41:42]
	s_wait_alu 0xfffe
	v_cndmask_b32_e64 v11, 0, 1, s13
	;; [unrolled: 5-line block ×4, first 2 shown]
	s_and_b32 s13, s9, s21
	s_and_b32 s9, s9, s25
	s_wait_alu 0xfffe
	v_cndmask_b32_e64 v24, 0, 1, s13
	s_and_b32 s13, s10, s22
	v_cndmask_b32_e64 v43, 0, 1, s9
	s_and_b32 s9, s10, s26
	s_wait_alu 0xfffe
	v_cndmask_b32_e64 v25, 0, 1, s13
	s_and_b32 s13, s11, s23
	v_cndmask_b32_e64 v44, 0, 1, s9
	;; [unrolled: 5-line block ×3, first 2 shown]
	s_and_b32 s9, s12, s28
	s_wait_alu 0xfffe
	v_cndmask_b32_e64 v42, 0, 1, s13
	v_cndmask_b32_e64 v46, 0, 1, s9
	v_cmp_ne_u32_e64 s9, 0, v3
	v_cmp_ne_u32_e64 s13, 0, v9
	;; [unrolled: 1-line block ×12, first 2 shown]
	s_bcnt1_i32_b32 s9, s9
	s_bcnt1_i32_b32 s13, s13
	;; [unrolled: 1-line block ×4, first 2 shown]
	v_cmp_ne_u32_e64 s12, 0, v8
	v_cmp_ne_u32_e64 s16, 0, v23
	;; [unrolled: 1-line block ×4, first 2 shown]
	s_bcnt1_i32_b32 s10, s10
	s_bcnt1_i32_b32 s14, s14
	s_bcnt1_i32_b32 s18, s18
	s_bcnt1_i32_b32 s22, s22
	s_wait_alu 0xfffe
	s_add_co_i32 s9, s9, s79
	s_add_co_i32 s13, s13, s78
	s_add_co_i32 s17, s17, s77
	s_add_co_i32 s21, s21, s76
	s_bcnt1_i32_b32 s11, s11
	s_bcnt1_i32_b32 s15, s15
	s_bcnt1_i32_b32 s19, s19
	s_bcnt1_i32_b32 s23, s23
	s_wait_alu 0xfffe
	s_add_co_i32 s9, s9, s10
	s_add_co_i32 s10, s13, s14
	s_add_co_i32 s13, s17, s18
	s_add_co_i32 s14, s21, s22
	;; [unrolled: 9-line block ×3, first 2 shown]
	s_wait_alu 0xfffe
	s_add_co_i32 s79, s9, s12
	s_add_co_i32 s78, s10, s16
	;; [unrolled: 1-line block ×4, first 2 shown]
	s_wait_alu 0xfffe
	v_dual_mov_b32 v6, s79 :: v_dual_mov_b32 v7, s78
	v_dual_mov_b32 v8, s77 :: v_dual_mov_b32 v9, s76
	s_or_b32 s74, vcc_lo, s74
	s_wait_alu 0xfffe
	s_and_not1_b32 exec_lo, exec_lo, s74
	s_cbranch_execnz .LBB24_47
; %bb.48:                               ;   in Loop: Header=BB24_7 Depth=1
	s_or_b32 exec_lo, exec_lo, s74
.LBB24_49:                              ;   in Loop: Header=BB24_7 Depth=1
	s_wait_alu 0xfffe
	s_or_b32 exec_lo, exec_lo, s73
	v_mov_b32_e32 v22, 0
	v_mov_b32_e32 v23, 0
	s_and_saveexec_b32 s9, s6
	s_cbranch_execz .LBB24_51
; %bb.50:                               ;   in Loop: Header=BB24_7 Depth=1
	global_load_b64 v[22:23], v[15:16], off
.LBB24_51:                              ;   in Loop: Header=BB24_7 Depth=1
	s_wait_alu 0xfffe
	s_or_b32 exec_lo, exec_lo, s9
	s_and_saveexec_b32 s13, s7
	s_cbranch_execz .LBB24_57
; %bb.52:                               ;   in Loop: Header=BB24_7 Depth=1
	v_dual_mov_b32 v2, v36 :: v_dual_mov_b32 v41, v30
	s_mov_b32 s14, 0
	s_branch .LBB24_54
.LBB24_53:                              ;   in Loop: Header=BB24_54 Depth=2
	s_wait_alu 0xfffe
	s_or_b32 exec_lo, exec_lo, s9
	s_wait_loadcnt 0x0
	v_xor_b32_e32 v23, 0x80000000, v23
	v_add_nc_u32_e32 v2, s54, v2
	s_delay_alu instid0(VALU_DEP_2) | instskip(SKIP_2) | instid1(VALU_DEP_3)
	v_lshrrev_b64 v[42:43], s72, v[22:23]
	v_and_b32_e32 v22, v22, v20
	v_and_b32_e32 v23, v23, v21
	;; [unrolled: 1-line block ×3, first 2 shown]
	s_delay_alu instid0(VALU_DEP_2) | instskip(NEXT) | instid1(VALU_DEP_2)
	v_cmp_eq_u64_e32 vcc_lo, v[22:23], v[18:19]
	v_cmp_eq_u64_e64 s9, 0, v[11:12]
	v_cmp_eq_u64_e64 s10, 1, v[11:12]
	;; [unrolled: 1-line block ×4, first 2 shown]
	s_and_b32 s9, vcc_lo, s9
	s_wait_alu 0xfffe
	v_cndmask_b32_e64 v3, 0, 1, s9
	s_and_b32 s9, vcc_lo, s10
	s_wait_alu 0xfffe
	v_cndmask_b32_e64 v11, 0, 1, s9
	s_and_b32 s9, vcc_lo, s11
	s_wait_alu 0xfffe
	v_cndmask_b32_e64 v22, 0, 1, s9
	s_and_b32 s9, vcc_lo, s12
	v_cmp_ne_u32_e32 vcc_lo, 0, v3
	s_wait_alu 0xfffe
	v_cndmask_b32_e64 v23, 0, 1, s9
	v_cmp_ne_u32_e64 s9, 0, v11
	v_cmp_ne_u32_e64 s10, 0, v22
	v_cmp_le_i32_e64 s12, s36, v41
	s_bcnt1_i32_b32 s15, vcc_lo
	v_cmp_ne_u32_e64 s11, 0, v23
	s_bcnt1_i32_b32 s9, s9
	s_bcnt1_i32_b32 s10, s10
	v_mov_b32_e32 v22, v24
	s_wait_alu 0xfffe
	v_add_nc_u32_e32 v6, s15, v6
	s_bcnt1_i32_b32 s11, s11
	v_add_nc_u32_e32 v7, s9, v7
	v_add_nc_u32_e32 v8, s10, v8
	s_wait_alu 0xfffe
	v_add_nc_u32_e32 v9, s11, v9
	v_mov_b32_e32 v23, v25
	s_or_b32 s14, s12, s14
	s_wait_alu 0xfffe
	s_and_not1_b32 exec_lo, exec_lo, s14
	s_cbranch_execz .LBB24_56
.LBB24_54:                              ;   Parent Loop BB24_7 Depth=1
                                        ; =>  This Inner Loop Header: Depth=2
	s_delay_alu instid0(VALU_DEP_1) | instskip(SKIP_2) | instid1(VALU_DEP_2)
	v_dual_mov_b32 v24, 0 :: v_dual_add_nc_u32 v41, s50, v41
	v_mov_b32_e32 v25, 0
	s_mov_b32 s9, exec_lo
	v_cmpx_gt_u32_e64 s36, v41
	s_cbranch_execz .LBB24_53
; %bb.55:                               ;   in Loop: Header=BB24_54 Depth=2
	v_ashrrev_i32_e32 v3, 31, v2
	s_delay_alu instid0(VALU_DEP_1) | instskip(NEXT) | instid1(VALU_DEP_1)
	v_lshlrev_b64_e32 v[24:25], 3, v[2:3]
	v_add_co_u32 v24, vcc_lo, s42, v24
	s_wait_alu 0xfffd
	s_delay_alu instid0(VALU_DEP_2)
	v_add_co_ci_u32_e64 v25, null, s43, v25, vcc_lo
	global_load_b64 v[24:25], v[24:25], off
	s_branch .LBB24_53
.LBB24_56:                              ;   in Loop: Header=BB24_7 Depth=1
	s_or_b32 exec_lo, exec_lo, s14
.LBB24_57:                              ;   in Loop: Header=BB24_7 Depth=1
	s_wait_alu 0xfffe
	s_or_b32 exec_lo, exec_lo, s13
	s_branch .LBB24_37
.LBB24_58:                              ;   in Loop: Header=BB24_7 Depth=1
	s_mul_u64 s[10:11], s[40:41], s[44:45]
	v_dual_mov_b32 v6, 0 :: v_dual_mov_b32 v7, 0
	s_wait_alu 0xfffe
	s_mul_i32 s9, s11, s52
	v_dual_mov_b32 v8, 0 :: v_dual_mov_b32 v9, 0
	s_wait_alu 0xfffe
	s_sub_co_i32 s9, s40, s9
	s_mov_b32 s74, exec_lo
	s_wait_alu 0xfffe
	s_sub_co_i32 s10, s9, s52
	s_cmp_ge_u32 s9, s52
	s_wait_alu 0xfffe
	s_cselect_b32 s9, s10, s9
	s_wait_alu 0xfffe
	s_sub_co_i32 s10, s9, s52
	s_cmp_ge_u32 s9, s52
	s_wait_alu 0xfffe
	s_cselect_b32 s9, s10, s9
	s_wait_alu 0xfffe
	s_sub_co_i32 s73, s40, s9
	s_wait_alu 0xfffe
	v_cmpx_gt_u32_e64 s73, v27
	s_cbranch_execz .LBB24_62
; %bb.59:                               ;   in Loop: Header=BB24_7 Depth=1
	v_dual_mov_b32 v2, v37 :: v_dual_mov_b32 v3, v27
	s_mov_b32 s75, 0
	s_mov_b32 s76, 0
	;; [unrolled: 1-line block ×5, first 2 shown]
.LBB24_60:                              ;   Parent Loop BB24_7 Depth=1
                                        ; =>  This Inner Loop Header: Depth=2
	ds_load_b128 v[6:9], v2
	s_wait_loadcnt 0x0
	ds_load_b128 v[22:25], v2 offset:16
	v_mov_b32_e32 v44, v12
	v_dual_mov_b32 v46, v12 :: v_dual_add_nc_u32 v3, s52, v3
	v_mov_b32_e32 v42, v12
	s_delay_alu instid0(VALU_DEP_2)
	v_cmp_le_i32_e32 vcc_lo, s73, v3
	s_wait_dscnt 0x1
	v_xor_b32_e32 v7, 0x80000000, v7
	v_xor_b32_e32 v9, 0x80000000, v9
	s_wait_dscnt 0x0
	v_xor_b32_e32 v23, 0x80000000, v23
	v_and_b32_e32 v47, v6, v20
	v_xor_b32_e32 v25, 0x80000000, v25
	v_and_b32_e32 v48, v7, v21
	v_lshrrev_b64 v[6:7], s72, v[6:7]
	v_and_b32_e32 v49, v8, v20
	v_lshrrev_b64 v[7:8], s72, v[8:9]
	;; [unrolled: 2-line block ×3, first 2 shown]
	v_and_b32_e32 v51, v22, v20
	v_and_b32_e32 v52, v23, v21
	v_lshrrev_b64 v[22:23], s72, v[24:25]
	v_and_b32_e32 v11, 3, v6
	v_and_b32_e32 v41, 3, v7
	;; [unrolled: 1-line block ×3, first 2 shown]
	v_cmp_eq_u64_e64 s9, v[47:48], v[18:19]
	v_and_b32_e32 v53, v24, v20
	v_cmp_eq_u64_e64 s13, 0, v[11:12]
	v_and_b32_e32 v54, v25, v21
	v_and_b32_e32 v45, 3, v22
	v_cmp_eq_u64_e64 s10, v[49:50], v[18:19]
	v_cmp_eq_u64_e64 s14, 0, v[41:42]
	;; [unrolled: 1-line block ×6, first 2 shown]
	s_and_b32 s13, s9, s13
	v_cmp_eq_u64_e64 s17, 1, v[11:12]
	s_wait_alu 0xfffe
	v_cndmask_b32_e64 v6, 0, 1, s13
	s_and_b32 s13, s10, s14
	v_cmp_eq_u64_e64 s18, 1, v[41:42]
	s_wait_alu 0xfffe
	v_cndmask_b32_e64 v7, 0, 1, s13
	;; [unrolled: 4-line block ×4, first 2 shown]
	s_and_b32 s13, s9, s17
	v_cmp_eq_u64_e64 s21, 2, v[11:12]
	v_cmp_eq_u64_e64 s25, 3, v[11:12]
	s_wait_alu 0xfffe
	v_cndmask_b32_e64 v11, 0, 1, s13
	s_and_b32 s13, s10, s18
	v_cmp_eq_u64_e64 s22, 2, v[41:42]
	v_cmp_eq_u64_e64 s26, 3, v[41:42]
	s_wait_alu 0xfffe
	v_cndmask_b32_e64 v22, 0, 1, s13
	;; [unrolled: 5-line block ×4, first 2 shown]
	s_and_b32 s13, s9, s21
	s_and_b32 s9, s9, s25
	s_wait_alu 0xfffe
	v_cndmask_b32_e64 v25, 0, 1, s13
	s_and_b32 s13, s10, s22
	v_cndmask_b32_e64 v44, 0, 1, s9
	s_and_b32 s9, s10, s26
	s_wait_alu 0xfffe
	v_cndmask_b32_e64 v41, 0, 1, s13
	s_and_b32 s13, s11, s23
	v_cndmask_b32_e64 v45, 0, 1, s9
	;; [unrolled: 5-line block ×3, first 2 shown]
	s_and_b32 s9, s12, s28
	s_wait_alu 0xfffe
	v_cndmask_b32_e64 v43, 0, 1, s13
	v_cndmask_b32_e64 v47, 0, 1, s9
	v_cmp_ne_u32_e64 s9, 0, v6
	v_cmp_ne_u32_e64 s13, 0, v11
	v_cmp_ne_u32_e64 s17, 0, v25
	v_cmp_ne_u32_e64 s21, 0, v44
	v_cmp_ne_u32_e64 s10, 0, v7
	v_cmp_ne_u32_e64 s14, 0, v22
	v_cmp_ne_u32_e64 s18, 0, v41
	v_cmp_ne_u32_e64 s22, 0, v45
	v_cmp_ne_u32_e64 s11, 0, v8
	v_cmp_ne_u32_e64 s15, 0, v23
	v_cmp_ne_u32_e64 s19, 0, v42
	v_cmp_ne_u32_e64 s23, 0, v46
	s_bcnt1_i32_b32 s9, s9
	s_bcnt1_i32_b32 s13, s13
	;; [unrolled: 1-line block ×4, first 2 shown]
	v_cmp_ne_u32_e64 s12, 0, v9
	v_cmp_ne_u32_e64 s16, 0, v24
	;; [unrolled: 1-line block ×4, first 2 shown]
	s_bcnt1_i32_b32 s10, s10
	s_bcnt1_i32_b32 s14, s14
	s_bcnt1_i32_b32 s18, s18
	s_bcnt1_i32_b32 s22, s22
	s_wait_alu 0xfffe
	s_add_co_i32 s9, s9, s79
	s_add_co_i32 s13, s13, s78
	s_add_co_i32 s17, s17, s77
	s_add_co_i32 s21, s21, s76
	s_bcnt1_i32_b32 s11, s11
	s_bcnt1_i32_b32 s15, s15
	s_bcnt1_i32_b32 s19, s19
	s_bcnt1_i32_b32 s23, s23
	s_wait_alu 0xfffe
	s_add_co_i32 s9, s9, s10
	s_add_co_i32 s10, s13, s14
	s_add_co_i32 s13, s17, s18
	s_add_co_i32 s14, s21, s22
	s_bcnt1_i32_b32 s12, s12
	s_bcnt1_i32_b32 s16, s16
	s_bcnt1_i32_b32 s20, s20
	s_bcnt1_i32_b32 s24, s24
	s_wait_alu 0xfffe
	s_add_co_i32 s9, s9, s11
	s_add_co_i32 s10, s10, s15
	s_add_co_i32 s11, s13, s19
	s_add_co_i32 s13, s14, s23
	s_wait_alu 0xfffe
	s_add_co_i32 s79, s9, s12
	s_add_co_i32 s78, s10, s16
	;; [unrolled: 1-line block ×4, first 2 shown]
	s_wait_alu 0xfffe
	v_dual_mov_b32 v7, s78 :: v_dual_add_nc_u32 v2, s64, v2
	v_mov_b32_e32 v6, s79
	v_dual_mov_b32 v8, s77 :: v_dual_mov_b32 v9, s76
	s_or_b32 s75, vcc_lo, s75
	s_wait_alu 0xfffe
	s_and_not1_b32 exec_lo, exec_lo, s75
	s_cbranch_execnz .LBB24_60
; %bb.61:                               ;   in Loop: Header=BB24_7 Depth=1
	s_or_b32 exec_lo, exec_lo, s75
.LBB24_62:                              ;   in Loop: Header=BB24_7 Depth=1
	s_delay_alu instid0(SALU_CYCLE_1) | instskip(SKIP_2) | instid1(VALU_DEP_1)
	s_or_b32 exec_lo, exec_lo, s74
	v_add_nc_u32_e32 v2, s73, v0
	s_mov_b32 s14, exec_lo
	v_cmpx_gt_i32_e64 s40, v2
	s_cbranch_execz .LBB24_66
; %bb.63:                               ;   in Loop: Header=BB24_7 Depth=1
	v_lshlrev_b32_e32 v3, 3, v2
	s_mov_b32 s15, 0
.LBB24_64:                              ;   Parent Loop BB24_7 Depth=1
                                        ; =>  This Inner Loop Header: Depth=2
	s_wait_loadcnt 0x0
	ds_load_b64 v[22:23], v3
	v_add_nc_u32_e32 v2, s50, v2
	v_add_nc_u32_e32 v3, s65, v3
	s_delay_alu instid0(VALU_DEP_2) | instskip(SKIP_3) | instid1(VALU_DEP_2)
	v_cmp_le_i32_e32 vcc_lo, s40, v2
	s_wait_dscnt 0x0
	v_xor_b32_e32 v23, 0x80000000, v23
	v_and_b32_e32 v24, v22, v20
	v_and_b32_e32 v25, v23, v21
	v_lshrrev_b64 v[22:23], s72, v[22:23]
	s_delay_alu instid0(VALU_DEP_2) | instskip(NEXT) | instid1(VALU_DEP_2)
	v_cmp_eq_u64_e64 s9, v[24:25], v[18:19]
	v_and_b32_e32 v11, 3, v22
	s_delay_alu instid0(VALU_DEP_1)
	v_cmp_eq_u64_e64 s10, 0, v[11:12]
	v_cmp_eq_u64_e64 s11, 1, v[11:12]
	;; [unrolled: 1-line block ×4, first 2 shown]
	s_and_b32 s10, s9, s10
	s_wait_alu 0xfffe
	v_cndmask_b32_e64 v11, 0, 1, s10
	s_and_b32 s10, s9, s11
	s_wait_alu 0xfffe
	v_cndmask_b32_e64 v22, 0, 1, s10
	s_and_b32 s10, s9, s12
	s_and_b32 s9, s9, s13
	s_wait_alu 0xfffe
	v_cndmask_b32_e64 v23, 0, 1, s10
	v_cndmask_b32_e64 v24, 0, 1, s9
	v_cmp_ne_u32_e64 s9, 0, v11
	v_cmp_ne_u32_e64 s10, 0, v22
	s_delay_alu instid0(VALU_DEP_4) | instskip(NEXT) | instid1(VALU_DEP_4)
	v_cmp_ne_u32_e64 s11, 0, v23
	v_cmp_ne_u32_e64 s12, 0, v24
	s_bcnt1_i32_b32 s9, s9
	s_bcnt1_i32_b32 s10, s10
	s_wait_alu 0xfffe
	v_add_nc_u32_e32 v6, s9, v6
	s_bcnt1_i32_b32 s11, s11
	s_bcnt1_i32_b32 s12, s12
	v_add_nc_u32_e32 v7, s10, v7
	s_wait_alu 0xfffe
	v_add_nc_u32_e32 v8, s11, v8
	v_add_nc_u32_e32 v9, s12, v9
	s_or_b32 s15, vcc_lo, s15
	s_wait_alu 0xfffe
	s_and_not1_b32 exec_lo, exec_lo, s15
	s_cbranch_execnz .LBB24_64
; %bb.65:                               ;   in Loop: Header=BB24_7 Depth=1
	s_or_b32 exec_lo, exec_lo, s15
.LBB24_66:                              ;   in Loop: Header=BB24_7 Depth=1
	s_wait_alu 0xfffe
	s_or_b32 exec_lo, exec_lo, s14
	v_lshlrev_b32_e32 v2, 7, v39
	s_and_saveexec_b32 s9, s4
	s_cbranch_execnz .LBB24_38
	s_branch .LBB24_39
.LBB24_67:                              ;   in Loop: Header=BB24_7 Depth=1
	s_wait_alu 0xfffe
	s_or_b32 exec_lo, exec_lo, s11
	s_wait_loadcnt_dscnt 0x0
	s_barrier_signal -1
	s_barrier_wait -1
	global_inv scope:SCOPE_SE
	s_and_saveexec_b32 s9, s2
	s_cbranch_execz .LBB24_69
; %bb.68:                               ;   in Loop: Header=BB24_7 Depth=1
	ds_load_b32 v2, v12 offset:4104
	s_wait_dscnt 0x0
	ds_store_b32 v12, v2 offset:4096
.LBB24_69:                              ;   in Loop: Header=BB24_7 Depth=1
	s_wait_alu 0xfffe
	s_or_b32 exec_lo, exec_lo, s9
	s_wait_loadcnt_dscnt 0x0
	s_barrier_signal -1
	s_mov_b32 s9, -1
	s_barrier_wait -1
	s_and_b32 vcc_lo, exec_lo, s10
	s_wait_alu 0xfffe
	s_cbranch_vccnz .LBB24_23
	s_branch .LBB24_33
.LBB24_70:                              ;   in Loop: Header=BB24_7 Depth=1
	v_mov_b32_e32 v3, 0
	s_mov_b32 s10, 0
	s_and_not1_b32 vcc_lo, exec_lo, s60
	s_wait_alu 0xfffe
	s_cbranch_vccnz .LBB24_73
.LBB24_71:                              ;   in Loop: Header=BB24_7 Depth=1
	v_lshlrev_b32_e32 v6, 9, v39
	s_lshl_b32 s10, s10, 4
	s_wait_alu 0xfffe
	s_delay_alu instid0(VALU_DEP_1)
	v_add3_u32 v6, v6, s10, v38
	s_mov_b32 s10, s57
.LBB24_72:                              ;   Parent Loop BB24_7 Depth=1
                                        ; =>  This Inner Loop Header: Depth=2
	ds_load_b32 v7, v6
	v_add_nc_u32_e32 v6, 16, v6
	s_wait_alu 0xfffe
	s_add_co_i32 s10, s10, -1
	s_wait_alu 0xfffe
	s_cmp_lg_u32 s10, 0
	s_wait_dscnt 0x0
	v_add_nc_u32_e32 v3, v7, v3
	s_cbranch_scc1 .LBB24_72
.LBB24_73:                              ;   in Loop: Header=BB24_7 Depth=1
	v_add_lshl_u32 v6, v2, v26, 2
	ds_store_b32 v6, v3 offset:3072
.LBB24_74:                              ;   in Loop: Header=BB24_7 Depth=1
	s_wait_alu 0xfffe
	s_or_b32 exec_lo, exec_lo, s9
	v_lshlrev_b32_e32 v2, 2, v2
	s_wait_loadcnt_dscnt 0x0
	s_barrier_signal -1
	s_barrier_wait -1
	global_inv scope:SCOPE_SE
	ds_load_b128 v[6:9], v2 offset:3072
	s_lshl_b64 s[10:11], 3, s72
	v_cmp_eq_u32_e32 vcc_lo, 1, v40
	s_wait_alu 0xfffe
	s_not_b64 s[12:13], s[10:11]
	s_mov_b32 s16, -1
	s_mov_b32 s18, -1
                                        ; implicit-def: $sgpr22
                                        ; implicit-def: $sgpr20
	s_wait_dscnt 0x0
	v_readfirstlane_b32 s15, v6
	v_readfirstlane_b32 s21, v7
	;; [unrolled: 1-line block ×4, first 2 shown]
	s_cmp_eq_u32 s15, 1
	s_cselect_b32 s14, -1, 0
	s_wait_alu 0xfffe
	s_and_b32 s17, s14, vcc_lo
	s_wait_alu 0xfffe
	s_and_saveexec_b32 s14, s17
	s_cbranch_execz .LBB24_100
; %bb.75:                               ;   in Loop: Header=BB24_7 Depth=1
	ds_load_b32 v2, v12 offset:4096
	s_wait_loadcnt_dscnt 0x0
	s_barrier_signal -1
	s_barrier_wait -1
	global_inv scope:SCOPE_SE
	v_readfirstlane_b32 s18, v2
	s_and_saveexec_b32 s20, s0
; %bb.76:                               ;   in Loop: Header=BB24_7 Depth=1
	v_mov_b32_e32 v11, v12
	ds_store_b64 v29, v[11:12]
; %bb.77:                               ;   in Loop: Header=BB24_7 Depth=1
	s_wait_alu 0xfffe
	s_or_b32 exec_lo, exec_lo, s20
	v_and_b32_e32 v19, s13, v19
	v_and_b32_e32 v18, s12, v18
	v_or_b32_e32 v21, s11, v21
	v_or_b32_e32 v20, s10, v20
	s_mov_b32 s20, -1
	s_mov_b32 s22, 0
	s_cmp_lt_i32 s18, 1
	s_mov_b32 s23, 0
	s_mov_b32 s24, -1
	s_wait_loadcnt_dscnt 0x0
	s_barrier_signal -1
	s_barrier_wait -1
	global_inv scope:SCOPE_SE
                                        ; implicit-def: $vgpr4_vgpr5
	s_cbranch_scc0 .LBB24_88
; %bb.78:                               ;   in Loop: Header=BB24_7 Depth=1
	s_mov_b32 s24, 0
                                        ; implicit-def: $vgpr4_vgpr5
	s_and_saveexec_b32 s25, s8
	s_cbranch_execz .LBB24_87
; %bb.79:                               ;   in Loop: Header=BB24_7 Depth=1
	v_mov_b32_e32 v6, v10
	v_mov_b32_e32 v8, v0
                                        ; implicit-def: $sgpr26
	s_branch .LBB24_82
.LBB24_80:                              ;   in Loop: Header=BB24_82 Depth=2
	s_wait_alu 0xfffe
	s_or_b32 exec_lo, exec_lo, s27
	s_wait_loadcnt_dscnt 0x0
	s_barrier_signal -1
	s_barrier_wait -1
	global_inv scope:SCOPE_SE
	ds_load_b128 v[2:5], v12 offset:3072
	s_mov_b32 s27, -1
	s_mov_b32 s28, -1
	s_wait_loadcnt_dscnt 0x0
	s_barrier_signal -1
	s_barrier_wait -1
	global_inv scope:SCOPE_SE
	v_cmp_ne_u64_e32 vcc_lo, 0, v[2:3]
	s_cbranch_vccz .LBB24_85
.LBB24_81:                              ;   in Loop: Header=BB24_82 Depth=2
	s_wait_alu 0xfffe
	s_and_b32 s27, exec_lo, s27
	s_wait_alu 0xfffe
	s_or_b32 s23, s27, s23
	s_and_not1_b32 s26, s26, exec_lo
	s_and_b32 s27, s28, exec_lo
	s_wait_alu 0xfffe
	s_or_b32 s26, s26, s27
	s_and_not1_b32 exec_lo, exec_lo, s23
	s_cbranch_execz .LBB24_86
.LBB24_82:                              ;   Parent Loop BB24_7 Depth=1
                                        ; =>  This Inner Loop Header: Depth=2
	s_mov_b32 s27, exec_lo
	s_delay_alu instid0(VALU_DEP_1)
	v_cmpx_gt_i32_e64 s36, v8
	s_cbranch_execz .LBB24_80
; %bb.83:                               ;   in Loop: Header=BB24_82 Depth=2
	v_ashrrev_i32_e32 v7, 31, v6
	s_delay_alu instid0(VALU_DEP_1) | instskip(NEXT) | instid1(VALU_DEP_1)
	v_lshlrev_b64_e32 v[2:3], 3, v[6:7]
	v_add_co_u32 v2, vcc_lo, s42, v2
	s_wait_alu 0xfffd
	s_delay_alu instid0(VALU_DEP_2) | instskip(SKIP_4) | instid1(VALU_DEP_2)
	v_add_co_ci_u32_e64 v3, null, s43, v3, vcc_lo
	global_load_b64 v[3:4], v[2:3], off
	s_wait_loadcnt 0x0
	v_xor_b32_e32 v2, 0x80000000, v4
	v_and_b32_e32 v22, v3, v20
	v_and_b32_e32 v23, v2, v21
	s_delay_alu instid0(VALU_DEP_1)
	v_cmp_eq_u64_e32 vcc_lo, v[22:23], v[18:19]
	s_and_b32 exec_lo, exec_lo, vcc_lo
	s_cbranch_execz .LBB24_80
; %bb.84:                               ;   in Loop: Header=BB24_82 Depth=2
	v_mov_b32_e32 v2, v12
	ds_store_b128 v12, v[1:4] offset:3072
	s_branch .LBB24_80
.LBB24_85:                              ;   in Loop: Header=BB24_82 Depth=2
	v_add_nc_u32_e32 v8, s50, v8
	v_add_nc_u32_e32 v6, s54, v6
	s_mov_b32 s28, 0
	s_delay_alu instid0(VALU_DEP_2)
	v_cmp_le_i32_e32 vcc_lo, s62, v8
	s_or_not1_b32 s27, vcc_lo, exec_lo
	s_branch .LBB24_81
.LBB24_86:                              ;   in Loop: Header=BB24_7 Depth=1
	s_or_b32 exec_lo, exec_lo, s23
	s_wait_alu 0xfffe
	s_and_b32 s23, s26, exec_lo
.LBB24_87:                              ;   in Loop: Header=BB24_7 Depth=1
	s_wait_alu 0xfffe
	s_or_b32 exec_lo, exec_lo, s25
.LBB24_88:                              ;   in Loop: Header=BB24_7 Depth=1
	s_wait_alu 0xfffe
	s_and_b32 vcc_lo, exec_lo, s24
	s_wait_alu 0xfffe
	s_cbranch_vccz .LBB24_99
; %bb.89:                               ;   in Loop: Header=BB24_7 Depth=1
	s_add_co_i32 s22, s18, s53
                                        ; implicit-def: $vgpr4_vgpr5
	s_wait_alu 0xfffe
	s_abs_i32 s40, s22
	s_wait_alu 0xfffe
	s_mul_u64 s[24:25], s[40:41], s[46:47]
	s_ashr_i32 s24, s22, 31
	s_wait_alu 0xfffe
	s_mul_i32 s20, s25, s50
	s_wait_alu 0xfffe
	s_sub_co_i32 s20, s40, s20
	s_wait_alu 0xfffe
	s_sub_co_i32 s25, s20, s50
	s_cmp_ge_u32 s20, s50
	s_wait_alu 0xfffe
	s_cselect_b32 s20, s25, s20
	s_wait_alu 0xfffe
	s_sub_co_i32 s25, s20, s50
	s_cmp_ge_u32 s20, s50
	s_wait_alu 0xfffe
	s_cselect_b32 s20, s25, s20
	s_wait_alu 0xfffe
	s_xor_b32 s20, s20, s24
	s_wait_alu 0xfffe
	s_sub_co_i32 s20, s24, s20
	s_wait_alu 0xfffe
	s_add_co_i32 s22, s22, s20
	s_mov_b32 s20, exec_lo
	s_wait_alu 0xfffe
	v_cmpx_gt_i32_e64 s22, v0
	s_cbranch_execz .LBB24_98
; %bb.90:                               ;   in Loop: Header=BB24_7 Depth=1
	v_dual_mov_b32 v6, v28 :: v_dual_mov_b32 v7, v0
	s_mov_b32 s25, 0
                                        ; implicit-def: $sgpr24
	s_branch .LBB24_93
.LBB24_91:                              ;   in Loop: Header=BB24_93 Depth=2
	s_wait_alu 0xfffe
	s_or_b32 exec_lo, exec_lo, s26
	s_wait_loadcnt_dscnt 0x0
	s_barrier_signal -1
	s_barrier_wait -1
	global_inv scope:SCOPE_SE
	ds_load_b128 v[2:5], v12 offset:3072
	s_mov_b32 s26, -1
	s_mov_b32 s27, -1
	s_wait_loadcnt_dscnt 0x0
	s_barrier_signal -1
	s_barrier_wait -1
	global_inv scope:SCOPE_SE
	v_cmp_ne_u64_e32 vcc_lo, 0, v[2:3]
	s_cbranch_vccz .LBB24_96
.LBB24_92:                              ;   in Loop: Header=BB24_93 Depth=2
	s_wait_alu 0xfffe
	s_and_b32 s26, exec_lo, s26
	s_wait_alu 0xfffe
	s_or_b32 s25, s26, s25
	s_and_not1_b32 s24, s24, exec_lo
	s_and_b32 s26, s27, exec_lo
	s_wait_alu 0xfffe
	s_or_b32 s24, s24, s26
	s_and_not1_b32 exec_lo, exec_lo, s25
	s_cbranch_execz .LBB24_97
.LBB24_93:                              ;   Parent Loop BB24_7 Depth=1
                                        ; =>  This Inner Loop Header: Depth=2
	s_mov_b32 s26, exec_lo
	s_delay_alu instid0(VALU_DEP_1)
	v_cmpx_gt_i32_e64 s18, v7
	s_cbranch_execz .LBB24_91
; %bb.94:                               ;   in Loop: Header=BB24_93 Depth=2
	ds_load_b64 v[3:4], v6
	s_wait_dscnt 0x0
	v_xor_b32_e32 v2, 0x80000000, v4
	v_and_b32_e32 v8, v3, v20
	s_delay_alu instid0(VALU_DEP_2) | instskip(NEXT) | instid1(VALU_DEP_1)
	v_and_b32_e32 v9, v2, v21
	v_cmp_eq_u64_e32 vcc_lo, v[8:9], v[18:19]
	s_and_b32 exec_lo, exec_lo, vcc_lo
	s_cbranch_execz .LBB24_91
; %bb.95:                               ;   in Loop: Header=BB24_93 Depth=2
	v_mov_b32_e32 v2, v12
	ds_store_b128 v12, v[1:4] offset:3072
	s_branch .LBB24_91
.LBB24_96:                              ;   in Loop: Header=BB24_93 Depth=2
	v_add_nc_u32_e32 v7, s50, v7
	v_add_nc_u32_e32 v6, s65, v6
	s_mov_b32 s27, 0
	s_delay_alu instid0(VALU_DEP_2)
	v_cmp_le_i32_e32 vcc_lo, s22, v7
	s_or_not1_b32 s26, vcc_lo, exec_lo
	s_branch .LBB24_92
.LBB24_97:                              ;   in Loop: Header=BB24_7 Depth=1
	s_or_b32 exec_lo, exec_lo, s25
	s_delay_alu instid0(SALU_CYCLE_1)
	s_and_not1_b32 s18, s23, exec_lo
	s_wait_alu 0xfffe
	s_and_b32 s22, s24, exec_lo
	s_wait_alu 0xfffe
	s_or_b32 s23, s18, s22
.LBB24_98:                              ;   in Loop: Header=BB24_7 Depth=1
	s_or_b32 exec_lo, exec_lo, s20
	s_mov_b32 s20, 0
	s_mov_b32 s22, -1
.LBB24_99:                              ;   in Loop: Header=BB24_7 Depth=1
	s_wait_alu 0xfffe
	s_or_not1_b32 s18, s23, exec_lo
.LBB24_100:                             ;   in Loop: Header=BB24_7 Depth=1
	s_wait_alu 0xfffe
	s_or_b32 exec_lo, exec_lo, s14
	v_readfirstlane_b32 s23, v0
	s_and_not1_b32 s14, s70, exec_lo
	s_and_b32 s22, s22, exec_lo
	s_and_not1_b32 s24, s68, exec_lo
	s_and_b32 s20, s20, exec_lo
	s_and_not1_b32 s67, s67, exec_lo
	s_wait_alu 0xfffe
	s_or_b32 s70, s14, s22
	s_or_b32 s68, s24, s20
                                        ; implicit-def: $vgpr9
	s_and_saveexec_b32 s14, s18
	s_cbranch_execz .LBB24_6
; %bb.101:                              ;   in Loop: Header=BB24_7 Depth=1
	v_dual_mov_b32 v9, 1 :: v_dual_mov_b32 v8, 1
	s_xor_b32 s17, s17, -1
	s_mov_b32 s22, 0
	s_wait_alu 0xfffe
	s_and_saveexec_b32 s16, s17
	s_cbranch_execz .LBB24_110
; %bb.102:                              ;   in Loop: Header=BB24_7 Depth=1
	s_mov_b32 s17, exec_lo
	v_cmpx_ge_i32_e64 s15, v40
	s_wait_alu 0xfffe
	s_xor_b32 s17, exec_lo, s17
	s_cbranch_execz .LBB24_107
; %bb.103:                              ;   in Loop: Header=BB24_7 Depth=1
	ds_load_b32 v2, v12 offset:4096
	v_and_b32_e32 v19, s13, v19
	v_and_b32_e32 v18, s12, v18
	v_or_b32_e32 v21, s11, v21
	v_or_b32_e32 v20, s10, v20
	s_wait_dscnt 0x0
	v_cmp_ne_u32_e32 vcc_lo, 0, v2
	s_cbranch_vccnz .LBB24_107
; %bb.104:                              ;   in Loop: Header=BB24_7 Depth=1
	s_and_saveexec_b32 s18, s2
; %bb.105:                              ;   in Loop: Header=BB24_7 Depth=1
	v_mov_b32_e32 v2, s15
	ds_store_b32 v12, v2 offset:4100
; %bb.106:                              ;   in Loop: Header=BB24_7 Depth=1
	s_wait_alu 0xfffe
	s_or_b32 exec_lo, exec_lo, s18
	s_wait_loadcnt_dscnt 0x0
	s_barrier_signal -1
	s_barrier_wait -1
	global_inv scope:SCOPE_SE
.LBB24_107:                             ;   in Loop: Header=BB24_7 Depth=1
	s_wait_alu 0xfffe
	s_or_saveexec_b32 s17, s17
	v_mov_b32_e32 v8, 8
	s_mov_b32 s18, 0
	s_wait_alu 0xfffe
	s_xor_b32 exec_lo, exec_lo, s17
; %bb.108:                              ;   in Loop: Header=BB24_7 Depth=1
	v_subrev_nc_u32_e32 v40, s15, v40
	v_mov_b32_e32 v8, 0
	s_mov_b32 s18, exec_lo
; %bb.109:                              ;   in Loop: Header=BB24_7 Depth=1
	s_or_b32 exec_lo, exec_lo, s17
	s_delay_alu instid0(VALU_DEP_2)
	v_mov_b32_e32 v9, v40
	s_wait_alu 0xfffe
	s_and_b32 s22, s18, exec_lo
.LBB24_110:                             ;   in Loop: Header=BB24_7 Depth=1
	s_wait_alu 0xfffe
	s_or_b32 exec_lo, exec_lo, s16
	s_mov_b32 s15, -1
	s_mov_b32 s20, -1
                                        ; implicit-def: $sgpr17
                                        ; implicit-def: $sgpr18
	s_and_saveexec_b32 s16, s22
	s_wait_alu 0xfffe
	s_xor_b32 s16, exec_lo, s16
	s_cbranch_execz .LBB24_227
; %bb.111:                              ;   in Loop: Header=BB24_7 Depth=1
	v_cmp_eq_u32_e32 vcc_lo, 1, v9
	s_cmp_eq_u32 s21, 1
	s_mov_b32 s23, -1
	s_cselect_b32 s17, -1, 0
                                        ; implicit-def: $sgpr18
	s_wait_alu 0xfffe
	s_and_b32 s22, s17, vcc_lo
                                        ; implicit-def: $sgpr17
	s_wait_alu 0xfffe
	s_and_saveexec_b32 s20, s22
	s_cbranch_execz .LBB24_137
; %bb.112:                              ;   in Loop: Header=BB24_7 Depth=1
	ds_load_b32 v2, v12 offset:4096
	s_wait_loadcnt_dscnt 0x0
	s_barrier_signal -1
	s_barrier_wait -1
	global_inv scope:SCOPE_SE
	v_readfirstlane_b32 s23, v2
	s_and_saveexec_b32 s17, s0
; %bb.113:                              ;   in Loop: Header=BB24_7 Depth=1
	v_mov_b32_e32 v11, v12
	ds_store_b64 v29, v[11:12]
; %bb.114:                              ;   in Loop: Header=BB24_7 Depth=1
	s_wait_alu 0xfffe
	s_or_b32 exec_lo, exec_lo, s17
	v_and_b32_e32 v2, s13, v19
	v_and_b32_e32 v3, s12, v18
	s_lshl_b64 s[24:25], 1, s72
	v_or_b32_e32 v21, s11, v21
	v_or_b32_e32 v20, s10, v20
	s_wait_alu 0xfffe
	v_or_b32_e32 v19, s25, v2
	v_or_b32_e32 v18, s24, v3
	s_mov_b32 s17, -1
	s_mov_b32 s18, 0
	s_cmp_gt_i32 s23, 0
	s_mov_b32 s24, 0
	s_mov_b32 s25, -1
	s_wait_loadcnt_dscnt 0x0
	s_barrier_signal -1
	s_barrier_wait -1
	global_inv scope:SCOPE_SE
                                        ; implicit-def: $vgpr4_vgpr5
	s_cbranch_scc1 .LBB24_125
; %bb.115:                              ;   in Loop: Header=BB24_7 Depth=1
	s_mov_b32 s25, 0
                                        ; implicit-def: $vgpr4_vgpr5
	s_and_saveexec_b32 s26, s8
	s_cbranch_execz .LBB24_124
; %bb.116:                              ;   in Loop: Header=BB24_7 Depth=1
	v_dual_mov_b32 v6, v10 :: v_dual_mov_b32 v11, v0
                                        ; implicit-def: $sgpr27
	s_branch .LBB24_119
.LBB24_117:                             ;   in Loop: Header=BB24_119 Depth=2
	s_or_b32 exec_lo, exec_lo, s28
	s_wait_loadcnt_dscnt 0x0
	s_barrier_signal -1
	s_barrier_wait -1
	global_inv scope:SCOPE_SE
	ds_load_b128 v[2:5], v12 offset:3072
	s_mov_b32 s28, -1
	s_mov_b32 s40, -1
	s_wait_loadcnt_dscnt 0x0
	s_barrier_signal -1
	s_barrier_wait -1
	global_inv scope:SCOPE_SE
	v_cmp_ne_u64_e32 vcc_lo, 0, v[2:3]
	s_cbranch_vccz .LBB24_122
.LBB24_118:                             ;   in Loop: Header=BB24_119 Depth=2
	s_and_b32 s28, exec_lo, s28
	s_wait_alu 0xfffe
	s_or_b32 s24, s28, s24
	s_and_not1_b32 s27, s27, exec_lo
	s_and_b32 s28, s40, exec_lo
	s_wait_alu 0xfffe
	s_or_b32 s27, s27, s28
	s_and_not1_b32 exec_lo, exec_lo, s24
	s_cbranch_execz .LBB24_123
.LBB24_119:                             ;   Parent Loop BB24_7 Depth=1
                                        ; =>  This Inner Loop Header: Depth=2
	s_mov_b32 s28, exec_lo
	s_delay_alu instid0(VALU_DEP_1)
	v_cmpx_gt_i32_e64 s36, v11
	s_cbranch_execz .LBB24_117
; %bb.120:                              ;   in Loop: Header=BB24_119 Depth=2
	v_ashrrev_i32_e32 v7, 31, v6
	s_delay_alu instid0(VALU_DEP_1) | instskip(NEXT) | instid1(VALU_DEP_1)
	v_lshlrev_b64_e32 v[2:3], 3, v[6:7]
	v_add_co_u32 v2, vcc_lo, s42, v2
	s_wait_alu 0xfffd
	s_delay_alu instid0(VALU_DEP_2) | instskip(SKIP_4) | instid1(VALU_DEP_2)
	v_add_co_ci_u32_e64 v3, null, s43, v3, vcc_lo
	global_load_b64 v[3:4], v[2:3], off
	s_wait_loadcnt 0x0
	v_xor_b32_e32 v2, 0x80000000, v4
	v_and_b32_e32 v22, v3, v20
	v_and_b32_e32 v23, v2, v21
	s_delay_alu instid0(VALU_DEP_1)
	v_cmp_eq_u64_e32 vcc_lo, v[22:23], v[18:19]
	s_and_b32 exec_lo, exec_lo, vcc_lo
	s_cbranch_execz .LBB24_117
; %bb.121:                              ;   in Loop: Header=BB24_119 Depth=2
	v_mov_b32_e32 v2, v12
	ds_store_b128 v12, v[1:4] offset:3072
	s_branch .LBB24_117
.LBB24_122:                             ;   in Loop: Header=BB24_119 Depth=2
	v_add_nc_u32_e32 v11, s50, v11
	v_add_nc_u32_e32 v6, s54, v6
	s_mov_b32 s40, 0
	s_delay_alu instid0(VALU_DEP_2)
	v_cmp_le_i32_e32 vcc_lo, s62, v11
	s_or_not1_b32 s28, vcc_lo, exec_lo
	s_branch .LBB24_118
.LBB24_123:                             ;   in Loop: Header=BB24_7 Depth=1
	s_or_b32 exec_lo, exec_lo, s24
	s_wait_alu 0xfffe
	s_and_b32 s24, s27, exec_lo
.LBB24_124:                             ;   in Loop: Header=BB24_7 Depth=1
	s_wait_alu 0xfffe
	s_or_b32 exec_lo, exec_lo, s26
.LBB24_125:                             ;   in Loop: Header=BB24_7 Depth=1
	s_wait_alu 0xfffe
	s_and_b32 vcc_lo, exec_lo, s25
	s_wait_alu 0xfffe
	s_cbranch_vccz .LBB24_136
; %bb.126:                              ;   in Loop: Header=BB24_7 Depth=1
	s_add_co_i32 s18, s23, s53
                                        ; implicit-def: $vgpr4_vgpr5
	s_wait_alu 0xfffe
	s_abs_i32 s40, s18
	s_ashr_i32 s25, s18, 31
	s_wait_alu 0xfffe
	s_mul_u64 s[26:27], s[40:41], s[46:47]
	s_wait_alu 0xfffe
	s_mul_i32 s17, s27, s50
	s_wait_alu 0xfffe
	s_sub_co_i32 s17, s40, s17
	s_wait_alu 0xfffe
	s_sub_co_i32 s26, s17, s50
	s_cmp_ge_u32 s17, s50
	s_wait_alu 0xfffe
	s_cselect_b32 s17, s26, s17
	s_wait_alu 0xfffe
	s_sub_co_i32 s26, s17, s50
	s_cmp_ge_u32 s17, s50
	s_wait_alu 0xfffe
	s_cselect_b32 s17, s26, s17
	s_wait_alu 0xfffe
	s_xor_b32 s17, s17, s25
	s_wait_alu 0xfffe
	s_sub_co_i32 s17, s25, s17
	s_wait_alu 0xfffe
	s_add_co_i32 s18, s18, s17
	s_mov_b32 s17, exec_lo
	s_wait_alu 0xfffe
	v_cmpx_gt_i32_e64 s18, v0
	s_cbranch_execz .LBB24_135
; %bb.127:                              ;   in Loop: Header=BB24_7 Depth=1
	v_dual_mov_b32 v6, v28 :: v_dual_mov_b32 v7, v0
	s_mov_b32 s25, 0
                                        ; implicit-def: $sgpr26
	s_branch .LBB24_130
.LBB24_128:                             ;   in Loop: Header=BB24_130 Depth=2
	s_wait_alu 0xfffe
	s_or_b32 exec_lo, exec_lo, s27
	s_wait_loadcnt_dscnt 0x0
	s_barrier_signal -1
	s_barrier_wait -1
	global_inv scope:SCOPE_SE
	ds_load_b128 v[2:5], v12 offset:3072
	s_mov_b32 s27, -1
	s_mov_b32 s28, -1
	s_wait_loadcnt_dscnt 0x0
	s_barrier_signal -1
	s_barrier_wait -1
	global_inv scope:SCOPE_SE
	v_cmp_eq_u64_e32 vcc_lo, 0, v[2:3]
	s_cbranch_vccnz .LBB24_133
.LBB24_129:                             ;   in Loop: Header=BB24_130 Depth=2
	s_wait_alu 0xfffe
	s_and_b32 s27, exec_lo, s27
	s_wait_alu 0xfffe
	s_or_b32 s25, s27, s25
	s_and_not1_b32 s26, s26, exec_lo
	s_and_b32 s27, s28, exec_lo
	s_wait_alu 0xfffe
	s_or_b32 s26, s26, s27
	s_and_not1_b32 exec_lo, exec_lo, s25
	s_cbranch_execz .LBB24_134
.LBB24_130:                             ;   Parent Loop BB24_7 Depth=1
                                        ; =>  This Inner Loop Header: Depth=2
	s_mov_b32 s27, exec_lo
	s_delay_alu instid0(VALU_DEP_1)
	v_cmpx_gt_i32_e64 s23, v7
	s_cbranch_execz .LBB24_128
; %bb.131:                              ;   in Loop: Header=BB24_130 Depth=2
	ds_load_b64 v[3:4], v6
	s_wait_dscnt 0x0
	v_xor_b32_e32 v2, 0x80000000, v4
	v_and_b32_e32 v22, v3, v20
	s_delay_alu instid0(VALU_DEP_2) | instskip(NEXT) | instid1(VALU_DEP_1)
	v_and_b32_e32 v23, v2, v21
	v_cmp_eq_u64_e32 vcc_lo, v[22:23], v[18:19]
	s_and_b32 exec_lo, exec_lo, vcc_lo
	s_cbranch_execz .LBB24_128
; %bb.132:                              ;   in Loop: Header=BB24_130 Depth=2
	v_mov_b32_e32 v2, v12
	ds_store_b128 v12, v[1:4] offset:3072
	s_branch .LBB24_128
.LBB24_133:                             ;   in Loop: Header=BB24_130 Depth=2
	v_add_nc_u32_e32 v7, s50, v7
	v_add_nc_u32_e32 v6, s65, v6
	s_mov_b32 s28, 0
	s_delay_alu instid0(VALU_DEP_2)
	v_cmp_le_i32_e32 vcc_lo, s18, v7
	s_or_not1_b32 s27, vcc_lo, exec_lo
	s_branch .LBB24_129
.LBB24_134:                             ;   in Loop: Header=BB24_7 Depth=1
	s_or_b32 exec_lo, exec_lo, s25
	s_delay_alu instid0(SALU_CYCLE_1)
	s_and_not1_b32 s18, s24, exec_lo
	s_wait_alu 0xfffe
	s_and_b32 s23, s26, exec_lo
	s_wait_alu 0xfffe
	s_or_b32 s24, s18, s23
.LBB24_135:                             ;   in Loop: Header=BB24_7 Depth=1
	s_or_b32 exec_lo, exec_lo, s17
	s_mov_b32 s17, 0
	s_mov_b32 s18, -1
.LBB24_136:                             ;   in Loop: Header=BB24_7 Depth=1
	s_wait_alu 0xfffe
	s_or_not1_b32 s23, s24, exec_lo
.LBB24_137:                             ;   in Loop: Header=BB24_7 Depth=1
	s_wait_alu 0xfffe
	s_or_b32 exec_lo, exec_lo, s20
	s_mov_b32 s24, 0
	s_and_saveexec_b32 s20, s23
	s_cbranch_execz .LBB24_226
; %bb.138:                              ;   in Loop: Header=BB24_7 Depth=1
	v_mov_b32_e32 v22, 1
	v_mov_b32_e32 v8, 1
	s_xor_b32 s23, s22, -1
	s_mov_b32 s25, 0
	s_wait_alu 0xfffe
	s_and_saveexec_b32 s22, s23
	s_cbranch_execz .LBB24_147
; %bb.139:                              ;   in Loop: Header=BB24_7 Depth=1
	s_mov_b32 s23, exec_lo
	v_cmpx_ge_i32_e64 s21, v9
	s_wait_alu 0xfffe
	s_xor_b32 s23, exec_lo, s23
	s_cbranch_execz .LBB24_144
; %bb.140:                              ;   in Loop: Header=BB24_7 Depth=1
	ds_load_b32 v2, v12 offset:4096
	v_and_b32_e32 v3, s13, v19
	v_and_b32_e32 v6, s12, v18
	s_lshl_b64 s[24:25], 1, s72
	v_or_b32_e32 v21, s11, v21
	v_or_b32_e32 v20, s10, v20
	s_wait_alu 0xfffe
	v_or_b32_e32 v19, s25, v3
	v_or_b32_e32 v18, s24, v6
	s_wait_dscnt 0x0
	v_cmp_ne_u32_e32 vcc_lo, 0, v2
	s_cbranch_vccnz .LBB24_144
; %bb.141:                              ;   in Loop: Header=BB24_7 Depth=1
	s_and_saveexec_b32 s24, s2
; %bb.142:                              ;   in Loop: Header=BB24_7 Depth=1
	v_mov_b32_e32 v2, s21
	ds_store_b32 v12, v2 offset:4100
; %bb.143:                              ;   in Loop: Header=BB24_7 Depth=1
	s_wait_alu 0xfffe
	s_or_b32 exec_lo, exec_lo, s24
	s_wait_loadcnt_dscnt 0x0
	s_barrier_signal -1
	s_barrier_wait -1
	global_inv scope:SCOPE_SE
.LBB24_144:                             ;   in Loop: Header=BB24_7 Depth=1
	s_wait_alu 0xfffe
	s_or_saveexec_b32 s23, s23
	v_mov_b32_e32 v8, 8
	s_mov_b32 s24, 0
	s_wait_alu 0xfffe
	s_xor_b32 exec_lo, exec_lo, s23
; %bb.145:                              ;   in Loop: Header=BB24_7 Depth=1
	v_subrev_nc_u32_e32 v9, s21, v9
	v_mov_b32_e32 v8, 0
	s_mov_b32 s24, exec_lo
; %bb.146:                              ;   in Loop: Header=BB24_7 Depth=1
	s_or_b32 exec_lo, exec_lo, s23
	s_delay_alu instid0(VALU_DEP_2)
	v_mov_b32_e32 v22, v9
	s_wait_alu 0xfffe
	s_and_b32 s25, s24, exec_lo
.LBB24_147:                             ;   in Loop: Header=BB24_7 Depth=1
	s_wait_alu 0xfffe
	s_or_b32 exec_lo, exec_lo, s22
	s_mov_b32 s24, -1
                                        ; implicit-def: $sgpr22
                                        ; implicit-def: $sgpr23
	s_and_saveexec_b32 s21, s25
	s_cbranch_execz .LBB24_225
; %bb.148:                              ;   in Loop: Header=BB24_7 Depth=1
	v_cmp_eq_u32_e32 vcc_lo, 1, v22
	s_cmp_eq_u32 s19, 1
	s_mov_b32 s26, -1
	s_cselect_b32 s22, -1, 0
                                        ; implicit-def: $sgpr23
	s_wait_alu 0xfffe
	s_and_b32 s25, s22, vcc_lo
                                        ; implicit-def: $sgpr22
	s_wait_alu 0xfffe
	s_and_saveexec_b32 s24, s25
	s_cbranch_execz .LBB24_174
; %bb.149:                              ;   in Loop: Header=BB24_7 Depth=1
	ds_load_b32 v2, v12 offset:4096
	s_wait_loadcnt_dscnt 0x0
	s_barrier_signal -1
	s_barrier_wait -1
	global_inv scope:SCOPE_SE
	v_readfirstlane_b32 s26, v2
	s_and_saveexec_b32 s22, s0
; %bb.150:                              ;   in Loop: Header=BB24_7 Depth=1
	v_mov_b32_e32 v11, v12
	ds_store_b64 v29, v[11:12]
; %bb.151:                              ;   in Loop: Header=BB24_7 Depth=1
	s_wait_alu 0xfffe
	s_or_b32 exec_lo, exec_lo, s22
	v_and_b32_e32 v2, s13, v19
	v_and_b32_e32 v3, s12, v18
	s_lshl_b64 s[22:23], 2, s72
	v_or_b32_e32 v21, s11, v21
	v_or_b32_e32 v20, s10, v20
	s_wait_alu 0xfffe
	v_or_b32_e32 v19, s23, v2
	v_or_b32_e32 v18, s22, v3
	s_mov_b32 s22, -1
	s_mov_b32 s23, 0
	s_cmp_gt_i32 s26, 0
	s_mov_b32 s27, 0
	s_mov_b32 s28, -1
	s_wait_loadcnt_dscnt 0x0
	s_barrier_signal -1
	s_barrier_wait -1
	global_inv scope:SCOPE_SE
                                        ; implicit-def: $vgpr4_vgpr5
	s_cbranch_scc1 .LBB24_162
; %bb.152:                              ;   in Loop: Header=BB24_7 Depth=1
	s_mov_b32 s28, 0
                                        ; implicit-def: $vgpr4_vgpr5
	s_and_saveexec_b32 s40, s8
	s_cbranch_execz .LBB24_161
; %bb.153:                              ;   in Loop: Header=BB24_7 Depth=1
	v_dual_mov_b32 v6, v10 :: v_dual_mov_b32 v9, v0
                                        ; implicit-def: $sgpr73
	s_branch .LBB24_156
.LBB24_154:                             ;   in Loop: Header=BB24_156 Depth=2
	s_wait_alu 0xfffe
	s_or_b32 exec_lo, exec_lo, s74
	s_wait_loadcnt_dscnt 0x0
	s_barrier_signal -1
	s_barrier_wait -1
	global_inv scope:SCOPE_SE
	ds_load_b128 v[2:5], v12 offset:3072
	s_mov_b32 s74, -1
	s_mov_b32 s75, -1
	s_wait_loadcnt_dscnt 0x0
	s_barrier_signal -1
	s_barrier_wait -1
	global_inv scope:SCOPE_SE
	v_cmp_ne_u64_e32 vcc_lo, 0, v[2:3]
	s_cbranch_vccz .LBB24_159
.LBB24_155:                             ;   in Loop: Header=BB24_156 Depth=2
	s_wait_alu 0xfffe
	s_and_b32 s74, exec_lo, s74
	s_wait_alu 0xfffe
	s_or_b32 s27, s74, s27
	s_and_not1_b32 s73, s73, exec_lo
	s_and_b32 s74, s75, exec_lo
	s_wait_alu 0xfffe
	s_or_b32 s73, s73, s74
	s_and_not1_b32 exec_lo, exec_lo, s27
	s_cbranch_execz .LBB24_160
.LBB24_156:                             ;   Parent Loop BB24_7 Depth=1
                                        ; =>  This Inner Loop Header: Depth=2
	s_mov_b32 s74, exec_lo
	s_delay_alu instid0(VALU_DEP_1)
	v_cmpx_gt_i32_e64 s36, v9
	s_cbranch_execz .LBB24_154
; %bb.157:                              ;   in Loop: Header=BB24_156 Depth=2
	v_ashrrev_i32_e32 v7, 31, v6
	s_delay_alu instid0(VALU_DEP_1) | instskip(NEXT) | instid1(VALU_DEP_1)
	v_lshlrev_b64_e32 v[2:3], 3, v[6:7]
	v_add_co_u32 v2, vcc_lo, s42, v2
	s_wait_alu 0xfffd
	s_delay_alu instid0(VALU_DEP_2) | instskip(SKIP_4) | instid1(VALU_DEP_2)
	v_add_co_ci_u32_e64 v3, null, s43, v3, vcc_lo
	global_load_b64 v[3:4], v[2:3], off
	s_wait_loadcnt 0x0
	v_xor_b32_e32 v2, 0x80000000, v4
	v_and_b32_e32 v23, v3, v20
	v_and_b32_e32 v24, v2, v21
	s_delay_alu instid0(VALU_DEP_1)
	v_cmp_eq_u64_e32 vcc_lo, v[23:24], v[18:19]
	s_and_b32 exec_lo, exec_lo, vcc_lo
	s_cbranch_execz .LBB24_154
; %bb.158:                              ;   in Loop: Header=BB24_156 Depth=2
	v_mov_b32_e32 v2, v12
	ds_store_b128 v12, v[1:4] offset:3072
	s_branch .LBB24_154
.LBB24_159:                             ;   in Loop: Header=BB24_156 Depth=2
	v_add_nc_u32_e32 v9, s50, v9
	v_add_nc_u32_e32 v6, s54, v6
	s_mov_b32 s75, 0
	s_delay_alu instid0(VALU_DEP_2)
	v_cmp_le_i32_e32 vcc_lo, s62, v9
	s_or_not1_b32 s74, vcc_lo, exec_lo
	s_branch .LBB24_155
.LBB24_160:                             ;   in Loop: Header=BB24_7 Depth=1
	s_or_b32 exec_lo, exec_lo, s27
	s_wait_alu 0xfffe
	s_and_b32 s27, s73, exec_lo
.LBB24_161:                             ;   in Loop: Header=BB24_7 Depth=1
	s_wait_alu 0xfffe
	s_or_b32 exec_lo, exec_lo, s40
.LBB24_162:                             ;   in Loop: Header=BB24_7 Depth=1
	s_delay_alu instid0(SALU_CYCLE_1)
	s_and_b32 vcc_lo, exec_lo, s28
	s_wait_alu 0xfffe
	s_cbranch_vccz .LBB24_173
; %bb.163:                              ;   in Loop: Header=BB24_7 Depth=1
	s_add_co_i32 s28, s26, s53
                                        ; implicit-def: $vgpr4_vgpr5
	s_delay_alu instid0(SALU_CYCLE_1)
	s_abs_i32 s40, s28
	s_wait_alu 0xfffe
	s_mul_u64 s[22:23], s[40:41], s[46:47]
	s_wait_alu 0xfffe
	s_mul_i32 s22, s23, s50
	s_ashr_i32 s23, s28, 31
	s_wait_alu 0xfffe
	s_sub_co_i32 s22, s40, s22
	s_wait_alu 0xfffe
	s_sub_co_i32 s40, s22, s50
	s_cmp_ge_u32 s22, s50
	s_wait_alu 0xfffe
	s_cselect_b32 s22, s40, s22
	s_wait_alu 0xfffe
	s_sub_co_i32 s40, s22, s50
	s_cmp_ge_u32 s22, s50
	s_wait_alu 0xfffe
	s_cselect_b32 s22, s40, s22
	s_wait_alu 0xfffe
	s_xor_b32 s22, s22, s23
	s_wait_alu 0xfffe
	s_sub_co_i32 s22, s23, s22
	s_wait_alu 0xfffe
	s_add_co_i32 s23, s28, s22
	s_mov_b32 s22, exec_lo
	s_wait_alu 0xfffe
	v_cmpx_gt_i32_e64 s23, v0
	s_cbranch_execz .LBB24_172
; %bb.164:                              ;   in Loop: Header=BB24_7 Depth=1
	v_dual_mov_b32 v6, v28 :: v_dual_mov_b32 v7, v0
	s_mov_b32 s28, 0
                                        ; implicit-def: $sgpr40
	s_branch .LBB24_167
.LBB24_165:                             ;   in Loop: Header=BB24_167 Depth=2
	s_wait_alu 0xfffe
	s_or_b32 exec_lo, exec_lo, s73
	s_wait_loadcnt_dscnt 0x0
	s_barrier_signal -1
	s_barrier_wait -1
	global_inv scope:SCOPE_SE
	ds_load_b128 v[2:5], v12 offset:3072
	s_mov_b32 s73, -1
	s_mov_b32 s74, -1
	s_wait_loadcnt_dscnt 0x0
	s_barrier_signal -1
	s_barrier_wait -1
	global_inv scope:SCOPE_SE
	v_cmp_eq_u64_e32 vcc_lo, 0, v[2:3]
	s_cbranch_vccnz .LBB24_170
.LBB24_166:                             ;   in Loop: Header=BB24_167 Depth=2
	s_wait_alu 0xfffe
	s_and_b32 s73, exec_lo, s73
	s_wait_alu 0xfffe
	s_or_b32 s28, s73, s28
	s_and_not1_b32 s40, s40, exec_lo
	s_and_b32 s73, s74, exec_lo
	s_wait_alu 0xfffe
	s_or_b32 s40, s40, s73
	s_and_not1_b32 exec_lo, exec_lo, s28
	s_cbranch_execz .LBB24_171
.LBB24_167:                             ;   Parent Loop BB24_7 Depth=1
                                        ; =>  This Inner Loop Header: Depth=2
	s_mov_b32 s73, exec_lo
	s_delay_alu instid0(VALU_DEP_1)
	v_cmpx_gt_i32_e64 s26, v7
	s_cbranch_execz .LBB24_165
; %bb.168:                              ;   in Loop: Header=BB24_167 Depth=2
	ds_load_b64 v[3:4], v6
	s_wait_dscnt 0x0
	v_xor_b32_e32 v2, 0x80000000, v4
	v_and_b32_e32 v23, v3, v20
	s_delay_alu instid0(VALU_DEP_2) | instskip(NEXT) | instid1(VALU_DEP_1)
	v_and_b32_e32 v24, v2, v21
	v_cmp_eq_u64_e32 vcc_lo, v[23:24], v[18:19]
	s_and_b32 exec_lo, exec_lo, vcc_lo
	s_cbranch_execz .LBB24_165
; %bb.169:                              ;   in Loop: Header=BB24_167 Depth=2
	v_mov_b32_e32 v2, v12
	ds_store_b128 v12, v[1:4] offset:3072
	s_branch .LBB24_165
.LBB24_170:                             ;   in Loop: Header=BB24_167 Depth=2
	v_add_nc_u32_e32 v7, s50, v7
	v_add_nc_u32_e32 v6, s65, v6
	s_mov_b32 s74, 0
	s_delay_alu instid0(VALU_DEP_2)
	v_cmp_le_i32_e32 vcc_lo, s23, v7
	s_or_not1_b32 s73, vcc_lo, exec_lo
	s_branch .LBB24_166
.LBB24_171:                             ;   in Loop: Header=BB24_7 Depth=1
	s_or_b32 exec_lo, exec_lo, s28
	s_delay_alu instid0(SALU_CYCLE_1)
	s_and_not1_b32 s23, s27, exec_lo
	s_wait_alu 0xfffe
	s_and_b32 s26, s40, exec_lo
	s_wait_alu 0xfffe
	s_or_b32 s27, s23, s26
.LBB24_172:                             ;   in Loop: Header=BB24_7 Depth=1
	s_or_b32 exec_lo, exec_lo, s22
	s_mov_b32 s22, 0
	s_mov_b32 s23, -1
.LBB24_173:                             ;   in Loop: Header=BB24_7 Depth=1
	s_wait_alu 0xfffe
	s_or_not1_b32 s26, s27, exec_lo
.LBB24_174:                             ;   in Loop: Header=BB24_7 Depth=1
	s_wait_alu 0xfffe
	s_or_b32 exec_lo, exec_lo, s24
	s_mov_b32 s27, 0
	s_and_saveexec_b32 s24, s26
	s_cbranch_execz .LBB24_224
; %bb.175:                              ;   in Loop: Header=BB24_7 Depth=1
	v_dual_mov_b32 v9, 1 :: v_dual_mov_b32 v8, 1
	s_xor_b32 s27, s25, -1
	s_mov_b32 s26, 0
	s_wait_alu 0xfffe
	s_and_saveexec_b32 s25, s27
	s_cbranch_execz .LBB24_184
; %bb.176:                              ;   in Loop: Header=BB24_7 Depth=1
	s_mov_b32 s26, exec_lo
	v_cmpx_ge_i32_e64 s19, v22
	s_wait_alu 0xfffe
	s_xor_b32 s26, exec_lo, s26
	s_cbranch_execz .LBB24_181
; %bb.177:                              ;   in Loop: Header=BB24_7 Depth=1
	ds_load_b32 v2, v12 offset:4096
	v_and_b32_e32 v3, s13, v19
	v_and_b32_e32 v6, s12, v18
	s_lshl_b64 s[12:13], 2, s72
	v_or_b32_e32 v21, s11, v21
	v_or_b32_e32 v20, s10, v20
	s_wait_alu 0xfffe
	v_or_b32_e32 v19, s13, v3
	v_or_b32_e32 v18, s12, v6
	s_wait_dscnt 0x0
	v_cmp_ne_u32_e32 vcc_lo, 0, v2
	s_cbranch_vccnz .LBB24_181
; %bb.178:                              ;   in Loop: Header=BB24_7 Depth=1
	s_and_saveexec_b32 s12, s2
; %bb.179:                              ;   in Loop: Header=BB24_7 Depth=1
	v_mov_b32_e32 v2, s19
	ds_store_b32 v12, v2 offset:4100
; %bb.180:                              ;   in Loop: Header=BB24_7 Depth=1
	s_wait_alu 0xfffe
	s_or_b32 exec_lo, exec_lo, s12
	s_wait_loadcnt_dscnt 0x0
	s_barrier_signal -1
	s_barrier_wait -1
	global_inv scope:SCOPE_SE
.LBB24_181:                             ;   in Loop: Header=BB24_7 Depth=1
	s_wait_alu 0xfffe
	s_or_saveexec_b32 s12, s26
	v_mov_b32_e32 v8, 8
	s_mov_b32 s13, 0
	s_wait_alu 0xfffe
	s_xor_b32 exec_lo, exec_lo, s12
; %bb.182:                              ;   in Loop: Header=BB24_7 Depth=1
	v_subrev_nc_u32_e32 v22, s19, v22
	v_mov_b32_e32 v8, 0
	s_mov_b32 s13, exec_lo
; %bb.183:                              ;   in Loop: Header=BB24_7 Depth=1
	s_or_b32 exec_lo, exec_lo, s12
	s_delay_alu instid0(VALU_DEP_2)
	v_mov_b32_e32 v9, v22
	s_wait_alu 0xfffe
	s_and_b32 s26, s13, exec_lo
.LBB24_184:                             ;   in Loop: Header=BB24_7 Depth=1
	s_wait_alu 0xfffe
	s_or_b32 exec_lo, exec_lo, s25
	s_mov_b32 s13, -1
                                        ; implicit-def: $sgpr25
                                        ; implicit-def: $sgpr19
	s_and_saveexec_b32 s12, s26
	s_cbranch_execz .LBB24_223
; %bb.185:                              ;   in Loop: Header=BB24_7 Depth=1
	v_cmp_eq_u32_e32 vcc_lo, 1, v9
	s_cmp_eq_u32 s9, 1
	s_mov_b32 s27, -1
	s_cselect_b32 s13, -1, 0
                                        ; implicit-def: $sgpr25
                                        ; implicit-def: $sgpr19
	s_wait_alu 0xfffe
	s_and_b32 s13, s13, vcc_lo
	s_wait_alu 0xfffe
	s_and_saveexec_b32 s26, s13
	s_cbranch_execz .LBB24_211
; %bb.186:                              ;   in Loop: Header=BB24_7 Depth=1
	ds_load_b32 v2, v12 offset:4096
	s_wait_loadcnt_dscnt 0x0
	s_barrier_signal -1
	s_barrier_wait -1
	global_inv scope:SCOPE_SE
	v_readfirstlane_b32 s27, v2
	s_and_saveexec_b32 s19, s0
; %bb.187:                              ;   in Loop: Header=BB24_7 Depth=1
	v_mov_b32_e32 v11, v12
	ds_store_b64 v29, v[11:12]
; %bb.188:                              ;   in Loop: Header=BB24_7 Depth=1
	s_wait_alu 0xfffe
	s_or_b32 exec_lo, exec_lo, s19
	v_or_b32_e32 v19, s11, v19
	v_or_b32_e32 v18, s10, v18
	;; [unrolled: 1-line block ×4, first 2 shown]
	s_mov_b32 s19, -1
	s_mov_b32 s25, 0
	s_cmp_gt_i32 s27, 0
	s_mov_b32 s28, 0
	s_mov_b32 s40, -1
	s_wait_loadcnt_dscnt 0x0
	s_barrier_signal -1
	s_barrier_wait -1
	global_inv scope:SCOPE_SE
                                        ; implicit-def: $vgpr4_vgpr5
	s_cbranch_scc1 .LBB24_199
; %bb.189:                              ;   in Loop: Header=BB24_7 Depth=1
	s_mov_b32 s40, 0
                                        ; implicit-def: $vgpr4_vgpr5
	s_and_saveexec_b32 s73, s8
	s_cbranch_execz .LBB24_198
; %bb.190:                              ;   in Loop: Header=BB24_7 Depth=1
	v_dual_mov_b32 v6, v10 :: v_dual_mov_b32 v11, v0
                                        ; implicit-def: $sgpr74
	s_branch .LBB24_193
.LBB24_191:                             ;   in Loop: Header=BB24_193 Depth=2
	s_wait_alu 0xfffe
	s_or_b32 exec_lo, exec_lo, s75
	s_wait_loadcnt_dscnt 0x0
	s_barrier_signal -1
	s_barrier_wait -1
	global_inv scope:SCOPE_SE
	ds_load_b128 v[2:5], v12 offset:3072
	s_mov_b32 s75, -1
	s_mov_b32 s76, -1
	s_wait_loadcnt_dscnt 0x0
	s_barrier_signal -1
	s_barrier_wait -1
	global_inv scope:SCOPE_SE
	v_cmp_ne_u64_e32 vcc_lo, 0, v[2:3]
	s_cbranch_vccz .LBB24_196
.LBB24_192:                             ;   in Loop: Header=BB24_193 Depth=2
	s_wait_alu 0xfffe
	s_and_b32 s75, exec_lo, s75
	s_wait_alu 0xfffe
	s_or_b32 s28, s75, s28
	s_and_not1_b32 s74, s74, exec_lo
	s_and_b32 s75, s76, exec_lo
	s_wait_alu 0xfffe
	s_or_b32 s74, s74, s75
	s_and_not1_b32 exec_lo, exec_lo, s28
	s_cbranch_execz .LBB24_197
.LBB24_193:                             ;   Parent Loop BB24_7 Depth=1
                                        ; =>  This Inner Loop Header: Depth=2
	s_mov_b32 s75, exec_lo
	s_delay_alu instid0(VALU_DEP_1)
	v_cmpx_gt_i32_e64 s36, v11
	s_cbranch_execz .LBB24_191
; %bb.194:                              ;   in Loop: Header=BB24_193 Depth=2
	v_ashrrev_i32_e32 v7, 31, v6
	s_delay_alu instid0(VALU_DEP_1) | instskip(NEXT) | instid1(VALU_DEP_1)
	v_lshlrev_b64_e32 v[2:3], 3, v[6:7]
	v_add_co_u32 v2, vcc_lo, s42, v2
	s_wait_alu 0xfffd
	s_delay_alu instid0(VALU_DEP_2) | instskip(SKIP_4) | instid1(VALU_DEP_2)
	v_add_co_ci_u32_e64 v3, null, s43, v3, vcc_lo
	global_load_b64 v[3:4], v[2:3], off
	s_wait_loadcnt 0x0
	v_xor_b32_e32 v2, 0x80000000, v4
	v_and_b32_e32 v22, v3, v20
	v_and_b32_e32 v23, v2, v21
	s_delay_alu instid0(VALU_DEP_1)
	v_cmp_eq_u64_e32 vcc_lo, v[22:23], v[18:19]
	s_and_b32 exec_lo, exec_lo, vcc_lo
	s_cbranch_execz .LBB24_191
; %bb.195:                              ;   in Loop: Header=BB24_193 Depth=2
	v_mov_b32_e32 v2, v12
	ds_store_b128 v12, v[1:4] offset:3072
	s_branch .LBB24_191
.LBB24_196:                             ;   in Loop: Header=BB24_193 Depth=2
	v_add_nc_u32_e32 v11, s50, v11
	v_add_nc_u32_e32 v6, s54, v6
	s_mov_b32 s76, 0
	s_delay_alu instid0(VALU_DEP_2)
	v_cmp_le_i32_e32 vcc_lo, s62, v11
	s_or_not1_b32 s75, vcc_lo, exec_lo
	s_branch .LBB24_192
.LBB24_197:                             ;   in Loop: Header=BB24_7 Depth=1
	s_or_b32 exec_lo, exec_lo, s28
	s_wait_alu 0xfffe
	s_and_b32 s28, s74, exec_lo
.LBB24_198:                             ;   in Loop: Header=BB24_7 Depth=1
	s_wait_alu 0xfffe
	s_or_b32 exec_lo, exec_lo, s73
.LBB24_199:                             ;   in Loop: Header=BB24_7 Depth=1
	s_wait_alu 0xfffe
	s_and_b32 vcc_lo, exec_lo, s40
	s_wait_alu 0xfffe
	s_cbranch_vccz .LBB24_210
; %bb.200:                              ;   in Loop: Header=BB24_7 Depth=1
	s_add_co_i32 s25, s27, s53
                                        ; implicit-def: $vgpr4_vgpr5
	s_wait_alu 0xfffe
	s_abs_i32 s40, s25
	s_wait_alu 0xfffe
	s_mul_u64 s[74:75], s[40:41], s[46:47]
	s_wait_alu 0xfffe
	s_mul_i32 s19, s75, s50
	s_wait_alu 0xfffe
	s_sub_co_i32 s19, s40, s19
	s_ashr_i32 s40, s25, 31
	s_wait_alu 0xfffe
	s_sub_co_i32 s73, s19, s50
	s_cmp_ge_u32 s19, s50
	s_wait_alu 0xfffe
	s_cselect_b32 s19, s73, s19
	s_wait_alu 0xfffe
	s_sub_co_i32 s73, s19, s50
	s_cmp_ge_u32 s19, s50
	s_wait_alu 0xfffe
	s_cselect_b32 s19, s73, s19
	s_wait_alu 0xfffe
	s_xor_b32 s19, s19, s40
	s_wait_alu 0xfffe
	s_sub_co_i32 s19, s40, s19
	s_wait_alu 0xfffe
	s_add_co_i32 s25, s25, s19
	s_mov_b32 s19, exec_lo
	s_wait_alu 0xfffe
	v_cmpx_gt_i32_e64 s25, v0
	s_cbranch_execz .LBB24_209
; %bb.201:                              ;   in Loop: Header=BB24_7 Depth=1
	v_dual_mov_b32 v6, v28 :: v_dual_mov_b32 v7, v0
	s_mov_b32 s40, 0
                                        ; implicit-def: $sgpr73
	s_branch .LBB24_204
.LBB24_202:                             ;   in Loop: Header=BB24_204 Depth=2
	s_wait_alu 0xfffe
	s_or_b32 exec_lo, exec_lo, s74
	s_wait_loadcnt_dscnt 0x0
	s_barrier_signal -1
	s_barrier_wait -1
	global_inv scope:SCOPE_SE
	ds_load_b128 v[2:5], v12 offset:3072
	s_mov_b32 s74, -1
	s_mov_b32 s75, -1
	s_wait_loadcnt_dscnt 0x0
	s_barrier_signal -1
	s_barrier_wait -1
	global_inv scope:SCOPE_SE
	v_cmp_eq_u64_e32 vcc_lo, 0, v[2:3]
	s_cbranch_vccnz .LBB24_207
.LBB24_203:                             ;   in Loop: Header=BB24_204 Depth=2
	s_wait_alu 0xfffe
	s_and_b32 s74, exec_lo, s74
	s_wait_alu 0xfffe
	s_or_b32 s40, s74, s40
	s_and_not1_b32 s73, s73, exec_lo
	s_and_b32 s74, s75, exec_lo
	s_wait_alu 0xfffe
	s_or_b32 s73, s73, s74
	s_and_not1_b32 exec_lo, exec_lo, s40
	s_cbranch_execz .LBB24_208
.LBB24_204:                             ;   Parent Loop BB24_7 Depth=1
                                        ; =>  This Inner Loop Header: Depth=2
	s_mov_b32 s74, exec_lo
	s_delay_alu instid0(VALU_DEP_1)
	v_cmpx_gt_i32_e64 s27, v7
	s_cbranch_execz .LBB24_202
; %bb.205:                              ;   in Loop: Header=BB24_204 Depth=2
	ds_load_b64 v[3:4], v6
	s_wait_dscnt 0x0
	v_xor_b32_e32 v2, 0x80000000, v4
	v_and_b32_e32 v22, v3, v20
	s_delay_alu instid0(VALU_DEP_2) | instskip(NEXT) | instid1(VALU_DEP_1)
	v_and_b32_e32 v23, v2, v21
	v_cmp_eq_u64_e32 vcc_lo, v[22:23], v[18:19]
	s_and_b32 exec_lo, exec_lo, vcc_lo
	s_cbranch_execz .LBB24_202
; %bb.206:                              ;   in Loop: Header=BB24_204 Depth=2
	v_mov_b32_e32 v2, v12
	ds_store_b128 v12, v[1:4] offset:3072
	s_branch .LBB24_202
.LBB24_207:                             ;   in Loop: Header=BB24_204 Depth=2
	v_add_nc_u32_e32 v7, s50, v7
	v_add_nc_u32_e32 v6, s65, v6
	s_mov_b32 s75, 0
	s_delay_alu instid0(VALU_DEP_2)
	v_cmp_le_i32_e32 vcc_lo, s25, v7
	s_or_not1_b32 s74, vcc_lo, exec_lo
	s_branch .LBB24_203
.LBB24_208:                             ;   in Loop: Header=BB24_7 Depth=1
	s_or_b32 exec_lo, exec_lo, s40
	s_delay_alu instid0(SALU_CYCLE_1)
	s_and_not1_b32 s25, s28, exec_lo
	s_wait_alu 0xfffe
	s_and_b32 s27, s73, exec_lo
	s_wait_alu 0xfffe
	s_or_b32 s28, s25, s27
.LBB24_209:                             ;   in Loop: Header=BB24_7 Depth=1
	s_or_b32 exec_lo, exec_lo, s19
	s_mov_b32 s19, 0
	s_mov_b32 s25, -1
.LBB24_210:                             ;   in Loop: Header=BB24_7 Depth=1
	s_or_not1_b32 s27, s28, exec_lo
.LBB24_211:                             ;   in Loop: Header=BB24_7 Depth=1
	s_wait_alu 0xfffe
	s_or_b32 exec_lo, exec_lo, s26
	s_mov_b32 s28, 0
	s_and_saveexec_b32 s26, s27
	s_cbranch_execz .LBB24_222
; %bb.212:                              ;   in Loop: Header=BB24_7 Depth=1
	v_mov_b32_e32 v8, 1
	v_mov_b32_e32 v2, 1
	s_xor_b32 s27, s13, -1
	s_wait_alu 0xfffe
	s_and_saveexec_b32 s13, s27
	s_cbranch_execz .LBB24_221
; %bb.213:                              ;   in Loop: Header=BB24_7 Depth=1
	s_mov_b32 s27, exec_lo
	v_cmpx_ge_i32_e64 s9, v9
	s_wait_alu 0xfffe
	s_xor_b32 s27, exec_lo, s27
	s_cbranch_execz .LBB24_218
; %bb.214:                              ;   in Loop: Header=BB24_7 Depth=1
	ds_load_b32 v2, v12 offset:4096
	v_or_b32_e32 v19, s11, v19
	v_or_b32_e32 v18, s10, v18
	;; [unrolled: 1-line block ×4, first 2 shown]
	s_wait_dscnt 0x0
	v_cmp_ne_u32_e32 vcc_lo, 0, v2
	s_cbranch_vccnz .LBB24_218
; %bb.215:                              ;   in Loop: Header=BB24_7 Depth=1
	s_and_saveexec_b32 s10, s2
; %bb.216:                              ;   in Loop: Header=BB24_7 Depth=1
	v_mov_b32_e32 v2, s9
	ds_store_b32 v12, v2 offset:4100
; %bb.217:                              ;   in Loop: Header=BB24_7 Depth=1
	s_wait_alu 0xfffe
	s_or_b32 exec_lo, exec_lo, s10
	s_wait_loadcnt_dscnt 0x0
	s_barrier_signal -1
	s_barrier_wait -1
	global_inv scope:SCOPE_SE
.LBB24_218:                             ;   in Loop: Header=BB24_7 Depth=1
	s_wait_alu 0xfffe
	s_and_not1_saveexec_b32 s10, s27
; %bb.219:                              ;   in Loop: Header=BB24_7 Depth=1
	v_subrev_nc_u32_e32 v9, s9, v9
; %bb.220:                              ;   in Loop: Header=BB24_7 Depth=1
	s_wait_alu 0xfffe
	s_or_b32 exec_lo, exec_lo, s10
	v_mov_b32_e32 v8, 8
	s_delay_alu instid0(VALU_DEP_2)
	v_mov_b32_e32 v2, v9
.LBB24_221:                             ;   in Loop: Header=BB24_7 Depth=1
	s_wait_alu 0xfffe
	s_or_b32 exec_lo, exec_lo, s13
	s_delay_alu instid0(VALU_DEP_1)
	v_mov_b32_e32 v9, v2
	s_mov_b32 s28, exec_lo
.LBB24_222:                             ;   in Loop: Header=BB24_7 Depth=1
	s_wait_alu 0xfffe
	s_or_b32 exec_lo, exec_lo, s26
	s_delay_alu instid0(SALU_CYCLE_1)
	s_or_not1_b32 s13, s28, exec_lo
.LBB24_223:                             ;   in Loop: Header=BB24_7 Depth=1
	s_wait_alu 0xfffe
	s_or_b32 exec_lo, exec_lo, s12
	v_mov_b32_e32 v22, v9
	s_and_not1_b32 s9, s23, exec_lo
	s_and_b32 s10, s25, exec_lo
	s_and_not1_b32 s11, s22, exec_lo
	s_and_b32 s12, s19, exec_lo
	s_wait_alu 0xfffe
	s_or_b32 s23, s9, s10
	s_or_b32 s22, s11, s12
	s_and_b32 s27, s13, exec_lo
.LBB24_224:                             ;   in Loop: Header=BB24_7 Depth=1
	s_wait_alu 0xfffe
	s_or_b32 exec_lo, exec_lo, s24
	s_delay_alu instid0(SALU_CYCLE_1)
	s_or_not1_b32 s24, s27, exec_lo
.LBB24_225:                             ;   in Loop: Header=BB24_7 Depth=1
	s_wait_alu 0xfffe
	s_or_b32 exec_lo, exec_lo, s21
	v_mov_b32_e32 v9, v22
	s_and_not1_b32 s9, s18, exec_lo
	s_and_b32 s10, s23, exec_lo
	s_and_not1_b32 s11, s17, exec_lo
	s_and_b32 s12, s22, exec_lo
	s_wait_alu 0xfffe
	s_or_b32 s18, s9, s10
	s_or_b32 s17, s11, s12
	s_and_b32 s24, s24, exec_lo
.LBB24_226:                             ;   in Loop: Header=BB24_7 Depth=1
	s_wait_alu 0xfffe
	s_or_b32 exec_lo, exec_lo, s20
	s_delay_alu instid0(SALU_CYCLE_1)
	s_or_not1_b32 s20, s24, exec_lo
.LBB24_227:                             ;   in Loop: Header=BB24_7 Depth=1
	s_wait_alu 0xfffe
	s_or_b32 exec_lo, exec_lo, s16
	s_mov_b32 s10, 0
                                        ; implicit-def: $sgpr23
	s_and_saveexec_b32 s9, s20
	s_wait_alu 0xfffe
	s_xor_b32 s9, exec_lo, s9
	s_cbranch_execz .LBB24_5
; %bb.228:                              ;   in Loop: Header=BB24_7 Depth=1
	v_and_b32_e32 v2, 7, v8
	s_mov_b32 s11, -1
	s_mov_b32 s10, -1
	s_mov_b32 s12, exec_lo
                                        ; implicit-def: $sgpr23
	s_delay_alu instid0(VALU_DEP_1)
	v_cmpx_eq_u32_e32 0, v2
	s_cbranch_execz .LBB24_4
; %bb.229:                              ;   in Loop: Header=BB24_7 Depth=1
	s_add_co_i32 s23, s72, -2
	s_cmp_eq_u32 s72, 0
	v_xor_b32_e32 v39, 1, v39
	s_cselect_b32 s11, -1, 0
	s_xor_b32 s10, exec_lo, -1
	s_wait_alu 0xfffe
	s_or_not1_b32 s11, s11, exec_lo
	s_branch .LBB24_4
.LBB24_230:
	s_or_b32 exec_lo, exec_lo, s37
	s_xor_b32 s4, s71, -1
	s_xor_b32 s0, s69, -1
	;; [unrolled: 1-line block ×3, first 2 shown]
	s_mov_b32 s1, 0
	s_wait_alu 0xfffe
	s_and_saveexec_b32 s5, s0
	s_wait_alu 0xfffe
	s_xor_b32 s0, exec_lo, s5
	s_cbranch_execnz .LBB24_235
; %bb.231:
	s_wait_alu 0xfffe
	s_and_not1_saveexec_b32 s0, s0
	s_cbranch_execnz .LBB24_255
.LBB24_232:
	s_wait_alu 0xfffe
	s_or_b32 exec_lo, exec_lo, s0
	s_and_saveexec_b32 s0, s1
.LBB24_233:
	; divergent unreachable
.LBB24_234:
	s_endpgm
.LBB24_235:
	s_and_saveexec_b32 s1, s4
	s_wait_alu 0xfffe
	s_xor_b32 s1, exec_lo, s1
	s_cbranch_execz .LBB24_253
; %bb.236:
	s_and_saveexec_b32 s4, s3
	s_wait_alu 0xfffe
	s_xor_b32 s3, exec_lo, s4
; %bb.237:
	v_xor_b32_e32 v19, 0x80000000, v19
	s_delay_alu instid0(VALU_DEP_1)
	v_dual_mov_b32 v4, v18 :: v_dual_mov_b32 v5, v19
; %bb.238:
	s_or_b32 exec_lo, exec_lo, s3
	s_and_saveexec_b32 s3, s2
; %bb.239:
	v_dual_mov_b32 v1, 0 :: v_dual_mov_b32 v2, s36
	ds_store_b32 v1, v2 offset:4108
; %bb.240:
	s_or_b32 exec_lo, exec_lo, s3
	v_mov_b32_e32 v1, 0
	s_wait_loadcnt_dscnt 0x0
	s_barrier_signal -1
	s_barrier_wait -1
	global_inv scope:SCOPE_SE
	ds_load_b32 v1, v1 offset:4108
	s_mov_b32 s3, exec_lo
	s_wait_dscnt 0x0
	v_min_i32_e32 v1, s36, v1
	s_delay_alu instid0(VALU_DEP_1)
	v_cmpx_lt_i32_e64 v0, v1
	s_cbranch_execz .LBB24_250
; %bb.241:
	s_mov_b32 s4, 0
                                        ; implicit-def: $sgpr5
                                        ; implicit-def: $sgpr7
                                        ; implicit-def: $sgpr6
	s_branch .LBB24_243
.LBB24_242:                             ;   in Loop: Header=BB24_243 Depth=1
	s_wait_alu 0xfffe
	s_or_b32 exec_lo, exec_lo, s8
	s_delay_alu instid0(SALU_CYCLE_1)
	s_and_b32 s8, exec_lo, s7
	s_wait_alu 0xfffe
	s_or_b32 s4, s8, s4
	s_and_not1_b32 s5, s5, exec_lo
	s_and_b32 s8, s6, exec_lo
	s_wait_alu 0xfffe
	s_or_b32 s5, s5, s8
	s_and_not1_b32 exec_lo, exec_lo, s4
	s_cbranch_execz .LBB24_245
.LBB24_243:                             ; =>This Inner Loop Header: Depth=1
	v_ashrrev_i32_e32 v11, 31, v10
	s_or_b32 s6, s6, exec_lo
	s_or_b32 s7, s7, exec_lo
	s_delay_alu instid0(VALU_DEP_1) | instskip(NEXT) | instid1(VALU_DEP_1)
	v_lshlrev_b64_e32 v[2:3], 3, v[10:11]
	v_add_co_u32 v2, vcc_lo, s42, v2
	s_wait_alu 0xfffd
	s_delay_alu instid0(VALU_DEP_2)
	v_add_co_ci_u32_e64 v3, null, s43, v3, vcc_lo
	global_load_b64 v[2:3], v[2:3], off
	s_wait_loadcnt 0x0
	v_cmp_ne_u64_e32 vcc_lo, v[2:3], v[4:5]
	v_mov_b32_e32 v2, v0
                                        ; implicit-def: $vgpr0
	s_and_saveexec_b32 s8, vcc_lo
	s_cbranch_execz .LBB24_242
; %bb.244:                              ;   in Loop: Header=BB24_243 Depth=1
	s_delay_alu instid0(VALU_DEP_1) | instskip(SKIP_3) | instid1(VALU_DEP_2)
	v_add_nc_u32_e32 v0, s50, v2
	v_add_nc_u32_e32 v10, s54, v10
	s_and_not1_b32 s7, s7, exec_lo
	s_and_not1_b32 s6, s6, exec_lo
	v_cmp_ge_i32_e32 vcc_lo, v0, v1
	s_and_b32 s9, vcc_lo, exec_lo
	s_wait_alu 0xfffe
	s_or_b32 s7, s7, s9
	s_branch .LBB24_242
.LBB24_245:
	s_or_b32 exec_lo, exec_lo, s4
	s_wait_alu 0xfffe
	s_and_saveexec_b32 s4, s5
	s_wait_alu 0xfffe
	s_xor_b32 s4, exec_lo, s4
	s_cbranch_execz .LBB24_250
; %bb.246:
	s_mov_b32 s5, exec_lo
	s_brev_b32 s4, -2
.LBB24_247:                             ; =>This Inner Loop Header: Depth=1
	s_wait_alu 0xfffe
	s_ctz_i32_b32 s6, s5
	s_wait_alu 0xfffe
	v_readlane_b32 s7, v2, s6
	s_lshl_b32 s6, 1, s6
	s_wait_alu 0xfffe
	s_and_not1_b32 s5, s5, s6
	s_min_i32 s4, s4, s7
	s_wait_alu 0xfffe
	s_cmp_lg_u32 s5, 0
	s_cbranch_scc1 .LBB24_247
; %bb.248:
	v_mbcnt_lo_u32_b32 v0, exec_lo, 0
	s_mov_b32 s5, exec_lo
	s_delay_alu instid0(VALU_DEP_1)
	v_cmpx_eq_u32_e32 0, v0
	s_wait_alu 0xfffe
	s_xor_b32 s5, exec_lo, s5
; %bb.249:
	v_dual_mov_b32 v0, 0 :: v_dual_mov_b32 v1, s4
	ds_min_i32 v0, v1 offset:4108
.LBB24_250:
	s_or_b32 exec_lo, exec_lo, s3
	s_wait_loadcnt_dscnt 0x0
	s_barrier_signal -1
	s_barrier_wait -1
	global_inv scope:SCOPE_SE
	s_and_saveexec_b32 s3, s2
	s_cbranch_execz .LBB24_252
; %bb.251:
	v_mov_b32_e32 v2, 0
	s_mul_i32 s6, s33, s29
	s_mul_i32 s4, s38, s29
	s_wait_alu 0xfffe
	s_ashr_i32 s7, s6, 31
	s_ashr_i32 s5, s4, 31
	ds_load_b32 v0, v2 offset:4108
	s_wait_alu 0xfffe
	s_lshl_b64 s[6:7], s[6:7], 3
	s_lshl_b64 s[4:5], s[4:5], 3
	s_wait_alu 0xfffe
	s_add_nc_u64 s[6:7], s[30:31], s[6:7]
	s_add_nc_u64 s[4:5], s[34:35], s[4:5]
	s_wait_dscnt 0x0
	v_ashrrev_i32_e32 v1, 31, v0
	s_clause 0x1
	global_store_b64 v2, v[0:1], s[6:7]
	global_store_b64 v2, v[4:5], s[4:5]
.LBB24_252:
	s_or_b32 exec_lo, exec_lo, s3
.LBB24_253:
	s_wait_alu 0xfffe
	s_or_saveexec_b32 s1, s1
	s_mov_b32 s2, 0
	s_wait_alu 0xfffe
	s_xor_b32 exec_lo, exec_lo, s1
	s_cbranch_execnz .LBB24_256
.LBB24_254:
	s_or_b32 exec_lo, exec_lo, s1
	s_delay_alu instid0(SALU_CYCLE_1)
	s_and_b32 s1, s2, exec_lo
	s_and_not1_saveexec_b32 s0, s0
	s_cbranch_execz .LBB24_232
.LBB24_255:
	s_wait_alu 0xfffe
	s_or_b32 s1, s1, exec_lo
	s_trap 2
	s_or_b32 exec_lo, exec_lo, s0
	s_wait_alu 0xfffe
	s_and_saveexec_b32 s0, s1
	s_cbranch_execnz .LBB24_233
	s_branch .LBB24_234
.LBB24_256:
	s_mov_b32 s2, exec_lo
	s_trap 2
	s_branch .LBB24_254
	.section	.rodata,"a",@progbits
	.p2align	6, 0x0
	.amdhsa_kernel _ZN2at6native12_GLOBAL__N_114gatherKthValueIliLi1EEEvNS_4cuda6detail10TensorInfoIKT_T0_EES8_S8_S8_S8_NS5_IS6_S8_EENS5_IlS8_EE
		.amdhsa_group_segment_fixed_size 4112
		.amdhsa_private_segment_fixed_size 0
		.amdhsa_kernarg_size 920
		.amdhsa_user_sgpr_count 2
		.amdhsa_user_sgpr_dispatch_ptr 0
		.amdhsa_user_sgpr_queue_ptr 0
		.amdhsa_user_sgpr_kernarg_segment_ptr 1
		.amdhsa_user_sgpr_dispatch_id 0
		.amdhsa_user_sgpr_private_segment_size 0
		.amdhsa_wavefront_size32 1
		.amdhsa_uses_dynamic_stack 0
		.amdhsa_enable_private_segment 0
		.amdhsa_system_sgpr_workgroup_id_x 1
		.amdhsa_system_sgpr_workgroup_id_y 1
		.amdhsa_system_sgpr_workgroup_id_z 1
		.amdhsa_system_sgpr_workgroup_info 0
		.amdhsa_system_vgpr_workitem_id 0
		.amdhsa_next_free_vgpr 55
		.amdhsa_next_free_sgpr 80
		.amdhsa_reserve_vcc 1
		.amdhsa_float_round_mode_32 0
		.amdhsa_float_round_mode_16_64 0
		.amdhsa_float_denorm_mode_32 3
		.amdhsa_float_denorm_mode_16_64 3
		.amdhsa_fp16_overflow 0
		.amdhsa_workgroup_processor_mode 1
		.amdhsa_memory_ordered 1
		.amdhsa_forward_progress 1
		.amdhsa_inst_pref_size 86
		.amdhsa_round_robin_scheduling 0
		.amdhsa_exception_fp_ieee_invalid_op 0
		.amdhsa_exception_fp_denorm_src 0
		.amdhsa_exception_fp_ieee_div_zero 0
		.amdhsa_exception_fp_ieee_overflow 0
		.amdhsa_exception_fp_ieee_underflow 0
		.amdhsa_exception_fp_ieee_inexact 0
		.amdhsa_exception_int_div_zero 0
	.end_amdhsa_kernel
	.section	.text._ZN2at6native12_GLOBAL__N_114gatherKthValueIliLi1EEEvNS_4cuda6detail10TensorInfoIKT_T0_EES8_S8_S8_S8_NS5_IS6_S8_EENS5_IlS8_EE,"axG",@progbits,_ZN2at6native12_GLOBAL__N_114gatherKthValueIliLi1EEEvNS_4cuda6detail10TensorInfoIKT_T0_EES8_S8_S8_S8_NS5_IS6_S8_EENS5_IlS8_EE,comdat
.Lfunc_end24:
	.size	_ZN2at6native12_GLOBAL__N_114gatherKthValueIliLi1EEEvNS_4cuda6detail10TensorInfoIKT_T0_EES8_S8_S8_S8_NS5_IS6_S8_EENS5_IlS8_EE, .Lfunc_end24-_ZN2at6native12_GLOBAL__N_114gatherKthValueIliLi1EEEvNS_4cuda6detail10TensorInfoIKT_T0_EES8_S8_S8_S8_NS5_IS6_S8_EENS5_IlS8_EE
                                        ; -- End function
	.set _ZN2at6native12_GLOBAL__N_114gatherKthValueIliLi1EEEvNS_4cuda6detail10TensorInfoIKT_T0_EES8_S8_S8_S8_NS5_IS6_S8_EENS5_IlS8_EE.num_vgpr, 55
	.set _ZN2at6native12_GLOBAL__N_114gatherKthValueIliLi1EEEvNS_4cuda6detail10TensorInfoIKT_T0_EES8_S8_S8_S8_NS5_IS6_S8_EENS5_IlS8_EE.num_agpr, 0
	.set _ZN2at6native12_GLOBAL__N_114gatherKthValueIliLi1EEEvNS_4cuda6detail10TensorInfoIKT_T0_EES8_S8_S8_S8_NS5_IS6_S8_EENS5_IlS8_EE.numbered_sgpr, 80
	.set _ZN2at6native12_GLOBAL__N_114gatherKthValueIliLi1EEEvNS_4cuda6detail10TensorInfoIKT_T0_EES8_S8_S8_S8_NS5_IS6_S8_EENS5_IlS8_EE.num_named_barrier, 0
	.set _ZN2at6native12_GLOBAL__N_114gatherKthValueIliLi1EEEvNS_4cuda6detail10TensorInfoIKT_T0_EES8_S8_S8_S8_NS5_IS6_S8_EENS5_IlS8_EE.private_seg_size, 0
	.set _ZN2at6native12_GLOBAL__N_114gatherKthValueIliLi1EEEvNS_4cuda6detail10TensorInfoIKT_T0_EES8_S8_S8_S8_NS5_IS6_S8_EENS5_IlS8_EE.uses_vcc, 1
	.set _ZN2at6native12_GLOBAL__N_114gatherKthValueIliLi1EEEvNS_4cuda6detail10TensorInfoIKT_T0_EES8_S8_S8_S8_NS5_IS6_S8_EENS5_IlS8_EE.uses_flat_scratch, 0
	.set _ZN2at6native12_GLOBAL__N_114gatherKthValueIliLi1EEEvNS_4cuda6detail10TensorInfoIKT_T0_EES8_S8_S8_S8_NS5_IS6_S8_EENS5_IlS8_EE.has_dyn_sized_stack, 0
	.set _ZN2at6native12_GLOBAL__N_114gatherKthValueIliLi1EEEvNS_4cuda6detail10TensorInfoIKT_T0_EES8_S8_S8_S8_NS5_IS6_S8_EENS5_IlS8_EE.has_recursion, 0
	.set _ZN2at6native12_GLOBAL__N_114gatherKthValueIliLi1EEEvNS_4cuda6detail10TensorInfoIKT_T0_EES8_S8_S8_S8_NS5_IS6_S8_EENS5_IlS8_EE.has_indirect_call, 0
	.section	.AMDGPU.csdata,"",@progbits
; Kernel info:
; codeLenInByte = 10900
; TotalNumSgprs: 82
; NumVgprs: 55
; ScratchSize: 0
; MemoryBound: 0
; FloatMode: 240
; IeeeMode: 1
; LDSByteSize: 4112 bytes/workgroup (compile time only)
; SGPRBlocks: 0
; VGPRBlocks: 6
; NumSGPRsForWavesPerEU: 82
; NumVGPRsForWavesPerEU: 55
; Occupancy: 16
; WaveLimiterHint : 1
; COMPUTE_PGM_RSRC2:SCRATCH_EN: 0
; COMPUTE_PGM_RSRC2:USER_SGPR: 2
; COMPUTE_PGM_RSRC2:TRAP_HANDLER: 0
; COMPUTE_PGM_RSRC2:TGID_X_EN: 1
; COMPUTE_PGM_RSRC2:TGID_Y_EN: 1
; COMPUTE_PGM_RSRC2:TGID_Z_EN: 1
; COMPUTE_PGM_RSRC2:TIDIG_COMP_CNT: 0
	.section	.text._ZN2at6native12_GLOBAL__N_114gatherKthValueIliLi2EEEvNS_4cuda6detail10TensorInfoIKT_T0_EES8_S8_S8_S8_NS5_IS6_S8_EENS5_IlS8_EE,"axG",@progbits,_ZN2at6native12_GLOBAL__N_114gatherKthValueIliLi2EEEvNS_4cuda6detail10TensorInfoIKT_T0_EES8_S8_S8_S8_NS5_IS6_S8_EENS5_IlS8_EE,comdat
	.globl	_ZN2at6native12_GLOBAL__N_114gatherKthValueIliLi2EEEvNS_4cuda6detail10TensorInfoIKT_T0_EES8_S8_S8_S8_NS5_IS6_S8_EENS5_IlS8_EE ; -- Begin function _ZN2at6native12_GLOBAL__N_114gatherKthValueIliLi2EEEvNS_4cuda6detail10TensorInfoIKT_T0_EES8_S8_S8_S8_NS5_IS6_S8_EENS5_IlS8_EE
	.p2align	8
	.type	_ZN2at6native12_GLOBAL__N_114gatherKthValueIliLi2EEEvNS_4cuda6detail10TensorInfoIKT_T0_EES8_S8_S8_S8_NS5_IS6_S8_EENS5_IlS8_EE,@function
_ZN2at6native12_GLOBAL__N_114gatherKthValueIliLi2EEEvNS_4cuda6detail10TensorInfoIKT_T0_EES8_S8_S8_S8_NS5_IS6_S8_EENS5_IlS8_EE: ; @_ZN2at6native12_GLOBAL__N_114gatherKthValueIliLi2EEEvNS_4cuda6detail10TensorInfoIKT_T0_EES8_S8_S8_S8_NS5_IS6_S8_EENS5_IlS8_EE
; %bb.0:
	s_clause 0x1
	s_load_b64 s[4:5], s[0:1], 0x298
	s_load_b128 s[36:39], s[0:1], 0xd8
	s_lshr_b32 s2, ttmp7, 16
	s_and_b32 s3, ttmp7, 0xffff
	s_wait_kmcnt 0x0
	s_mul_i32 s2, s5, s2
	s_delay_alu instid0(SALU_CYCLE_1) | instskip(NEXT) | instid1(SALU_CYCLE_1)
	s_add_co_i32 s2, s2, s3
	s_mul_i32 s33, s2, s4
	s_delay_alu instid0(SALU_CYCLE_1) | instskip(NEXT) | instid1(SALU_CYCLE_1)
	s_add_co_i32 s33, s33, ttmp9
	s_cmp_ge_i32 s33, s38
	s_cbranch_scc1 .LBB25_234
; %bb.1:
	s_clause 0x4
	s_load_b32 s5, s[0:1], 0xc
	s_load_b32 s58, s[0:1], 0xf4
	;; [unrolled: 1-line block ×3, first 2 shown]
	s_load_b64 s[6:7], s[0:1], 0x6c
	s_load_b64 s[30:31], s[0:1], 0x154
	s_mov_b32 s51, 0
	s_abs_i32 s40, s33
	s_mov_b32 s41, s51
	s_add_nc_u64 s[10:11], s[0:1], 0x298
	s_ashr_i32 s61, s33, 31
	s_wait_kmcnt 0x0
	s_abs_i32 s14, s5
	s_abs_i32 s60, s58
	s_cvt_f32_u32 s2, s14
	s_abs_i32 s59, s38
	s_cvt_f32_u32 s3, s60
	s_cvt_f32_u32 s8, s59
	v_rcp_iflag_f32_e32 v1, s2
	s_sub_co_i32 s13, 0, s14
	v_rcp_iflag_f32_e32 v2, s3
	v_rcp_iflag_f32_e32 v3, s8
	s_clause 0x1
	s_load_b64 s[8:9], s[0:1], 0x0
	s_load_b64 s[34:35], s[0:1], 0x22c
	s_sub_co_i32 s16, 0, s60
	s_ashr_i32 s15, s5, 31
	s_delay_alu instid0(TRANS32_DEP_3) | instskip(NEXT) | instid1(TRANS32_DEP_2)
	v_readfirstlane_b32 s2, v1
	v_readfirstlane_b32 s3, v2
	s_delay_alu instid0(TRANS32_DEP_1)
	v_readfirstlane_b32 s12, v3
	s_mul_f32 s2, s2, 0x4f7ffffe
	s_mul_f32 s3, s3, 0x4f7ffffe
	;; [unrolled: 1-line block ×3, first 2 shown]
	s_wait_alu 0xfffe
	s_cvt_u32_f32 s2, s2
	s_cvt_u32_f32 s17, s3
	;; [unrolled: 1-line block ×3, first 2 shown]
	s_wait_alu 0xfffe
	s_mul_i32 s13, s13, s2
	s_sub_co_i32 s3, 0, s59
	s_mul_hi_u32 s13, s2, s13
	s_wait_alu 0xfffe
	s_mul_i32 s3, s3, s12
	s_add_co_i32 s50, s2, s13
	s_mul_i32 s16, s16, s17
	s_wait_alu 0xfffe
	s_mul_hi_u32 s13, s12, s3
	s_mul_u64 s[2:3], s[40:41], s[50:51]
	v_cmp_eq_u32_e64 s2, 0, v0
	s_mul_hi_u32 s16, s17, s16
	s_add_co_i32 s12, s12, s13
	s_add_co_i32 s50, s17, s16
	s_mov_b32 s13, s51
	s_wait_alu 0xfffe
	s_and_saveexec_b32 s16, s2
; %bb.2:
	v_dual_mov_b32 v1, 0 :: v_dual_mov_b32 v2, s36
	s_delay_alu instid0(VALU_DEP_1)
	v_mov_b32_e32 v3, v1
	ds_store_b96 v1, v[1:3] offset:4096
; %bb.3:
	s_or_b32 exec_lo, exec_lo, s16
	s_mul_i32 s16, s3, s14
	s_ashr_i32 s63, s58, 31
	s_sub_co_i32 s16, s40, s16
	s_ashr_i32 s62, s38, 31
	s_xor_b32 s15, s61, s15
	s_add_co_i32 s17, s3, 1
	s_sub_co_i32 s18, s16, s14
	s_cmp_ge_u32 s16, s14
	s_wait_dscnt 0x0
	s_cselect_b32 s3, s17, s3
	s_cselect_b32 s16, s18, s16
	s_wait_alu 0xfffe
	s_add_co_i32 s17, s3, 1
	s_cmp_ge_u32 s16, s14
	s_barrier_signal -1
	s_barrier_wait -1
	global_inv scope:SCOPE_SE
	s_load_b32 s14, s[10:11], 0xc
	s_cselect_b32 s3, s17, s3
	s_clause 0x1
	s_load_b64 s[42:43], s[0:1], 0x1c0
	s_load_b64 s[44:45], s[0:1], 0xe8
	s_xor_b32 s3, s3, s15
	s_mul_u64 s[46:47], s[40:41], s[50:51]
	s_wait_alu 0xfffe
	s_sub_co_i32 s3, s3, s15
	s_mul_u64 s[28:29], s[40:41], s[12:13]
	s_wait_alu 0xfffe
	s_mul_i32 s5, s3, s5
	s_mul_i32 s3, s3, s6
	s_sub_co_i32 s5, s33, s5
	v_mbcnt_lo_u32_b32 v26, -1, 0
	s_mul_i32 s5, s5, s7
	v_cmp_gt_u32_e32 vcc_lo, 32, v0
	s_wait_alu 0xfffe
	s_add_co_i32 s0, s3, s5
	v_dual_mov_b32 v12, 0 :: v_dual_lshlrev_b32 v27, 2, v0
	s_ashr_i32 s1, s0, 31
	v_mul_lo_u32 v10, s39, v0
	s_lshl_b64 s[0:1], s[0:1], 3
	s_delay_alu instid0(VALU_DEP_2)
	v_dual_mov_b32 v11, v12 :: v_dual_lshlrev_b32 v28, 3, v0
	s_wait_kmcnt 0x0
	s_and_b32 s41, s14, 0xffff
	s_add_nc_u64 s[48:49], s[8:9], s[0:1]
	s_lshl_b32 s46, s41, 2
	v_cmp_gt_i32_e64 s0, 4, v26
	s_cvt_f32_u32 s1, s46
	s_add_co_i32 s64, s41, -1
	s_bfe_u32 s3, s14, 0xb0005
	s_add_co_i32 s74, s64, s36
	v_rcp_iflag_f32_e32 v1, s1
	s_and_b32 s66, vcc_lo, s0
	s_cmp_gt_i32 s36, 0x180
	v_dual_mov_b32 v4, 0 :: v_dual_add_nc_u32 v29, 0xc00, v28
	s_cselect_b32 s67, -1, 0
	s_cmp_gt_u32 s41, 31
	s_mov_b32 s12, s39
	s_cselect_b32 s68, -1, 0
	s_cmp_lt_u32 ttmp9, s4
	s_delay_alu instid0(TRANS32_DEP_1)
	v_readfirstlane_b32 s5, v1
	s_cselect_b32 s50, 12, 18
	s_wait_alu 0xfffe
	s_add_co_i32 s4, s3, -1
	s_bfe_u32 s69, s41, 0x30005
	s_and_b32 s4, s4, 0xffff
	v_lshlrev_b64_e32 v[1:2], 3, v[10:11]
	s_cmp_gt_u32 s4, 6
	s_mul_f32 s4, s5, 0x4f7ffffe
	s_cselect_b32 s70, -1, 0
	s_and_b32 s71, s3, 0x7f8
	s_cmp_lg_u32 s69, 0
	s_cvt_u32_f32 s3, s4
	s_cselect_b32 s72, -1, 0
	s_sub_co_i32 s4, 0, s46
	v_add_co_u32 v13, vcc_lo, s48, v1
	s_wait_alu 0xfffe
	s_mul_i32 s4, s4, s3
	v_add_co_ci_u32_e64 v14, null, s49, v2, vcc_lo
	s_mul_hi_u32 s4, s3, s4
	v_lshlrev_b64_e64 v[1:2], v26, -1
	s_add_co_i32 s52, s3, s4
	s_cvt_f32_u32 s3, s41
	s_mul_hi_u32 s4, s36, s52
	v_lshrrev_b32_e32 v2, 1, v0
	s_mul_i32 s4, s4, s46
	s_wait_alu 0xfffe
	v_rcp_iflag_f32_e32 v3, s3
	s_sub_co_i32 s4, s36, s4
	v_not_b32_e32 v31, v1
	s_sub_co_i32 s5, s4, s46
	s_cmp_ge_u32 s4, s46
	v_mov_b32_e32 v5, 0
	s_cselect_b32 s4, s5, s4
	v_mad_co_u64_u32 v[17:18], null, s39, v27, s[12:13]
	s_sub_co_i32 s6, s4, s46
	s_delay_alu instid0(TRANS32_DEP_1)
	v_readfirstlane_b32 s5, v3
	s_cmp_ge_u32 s4, s46
	v_or_b32_e32 v3, 3, v27
	s_cselect_b32 s9, s6, s4
	s_sub_co_i32 s6, 0, s41
	s_wait_alu 0xfffe
	s_sub_co_i32 s73, s36, s9
	s_mul_f32 s5, s5, 0x4f7ffffe
	v_add_nc_u32_e32 v30, s73, v0
	s_abs_i32 s7, s74
	v_mul_lo_u32 v34, s39, v3
	s_cvt_u32_f32 s5, s5
	v_dual_mov_b32 v18, 0 :: v_dual_lshlrev_b32 v37, 5, v0
	v_mul_lo_u32 v1, v30, s39
	s_delay_alu instid0(SALU_CYCLE_1)
	s_mul_i32 s6, s6, s5
	v_cmp_eq_u32_e64 s0, 0, v26
	s_mul_hi_u32 s6, s5, s6
	v_cmp_gt_u32_e64 s1, 2, v0
	s_add_co_i32 s54, s5, s6
	s_movk_i32 s5, 0x1f0
	s_mul_hi_u32 s6, s7, s54
	v_and_or_b32 v32, v2, s5, 0xc00
	v_ashrrev_i32_e32 v2, 31, v1
	s_mul_i32 s6, s6, s41
	v_cmp_gt_u32_e64 s3, s36, v0
	s_sub_co_i32 s5, s7, s6
	s_ashr_i32 s7, s74, 31
	v_lshlrev_b64_e32 v[1:2], 3, v[1:2]
	s_wait_alu 0xfffe
	s_sub_co_i32 s6, s5, s41
	s_cmp_ge_u32 s5, s41
	v_mov_b32_e32 v20, 0
	s_cselect_b32 s6, s6, s5
	v_cmp_gt_i32_e64 s4, s36, v0
	v_add_co_u32 v15, vcc_lo, s48, v1
	v_add3_u32 v1, s41, s36, v0
	s_sub_co_i32 s8, s6, s41
	s_cmp_ge_u32 s6, s41
	s_wait_alu 0xfffd
	v_add_co_ci_u32_e64 v16, null, s49, v2, vcc_lo
	s_wait_alu 0xfffe
	s_cselect_b32 s8, s8, s6
	v_or_b32_e32 v2, 2, v27
	v_subrev_nc_u32_e32 v1, s9, v1
	s_wait_alu 0xfffe
	s_xor_b32 s8, s8, s7
	v_cmp_gt_i32_e64 s5, s73, v27
	s_wait_alu 0xfffe
	s_sub_co_i32 s8, s7, s8
	v_mul_lo_u32 v33, s39, v2
	v_mul_lo_u32 v36, s39, v1
	s_wait_alu 0xfffe
	s_add_co_i32 s74, s74, s8
	v_mov_b32_e32 v1, 1
	v_cmp_gt_u32_e64 s6, s36, v30
	v_cmp_gt_i32_e64 s7, s36, v30
	v_cmp_gt_i32_e64 s8, s74, v0
	v_dual_mov_b32 v40, s37 :: v_dual_lshlrev_b32 v35, 2, v10
	v_lshl_or_b32 v38, v26, 2, 0xc00
	v_mov_b32_e32 v19, 0
	v_mov_b32_e32 v21, 0
	;; [unrolled: 1-line block ×3, first 2 shown]
	s_mul_i32 s65, s39, s41
	s_mov_b32 s53, s51
	s_mov_b32 s55, s51
	s_lshl_b32 s75, s65, 2
	s_lshl_b32 s76, s41, 5
	;; [unrolled: 1-line block ×3, first 2 shown]
	s_mov_b32 s84, 62
	s_add_nc_u64 s[56:57], s[10:11], s[50:51]
	s_mov_b32 s37, s51
                                        ; implicit-def: $sgpr81
                                        ; implicit-def: $sgpr83
                                        ; implicit-def: $sgpr78
                                        ; implicit-def: $sgpr80
                                        ; implicit-def: $sgpr82
                                        ; implicit-def: $sgpr79
	s_branch .LBB25_7
.LBB25_4:                               ;   in Loop: Header=BB25_7 Depth=1
	s_wait_alu 0xfffe
	s_or_b32 exec_lo, exec_lo, s12
	s_delay_alu instid0(SALU_CYCLE_1)
	s_and_b32 s10, s10, exec_lo
	s_and_not1_b32 s18, s18, exec_lo
	s_and_not1_b32 s17, s17, exec_lo
	s_or_not1_b32 s15, s11, exec_lo
.LBB25_5:                               ;   in Loop: Header=BB25_7 Depth=1
	s_wait_alu 0xfffe
	s_or_b32 exec_lo, exec_lo, s9
	s_delay_alu instid0(SALU_CYCLE_1)
	s_and_not1_b32 s9, s79, exec_lo
	s_and_b32 s10, s10, exec_lo
	s_and_not1_b32 s11, s80, exec_lo
	s_wait_alu 0xfffe
	s_or_b32 s79, s9, s10
	s_and_not1_b32 s9, s82, exec_lo
	s_and_b32 s10, s18, exec_lo
	s_and_b32 s12, s17, exec_lo
	s_wait_alu 0xfffe
	s_or_b32 s82, s9, s10
	s_or_b32 s80, s11, s12
	s_or_not1_b32 s16, s15, exec_lo
.LBB25_6:                               ;   in Loop: Header=BB25_7 Depth=1
	s_wait_alu 0xfffe
	s_or_b32 exec_lo, exec_lo, s14
	s_delay_alu instid0(SALU_CYCLE_1)
	s_and_b32 s9, exec_lo, s16
	v_mov_b32_e32 v40, v9
	s_wait_alu 0xfffe
	s_or_b32 s37, s9, s37
	s_and_not1_b32 s9, s78, exec_lo
	s_and_b32 s10, s79, exec_lo
	s_and_not1_b32 s11, s83, exec_lo
	s_wait_alu 0xfffe
	s_or_b32 s78, s9, s10
	s_and_b32 s9, s82, exec_lo
	s_and_not1_b32 s10, s81, exec_lo
	s_and_b32 s12, s80, exec_lo
	s_wait_alu 0xfffe
	s_or_b32 s83, s11, s9
	s_or_b32 s81, s10, s12
	s_mov_b32 s84, s23
	s_and_not1_b32 exec_lo, exec_lo, s37
	s_cbranch_execz .LBB25_230
.LBB25_7:                               ; =>This Loop Header: Depth=1
                                        ;     Child Loop BB25_13 Depth 2
                                        ;     Child Loop BB25_28 Depth 2
	;; [unrolled: 1-line block ×16, first 2 shown]
	ds_load_b64 v[2:3], v12 offset:4096
	s_wait_dscnt 0x0
	v_readfirstlane_b32 s50, v2
	s_cmp_gt_i32 s50, 0
	s_cbranch_scc1 .LBB25_35
; %bb.8:                                ;   in Loop: Header=BB25_7 Depth=1
	s_and_b32 vcc_lo, exec_lo, s67
	s_wait_alu 0xfffe
	s_cbranch_vccz .LBB25_21
; %bb.9:                                ;   in Loop: Header=BB25_7 Depth=1
	v_cmp_gt_i32_e32 vcc_lo, 0x181, v3
	s_mov_b32 s10, 0
	s_mov_b32 s9, 0
	s_cbranch_vccz .LBB25_22
; %bb.10:                               ;   in Loop: Header=BB25_7 Depth=1
	s_and_saveexec_b32 s11, s3
	s_cbranch_execz .LBB25_67
; %bb.11:                               ;   in Loop: Header=BB25_7 Depth=1
	global_load_b64 v[2:3], v[13:14], off
	s_load_u16 s12, s[56:57], 0x0
	v_mov_b32_e32 v8, v0
	s_mov_b32 s14, 0
	s_wait_kmcnt 0x0
	v_add_nc_u32_e32 v6, s12, v0
	s_mul_i32 s13, s39, s12
	s_delay_alu instid0(VALU_DEP_1)
	v_mul_lo_u32 v11, s39, v6
	s_branch .LBB25_13
.LBB25_12:                              ;   in Loop: Header=BB25_13 Depth=2
	s_wait_alu 0xfffe
	s_or_b32 exec_lo, exec_lo, s9
	v_cmp_le_i32_e32 vcc_lo, s36, v8
	v_dual_mov_b32 v2, v6 :: v_dual_add_nc_u32 v11, s13, v11
	v_mov_b32_e32 v3, v7
	s_or_b32 s14, vcc_lo, s14
	s_wait_alu 0xfffe
	s_and_not1_b32 exec_lo, exec_lo, s14
	s_cbranch_execz .LBB25_67
.LBB25_13:                              ;   Parent Loop BB25_7 Depth=1
                                        ; =>  This Inner Loop Header: Depth=2
	v_mov_b32_e32 v6, 0
	v_dual_mov_b32 v7, 0 :: v_dual_add_nc_u32 v8, s12, v8
	s_mov_b32 s9, exec_lo
	s_delay_alu instid0(VALU_DEP_1)
	v_cmpx_gt_u32_e64 s36, v8
	s_cbranch_execz .LBB25_15
; %bb.14:                               ;   in Loop: Header=BB25_13 Depth=2
	s_delay_alu instid0(VALU_DEP_4) | instskip(NEXT) | instid1(VALU_DEP_1)
	v_lshlrev_b64_e32 v[6:7], 3, v[11:12]
	v_add_co_u32 v6, vcc_lo, s48, v6
	s_wait_alu 0xfffd
	s_delay_alu instid0(VALU_DEP_2)
	v_add_co_ci_u32_e64 v7, null, s49, v7, vcc_lo
	global_load_b64 v[6:7], v[6:7], off
.LBB25_15:                              ;   in Loop: Header=BB25_13 Depth=2
	s_wait_alu 0xfffe
	s_or_b32 exec_lo, exec_lo, s9
	s_wait_loadcnt_dscnt 0x0
	v_xor_b32_e32 v9, 0x80000000, v3
	v_and_b32_e32 v22, v2, v20
	s_delay_alu instid0(VALU_DEP_2) | instskip(SKIP_1) | instid1(VALU_DEP_2)
	v_and_b32_e32 v23, v9, v21
	v_mov_b32_e32 v9, 0
	v_cmp_eq_u64_e32 vcc_lo, v[22:23], v[18:19]
	s_cmp_lg_u32 vcc_lo, 0
	s_cselect_b32 s9, -1, 0
	s_wait_alu 0xfffe
	s_and_b32 s9, s0, s9
	s_wait_alu 0xfffe
	s_and_saveexec_b32 s15, s9
	s_cbranch_execz .LBB25_19
; %bb.16:                               ;   in Loop: Header=BB25_13 Depth=2
	s_mov_b32 s18, exec_lo
	s_bcnt1_i32_b32 s16, vcc_lo
	s_wait_alu 0xfffe
	v_mbcnt_lo_u32_b32 v9, s18, 0
	s_mov_b32 s17, exec_lo
                                        ; implicit-def: $vgpr22
	s_delay_alu instid0(VALU_DEP_1)
	v_cmpx_eq_u32_e32 0, v9
; %bb.17:                               ;   in Loop: Header=BB25_13 Depth=2
	s_bcnt1_i32_b32 s9, s18
	s_wait_alu 0xfffe
	s_mul_i32 s9, s16, s9
	s_wait_alu 0xfffe
	v_mov_b32_e32 v22, s9
	ds_add_rtn_u32 v22, v12, v22 offset:4104
; %bb.18:                               ;   in Loop: Header=BB25_13 Depth=2
	s_or_b32 exec_lo, exec_lo, s17
	s_wait_dscnt 0x0
	v_readfirstlane_b32 s9, v22
	s_wait_alu 0xf1ff
	s_delay_alu instid0(VALU_DEP_1)
	v_mad_u32_u24 v9, s16, v9, s9
.LBB25_19:                              ;   in Loop: Header=BB25_13 Depth=2
	s_wait_alu 0xfffe
	s_or_b32 exec_lo, exec_lo, s15
	ds_bpermute_b32 v9, v12, v9
	s_and_saveexec_b32 s9, vcc_lo
	s_cbranch_execz .LBB25_12
; %bb.20:                               ;   in Loop: Header=BB25_13 Depth=2
	v_and_b32_e32 v22, vcc_lo, v31
	s_delay_alu instid0(VALU_DEP_1) | instskip(NEXT) | instid1(VALU_DEP_1)
	v_bcnt_u32_b32 v22, v22, 0
	v_lshlrev_b32_e32 v22, 3, v22
	s_wait_dscnt 0x0
	s_delay_alu instid0(VALU_DEP_1)
	v_lshl_add_u32 v9, v9, 3, v22
	ds_store_b64 v9, v[2:3]
	s_branch .LBB25_12
.LBB25_21:                              ;   in Loop: Header=BB25_7 Depth=1
	s_mov_b32 s10, -1
	s_mov_b32 s9, 0
.LBB25_22:                              ;   in Loop: Header=BB25_7 Depth=1
	s_wait_alu 0xfffe
	s_and_b32 vcc_lo, exec_lo, s10
	s_wait_alu 0xfffe
	s_cbranch_vccz .LBB25_33
.LBB25_23:                              ;   in Loop: Header=BB25_7 Depth=1
	v_mov_b32_e32 v2, 0
	v_mov_b32_e32 v3, 0
	s_and_saveexec_b32 s9, s3
	s_cbranch_execz .LBB25_25
; %bb.24:                               ;   in Loop: Header=BB25_7 Depth=1
	global_load_b64 v[2:3], v[13:14], off
.LBB25_25:                              ;   in Loop: Header=BB25_7 Depth=1
	s_wait_alu 0xfffe
	s_or_b32 exec_lo, exec_lo, s9
	s_and_saveexec_b32 s9, s4
	s_cbranch_execz .LBB25_30
; %bb.26:                               ;   in Loop: Header=BB25_7 Depth=1
	s_load_u16 s10, s[56:57], 0x0
	v_mov_b32_e32 v8, v28
	s_mov_b32 s13, 0
	s_wait_kmcnt 0x0
	v_dual_mov_b32 v9, v0 :: v_dual_add_nc_u32 v6, s10, v0
	s_lshl_b32 s11, s10, 3
	s_mul_i32 s12, s39, s10
	s_delay_alu instid0(VALU_DEP_1)
	v_mul_lo_u32 v11, s39, v6
	s_branch .LBB25_28
.LBB25_27:                              ;   in Loop: Header=BB25_28 Depth=2
	s_wait_alu 0xfffe
	s_or_b32 exec_lo, exec_lo, s14
	v_cmp_le_i32_e32 vcc_lo, s36, v9
	s_wait_loadcnt 0x0
	ds_store_b64 v8, v[2:3]
	v_dual_mov_b32 v2, v6 :: v_dual_add_nc_u32 v11, s12, v11
	v_dual_mov_b32 v3, v7 :: v_dual_add_nc_u32 v8, s11, v8
	s_or_b32 s13, vcc_lo, s13
	s_wait_alu 0xfffe
	s_and_not1_b32 exec_lo, exec_lo, s13
	s_cbranch_execz .LBB25_30
.LBB25_28:                              ;   Parent Loop BB25_7 Depth=1
                                        ; =>  This Inner Loop Header: Depth=2
	v_dual_mov_b32 v6, 0 :: v_dual_add_nc_u32 v9, s10, v9
	v_mov_b32_e32 v7, 0
	s_mov_b32 s14, exec_lo
	s_delay_alu instid0(VALU_DEP_2)
	v_cmpx_gt_u32_e64 s36, v9
	s_cbranch_execz .LBB25_27
; %bb.29:                               ;   in Loop: Header=BB25_28 Depth=2
	s_delay_alu instid0(VALU_DEP_4) | instskip(NEXT) | instid1(VALU_DEP_1)
	v_lshlrev_b64_e32 v[6:7], 3, v[11:12]
	v_add_co_u32 v6, vcc_lo, s48, v6
	s_wait_alu 0xfffd
	s_delay_alu instid0(VALU_DEP_2)
	v_add_co_ci_u32_e64 v7, null, s49, v7, vcc_lo
	global_load_b64 v[6:7], v[6:7], off
	s_branch .LBB25_27
.LBB25_30:                              ;   in Loop: Header=BB25_7 Depth=1
	s_wait_alu 0xfffe
	s_or_b32 exec_lo, exec_lo, s9
	s_wait_loadcnt_dscnt 0x0
	s_barrier_signal -1
	s_barrier_wait -1
	global_inv scope:SCOPE_SE
	s_and_saveexec_b32 s9, s2
; %bb.31:                               ;   in Loop: Header=BB25_7 Depth=1
	v_mov_b32_e32 v2, s36
	ds_store_b32 v12, v2 offset:4096
; %bb.32:                               ;   in Loop: Header=BB25_7 Depth=1
	s_wait_alu 0xfffe
	s_or_b32 exec_lo, exec_lo, s9
	s_mov_b32 s9, -1
	s_wait_loadcnt_dscnt 0x0
	s_barrier_signal -1
	s_barrier_wait -1
.LBB25_33:                              ;   in Loop: Header=BB25_7 Depth=1
	s_wait_alu 0xfffe
	s_and_b32 vcc_lo, exec_lo, s9
	s_wait_alu 0xfffe
	s_cbranch_vccz .LBB25_35
; %bb.34:                               ;   in Loop: Header=BB25_7 Depth=1
	s_wait_loadcnt 0x0
	global_inv scope:SCOPE_SE
	ds_load_b32 v2, v12 offset:4096
	s_wait_dscnt 0x0
	v_readfirstlane_b32 s50, v2
.LBB25_35:                              ;   in Loop: Header=BB25_7 Depth=1
	s_delay_alu instid0(VALU_DEP_1)
	s_cmp_lt_i32 s50, 1
	s_mov_b32 s9, -1
                                        ; implicit-def: $vgpr6
	s_cbranch_scc1 .LBB25_45
; %bb.36:                               ;   in Loop: Header=BB25_7 Depth=1
	s_wait_alu 0xfffe
	s_and_b32 vcc_lo, exec_lo, s9
	s_wait_alu 0xfffe
	s_cbranch_vccnz .LBB25_58
.LBB25_37:                              ;   in Loop: Header=BB25_7 Depth=1
	v_lshlrev_b32_e32 v2, 7, v39
	s_and_saveexec_b32 s9, s0
.LBB25_38:                              ;   in Loop: Header=BB25_7 Depth=1
	s_delay_alu instid0(VALU_DEP_1)
	v_lshl_add_u32 v3, v2, 2, v32
	ds_store_b128 v3, v[6:9]
.LBB25_39:                              ;   in Loop: Header=BB25_7 Depth=1
	s_wait_alu 0xfffe
	s_or_b32 exec_lo, exec_lo, s9
	s_wait_loadcnt_dscnt 0x0
	s_barrier_signal -1
	s_barrier_wait -1
	global_inv scope:SCOPE_SE
	s_and_saveexec_b32 s9, s66
	s_cbranch_execz .LBB25_74
; %bb.40:                               ;   in Loop: Header=BB25_7 Depth=1
	v_mov_b32_e32 v3, 0
	s_and_not1_b32 vcc_lo, exec_lo, s68
	s_wait_alu 0xfffe
	s_cbranch_vccnz .LBB25_73
; %bb.41:                               ;   in Loop: Header=BB25_7 Depth=1
	s_and_not1_b32 vcc_lo, exec_lo, s70
	s_wait_alu 0xfffe
	s_cbranch_vccnz .LBB25_70
; %bb.42:                               ;   in Loop: Header=BB25_7 Depth=1
	v_lshl_add_u32 v6, v39, 9, v38
	v_mov_b32_e32 v3, 0
	s_mov_b32 s10, 0
.LBB25_43:                              ;   Parent Loop BB25_7 Depth=1
                                        ; =>  This Inner Loop Header: Depth=2
	ds_load_2addr_b32 v[7:8], v6 offset1:4
	ds_load_2addr_b32 v[22:23], v6 offset0:8 offset1:12
	ds_load_2addr_b32 v[24:25], v6 offset0:16 offset1:20
	;; [unrolled: 1-line block ×3, first 2 shown]
	v_add_nc_u32_e32 v6, 0x80, v6
	s_wait_alu 0xfffe
	s_add_co_i32 s10, s10, 8
	s_wait_alu 0xfffe
	s_cmp_eq_u32 s71, s10
	s_wait_dscnt 0x3
	v_add3_u32 v3, v7, v3, v8
	s_wait_dscnt 0x2
	s_delay_alu instid0(VALU_DEP_1) | instskip(SKIP_1) | instid1(VALU_DEP_1)
	v_add3_u32 v3, v22, v3, v23
	s_wait_dscnt 0x1
	v_add3_u32 v3, v24, v3, v25
	s_wait_dscnt 0x0
	s_delay_alu instid0(VALU_DEP_1)
	v_add3_u32 v3, v41, v3, v42
	s_cbranch_scc0 .LBB25_43
; %bb.44:                               ;   in Loop: Header=BB25_7 Depth=1
	s_mov_b32 s10, s71
	s_and_not1_b32 vcc_lo, exec_lo, s72
	s_wait_alu 0xfffe
	s_cbranch_vccz .LBB25_71
	s_branch .LBB25_73
.LBB25_45:                              ;   in Loop: Header=BB25_7 Depth=1
	v_dual_mov_b32 v6, 0 :: v_dual_mov_b32 v7, 0
	v_dual_mov_b32 v8, 0 :: v_dual_mov_b32 v9, 0
	s_and_saveexec_b32 s85, s5
	s_cbranch_execz .LBB25_49
; %bb.46:                               ;   in Loop: Header=BB25_7 Depth=1
	v_mov_b32_e32 v2, v27
	s_mov_b32 s86, 0
	s_mov_b32 s87, 0
	;; [unrolled: 1-line block ×6, first 2 shown]
.LBB25_47:                              ;   Parent Loop BB25_7 Depth=1
                                        ; =>  This Inner Loop Header: Depth=2
	s_wait_alu 0xfffe
	v_add_nc_u32_e32 v6, s87, v35
	v_add_nc_u32_e32 v8, s87, v17
	v_add_nc_u32_e32 v22, s87, v33
	v_add_nc_u32_e32 v24, s87, v34
	v_add_nc_u32_e32 v2, s46, v2
	v_ashrrev_i32_e32 v7, 31, v6
	v_ashrrev_i32_e32 v9, 31, v8
	;; [unrolled: 1-line block ×4, first 2 shown]
	s_add_co_i32 s87, s87, s75
	v_lshlrev_b64_e32 v[6:7], 3, v[6:7]
	v_lshlrev_b64_e32 v[8:9], 3, v[8:9]
	;; [unrolled: 1-line block ×4, first 2 shown]
	s_delay_alu instid0(VALU_DEP_4)
	v_add_co_u32 v6, vcc_lo, s48, v6
	s_wait_alu 0xfffd
	v_add_co_ci_u32_e64 v7, null, s49, v7, vcc_lo
	v_add_co_u32 v8, vcc_lo, s48, v8
	s_wait_alu 0xfffd
	v_add_co_ci_u32_e64 v9, null, s49, v9, vcc_lo
	;; [unrolled: 3-line block ×4, first 2 shown]
	s_clause 0x3
	global_load_b64 v[6:7], v[6:7], off
	global_load_b64 v[8:9], v[8:9], off
	;; [unrolled: 1-line block ×4, first 2 shown]
	v_mov_b32_e32 v42, v12
	v_mov_b32_e32 v44, v12
	v_cmp_le_i32_e32 vcc_lo, s73, v2
	s_wait_loadcnt 0x3
	v_xor_b32_e32 v7, 0x80000000, v7
	s_wait_loadcnt 0x2
	v_xor_b32_e32 v9, 0x80000000, v9
	s_wait_loadcnt 0x1
	v_xor_b32_e32 v23, 0x80000000, v23
	v_and_b32_e32 v47, v6, v20
	s_wait_loadcnt 0x0
	v_xor_b32_e32 v25, 0x80000000, v25
	v_and_b32_e32 v48, v7, v21
	v_lshrrev_b64 v[6:7], s84, v[6:7]
	v_and_b32_e32 v49, v8, v20
	v_lshrrev_b64 v[7:8], s84, v[8:9]
	;; [unrolled: 2-line block ×3, first 2 shown]
	v_dual_mov_b32 v46, v12 :: v_dual_and_b32 v11, 3, v6
	v_and_b32_e32 v51, v22, v20
	v_and_b32_e32 v52, v23, v21
	v_lshrrev_b64 v[22:23], s84, v[24:25]
	v_and_b32_e32 v41, 3, v7
	v_and_b32_e32 v43, 3, v8
	v_cmp_eq_u64_e64 s9, v[47:48], v[18:19]
	v_cmp_eq_u64_e64 s13, 0, v[11:12]
	v_and_b32_e32 v53, v24, v20
	v_and_b32_e32 v54, v25, v21
	;; [unrolled: 1-line block ×3, first 2 shown]
	v_cmp_eq_u64_e64 s10, v[49:50], v[18:19]
	v_cmp_eq_u64_e64 s14, 0, v[41:42]
	v_cmp_eq_u64_e64 s11, v[51:52], v[18:19]
	v_cmp_eq_u64_e64 s15, 0, v[43:44]
	v_cmp_eq_u64_e64 s12, v[53:54], v[18:19]
	v_cmp_eq_u64_e64 s16, 0, v[45:46]
	s_and_b32 s13, s9, s13
	v_cmp_eq_u64_e64 s17, 1, v[11:12]
	s_wait_alu 0xfffe
	v_cndmask_b32_e64 v3, 0, 1, s13
	s_and_b32 s13, s10, s14
	v_cmp_eq_u64_e64 s18, 1, v[41:42]
	s_wait_alu 0xfffe
	v_cndmask_b32_e64 v6, 0, 1, s13
	;; [unrolled: 4-line block ×4, first 2 shown]
	s_and_b32 s13, s9, s17
	v_cmp_eq_u64_e64 s21, 2, v[11:12]
	v_cmp_eq_u64_e64 s25, 3, v[11:12]
	s_wait_alu 0xfffe
	v_cndmask_b32_e64 v9, 0, 1, s13
	s_and_b32 s13, s10, s18
	v_cmp_eq_u64_e64 s22, 2, v[41:42]
	v_cmp_eq_u64_e64 s26, 3, v[41:42]
	s_wait_alu 0xfffe
	v_cndmask_b32_e64 v11, 0, 1, s13
	;; [unrolled: 5-line block ×4, first 2 shown]
	s_and_b32 s13, s9, s21
	s_and_b32 s9, s9, s25
	s_wait_alu 0xfffe
	v_cndmask_b32_e64 v24, 0, 1, s13
	s_and_b32 s13, s10, s22
	v_cndmask_b32_e64 v43, 0, 1, s9
	s_and_b32 s9, s10, s26
	s_wait_alu 0xfffe
	v_cndmask_b32_e64 v25, 0, 1, s13
	s_and_b32 s13, s11, s23
	v_cndmask_b32_e64 v44, 0, 1, s9
	;; [unrolled: 5-line block ×3, first 2 shown]
	s_and_b32 s9, s12, s28
	s_wait_alu 0xfffe
	v_cndmask_b32_e64 v42, 0, 1, s13
	v_cndmask_b32_e64 v46, 0, 1, s9
	v_cmp_ne_u32_e64 s9, 0, v3
	v_cmp_ne_u32_e64 s13, 0, v9
	;; [unrolled: 1-line block ×12, first 2 shown]
	s_bcnt1_i32_b32 s9, s9
	s_bcnt1_i32_b32 s13, s13
	;; [unrolled: 1-line block ×4, first 2 shown]
	v_cmp_ne_u32_e64 s12, 0, v8
	v_cmp_ne_u32_e64 s16, 0, v23
	;; [unrolled: 1-line block ×4, first 2 shown]
	s_bcnt1_i32_b32 s10, s10
	s_bcnt1_i32_b32 s14, s14
	s_bcnt1_i32_b32 s18, s18
	s_bcnt1_i32_b32 s22, s22
	s_wait_alu 0xfffe
	s_add_co_i32 s9, s9, s91
	s_add_co_i32 s13, s13, s90
	s_add_co_i32 s17, s17, s89
	s_add_co_i32 s21, s21, s88
	s_bcnt1_i32_b32 s11, s11
	s_bcnt1_i32_b32 s15, s15
	s_bcnt1_i32_b32 s19, s19
	s_bcnt1_i32_b32 s23, s23
	s_wait_alu 0xfffe
	s_add_co_i32 s9, s9, s10
	s_add_co_i32 s10, s13, s14
	s_add_co_i32 s13, s17, s18
	s_add_co_i32 s14, s21, s22
	;; [unrolled: 9-line block ×3, first 2 shown]
	s_wait_alu 0xfffe
	s_add_co_i32 s91, s9, s12
	s_add_co_i32 s90, s10, s16
	;; [unrolled: 1-line block ×4, first 2 shown]
	s_wait_alu 0xfffe
	v_dual_mov_b32 v6, s91 :: v_dual_mov_b32 v7, s90
	v_dual_mov_b32 v8, s89 :: v_dual_mov_b32 v9, s88
	s_or_b32 s86, vcc_lo, s86
	s_wait_alu 0xfffe
	s_and_not1_b32 exec_lo, exec_lo, s86
	s_cbranch_execnz .LBB25_47
; %bb.48:                               ;   in Loop: Header=BB25_7 Depth=1
	s_or_b32 exec_lo, exec_lo, s86
.LBB25_49:                              ;   in Loop: Header=BB25_7 Depth=1
	s_wait_alu 0xfffe
	s_or_b32 exec_lo, exec_lo, s85
	v_mov_b32_e32 v22, 0
	v_mov_b32_e32 v23, 0
	s_and_saveexec_b32 s9, s6
	s_cbranch_execz .LBB25_51
; %bb.50:                               ;   in Loop: Header=BB25_7 Depth=1
	global_load_b64 v[22:23], v[15:16], off
.LBB25_51:                              ;   in Loop: Header=BB25_7 Depth=1
	s_wait_alu 0xfffe
	s_or_b32 exec_lo, exec_lo, s9
	s_and_saveexec_b32 s13, s7
	s_cbranch_execz .LBB25_57
; %bb.52:                               ;   in Loop: Header=BB25_7 Depth=1
	v_dual_mov_b32 v2, v36 :: v_dual_mov_b32 v41, v30
	s_mov_b32 s14, 0
	s_branch .LBB25_54
.LBB25_53:                              ;   in Loop: Header=BB25_54 Depth=2
	s_wait_alu 0xfffe
	s_or_b32 exec_lo, exec_lo, s9
	s_wait_loadcnt 0x0
	v_xor_b32_e32 v23, 0x80000000, v23
	v_add_nc_u32_e32 v2, s65, v2
	s_delay_alu instid0(VALU_DEP_2) | instskip(SKIP_2) | instid1(VALU_DEP_3)
	v_lshrrev_b64 v[42:43], s84, v[22:23]
	v_and_b32_e32 v22, v22, v20
	v_and_b32_e32 v23, v23, v21
	;; [unrolled: 1-line block ×3, first 2 shown]
	s_delay_alu instid0(VALU_DEP_2) | instskip(NEXT) | instid1(VALU_DEP_2)
	v_cmp_eq_u64_e32 vcc_lo, v[22:23], v[18:19]
	v_cmp_eq_u64_e64 s9, 0, v[11:12]
	v_cmp_eq_u64_e64 s10, 1, v[11:12]
	;; [unrolled: 1-line block ×4, first 2 shown]
	s_and_b32 s9, vcc_lo, s9
	s_wait_alu 0xfffe
	v_cndmask_b32_e64 v3, 0, 1, s9
	s_and_b32 s9, vcc_lo, s10
	s_wait_alu 0xfffe
	v_cndmask_b32_e64 v11, 0, 1, s9
	;; [unrolled: 3-line block ×3, first 2 shown]
	s_and_b32 s9, vcc_lo, s12
	v_cmp_ne_u32_e32 vcc_lo, 0, v3
	s_wait_alu 0xfffe
	v_cndmask_b32_e64 v23, 0, 1, s9
	v_cmp_ne_u32_e64 s9, 0, v11
	v_cmp_ne_u32_e64 s10, 0, v22
	v_cmp_le_i32_e64 s12, s36, v41
	s_bcnt1_i32_b32 s15, vcc_lo
	v_cmp_ne_u32_e64 s11, 0, v23
	s_bcnt1_i32_b32 s9, s9
	s_bcnt1_i32_b32 s10, s10
	v_mov_b32_e32 v22, v24
	s_wait_alu 0xfffe
	v_add_nc_u32_e32 v6, s15, v6
	s_bcnt1_i32_b32 s11, s11
	v_add_nc_u32_e32 v7, s9, v7
	v_add_nc_u32_e32 v8, s10, v8
	s_wait_alu 0xfffe
	v_add_nc_u32_e32 v9, s11, v9
	v_mov_b32_e32 v23, v25
	s_or_b32 s14, s12, s14
	s_wait_alu 0xfffe
	s_and_not1_b32 exec_lo, exec_lo, s14
	s_cbranch_execz .LBB25_56
.LBB25_54:                              ;   Parent Loop BB25_7 Depth=1
                                        ; =>  This Inner Loop Header: Depth=2
	s_delay_alu instid0(VALU_DEP_1) | instskip(SKIP_2) | instid1(VALU_DEP_2)
	v_dual_mov_b32 v24, 0 :: v_dual_add_nc_u32 v41, s41, v41
	v_mov_b32_e32 v25, 0
	s_mov_b32 s9, exec_lo
	v_cmpx_gt_u32_e64 s36, v41
	s_cbranch_execz .LBB25_53
; %bb.55:                               ;   in Loop: Header=BB25_54 Depth=2
	v_ashrrev_i32_e32 v3, 31, v2
	s_delay_alu instid0(VALU_DEP_1) | instskip(NEXT) | instid1(VALU_DEP_1)
	v_lshlrev_b64_e32 v[24:25], 3, v[2:3]
	v_add_co_u32 v24, vcc_lo, s48, v24
	s_wait_alu 0xfffd
	s_delay_alu instid0(VALU_DEP_2)
	v_add_co_ci_u32_e64 v25, null, s49, v25, vcc_lo
	global_load_b64 v[24:25], v[24:25], off
	s_branch .LBB25_53
.LBB25_56:                              ;   in Loop: Header=BB25_7 Depth=1
	s_or_b32 exec_lo, exec_lo, s14
.LBB25_57:                              ;   in Loop: Header=BB25_7 Depth=1
	s_wait_alu 0xfffe
	s_or_b32 exec_lo, exec_lo, s13
	s_branch .LBB25_37
.LBB25_58:                              ;   in Loop: Header=BB25_7 Depth=1
	s_mul_u64 s[10:11], s[50:51], s[52:53]
	v_dual_mov_b32 v6, 0 :: v_dual_mov_b32 v7, 0
	s_wait_alu 0xfffe
	s_mul_i32 s9, s11, s46
	v_dual_mov_b32 v8, 0 :: v_dual_mov_b32 v9, 0
	s_wait_alu 0xfffe
	s_sub_co_i32 s9, s50, s9
	s_mov_b32 s86, exec_lo
	s_wait_alu 0xfffe
	s_sub_co_i32 s10, s9, s46
	s_cmp_ge_u32 s9, s46
	s_wait_alu 0xfffe
	s_cselect_b32 s9, s10, s9
	s_wait_alu 0xfffe
	s_sub_co_i32 s10, s9, s46
	s_cmp_ge_u32 s9, s46
	s_wait_alu 0xfffe
	s_cselect_b32 s9, s10, s9
	s_wait_alu 0xfffe
	s_sub_co_i32 s85, s50, s9
	s_wait_alu 0xfffe
	v_cmpx_gt_u32_e64 s85, v27
	s_cbranch_execz .LBB25_62
; %bb.59:                               ;   in Loop: Header=BB25_7 Depth=1
	v_dual_mov_b32 v2, v37 :: v_dual_mov_b32 v3, v27
	s_mov_b32 s87, 0
	s_mov_b32 s88, 0
	;; [unrolled: 1-line block ×5, first 2 shown]
.LBB25_60:                              ;   Parent Loop BB25_7 Depth=1
                                        ; =>  This Inner Loop Header: Depth=2
	ds_load_b128 v[6:9], v2
	s_wait_loadcnt 0x0
	ds_load_b128 v[22:25], v2 offset:16
	v_mov_b32_e32 v44, v12
	v_dual_mov_b32 v46, v12 :: v_dual_add_nc_u32 v3, s46, v3
	v_mov_b32_e32 v42, v12
	s_delay_alu instid0(VALU_DEP_2)
	v_cmp_le_i32_e32 vcc_lo, s85, v3
	s_wait_dscnt 0x1
	v_xor_b32_e32 v7, 0x80000000, v7
	v_xor_b32_e32 v9, 0x80000000, v9
	s_wait_dscnt 0x0
	v_xor_b32_e32 v23, 0x80000000, v23
	v_and_b32_e32 v47, v6, v20
	v_xor_b32_e32 v25, 0x80000000, v25
	v_and_b32_e32 v48, v7, v21
	v_lshrrev_b64 v[6:7], s84, v[6:7]
	v_and_b32_e32 v49, v8, v20
	v_lshrrev_b64 v[7:8], s84, v[8:9]
	;; [unrolled: 2-line block ×3, first 2 shown]
	v_and_b32_e32 v51, v22, v20
	v_and_b32_e32 v52, v23, v21
	v_lshrrev_b64 v[22:23], s84, v[24:25]
	v_and_b32_e32 v11, 3, v6
	v_and_b32_e32 v41, 3, v7
	;; [unrolled: 1-line block ×3, first 2 shown]
	v_cmp_eq_u64_e64 s9, v[47:48], v[18:19]
	v_and_b32_e32 v53, v24, v20
	v_cmp_eq_u64_e64 s13, 0, v[11:12]
	v_and_b32_e32 v54, v25, v21
	v_and_b32_e32 v45, 3, v22
	v_cmp_eq_u64_e64 s10, v[49:50], v[18:19]
	v_cmp_eq_u64_e64 s14, 0, v[41:42]
	;; [unrolled: 1-line block ×6, first 2 shown]
	s_and_b32 s13, s9, s13
	v_cmp_eq_u64_e64 s17, 1, v[11:12]
	s_wait_alu 0xfffe
	v_cndmask_b32_e64 v6, 0, 1, s13
	s_and_b32 s13, s10, s14
	v_cmp_eq_u64_e64 s18, 1, v[41:42]
	s_wait_alu 0xfffe
	v_cndmask_b32_e64 v7, 0, 1, s13
	;; [unrolled: 4-line block ×4, first 2 shown]
	s_and_b32 s13, s9, s17
	v_cmp_eq_u64_e64 s21, 2, v[11:12]
	v_cmp_eq_u64_e64 s25, 3, v[11:12]
	s_wait_alu 0xfffe
	v_cndmask_b32_e64 v11, 0, 1, s13
	s_and_b32 s13, s10, s18
	v_cmp_eq_u64_e64 s22, 2, v[41:42]
	v_cmp_eq_u64_e64 s26, 3, v[41:42]
	s_wait_alu 0xfffe
	v_cndmask_b32_e64 v22, 0, 1, s13
	;; [unrolled: 5-line block ×4, first 2 shown]
	s_and_b32 s13, s9, s21
	s_and_b32 s9, s9, s25
	s_wait_alu 0xfffe
	v_cndmask_b32_e64 v25, 0, 1, s13
	s_and_b32 s13, s10, s22
	v_cndmask_b32_e64 v44, 0, 1, s9
	s_and_b32 s9, s10, s26
	s_wait_alu 0xfffe
	v_cndmask_b32_e64 v41, 0, 1, s13
	s_and_b32 s13, s11, s23
	v_cndmask_b32_e64 v45, 0, 1, s9
	;; [unrolled: 5-line block ×3, first 2 shown]
	s_and_b32 s9, s12, s28
	s_wait_alu 0xfffe
	v_cndmask_b32_e64 v43, 0, 1, s13
	v_cndmask_b32_e64 v47, 0, 1, s9
	v_cmp_ne_u32_e64 s9, 0, v6
	v_cmp_ne_u32_e64 s13, 0, v11
	;; [unrolled: 1-line block ×12, first 2 shown]
	s_bcnt1_i32_b32 s9, s9
	s_bcnt1_i32_b32 s13, s13
	;; [unrolled: 1-line block ×4, first 2 shown]
	v_cmp_ne_u32_e64 s12, 0, v9
	v_cmp_ne_u32_e64 s16, 0, v24
	;; [unrolled: 1-line block ×4, first 2 shown]
	s_bcnt1_i32_b32 s10, s10
	s_bcnt1_i32_b32 s14, s14
	s_bcnt1_i32_b32 s18, s18
	s_bcnt1_i32_b32 s22, s22
	s_wait_alu 0xfffe
	s_add_co_i32 s9, s9, s91
	s_add_co_i32 s13, s13, s90
	s_add_co_i32 s17, s17, s89
	s_add_co_i32 s21, s21, s88
	s_bcnt1_i32_b32 s11, s11
	s_bcnt1_i32_b32 s15, s15
	s_bcnt1_i32_b32 s19, s19
	s_bcnt1_i32_b32 s23, s23
	s_wait_alu 0xfffe
	s_add_co_i32 s9, s9, s10
	s_add_co_i32 s10, s13, s14
	s_add_co_i32 s13, s17, s18
	s_add_co_i32 s14, s21, s22
	s_bcnt1_i32_b32 s12, s12
	s_bcnt1_i32_b32 s16, s16
	s_bcnt1_i32_b32 s20, s20
	s_bcnt1_i32_b32 s24, s24
	s_wait_alu 0xfffe
	s_add_co_i32 s9, s9, s11
	s_add_co_i32 s10, s10, s15
	s_add_co_i32 s11, s13, s19
	s_add_co_i32 s13, s14, s23
	s_wait_alu 0xfffe
	s_add_co_i32 s91, s9, s12
	s_add_co_i32 s90, s10, s16
	s_add_co_i32 s89, s11, s20
	s_add_co_i32 s88, s13, s24
	s_wait_alu 0xfffe
	v_dual_mov_b32 v7, s90 :: v_dual_add_nc_u32 v2, s76, v2
	v_mov_b32_e32 v6, s91
	v_dual_mov_b32 v8, s89 :: v_dual_mov_b32 v9, s88
	s_or_b32 s87, vcc_lo, s87
	s_wait_alu 0xfffe
	s_and_not1_b32 exec_lo, exec_lo, s87
	s_cbranch_execnz .LBB25_60
; %bb.61:                               ;   in Loop: Header=BB25_7 Depth=1
	s_or_b32 exec_lo, exec_lo, s87
.LBB25_62:                              ;   in Loop: Header=BB25_7 Depth=1
	s_delay_alu instid0(SALU_CYCLE_1) | instskip(SKIP_2) | instid1(VALU_DEP_1)
	s_or_b32 exec_lo, exec_lo, s86
	v_add_nc_u32_e32 v2, s85, v0
	s_mov_b32 s14, exec_lo
	v_cmpx_gt_i32_e64 s50, v2
	s_cbranch_execz .LBB25_66
; %bb.63:                               ;   in Loop: Header=BB25_7 Depth=1
	v_lshlrev_b32_e32 v3, 3, v2
	s_mov_b32 s15, 0
.LBB25_64:                              ;   Parent Loop BB25_7 Depth=1
                                        ; =>  This Inner Loop Header: Depth=2
	s_wait_loadcnt 0x0
	ds_load_b64 v[22:23], v3
	v_add_nc_u32_e32 v2, s41, v2
	v_add_nc_u32_e32 v3, s77, v3
	s_delay_alu instid0(VALU_DEP_2) | instskip(SKIP_3) | instid1(VALU_DEP_2)
	v_cmp_le_i32_e32 vcc_lo, s50, v2
	s_wait_dscnt 0x0
	v_xor_b32_e32 v23, 0x80000000, v23
	v_and_b32_e32 v24, v22, v20
	v_and_b32_e32 v25, v23, v21
	v_lshrrev_b64 v[22:23], s84, v[22:23]
	s_delay_alu instid0(VALU_DEP_2) | instskip(NEXT) | instid1(VALU_DEP_2)
	v_cmp_eq_u64_e64 s9, v[24:25], v[18:19]
	v_and_b32_e32 v11, 3, v22
	s_delay_alu instid0(VALU_DEP_1)
	v_cmp_eq_u64_e64 s10, 0, v[11:12]
	v_cmp_eq_u64_e64 s11, 1, v[11:12]
	v_cmp_eq_u64_e64 s12, 2, v[11:12]
	v_cmp_eq_u64_e64 s13, 3, v[11:12]
	s_and_b32 s10, s9, s10
	s_wait_alu 0xfffe
	v_cndmask_b32_e64 v11, 0, 1, s10
	s_and_b32 s10, s9, s11
	s_wait_alu 0xfffe
	v_cndmask_b32_e64 v22, 0, 1, s10
	s_and_b32 s10, s9, s12
	s_and_b32 s9, s9, s13
	s_wait_alu 0xfffe
	v_cndmask_b32_e64 v23, 0, 1, s10
	v_cndmask_b32_e64 v24, 0, 1, s9
	v_cmp_ne_u32_e64 s9, 0, v11
	v_cmp_ne_u32_e64 s10, 0, v22
	s_delay_alu instid0(VALU_DEP_4) | instskip(NEXT) | instid1(VALU_DEP_4)
	v_cmp_ne_u32_e64 s11, 0, v23
	v_cmp_ne_u32_e64 s12, 0, v24
	s_bcnt1_i32_b32 s9, s9
	s_bcnt1_i32_b32 s10, s10
	s_wait_alu 0xfffe
	v_add_nc_u32_e32 v6, s9, v6
	s_bcnt1_i32_b32 s11, s11
	s_bcnt1_i32_b32 s12, s12
	v_add_nc_u32_e32 v7, s10, v7
	s_wait_alu 0xfffe
	v_add_nc_u32_e32 v8, s11, v8
	v_add_nc_u32_e32 v9, s12, v9
	s_or_b32 s15, vcc_lo, s15
	s_wait_alu 0xfffe
	s_and_not1_b32 exec_lo, exec_lo, s15
	s_cbranch_execnz .LBB25_64
; %bb.65:                               ;   in Loop: Header=BB25_7 Depth=1
	s_or_b32 exec_lo, exec_lo, s15
.LBB25_66:                              ;   in Loop: Header=BB25_7 Depth=1
	s_wait_alu 0xfffe
	s_or_b32 exec_lo, exec_lo, s14
	v_lshlrev_b32_e32 v2, 7, v39
	s_and_saveexec_b32 s9, s0
	s_cbranch_execnz .LBB25_38
	s_branch .LBB25_39
.LBB25_67:                              ;   in Loop: Header=BB25_7 Depth=1
	s_wait_alu 0xfffe
	s_or_b32 exec_lo, exec_lo, s11
	s_wait_loadcnt_dscnt 0x0
	s_barrier_signal -1
	s_barrier_wait -1
	global_inv scope:SCOPE_SE
	s_and_saveexec_b32 s9, s2
	s_cbranch_execz .LBB25_69
; %bb.68:                               ;   in Loop: Header=BB25_7 Depth=1
	ds_load_b32 v2, v12 offset:4104
	s_wait_dscnt 0x0
	ds_store_b32 v12, v2 offset:4096
.LBB25_69:                              ;   in Loop: Header=BB25_7 Depth=1
	s_wait_alu 0xfffe
	s_or_b32 exec_lo, exec_lo, s9
	s_wait_loadcnt_dscnt 0x0
	s_barrier_signal -1
	s_mov_b32 s9, -1
	s_barrier_wait -1
	s_and_b32 vcc_lo, exec_lo, s10
	s_wait_alu 0xfffe
	s_cbranch_vccnz .LBB25_23
	s_branch .LBB25_33
.LBB25_70:                              ;   in Loop: Header=BB25_7 Depth=1
	v_mov_b32_e32 v3, 0
	s_mov_b32 s10, 0
	s_and_not1_b32 vcc_lo, exec_lo, s72
	s_wait_alu 0xfffe
	s_cbranch_vccnz .LBB25_73
.LBB25_71:                              ;   in Loop: Header=BB25_7 Depth=1
	v_lshlrev_b32_e32 v6, 9, v39
	s_lshl_b32 s10, s10, 4
	s_wait_alu 0xfffe
	s_delay_alu instid0(VALU_DEP_1)
	v_add3_u32 v6, v6, s10, v38
	s_mov_b32 s10, s69
.LBB25_72:                              ;   Parent Loop BB25_7 Depth=1
                                        ; =>  This Inner Loop Header: Depth=2
	ds_load_b32 v7, v6
	v_add_nc_u32_e32 v6, 16, v6
	s_wait_alu 0xfffe
	s_add_co_i32 s10, s10, -1
	s_wait_alu 0xfffe
	s_cmp_lg_u32 s10, 0
	s_wait_dscnt 0x0
	v_add_nc_u32_e32 v3, v7, v3
	s_cbranch_scc1 .LBB25_72
.LBB25_73:                              ;   in Loop: Header=BB25_7 Depth=1
	v_add_lshl_u32 v6, v2, v26, 2
	ds_store_b32 v6, v3 offset:3072
.LBB25_74:                              ;   in Loop: Header=BB25_7 Depth=1
	s_wait_alu 0xfffe
	s_or_b32 exec_lo, exec_lo, s9
	v_lshlrev_b32_e32 v2, 2, v2
	s_wait_loadcnt_dscnt 0x0
	s_barrier_signal -1
	s_barrier_wait -1
	global_inv scope:SCOPE_SE
	ds_load_b128 v[6:9], v2 offset:3072
	s_lshl_b64 s[10:11], 3, s84
	v_cmp_eq_u32_e32 vcc_lo, 1, v40
	s_wait_alu 0xfffe
	s_not_b64 s[12:13], s[10:11]
	s_mov_b32 s16, -1
	s_mov_b32 s18, -1
                                        ; implicit-def: $sgpr22
                                        ; implicit-def: $sgpr20
	s_wait_dscnt 0x0
	v_readfirstlane_b32 s15, v6
	v_readfirstlane_b32 s21, v7
	;; [unrolled: 1-line block ×4, first 2 shown]
	s_cmp_eq_u32 s15, 1
	s_cselect_b32 s14, -1, 0
	s_wait_alu 0xfffe
	s_and_b32 s17, s14, vcc_lo
	s_wait_alu 0xfffe
	s_and_saveexec_b32 s14, s17
	s_cbranch_execz .LBB25_100
; %bb.75:                               ;   in Loop: Header=BB25_7 Depth=1
	ds_load_b32 v2, v12 offset:4096
	s_wait_loadcnt_dscnt 0x0
	s_barrier_signal -1
	s_barrier_wait -1
	global_inv scope:SCOPE_SE
	v_readfirstlane_b32 s18, v2
	s_and_saveexec_b32 s20, s1
; %bb.76:                               ;   in Loop: Header=BB25_7 Depth=1
	v_mov_b32_e32 v11, v12
	ds_store_b64 v29, v[11:12]
; %bb.77:                               ;   in Loop: Header=BB25_7 Depth=1
	s_wait_alu 0xfffe
	s_or_b32 exec_lo, exec_lo, s20
	v_and_b32_e32 v19, s13, v19
	v_and_b32_e32 v18, s12, v18
	v_or_b32_e32 v21, s11, v21
	v_or_b32_e32 v20, s10, v20
	s_mov_b32 s20, -1
	s_mov_b32 s22, 0
	s_cmp_lt_i32 s18, 1
	s_mov_b32 s23, 0
	s_mov_b32 s24, -1
	s_wait_loadcnt_dscnt 0x0
	s_barrier_signal -1
	s_barrier_wait -1
	global_inv scope:SCOPE_SE
                                        ; implicit-def: $vgpr4_vgpr5
	s_cbranch_scc0 .LBB25_88
; %bb.78:                               ;   in Loop: Header=BB25_7 Depth=1
	s_mov_b32 s24, 0
                                        ; implicit-def: $vgpr4_vgpr5
	s_and_saveexec_b32 s25, s8
	s_cbranch_execz .LBB25_87
; %bb.79:                               ;   in Loop: Header=BB25_7 Depth=1
	v_mov_b32_e32 v6, v10
	v_mov_b32_e32 v8, v0
                                        ; implicit-def: $sgpr26
	s_branch .LBB25_82
.LBB25_80:                              ;   in Loop: Header=BB25_82 Depth=2
	s_wait_alu 0xfffe
	s_or_b32 exec_lo, exec_lo, s27
	s_wait_loadcnt_dscnt 0x0
	s_barrier_signal -1
	s_barrier_wait -1
	global_inv scope:SCOPE_SE
	ds_load_b128 v[2:5], v12 offset:3072
	s_mov_b32 s27, -1
	s_mov_b32 s28, -1
	s_wait_loadcnt_dscnt 0x0
	s_barrier_signal -1
	s_barrier_wait -1
	global_inv scope:SCOPE_SE
	v_cmp_ne_u64_e32 vcc_lo, 0, v[2:3]
	s_cbranch_vccz .LBB25_85
.LBB25_81:                              ;   in Loop: Header=BB25_82 Depth=2
	s_wait_alu 0xfffe
	s_and_b32 s27, exec_lo, s27
	s_wait_alu 0xfffe
	s_or_b32 s23, s27, s23
	s_and_not1_b32 s26, s26, exec_lo
	s_and_b32 s27, s28, exec_lo
	s_wait_alu 0xfffe
	s_or_b32 s26, s26, s27
	s_and_not1_b32 exec_lo, exec_lo, s23
	s_cbranch_execz .LBB25_86
.LBB25_82:                              ;   Parent Loop BB25_7 Depth=1
                                        ; =>  This Inner Loop Header: Depth=2
	s_mov_b32 s27, exec_lo
	s_delay_alu instid0(VALU_DEP_1)
	v_cmpx_gt_i32_e64 s36, v8
	s_cbranch_execz .LBB25_80
; %bb.83:                               ;   in Loop: Header=BB25_82 Depth=2
	v_ashrrev_i32_e32 v7, 31, v6
	s_delay_alu instid0(VALU_DEP_1) | instskip(NEXT) | instid1(VALU_DEP_1)
	v_lshlrev_b64_e32 v[2:3], 3, v[6:7]
	v_add_co_u32 v2, vcc_lo, s48, v2
	s_wait_alu 0xfffd
	s_delay_alu instid0(VALU_DEP_2) | instskip(SKIP_4) | instid1(VALU_DEP_2)
	v_add_co_ci_u32_e64 v3, null, s49, v3, vcc_lo
	global_load_b64 v[3:4], v[2:3], off
	s_wait_loadcnt 0x0
	v_xor_b32_e32 v2, 0x80000000, v4
	v_and_b32_e32 v22, v3, v20
	v_and_b32_e32 v23, v2, v21
	s_delay_alu instid0(VALU_DEP_1)
	v_cmp_eq_u64_e32 vcc_lo, v[22:23], v[18:19]
	s_and_b32 exec_lo, exec_lo, vcc_lo
	s_cbranch_execz .LBB25_80
; %bb.84:                               ;   in Loop: Header=BB25_82 Depth=2
	v_mov_b32_e32 v2, v12
	ds_store_b128 v12, v[1:4] offset:3072
	s_branch .LBB25_80
.LBB25_85:                              ;   in Loop: Header=BB25_82 Depth=2
	v_add_nc_u32_e32 v8, s41, v8
	v_add_nc_u32_e32 v6, s65, v6
	s_mov_b32 s28, 0
	s_delay_alu instid0(VALU_DEP_2)
	v_cmp_le_i32_e32 vcc_lo, s74, v8
	s_or_not1_b32 s27, vcc_lo, exec_lo
	s_branch .LBB25_81
.LBB25_86:                              ;   in Loop: Header=BB25_7 Depth=1
	s_or_b32 exec_lo, exec_lo, s23
	s_wait_alu 0xfffe
	s_and_b32 s23, s26, exec_lo
.LBB25_87:                              ;   in Loop: Header=BB25_7 Depth=1
	s_wait_alu 0xfffe
	s_or_b32 exec_lo, exec_lo, s25
.LBB25_88:                              ;   in Loop: Header=BB25_7 Depth=1
	s_wait_alu 0xfffe
	s_and_b32 vcc_lo, exec_lo, s24
	s_wait_alu 0xfffe
	s_cbranch_vccz .LBB25_99
; %bb.89:                               ;   in Loop: Header=BB25_7 Depth=1
	s_add_co_i32 s22, s18, s64
                                        ; implicit-def: $vgpr4_vgpr5
	s_wait_alu 0xfffe
	s_abs_i32 s50, s22
	s_wait_alu 0xfffe
	s_mul_u64 s[24:25], s[50:51], s[54:55]
	s_ashr_i32 s24, s22, 31
	s_wait_alu 0xfffe
	s_mul_i32 s20, s25, s41
	s_wait_alu 0xfffe
	s_sub_co_i32 s20, s50, s20
	s_wait_alu 0xfffe
	s_sub_co_i32 s25, s20, s41
	s_cmp_ge_u32 s20, s41
	s_wait_alu 0xfffe
	s_cselect_b32 s20, s25, s20
	s_wait_alu 0xfffe
	s_sub_co_i32 s25, s20, s41
	s_cmp_ge_u32 s20, s41
	s_wait_alu 0xfffe
	s_cselect_b32 s20, s25, s20
	s_wait_alu 0xfffe
	s_xor_b32 s20, s20, s24
	s_wait_alu 0xfffe
	s_sub_co_i32 s20, s24, s20
	s_wait_alu 0xfffe
	s_add_co_i32 s22, s22, s20
	s_mov_b32 s20, exec_lo
	s_wait_alu 0xfffe
	v_cmpx_gt_i32_e64 s22, v0
	s_cbranch_execz .LBB25_98
; %bb.90:                               ;   in Loop: Header=BB25_7 Depth=1
	v_dual_mov_b32 v6, v28 :: v_dual_mov_b32 v7, v0
	s_mov_b32 s25, 0
                                        ; implicit-def: $sgpr24
	s_branch .LBB25_93
.LBB25_91:                              ;   in Loop: Header=BB25_93 Depth=2
	s_wait_alu 0xfffe
	s_or_b32 exec_lo, exec_lo, s26
	s_wait_loadcnt_dscnt 0x0
	s_barrier_signal -1
	s_barrier_wait -1
	global_inv scope:SCOPE_SE
	ds_load_b128 v[2:5], v12 offset:3072
	s_mov_b32 s26, -1
	s_mov_b32 s27, -1
	s_wait_loadcnt_dscnt 0x0
	s_barrier_signal -1
	s_barrier_wait -1
	global_inv scope:SCOPE_SE
	v_cmp_ne_u64_e32 vcc_lo, 0, v[2:3]
	s_cbranch_vccz .LBB25_96
.LBB25_92:                              ;   in Loop: Header=BB25_93 Depth=2
	s_wait_alu 0xfffe
	s_and_b32 s26, exec_lo, s26
	s_wait_alu 0xfffe
	s_or_b32 s25, s26, s25
	s_and_not1_b32 s24, s24, exec_lo
	s_and_b32 s26, s27, exec_lo
	s_wait_alu 0xfffe
	s_or_b32 s24, s24, s26
	s_and_not1_b32 exec_lo, exec_lo, s25
	s_cbranch_execz .LBB25_97
.LBB25_93:                              ;   Parent Loop BB25_7 Depth=1
                                        ; =>  This Inner Loop Header: Depth=2
	s_mov_b32 s26, exec_lo
	s_delay_alu instid0(VALU_DEP_1)
	v_cmpx_gt_i32_e64 s18, v7
	s_cbranch_execz .LBB25_91
; %bb.94:                               ;   in Loop: Header=BB25_93 Depth=2
	ds_load_b64 v[3:4], v6
	s_wait_dscnt 0x0
	v_xor_b32_e32 v2, 0x80000000, v4
	v_and_b32_e32 v8, v3, v20
	s_delay_alu instid0(VALU_DEP_2) | instskip(NEXT) | instid1(VALU_DEP_1)
	v_and_b32_e32 v9, v2, v21
	v_cmp_eq_u64_e32 vcc_lo, v[8:9], v[18:19]
	s_and_b32 exec_lo, exec_lo, vcc_lo
	s_cbranch_execz .LBB25_91
; %bb.95:                               ;   in Loop: Header=BB25_93 Depth=2
	v_mov_b32_e32 v2, v12
	ds_store_b128 v12, v[1:4] offset:3072
	s_branch .LBB25_91
.LBB25_96:                              ;   in Loop: Header=BB25_93 Depth=2
	v_add_nc_u32_e32 v7, s41, v7
	v_add_nc_u32_e32 v6, s77, v6
	s_mov_b32 s27, 0
	s_delay_alu instid0(VALU_DEP_2)
	v_cmp_le_i32_e32 vcc_lo, s22, v7
	s_or_not1_b32 s26, vcc_lo, exec_lo
	s_branch .LBB25_92
.LBB25_97:                              ;   in Loop: Header=BB25_7 Depth=1
	s_or_b32 exec_lo, exec_lo, s25
	s_delay_alu instid0(SALU_CYCLE_1)
	s_and_not1_b32 s18, s23, exec_lo
	s_wait_alu 0xfffe
	s_and_b32 s22, s24, exec_lo
	s_wait_alu 0xfffe
	s_or_b32 s23, s18, s22
.LBB25_98:                              ;   in Loop: Header=BB25_7 Depth=1
	s_or_b32 exec_lo, exec_lo, s20
	s_mov_b32 s20, 0
	s_mov_b32 s22, -1
.LBB25_99:                              ;   in Loop: Header=BB25_7 Depth=1
	s_wait_alu 0xfffe
	s_or_not1_b32 s18, s23, exec_lo
.LBB25_100:                             ;   in Loop: Header=BB25_7 Depth=1
	s_wait_alu 0xfffe
	s_or_b32 exec_lo, exec_lo, s14
	v_readfirstlane_b32 s23, v0
	s_and_not1_b32 s14, s82, exec_lo
	s_and_b32 s22, s22, exec_lo
	s_and_not1_b32 s24, s80, exec_lo
	s_and_b32 s20, s20, exec_lo
	s_and_not1_b32 s79, s79, exec_lo
	s_wait_alu 0xfffe
	s_or_b32 s82, s14, s22
	s_or_b32 s80, s24, s20
                                        ; implicit-def: $vgpr9
	s_and_saveexec_b32 s14, s18
	s_cbranch_execz .LBB25_6
; %bb.101:                              ;   in Loop: Header=BB25_7 Depth=1
	v_dual_mov_b32 v9, 1 :: v_dual_mov_b32 v8, 1
	s_xor_b32 s17, s17, -1
	s_mov_b32 s22, 0
	s_wait_alu 0xfffe
	s_and_saveexec_b32 s16, s17
	s_cbranch_execz .LBB25_110
; %bb.102:                              ;   in Loop: Header=BB25_7 Depth=1
	s_mov_b32 s17, exec_lo
	v_cmpx_ge_i32_e64 s15, v40
	s_wait_alu 0xfffe
	s_xor_b32 s17, exec_lo, s17
	s_cbranch_execz .LBB25_107
; %bb.103:                              ;   in Loop: Header=BB25_7 Depth=1
	ds_load_b32 v2, v12 offset:4096
	v_and_b32_e32 v19, s13, v19
	v_and_b32_e32 v18, s12, v18
	v_or_b32_e32 v21, s11, v21
	v_or_b32_e32 v20, s10, v20
	s_wait_dscnt 0x0
	v_cmp_ne_u32_e32 vcc_lo, 0, v2
	s_cbranch_vccnz .LBB25_107
; %bb.104:                              ;   in Loop: Header=BB25_7 Depth=1
	s_and_saveexec_b32 s18, s2
; %bb.105:                              ;   in Loop: Header=BB25_7 Depth=1
	v_mov_b32_e32 v2, s15
	ds_store_b32 v12, v2 offset:4100
; %bb.106:                              ;   in Loop: Header=BB25_7 Depth=1
	s_wait_alu 0xfffe
	s_or_b32 exec_lo, exec_lo, s18
	s_wait_loadcnt_dscnt 0x0
	s_barrier_signal -1
	s_barrier_wait -1
	global_inv scope:SCOPE_SE
.LBB25_107:                             ;   in Loop: Header=BB25_7 Depth=1
	s_wait_alu 0xfffe
	s_or_saveexec_b32 s17, s17
	v_mov_b32_e32 v8, 8
	s_mov_b32 s18, 0
	s_wait_alu 0xfffe
	s_xor_b32 exec_lo, exec_lo, s17
; %bb.108:                              ;   in Loop: Header=BB25_7 Depth=1
	v_subrev_nc_u32_e32 v40, s15, v40
	v_mov_b32_e32 v8, 0
	s_mov_b32 s18, exec_lo
; %bb.109:                              ;   in Loop: Header=BB25_7 Depth=1
	s_or_b32 exec_lo, exec_lo, s17
	s_delay_alu instid0(VALU_DEP_2)
	v_mov_b32_e32 v9, v40
	s_wait_alu 0xfffe
	s_and_b32 s22, s18, exec_lo
.LBB25_110:                             ;   in Loop: Header=BB25_7 Depth=1
	s_wait_alu 0xfffe
	s_or_b32 exec_lo, exec_lo, s16
	s_mov_b32 s15, -1
	s_mov_b32 s20, -1
                                        ; implicit-def: $sgpr17
                                        ; implicit-def: $sgpr18
	s_and_saveexec_b32 s16, s22
	s_wait_alu 0xfffe
	s_xor_b32 s16, exec_lo, s16
	s_cbranch_execz .LBB25_227
; %bb.111:                              ;   in Loop: Header=BB25_7 Depth=1
	v_cmp_eq_u32_e32 vcc_lo, 1, v9
	s_cmp_eq_u32 s21, 1
	s_mov_b32 s23, -1
	s_cselect_b32 s17, -1, 0
                                        ; implicit-def: $sgpr18
	s_wait_alu 0xfffe
	s_and_b32 s22, s17, vcc_lo
                                        ; implicit-def: $sgpr17
	s_wait_alu 0xfffe
	s_and_saveexec_b32 s20, s22
	s_cbranch_execz .LBB25_137
; %bb.112:                              ;   in Loop: Header=BB25_7 Depth=1
	ds_load_b32 v2, v12 offset:4096
	s_wait_loadcnt_dscnt 0x0
	s_barrier_signal -1
	s_barrier_wait -1
	global_inv scope:SCOPE_SE
	v_readfirstlane_b32 s23, v2
	s_and_saveexec_b32 s17, s1
; %bb.113:                              ;   in Loop: Header=BB25_7 Depth=1
	v_mov_b32_e32 v11, v12
	ds_store_b64 v29, v[11:12]
; %bb.114:                              ;   in Loop: Header=BB25_7 Depth=1
	s_wait_alu 0xfffe
	s_or_b32 exec_lo, exec_lo, s17
	v_and_b32_e32 v2, s13, v19
	v_and_b32_e32 v3, s12, v18
	s_lshl_b64 s[24:25], 1, s84
	v_or_b32_e32 v21, s11, v21
	v_or_b32_e32 v20, s10, v20
	s_wait_alu 0xfffe
	v_or_b32_e32 v19, s25, v2
	v_or_b32_e32 v18, s24, v3
	s_mov_b32 s17, -1
	s_mov_b32 s18, 0
	s_cmp_gt_i32 s23, 0
	s_mov_b32 s24, 0
	s_mov_b32 s25, -1
	s_wait_loadcnt_dscnt 0x0
	s_barrier_signal -1
	s_barrier_wait -1
	global_inv scope:SCOPE_SE
                                        ; implicit-def: $vgpr4_vgpr5
	s_cbranch_scc1 .LBB25_125
; %bb.115:                              ;   in Loop: Header=BB25_7 Depth=1
	s_mov_b32 s25, 0
                                        ; implicit-def: $vgpr4_vgpr5
	s_and_saveexec_b32 s26, s8
	s_cbranch_execz .LBB25_124
; %bb.116:                              ;   in Loop: Header=BB25_7 Depth=1
	v_dual_mov_b32 v6, v10 :: v_dual_mov_b32 v11, v0
                                        ; implicit-def: $sgpr27
	s_branch .LBB25_119
.LBB25_117:                             ;   in Loop: Header=BB25_119 Depth=2
	s_or_b32 exec_lo, exec_lo, s28
	s_wait_loadcnt_dscnt 0x0
	s_barrier_signal -1
	s_barrier_wait -1
	global_inv scope:SCOPE_SE
	ds_load_b128 v[2:5], v12 offset:3072
	s_mov_b32 s28, -1
	s_mov_b32 s50, -1
	s_wait_loadcnt_dscnt 0x0
	s_barrier_signal -1
	s_barrier_wait -1
	global_inv scope:SCOPE_SE
	v_cmp_ne_u64_e32 vcc_lo, 0, v[2:3]
	s_cbranch_vccz .LBB25_122
.LBB25_118:                             ;   in Loop: Header=BB25_119 Depth=2
	s_and_b32 s28, exec_lo, s28
	s_wait_alu 0xfffe
	s_or_b32 s24, s28, s24
	s_and_not1_b32 s27, s27, exec_lo
	s_and_b32 s28, s50, exec_lo
	s_wait_alu 0xfffe
	s_or_b32 s27, s27, s28
	s_and_not1_b32 exec_lo, exec_lo, s24
	s_cbranch_execz .LBB25_123
.LBB25_119:                             ;   Parent Loop BB25_7 Depth=1
                                        ; =>  This Inner Loop Header: Depth=2
	s_mov_b32 s28, exec_lo
	s_delay_alu instid0(VALU_DEP_1)
	v_cmpx_gt_i32_e64 s36, v11
	s_cbranch_execz .LBB25_117
; %bb.120:                              ;   in Loop: Header=BB25_119 Depth=2
	v_ashrrev_i32_e32 v7, 31, v6
	s_delay_alu instid0(VALU_DEP_1) | instskip(NEXT) | instid1(VALU_DEP_1)
	v_lshlrev_b64_e32 v[2:3], 3, v[6:7]
	v_add_co_u32 v2, vcc_lo, s48, v2
	s_wait_alu 0xfffd
	s_delay_alu instid0(VALU_DEP_2) | instskip(SKIP_4) | instid1(VALU_DEP_2)
	v_add_co_ci_u32_e64 v3, null, s49, v3, vcc_lo
	global_load_b64 v[3:4], v[2:3], off
	s_wait_loadcnt 0x0
	v_xor_b32_e32 v2, 0x80000000, v4
	v_and_b32_e32 v22, v3, v20
	v_and_b32_e32 v23, v2, v21
	s_delay_alu instid0(VALU_DEP_1)
	v_cmp_eq_u64_e32 vcc_lo, v[22:23], v[18:19]
	s_and_b32 exec_lo, exec_lo, vcc_lo
	s_cbranch_execz .LBB25_117
; %bb.121:                              ;   in Loop: Header=BB25_119 Depth=2
	v_mov_b32_e32 v2, v12
	ds_store_b128 v12, v[1:4] offset:3072
	s_branch .LBB25_117
.LBB25_122:                             ;   in Loop: Header=BB25_119 Depth=2
	v_add_nc_u32_e32 v11, s41, v11
	v_add_nc_u32_e32 v6, s65, v6
	s_mov_b32 s50, 0
	s_delay_alu instid0(VALU_DEP_2)
	v_cmp_le_i32_e32 vcc_lo, s74, v11
	s_or_not1_b32 s28, vcc_lo, exec_lo
	s_branch .LBB25_118
.LBB25_123:                             ;   in Loop: Header=BB25_7 Depth=1
	s_or_b32 exec_lo, exec_lo, s24
	s_wait_alu 0xfffe
	s_and_b32 s24, s27, exec_lo
.LBB25_124:                             ;   in Loop: Header=BB25_7 Depth=1
	s_wait_alu 0xfffe
	s_or_b32 exec_lo, exec_lo, s26
.LBB25_125:                             ;   in Loop: Header=BB25_7 Depth=1
	s_wait_alu 0xfffe
	s_and_b32 vcc_lo, exec_lo, s25
	s_wait_alu 0xfffe
	s_cbranch_vccz .LBB25_136
; %bb.126:                              ;   in Loop: Header=BB25_7 Depth=1
	s_add_co_i32 s18, s23, s64
                                        ; implicit-def: $vgpr4_vgpr5
	s_wait_alu 0xfffe
	s_abs_i32 s50, s18
	s_ashr_i32 s25, s18, 31
	s_wait_alu 0xfffe
	s_mul_u64 s[26:27], s[50:51], s[54:55]
	s_wait_alu 0xfffe
	s_mul_i32 s17, s27, s41
	s_wait_alu 0xfffe
	s_sub_co_i32 s17, s50, s17
	s_wait_alu 0xfffe
	s_sub_co_i32 s26, s17, s41
	s_cmp_ge_u32 s17, s41
	s_wait_alu 0xfffe
	s_cselect_b32 s17, s26, s17
	s_wait_alu 0xfffe
	s_sub_co_i32 s26, s17, s41
	s_cmp_ge_u32 s17, s41
	s_wait_alu 0xfffe
	s_cselect_b32 s17, s26, s17
	s_wait_alu 0xfffe
	s_xor_b32 s17, s17, s25
	s_wait_alu 0xfffe
	s_sub_co_i32 s17, s25, s17
	s_wait_alu 0xfffe
	s_add_co_i32 s18, s18, s17
	s_mov_b32 s17, exec_lo
	s_wait_alu 0xfffe
	v_cmpx_gt_i32_e64 s18, v0
	s_cbranch_execz .LBB25_135
; %bb.127:                              ;   in Loop: Header=BB25_7 Depth=1
	v_dual_mov_b32 v6, v28 :: v_dual_mov_b32 v7, v0
	s_mov_b32 s25, 0
                                        ; implicit-def: $sgpr26
	s_branch .LBB25_130
.LBB25_128:                             ;   in Loop: Header=BB25_130 Depth=2
	s_wait_alu 0xfffe
	s_or_b32 exec_lo, exec_lo, s27
	s_wait_loadcnt_dscnt 0x0
	s_barrier_signal -1
	s_barrier_wait -1
	global_inv scope:SCOPE_SE
	ds_load_b128 v[2:5], v12 offset:3072
	s_mov_b32 s27, -1
	s_mov_b32 s28, -1
	s_wait_loadcnt_dscnt 0x0
	s_barrier_signal -1
	s_barrier_wait -1
	global_inv scope:SCOPE_SE
	v_cmp_eq_u64_e32 vcc_lo, 0, v[2:3]
	s_cbranch_vccnz .LBB25_133
.LBB25_129:                             ;   in Loop: Header=BB25_130 Depth=2
	s_wait_alu 0xfffe
	s_and_b32 s27, exec_lo, s27
	s_wait_alu 0xfffe
	s_or_b32 s25, s27, s25
	s_and_not1_b32 s26, s26, exec_lo
	s_and_b32 s27, s28, exec_lo
	s_wait_alu 0xfffe
	s_or_b32 s26, s26, s27
	s_and_not1_b32 exec_lo, exec_lo, s25
	s_cbranch_execz .LBB25_134
.LBB25_130:                             ;   Parent Loop BB25_7 Depth=1
                                        ; =>  This Inner Loop Header: Depth=2
	s_mov_b32 s27, exec_lo
	s_delay_alu instid0(VALU_DEP_1)
	v_cmpx_gt_i32_e64 s23, v7
	s_cbranch_execz .LBB25_128
; %bb.131:                              ;   in Loop: Header=BB25_130 Depth=2
	ds_load_b64 v[3:4], v6
	s_wait_dscnt 0x0
	v_xor_b32_e32 v2, 0x80000000, v4
	v_and_b32_e32 v22, v3, v20
	s_delay_alu instid0(VALU_DEP_2) | instskip(NEXT) | instid1(VALU_DEP_1)
	v_and_b32_e32 v23, v2, v21
	v_cmp_eq_u64_e32 vcc_lo, v[22:23], v[18:19]
	s_and_b32 exec_lo, exec_lo, vcc_lo
	s_cbranch_execz .LBB25_128
; %bb.132:                              ;   in Loop: Header=BB25_130 Depth=2
	v_mov_b32_e32 v2, v12
	ds_store_b128 v12, v[1:4] offset:3072
	s_branch .LBB25_128
.LBB25_133:                             ;   in Loop: Header=BB25_130 Depth=2
	v_add_nc_u32_e32 v7, s41, v7
	v_add_nc_u32_e32 v6, s77, v6
	s_mov_b32 s28, 0
	s_delay_alu instid0(VALU_DEP_2)
	v_cmp_le_i32_e32 vcc_lo, s18, v7
	s_or_not1_b32 s27, vcc_lo, exec_lo
	s_branch .LBB25_129
.LBB25_134:                             ;   in Loop: Header=BB25_7 Depth=1
	s_or_b32 exec_lo, exec_lo, s25
	s_delay_alu instid0(SALU_CYCLE_1)
	s_and_not1_b32 s18, s24, exec_lo
	s_wait_alu 0xfffe
	s_and_b32 s23, s26, exec_lo
	s_wait_alu 0xfffe
	s_or_b32 s24, s18, s23
.LBB25_135:                             ;   in Loop: Header=BB25_7 Depth=1
	s_or_b32 exec_lo, exec_lo, s17
	s_mov_b32 s17, 0
	s_mov_b32 s18, -1
.LBB25_136:                             ;   in Loop: Header=BB25_7 Depth=1
	s_wait_alu 0xfffe
	s_or_not1_b32 s23, s24, exec_lo
.LBB25_137:                             ;   in Loop: Header=BB25_7 Depth=1
	s_wait_alu 0xfffe
	s_or_b32 exec_lo, exec_lo, s20
	s_mov_b32 s24, 0
	s_and_saveexec_b32 s20, s23
	s_cbranch_execz .LBB25_226
; %bb.138:                              ;   in Loop: Header=BB25_7 Depth=1
	v_mov_b32_e32 v22, 1
	v_mov_b32_e32 v8, 1
	s_xor_b32 s23, s22, -1
	s_mov_b32 s25, 0
	s_wait_alu 0xfffe
	s_and_saveexec_b32 s22, s23
	s_cbranch_execz .LBB25_147
; %bb.139:                              ;   in Loop: Header=BB25_7 Depth=1
	s_mov_b32 s23, exec_lo
	v_cmpx_ge_i32_e64 s21, v9
	s_wait_alu 0xfffe
	s_xor_b32 s23, exec_lo, s23
	s_cbranch_execz .LBB25_144
; %bb.140:                              ;   in Loop: Header=BB25_7 Depth=1
	ds_load_b32 v2, v12 offset:4096
	v_and_b32_e32 v3, s13, v19
	v_and_b32_e32 v6, s12, v18
	s_lshl_b64 s[24:25], 1, s84
	v_or_b32_e32 v21, s11, v21
	v_or_b32_e32 v20, s10, v20
	s_wait_alu 0xfffe
	v_or_b32_e32 v19, s25, v3
	v_or_b32_e32 v18, s24, v6
	s_wait_dscnt 0x0
	v_cmp_ne_u32_e32 vcc_lo, 0, v2
	s_cbranch_vccnz .LBB25_144
; %bb.141:                              ;   in Loop: Header=BB25_7 Depth=1
	s_and_saveexec_b32 s24, s2
; %bb.142:                              ;   in Loop: Header=BB25_7 Depth=1
	v_mov_b32_e32 v2, s21
	ds_store_b32 v12, v2 offset:4100
; %bb.143:                              ;   in Loop: Header=BB25_7 Depth=1
	s_wait_alu 0xfffe
	s_or_b32 exec_lo, exec_lo, s24
	s_wait_loadcnt_dscnt 0x0
	s_barrier_signal -1
	s_barrier_wait -1
	global_inv scope:SCOPE_SE
.LBB25_144:                             ;   in Loop: Header=BB25_7 Depth=1
	s_wait_alu 0xfffe
	s_or_saveexec_b32 s23, s23
	v_mov_b32_e32 v8, 8
	s_mov_b32 s24, 0
	s_wait_alu 0xfffe
	s_xor_b32 exec_lo, exec_lo, s23
; %bb.145:                              ;   in Loop: Header=BB25_7 Depth=1
	v_subrev_nc_u32_e32 v9, s21, v9
	v_mov_b32_e32 v8, 0
	s_mov_b32 s24, exec_lo
; %bb.146:                              ;   in Loop: Header=BB25_7 Depth=1
	s_or_b32 exec_lo, exec_lo, s23
	s_delay_alu instid0(VALU_DEP_2)
	v_mov_b32_e32 v22, v9
	s_wait_alu 0xfffe
	s_and_b32 s25, s24, exec_lo
.LBB25_147:                             ;   in Loop: Header=BB25_7 Depth=1
	s_wait_alu 0xfffe
	s_or_b32 exec_lo, exec_lo, s22
	s_mov_b32 s24, -1
                                        ; implicit-def: $sgpr22
                                        ; implicit-def: $sgpr23
	s_and_saveexec_b32 s21, s25
	s_cbranch_execz .LBB25_225
; %bb.148:                              ;   in Loop: Header=BB25_7 Depth=1
	v_cmp_eq_u32_e32 vcc_lo, 1, v22
	s_cmp_eq_u32 s19, 1
	s_mov_b32 s26, -1
	s_cselect_b32 s22, -1, 0
                                        ; implicit-def: $sgpr23
	s_wait_alu 0xfffe
	s_and_b32 s25, s22, vcc_lo
                                        ; implicit-def: $sgpr22
	s_wait_alu 0xfffe
	s_and_saveexec_b32 s24, s25
	s_cbranch_execz .LBB25_174
; %bb.149:                              ;   in Loop: Header=BB25_7 Depth=1
	ds_load_b32 v2, v12 offset:4096
	s_wait_loadcnt_dscnt 0x0
	s_barrier_signal -1
	s_barrier_wait -1
	global_inv scope:SCOPE_SE
	v_readfirstlane_b32 s26, v2
	s_and_saveexec_b32 s22, s1
; %bb.150:                              ;   in Loop: Header=BB25_7 Depth=1
	v_mov_b32_e32 v11, v12
	ds_store_b64 v29, v[11:12]
; %bb.151:                              ;   in Loop: Header=BB25_7 Depth=1
	s_wait_alu 0xfffe
	s_or_b32 exec_lo, exec_lo, s22
	v_and_b32_e32 v2, s13, v19
	v_and_b32_e32 v3, s12, v18
	s_lshl_b64 s[22:23], 2, s84
	v_or_b32_e32 v21, s11, v21
	v_or_b32_e32 v20, s10, v20
	s_wait_alu 0xfffe
	v_or_b32_e32 v19, s23, v2
	v_or_b32_e32 v18, s22, v3
	s_mov_b32 s22, -1
	s_mov_b32 s23, 0
	s_cmp_gt_i32 s26, 0
	s_mov_b32 s27, 0
	s_mov_b32 s28, -1
	s_wait_loadcnt_dscnt 0x0
	s_barrier_signal -1
	s_barrier_wait -1
	global_inv scope:SCOPE_SE
                                        ; implicit-def: $vgpr4_vgpr5
	s_cbranch_scc1 .LBB25_162
; %bb.152:                              ;   in Loop: Header=BB25_7 Depth=1
	s_mov_b32 s28, 0
                                        ; implicit-def: $vgpr4_vgpr5
	s_and_saveexec_b32 s50, s8
	s_cbranch_execz .LBB25_161
; %bb.153:                              ;   in Loop: Header=BB25_7 Depth=1
	v_dual_mov_b32 v6, v10 :: v_dual_mov_b32 v9, v0
                                        ; implicit-def: $sgpr85
	s_branch .LBB25_156
.LBB25_154:                             ;   in Loop: Header=BB25_156 Depth=2
	s_wait_alu 0xfffe
	s_or_b32 exec_lo, exec_lo, s86
	s_wait_loadcnt_dscnt 0x0
	s_barrier_signal -1
	s_barrier_wait -1
	global_inv scope:SCOPE_SE
	ds_load_b128 v[2:5], v12 offset:3072
	s_mov_b32 s86, -1
	s_mov_b32 s87, -1
	s_wait_loadcnt_dscnt 0x0
	s_barrier_signal -1
	s_barrier_wait -1
	global_inv scope:SCOPE_SE
	v_cmp_ne_u64_e32 vcc_lo, 0, v[2:3]
	s_cbranch_vccz .LBB25_159
.LBB25_155:                             ;   in Loop: Header=BB25_156 Depth=2
	s_wait_alu 0xfffe
	s_and_b32 s86, exec_lo, s86
	s_wait_alu 0xfffe
	s_or_b32 s27, s86, s27
	s_and_not1_b32 s85, s85, exec_lo
	s_and_b32 s86, s87, exec_lo
	s_wait_alu 0xfffe
	s_or_b32 s85, s85, s86
	s_and_not1_b32 exec_lo, exec_lo, s27
	s_cbranch_execz .LBB25_160
.LBB25_156:                             ;   Parent Loop BB25_7 Depth=1
                                        ; =>  This Inner Loop Header: Depth=2
	s_mov_b32 s86, exec_lo
	s_delay_alu instid0(VALU_DEP_1)
	v_cmpx_gt_i32_e64 s36, v9
	s_cbranch_execz .LBB25_154
; %bb.157:                              ;   in Loop: Header=BB25_156 Depth=2
	v_ashrrev_i32_e32 v7, 31, v6
	s_delay_alu instid0(VALU_DEP_1) | instskip(NEXT) | instid1(VALU_DEP_1)
	v_lshlrev_b64_e32 v[2:3], 3, v[6:7]
	v_add_co_u32 v2, vcc_lo, s48, v2
	s_wait_alu 0xfffd
	s_delay_alu instid0(VALU_DEP_2) | instskip(SKIP_4) | instid1(VALU_DEP_2)
	v_add_co_ci_u32_e64 v3, null, s49, v3, vcc_lo
	global_load_b64 v[3:4], v[2:3], off
	s_wait_loadcnt 0x0
	v_xor_b32_e32 v2, 0x80000000, v4
	v_and_b32_e32 v23, v3, v20
	v_and_b32_e32 v24, v2, v21
	s_delay_alu instid0(VALU_DEP_1)
	v_cmp_eq_u64_e32 vcc_lo, v[23:24], v[18:19]
	s_and_b32 exec_lo, exec_lo, vcc_lo
	s_cbranch_execz .LBB25_154
; %bb.158:                              ;   in Loop: Header=BB25_156 Depth=2
	v_mov_b32_e32 v2, v12
	ds_store_b128 v12, v[1:4] offset:3072
	s_branch .LBB25_154
.LBB25_159:                             ;   in Loop: Header=BB25_156 Depth=2
	v_add_nc_u32_e32 v9, s41, v9
	v_add_nc_u32_e32 v6, s65, v6
	s_mov_b32 s87, 0
	s_delay_alu instid0(VALU_DEP_2)
	v_cmp_le_i32_e32 vcc_lo, s74, v9
	s_or_not1_b32 s86, vcc_lo, exec_lo
	s_branch .LBB25_155
.LBB25_160:                             ;   in Loop: Header=BB25_7 Depth=1
	s_or_b32 exec_lo, exec_lo, s27
	s_wait_alu 0xfffe
	s_and_b32 s27, s85, exec_lo
.LBB25_161:                             ;   in Loop: Header=BB25_7 Depth=1
	s_wait_alu 0xfffe
	s_or_b32 exec_lo, exec_lo, s50
.LBB25_162:                             ;   in Loop: Header=BB25_7 Depth=1
	s_delay_alu instid0(SALU_CYCLE_1)
	s_and_b32 vcc_lo, exec_lo, s28
	s_wait_alu 0xfffe
	s_cbranch_vccz .LBB25_173
; %bb.163:                              ;   in Loop: Header=BB25_7 Depth=1
	s_add_co_i32 s28, s26, s64
                                        ; implicit-def: $vgpr4_vgpr5
	s_delay_alu instid0(SALU_CYCLE_1)
	s_abs_i32 s50, s28
	s_wait_alu 0xfffe
	s_mul_u64 s[22:23], s[50:51], s[54:55]
	s_wait_alu 0xfffe
	s_mul_i32 s22, s23, s41
	s_ashr_i32 s23, s28, 31
	s_wait_alu 0xfffe
	s_sub_co_i32 s22, s50, s22
	s_wait_alu 0xfffe
	s_sub_co_i32 s50, s22, s41
	s_cmp_ge_u32 s22, s41
	s_wait_alu 0xfffe
	s_cselect_b32 s22, s50, s22
	s_wait_alu 0xfffe
	s_sub_co_i32 s50, s22, s41
	s_cmp_ge_u32 s22, s41
	s_wait_alu 0xfffe
	s_cselect_b32 s22, s50, s22
	s_wait_alu 0xfffe
	s_xor_b32 s22, s22, s23
	s_wait_alu 0xfffe
	s_sub_co_i32 s22, s23, s22
	s_wait_alu 0xfffe
	s_add_co_i32 s23, s28, s22
	s_mov_b32 s22, exec_lo
	s_wait_alu 0xfffe
	v_cmpx_gt_i32_e64 s23, v0
	s_cbranch_execz .LBB25_172
; %bb.164:                              ;   in Loop: Header=BB25_7 Depth=1
	v_dual_mov_b32 v6, v28 :: v_dual_mov_b32 v7, v0
	s_mov_b32 s28, 0
                                        ; implicit-def: $sgpr50
	s_branch .LBB25_167
.LBB25_165:                             ;   in Loop: Header=BB25_167 Depth=2
	s_wait_alu 0xfffe
	s_or_b32 exec_lo, exec_lo, s85
	s_wait_loadcnt_dscnt 0x0
	s_barrier_signal -1
	s_barrier_wait -1
	global_inv scope:SCOPE_SE
	ds_load_b128 v[2:5], v12 offset:3072
	s_mov_b32 s85, -1
	s_mov_b32 s86, -1
	s_wait_loadcnt_dscnt 0x0
	s_barrier_signal -1
	s_barrier_wait -1
	global_inv scope:SCOPE_SE
	v_cmp_eq_u64_e32 vcc_lo, 0, v[2:3]
	s_cbranch_vccnz .LBB25_170
.LBB25_166:                             ;   in Loop: Header=BB25_167 Depth=2
	s_wait_alu 0xfffe
	s_and_b32 s85, exec_lo, s85
	s_wait_alu 0xfffe
	s_or_b32 s28, s85, s28
	s_and_not1_b32 s50, s50, exec_lo
	s_and_b32 s85, s86, exec_lo
	s_wait_alu 0xfffe
	s_or_b32 s50, s50, s85
	s_and_not1_b32 exec_lo, exec_lo, s28
	s_cbranch_execz .LBB25_171
.LBB25_167:                             ;   Parent Loop BB25_7 Depth=1
                                        ; =>  This Inner Loop Header: Depth=2
	s_mov_b32 s85, exec_lo
	s_delay_alu instid0(VALU_DEP_1)
	v_cmpx_gt_i32_e64 s26, v7
	s_cbranch_execz .LBB25_165
; %bb.168:                              ;   in Loop: Header=BB25_167 Depth=2
	ds_load_b64 v[3:4], v6
	s_wait_dscnt 0x0
	v_xor_b32_e32 v2, 0x80000000, v4
	v_and_b32_e32 v23, v3, v20
	s_delay_alu instid0(VALU_DEP_2) | instskip(NEXT) | instid1(VALU_DEP_1)
	v_and_b32_e32 v24, v2, v21
	v_cmp_eq_u64_e32 vcc_lo, v[23:24], v[18:19]
	s_and_b32 exec_lo, exec_lo, vcc_lo
	s_cbranch_execz .LBB25_165
; %bb.169:                              ;   in Loop: Header=BB25_167 Depth=2
	v_mov_b32_e32 v2, v12
	ds_store_b128 v12, v[1:4] offset:3072
	s_branch .LBB25_165
.LBB25_170:                             ;   in Loop: Header=BB25_167 Depth=2
	v_add_nc_u32_e32 v7, s41, v7
	v_add_nc_u32_e32 v6, s77, v6
	s_mov_b32 s86, 0
	s_delay_alu instid0(VALU_DEP_2)
	v_cmp_le_i32_e32 vcc_lo, s23, v7
	s_or_not1_b32 s85, vcc_lo, exec_lo
	s_branch .LBB25_166
.LBB25_171:                             ;   in Loop: Header=BB25_7 Depth=1
	s_or_b32 exec_lo, exec_lo, s28
	s_delay_alu instid0(SALU_CYCLE_1)
	s_and_not1_b32 s23, s27, exec_lo
	s_wait_alu 0xfffe
	s_and_b32 s26, s50, exec_lo
	s_wait_alu 0xfffe
	s_or_b32 s27, s23, s26
.LBB25_172:                             ;   in Loop: Header=BB25_7 Depth=1
	s_or_b32 exec_lo, exec_lo, s22
	s_mov_b32 s22, 0
	s_mov_b32 s23, -1
.LBB25_173:                             ;   in Loop: Header=BB25_7 Depth=1
	s_wait_alu 0xfffe
	s_or_not1_b32 s26, s27, exec_lo
.LBB25_174:                             ;   in Loop: Header=BB25_7 Depth=1
	s_wait_alu 0xfffe
	s_or_b32 exec_lo, exec_lo, s24
	s_mov_b32 s27, 0
	s_and_saveexec_b32 s24, s26
	s_cbranch_execz .LBB25_224
; %bb.175:                              ;   in Loop: Header=BB25_7 Depth=1
	v_dual_mov_b32 v9, 1 :: v_dual_mov_b32 v8, 1
	s_xor_b32 s27, s25, -1
	s_mov_b32 s26, 0
	s_wait_alu 0xfffe
	s_and_saveexec_b32 s25, s27
	s_cbranch_execz .LBB25_184
; %bb.176:                              ;   in Loop: Header=BB25_7 Depth=1
	s_mov_b32 s26, exec_lo
	v_cmpx_ge_i32_e64 s19, v22
	s_wait_alu 0xfffe
	s_xor_b32 s26, exec_lo, s26
	s_cbranch_execz .LBB25_181
; %bb.177:                              ;   in Loop: Header=BB25_7 Depth=1
	ds_load_b32 v2, v12 offset:4096
	v_and_b32_e32 v3, s13, v19
	v_and_b32_e32 v6, s12, v18
	s_lshl_b64 s[12:13], 2, s84
	v_or_b32_e32 v21, s11, v21
	v_or_b32_e32 v20, s10, v20
	s_wait_alu 0xfffe
	v_or_b32_e32 v19, s13, v3
	v_or_b32_e32 v18, s12, v6
	s_wait_dscnt 0x0
	v_cmp_ne_u32_e32 vcc_lo, 0, v2
	s_cbranch_vccnz .LBB25_181
; %bb.178:                              ;   in Loop: Header=BB25_7 Depth=1
	s_and_saveexec_b32 s12, s2
; %bb.179:                              ;   in Loop: Header=BB25_7 Depth=1
	v_mov_b32_e32 v2, s19
	ds_store_b32 v12, v2 offset:4100
; %bb.180:                              ;   in Loop: Header=BB25_7 Depth=1
	s_wait_alu 0xfffe
	s_or_b32 exec_lo, exec_lo, s12
	s_wait_loadcnt_dscnt 0x0
	s_barrier_signal -1
	s_barrier_wait -1
	global_inv scope:SCOPE_SE
.LBB25_181:                             ;   in Loop: Header=BB25_7 Depth=1
	s_wait_alu 0xfffe
	s_or_saveexec_b32 s12, s26
	v_mov_b32_e32 v8, 8
	s_mov_b32 s13, 0
	s_wait_alu 0xfffe
	s_xor_b32 exec_lo, exec_lo, s12
; %bb.182:                              ;   in Loop: Header=BB25_7 Depth=1
	v_subrev_nc_u32_e32 v22, s19, v22
	v_mov_b32_e32 v8, 0
	s_mov_b32 s13, exec_lo
; %bb.183:                              ;   in Loop: Header=BB25_7 Depth=1
	s_or_b32 exec_lo, exec_lo, s12
	s_delay_alu instid0(VALU_DEP_2)
	v_mov_b32_e32 v9, v22
	s_wait_alu 0xfffe
	s_and_b32 s26, s13, exec_lo
.LBB25_184:                             ;   in Loop: Header=BB25_7 Depth=1
	s_wait_alu 0xfffe
	s_or_b32 exec_lo, exec_lo, s25
	s_mov_b32 s13, -1
                                        ; implicit-def: $sgpr25
                                        ; implicit-def: $sgpr19
	s_and_saveexec_b32 s12, s26
	s_cbranch_execz .LBB25_223
; %bb.185:                              ;   in Loop: Header=BB25_7 Depth=1
	v_cmp_eq_u32_e32 vcc_lo, 1, v9
	s_cmp_eq_u32 s9, 1
	s_mov_b32 s27, -1
	s_cselect_b32 s13, -1, 0
                                        ; implicit-def: $sgpr25
                                        ; implicit-def: $sgpr19
	s_wait_alu 0xfffe
	s_and_b32 s13, s13, vcc_lo
	s_wait_alu 0xfffe
	s_and_saveexec_b32 s26, s13
	s_cbranch_execz .LBB25_211
; %bb.186:                              ;   in Loop: Header=BB25_7 Depth=1
	ds_load_b32 v2, v12 offset:4096
	s_wait_loadcnt_dscnt 0x0
	s_barrier_signal -1
	s_barrier_wait -1
	global_inv scope:SCOPE_SE
	v_readfirstlane_b32 s27, v2
	s_and_saveexec_b32 s19, s1
; %bb.187:                              ;   in Loop: Header=BB25_7 Depth=1
	v_mov_b32_e32 v11, v12
	ds_store_b64 v29, v[11:12]
; %bb.188:                              ;   in Loop: Header=BB25_7 Depth=1
	s_wait_alu 0xfffe
	s_or_b32 exec_lo, exec_lo, s19
	v_or_b32_e32 v19, s11, v19
	v_or_b32_e32 v18, s10, v18
	;; [unrolled: 1-line block ×4, first 2 shown]
	s_mov_b32 s19, -1
	s_mov_b32 s25, 0
	s_cmp_gt_i32 s27, 0
	s_mov_b32 s28, 0
	s_mov_b32 s50, -1
	s_wait_loadcnt_dscnt 0x0
	s_barrier_signal -1
	s_barrier_wait -1
	global_inv scope:SCOPE_SE
                                        ; implicit-def: $vgpr4_vgpr5
	s_cbranch_scc1 .LBB25_199
; %bb.189:                              ;   in Loop: Header=BB25_7 Depth=1
	s_mov_b32 s50, 0
                                        ; implicit-def: $vgpr4_vgpr5
	s_and_saveexec_b32 s85, s8
	s_cbranch_execz .LBB25_198
; %bb.190:                              ;   in Loop: Header=BB25_7 Depth=1
	v_dual_mov_b32 v6, v10 :: v_dual_mov_b32 v11, v0
                                        ; implicit-def: $sgpr86
	s_branch .LBB25_193
.LBB25_191:                             ;   in Loop: Header=BB25_193 Depth=2
	s_wait_alu 0xfffe
	s_or_b32 exec_lo, exec_lo, s87
	s_wait_loadcnt_dscnt 0x0
	s_barrier_signal -1
	s_barrier_wait -1
	global_inv scope:SCOPE_SE
	ds_load_b128 v[2:5], v12 offset:3072
	s_mov_b32 s87, -1
	s_mov_b32 s88, -1
	s_wait_loadcnt_dscnt 0x0
	s_barrier_signal -1
	s_barrier_wait -1
	global_inv scope:SCOPE_SE
	v_cmp_ne_u64_e32 vcc_lo, 0, v[2:3]
	s_cbranch_vccz .LBB25_196
.LBB25_192:                             ;   in Loop: Header=BB25_193 Depth=2
	s_wait_alu 0xfffe
	s_and_b32 s87, exec_lo, s87
	s_wait_alu 0xfffe
	s_or_b32 s28, s87, s28
	s_and_not1_b32 s86, s86, exec_lo
	s_and_b32 s87, s88, exec_lo
	s_wait_alu 0xfffe
	s_or_b32 s86, s86, s87
	s_and_not1_b32 exec_lo, exec_lo, s28
	s_cbranch_execz .LBB25_197
.LBB25_193:                             ;   Parent Loop BB25_7 Depth=1
                                        ; =>  This Inner Loop Header: Depth=2
	s_mov_b32 s87, exec_lo
	s_delay_alu instid0(VALU_DEP_1)
	v_cmpx_gt_i32_e64 s36, v11
	s_cbranch_execz .LBB25_191
; %bb.194:                              ;   in Loop: Header=BB25_193 Depth=2
	v_ashrrev_i32_e32 v7, 31, v6
	s_delay_alu instid0(VALU_DEP_1) | instskip(NEXT) | instid1(VALU_DEP_1)
	v_lshlrev_b64_e32 v[2:3], 3, v[6:7]
	v_add_co_u32 v2, vcc_lo, s48, v2
	s_wait_alu 0xfffd
	s_delay_alu instid0(VALU_DEP_2) | instskip(SKIP_4) | instid1(VALU_DEP_2)
	v_add_co_ci_u32_e64 v3, null, s49, v3, vcc_lo
	global_load_b64 v[3:4], v[2:3], off
	s_wait_loadcnt 0x0
	v_xor_b32_e32 v2, 0x80000000, v4
	v_and_b32_e32 v22, v3, v20
	v_and_b32_e32 v23, v2, v21
	s_delay_alu instid0(VALU_DEP_1)
	v_cmp_eq_u64_e32 vcc_lo, v[22:23], v[18:19]
	s_and_b32 exec_lo, exec_lo, vcc_lo
	s_cbranch_execz .LBB25_191
; %bb.195:                              ;   in Loop: Header=BB25_193 Depth=2
	v_mov_b32_e32 v2, v12
	ds_store_b128 v12, v[1:4] offset:3072
	s_branch .LBB25_191
.LBB25_196:                             ;   in Loop: Header=BB25_193 Depth=2
	v_add_nc_u32_e32 v11, s41, v11
	v_add_nc_u32_e32 v6, s65, v6
	s_mov_b32 s88, 0
	s_delay_alu instid0(VALU_DEP_2)
	v_cmp_le_i32_e32 vcc_lo, s74, v11
	s_or_not1_b32 s87, vcc_lo, exec_lo
	s_branch .LBB25_192
.LBB25_197:                             ;   in Loop: Header=BB25_7 Depth=1
	s_or_b32 exec_lo, exec_lo, s28
	s_wait_alu 0xfffe
	s_and_b32 s28, s86, exec_lo
.LBB25_198:                             ;   in Loop: Header=BB25_7 Depth=1
	s_wait_alu 0xfffe
	s_or_b32 exec_lo, exec_lo, s85
.LBB25_199:                             ;   in Loop: Header=BB25_7 Depth=1
	s_wait_alu 0xfffe
	s_and_b32 vcc_lo, exec_lo, s50
	s_wait_alu 0xfffe
	s_cbranch_vccz .LBB25_210
; %bb.200:                              ;   in Loop: Header=BB25_7 Depth=1
	s_add_co_i32 s25, s27, s64
                                        ; implicit-def: $vgpr4_vgpr5
	s_wait_alu 0xfffe
	s_abs_i32 s50, s25
	s_wait_alu 0xfffe
	s_mul_u64 s[86:87], s[50:51], s[54:55]
	s_wait_alu 0xfffe
	s_mul_i32 s19, s87, s41
	s_wait_alu 0xfffe
	s_sub_co_i32 s19, s50, s19
	s_ashr_i32 s50, s25, 31
	s_wait_alu 0xfffe
	s_sub_co_i32 s85, s19, s41
	s_cmp_ge_u32 s19, s41
	s_wait_alu 0xfffe
	s_cselect_b32 s19, s85, s19
	s_wait_alu 0xfffe
	s_sub_co_i32 s85, s19, s41
	s_cmp_ge_u32 s19, s41
	s_wait_alu 0xfffe
	s_cselect_b32 s19, s85, s19
	s_wait_alu 0xfffe
	s_xor_b32 s19, s19, s50
	s_wait_alu 0xfffe
	s_sub_co_i32 s19, s50, s19
	s_wait_alu 0xfffe
	s_add_co_i32 s25, s25, s19
	s_mov_b32 s19, exec_lo
	s_wait_alu 0xfffe
	v_cmpx_gt_i32_e64 s25, v0
	s_cbranch_execz .LBB25_209
; %bb.201:                              ;   in Loop: Header=BB25_7 Depth=1
	v_dual_mov_b32 v6, v28 :: v_dual_mov_b32 v7, v0
	s_mov_b32 s50, 0
                                        ; implicit-def: $sgpr85
	s_branch .LBB25_204
.LBB25_202:                             ;   in Loop: Header=BB25_204 Depth=2
	s_wait_alu 0xfffe
	s_or_b32 exec_lo, exec_lo, s86
	s_wait_loadcnt_dscnt 0x0
	s_barrier_signal -1
	s_barrier_wait -1
	global_inv scope:SCOPE_SE
	ds_load_b128 v[2:5], v12 offset:3072
	s_mov_b32 s86, -1
	s_mov_b32 s87, -1
	s_wait_loadcnt_dscnt 0x0
	s_barrier_signal -1
	s_barrier_wait -1
	global_inv scope:SCOPE_SE
	v_cmp_eq_u64_e32 vcc_lo, 0, v[2:3]
	s_cbranch_vccnz .LBB25_207
.LBB25_203:                             ;   in Loop: Header=BB25_204 Depth=2
	s_wait_alu 0xfffe
	s_and_b32 s86, exec_lo, s86
	s_wait_alu 0xfffe
	s_or_b32 s50, s86, s50
	s_and_not1_b32 s85, s85, exec_lo
	s_and_b32 s86, s87, exec_lo
	s_wait_alu 0xfffe
	s_or_b32 s85, s85, s86
	s_and_not1_b32 exec_lo, exec_lo, s50
	s_cbranch_execz .LBB25_208
.LBB25_204:                             ;   Parent Loop BB25_7 Depth=1
                                        ; =>  This Inner Loop Header: Depth=2
	s_mov_b32 s86, exec_lo
	s_delay_alu instid0(VALU_DEP_1)
	v_cmpx_gt_i32_e64 s27, v7
	s_cbranch_execz .LBB25_202
; %bb.205:                              ;   in Loop: Header=BB25_204 Depth=2
	ds_load_b64 v[3:4], v6
	s_wait_dscnt 0x0
	v_xor_b32_e32 v2, 0x80000000, v4
	v_and_b32_e32 v22, v3, v20
	s_delay_alu instid0(VALU_DEP_2) | instskip(NEXT) | instid1(VALU_DEP_1)
	v_and_b32_e32 v23, v2, v21
	v_cmp_eq_u64_e32 vcc_lo, v[22:23], v[18:19]
	s_and_b32 exec_lo, exec_lo, vcc_lo
	s_cbranch_execz .LBB25_202
; %bb.206:                              ;   in Loop: Header=BB25_204 Depth=2
	v_mov_b32_e32 v2, v12
	ds_store_b128 v12, v[1:4] offset:3072
	s_branch .LBB25_202
.LBB25_207:                             ;   in Loop: Header=BB25_204 Depth=2
	v_add_nc_u32_e32 v7, s41, v7
	v_add_nc_u32_e32 v6, s77, v6
	s_mov_b32 s87, 0
	s_delay_alu instid0(VALU_DEP_2)
	v_cmp_le_i32_e32 vcc_lo, s25, v7
	s_or_not1_b32 s86, vcc_lo, exec_lo
	s_branch .LBB25_203
.LBB25_208:                             ;   in Loop: Header=BB25_7 Depth=1
	s_or_b32 exec_lo, exec_lo, s50
	s_delay_alu instid0(SALU_CYCLE_1)
	s_and_not1_b32 s25, s28, exec_lo
	s_wait_alu 0xfffe
	s_and_b32 s27, s85, exec_lo
	s_wait_alu 0xfffe
	s_or_b32 s28, s25, s27
.LBB25_209:                             ;   in Loop: Header=BB25_7 Depth=1
	s_or_b32 exec_lo, exec_lo, s19
	s_mov_b32 s19, 0
	s_mov_b32 s25, -1
.LBB25_210:                             ;   in Loop: Header=BB25_7 Depth=1
	s_or_not1_b32 s27, s28, exec_lo
.LBB25_211:                             ;   in Loop: Header=BB25_7 Depth=1
	s_wait_alu 0xfffe
	s_or_b32 exec_lo, exec_lo, s26
	s_mov_b32 s28, 0
	s_and_saveexec_b32 s26, s27
	s_cbranch_execz .LBB25_222
; %bb.212:                              ;   in Loop: Header=BB25_7 Depth=1
	v_mov_b32_e32 v8, 1
	v_mov_b32_e32 v2, 1
	s_xor_b32 s27, s13, -1
	s_wait_alu 0xfffe
	s_and_saveexec_b32 s13, s27
	s_cbranch_execz .LBB25_221
; %bb.213:                              ;   in Loop: Header=BB25_7 Depth=1
	s_mov_b32 s27, exec_lo
	v_cmpx_ge_i32_e64 s9, v9
	s_wait_alu 0xfffe
	s_xor_b32 s27, exec_lo, s27
	s_cbranch_execz .LBB25_218
; %bb.214:                              ;   in Loop: Header=BB25_7 Depth=1
	ds_load_b32 v2, v12 offset:4096
	v_or_b32_e32 v19, s11, v19
	v_or_b32_e32 v18, s10, v18
	;; [unrolled: 1-line block ×4, first 2 shown]
	s_wait_dscnt 0x0
	v_cmp_ne_u32_e32 vcc_lo, 0, v2
	s_cbranch_vccnz .LBB25_218
; %bb.215:                              ;   in Loop: Header=BB25_7 Depth=1
	s_and_saveexec_b32 s10, s2
; %bb.216:                              ;   in Loop: Header=BB25_7 Depth=1
	v_mov_b32_e32 v2, s9
	ds_store_b32 v12, v2 offset:4100
; %bb.217:                              ;   in Loop: Header=BB25_7 Depth=1
	s_wait_alu 0xfffe
	s_or_b32 exec_lo, exec_lo, s10
	s_wait_loadcnt_dscnt 0x0
	s_barrier_signal -1
	s_barrier_wait -1
	global_inv scope:SCOPE_SE
.LBB25_218:                             ;   in Loop: Header=BB25_7 Depth=1
	s_wait_alu 0xfffe
	s_and_not1_saveexec_b32 s10, s27
; %bb.219:                              ;   in Loop: Header=BB25_7 Depth=1
	v_subrev_nc_u32_e32 v9, s9, v9
; %bb.220:                              ;   in Loop: Header=BB25_7 Depth=1
	s_wait_alu 0xfffe
	s_or_b32 exec_lo, exec_lo, s10
	v_mov_b32_e32 v8, 8
	s_delay_alu instid0(VALU_DEP_2)
	v_mov_b32_e32 v2, v9
.LBB25_221:                             ;   in Loop: Header=BB25_7 Depth=1
	s_wait_alu 0xfffe
	s_or_b32 exec_lo, exec_lo, s13
	s_delay_alu instid0(VALU_DEP_1)
	v_mov_b32_e32 v9, v2
	s_mov_b32 s28, exec_lo
.LBB25_222:                             ;   in Loop: Header=BB25_7 Depth=1
	s_wait_alu 0xfffe
	s_or_b32 exec_lo, exec_lo, s26
	s_delay_alu instid0(SALU_CYCLE_1)
	s_or_not1_b32 s13, s28, exec_lo
.LBB25_223:                             ;   in Loop: Header=BB25_7 Depth=1
	s_wait_alu 0xfffe
	s_or_b32 exec_lo, exec_lo, s12
	v_mov_b32_e32 v22, v9
	s_and_not1_b32 s9, s23, exec_lo
	s_and_b32 s10, s25, exec_lo
	s_and_not1_b32 s11, s22, exec_lo
	s_and_b32 s12, s19, exec_lo
	s_wait_alu 0xfffe
	s_or_b32 s23, s9, s10
	s_or_b32 s22, s11, s12
	s_and_b32 s27, s13, exec_lo
.LBB25_224:                             ;   in Loop: Header=BB25_7 Depth=1
	s_wait_alu 0xfffe
	s_or_b32 exec_lo, exec_lo, s24
	s_delay_alu instid0(SALU_CYCLE_1)
	s_or_not1_b32 s24, s27, exec_lo
.LBB25_225:                             ;   in Loop: Header=BB25_7 Depth=1
	s_wait_alu 0xfffe
	s_or_b32 exec_lo, exec_lo, s21
	v_mov_b32_e32 v9, v22
	s_and_not1_b32 s9, s18, exec_lo
	s_and_b32 s10, s23, exec_lo
	s_and_not1_b32 s11, s17, exec_lo
	s_and_b32 s12, s22, exec_lo
	s_wait_alu 0xfffe
	s_or_b32 s18, s9, s10
	s_or_b32 s17, s11, s12
	s_and_b32 s24, s24, exec_lo
.LBB25_226:                             ;   in Loop: Header=BB25_7 Depth=1
	s_wait_alu 0xfffe
	s_or_b32 exec_lo, exec_lo, s20
	s_delay_alu instid0(SALU_CYCLE_1)
	s_or_not1_b32 s20, s24, exec_lo
.LBB25_227:                             ;   in Loop: Header=BB25_7 Depth=1
	s_wait_alu 0xfffe
	s_or_b32 exec_lo, exec_lo, s16
	s_mov_b32 s10, 0
                                        ; implicit-def: $sgpr23
	s_and_saveexec_b32 s9, s20
	s_wait_alu 0xfffe
	s_xor_b32 s9, exec_lo, s9
	s_cbranch_execz .LBB25_5
; %bb.228:                              ;   in Loop: Header=BB25_7 Depth=1
	v_and_b32_e32 v2, 7, v8
	s_mov_b32 s11, -1
	s_mov_b32 s10, -1
	s_mov_b32 s12, exec_lo
                                        ; implicit-def: $sgpr23
	s_delay_alu instid0(VALU_DEP_1)
	v_cmpx_eq_u32_e32 0, v2
	s_cbranch_execz .LBB25_4
; %bb.229:                              ;   in Loop: Header=BB25_7 Depth=1
	s_add_co_i32 s23, s84, -2
	s_cmp_eq_u32 s84, 0
	v_xor_b32_e32 v39, 1, v39
	s_cselect_b32 s11, -1, 0
	s_xor_b32 s10, exec_lo, -1
	s_wait_alu 0xfffe
	s_or_not1_b32 s11, s11, exec_lo
	s_branch .LBB25_4
.LBB25_230:
	s_or_b32 exec_lo, exec_lo, s37
	s_xor_b32 s4, s83, -1
	s_xor_b32 s0, s81, -1
	;; [unrolled: 1-line block ×3, first 2 shown]
	s_mov_b32 s1, 0
	s_wait_alu 0xfffe
	s_and_saveexec_b32 s5, s0
	s_wait_alu 0xfffe
	s_xor_b32 s0, exec_lo, s5
	s_cbranch_execnz .LBB25_235
; %bb.231:
	s_wait_alu 0xfffe
	s_and_not1_saveexec_b32 s0, s0
	s_cbranch_execnz .LBB25_255
.LBB25_232:
	s_wait_alu 0xfffe
	s_or_b32 exec_lo, exec_lo, s0
	s_and_saveexec_b32 s0, s1
.LBB25_233:
	; divergent unreachable
.LBB25_234:
	s_endpgm
.LBB25_235:
	s_and_saveexec_b32 s1, s4
	s_wait_alu 0xfffe
	s_xor_b32 s1, exec_lo, s1
	s_cbranch_execz .LBB25_253
; %bb.236:
	s_and_saveexec_b32 s4, s3
	s_wait_alu 0xfffe
	s_xor_b32 s3, exec_lo, s4
; %bb.237:
	v_xor_b32_e32 v19, 0x80000000, v19
	s_delay_alu instid0(VALU_DEP_1)
	v_dual_mov_b32 v4, v18 :: v_dual_mov_b32 v5, v19
; %bb.238:
	s_wait_alu 0xfffe
	s_or_b32 exec_lo, exec_lo, s3
	s_and_saveexec_b32 s3, s2
; %bb.239:
	v_dual_mov_b32 v1, 0 :: v_dual_mov_b32 v2, s36
	ds_store_b32 v1, v2 offset:4108
; %bb.240:
	s_wait_alu 0xfffe
	s_or_b32 exec_lo, exec_lo, s3
	v_mov_b32_e32 v1, 0
	s_wait_loadcnt_dscnt 0x0
	s_barrier_signal -1
	s_barrier_wait -1
	global_inv scope:SCOPE_SE
	ds_load_b32 v1, v1 offset:4108
	s_mov_b32 s3, exec_lo
	s_wait_dscnt 0x0
	v_min_i32_e32 v1, s36, v1
	s_delay_alu instid0(VALU_DEP_1)
	v_cmpx_lt_i32_e64 v0, v1
	s_cbranch_execz .LBB25_250
; %bb.241:
	s_mov_b32 s4, 0
                                        ; implicit-def: $sgpr5
                                        ; implicit-def: $sgpr7
                                        ; implicit-def: $sgpr6
	s_branch .LBB25_243
.LBB25_242:                             ;   in Loop: Header=BB25_243 Depth=1
	s_wait_alu 0xfffe
	s_or_b32 exec_lo, exec_lo, s8
	s_delay_alu instid0(SALU_CYCLE_1)
	s_and_b32 s8, exec_lo, s7
	s_wait_alu 0xfffe
	s_or_b32 s4, s8, s4
	s_and_not1_b32 s5, s5, exec_lo
	s_and_b32 s8, s6, exec_lo
	s_wait_alu 0xfffe
	s_or_b32 s5, s5, s8
	s_and_not1_b32 exec_lo, exec_lo, s4
	s_cbranch_execz .LBB25_245
.LBB25_243:                             ; =>This Inner Loop Header: Depth=1
	v_ashrrev_i32_e32 v11, 31, v10
	s_or_b32 s6, s6, exec_lo
	s_or_b32 s7, s7, exec_lo
	s_delay_alu instid0(VALU_DEP_1) | instskip(NEXT) | instid1(VALU_DEP_1)
	v_lshlrev_b64_e32 v[2:3], 3, v[10:11]
	v_add_co_u32 v2, vcc_lo, s48, v2
	s_wait_alu 0xfffd
	s_delay_alu instid0(VALU_DEP_2)
	v_add_co_ci_u32_e64 v3, null, s49, v3, vcc_lo
	global_load_b64 v[2:3], v[2:3], off
	s_wait_loadcnt 0x0
	v_cmp_ne_u64_e32 vcc_lo, v[2:3], v[4:5]
	v_mov_b32_e32 v2, v0
                                        ; implicit-def: $vgpr0
	s_and_saveexec_b32 s8, vcc_lo
	s_cbranch_execz .LBB25_242
; %bb.244:                              ;   in Loop: Header=BB25_243 Depth=1
	s_delay_alu instid0(VALU_DEP_1) | instskip(SKIP_3) | instid1(VALU_DEP_2)
	v_add_nc_u32_e32 v0, s41, v2
	v_add_nc_u32_e32 v10, s65, v10
	s_and_not1_b32 s7, s7, exec_lo
	s_and_not1_b32 s6, s6, exec_lo
	v_cmp_ge_i32_e32 vcc_lo, v0, v1
	s_and_b32 s9, vcc_lo, exec_lo
	s_wait_alu 0xfffe
	s_or_b32 s7, s7, s9
	s_branch .LBB25_242
.LBB25_245:
	s_or_b32 exec_lo, exec_lo, s4
	s_wait_alu 0xfffe
	s_and_saveexec_b32 s4, s5
	s_wait_alu 0xfffe
	s_xor_b32 s4, exec_lo, s4
	s_cbranch_execz .LBB25_250
; %bb.246:
	s_mov_b32 s5, exec_lo
	s_brev_b32 s4, -2
.LBB25_247:                             ; =>This Inner Loop Header: Depth=1
	s_wait_alu 0xfffe
	s_ctz_i32_b32 s6, s5
	s_wait_alu 0xfffe
	v_readlane_b32 s7, v2, s6
	s_lshl_b32 s6, 1, s6
	s_wait_alu 0xfffe
	s_and_not1_b32 s5, s5, s6
	s_min_i32 s4, s4, s7
	s_wait_alu 0xfffe
	s_cmp_lg_u32 s5, 0
	s_cbranch_scc1 .LBB25_247
; %bb.248:
	v_mbcnt_lo_u32_b32 v0, exec_lo, 0
	s_mov_b32 s5, exec_lo
	s_delay_alu instid0(VALU_DEP_1)
	v_cmpx_eq_u32_e32 0, v0
	s_wait_alu 0xfffe
	s_xor_b32 s5, exec_lo, s5
; %bb.249:
	v_dual_mov_b32 v0, 0 :: v_dual_mov_b32 v1, s4
	ds_min_i32 v0, v1 offset:4108
.LBB25_250:
	s_wait_alu 0xfffe
	s_or_b32 exec_lo, exec_lo, s3
	s_wait_loadcnt_dscnt 0x0
	s_barrier_signal -1
	s_barrier_wait -1
	global_inv scope:SCOPE_SE
	s_and_saveexec_b32 s3, s2
	s_cbranch_execz .LBB25_252
; %bb.251:
	s_mul_i32 s2, s47, s60
	s_xor_b32 s4, s61, s63
	s_wait_alu 0xfffe
	s_sub_co_i32 s2, s40, s2
	s_add_co_i32 s5, s47, 1
	s_wait_alu 0xfffe
	s_sub_co_i32 s6, s2, s60
	s_cmp_ge_u32 s2, s60
	v_mov_b32_e32 v2, 0
	s_cselect_b32 s5, s5, s47
	s_wait_alu 0xfffe
	s_cselect_b32 s2, s6, s2
	s_add_co_i32 s6, s5, 1
	s_wait_alu 0xfffe
	s_cmp_ge_u32 s2, s60
	s_mul_i32 s2, s29, s59
	s_cselect_b32 s5, s6, s5
	s_wait_alu 0xfffe
	s_sub_co_i32 s2, s40, s2
	s_xor_b32 s5, s5, s4
	s_xor_b32 s6, s61, s62
	s_wait_alu 0xfffe
	s_sub_co_i32 s4, s5, s4
	s_add_co_i32 s7, s29, 1
	s_wait_alu 0xfffe
	s_mul_i32 s5, s4, s58
	s_mul_i32 s4, s4, s30
	s_wait_alu 0xfffe
	s_sub_co_i32 s5, s33, s5
	s_sub_co_i32 s8, s2, s59
	s_wait_alu 0xfffe
	s_mul_i32 s5, s5, s31
	ds_load_b32 v0, v2 offset:4108
	s_wait_alu 0xfffe
	s_add_co_i32 s4, s4, s5
	s_cmp_ge_u32 s2, s59
	s_cselect_b32 s5, s7, s29
	s_cselect_b32 s2, s8, s2
	s_wait_alu 0xfffe
	s_add_co_i32 s7, s5, 1
	s_cmp_ge_u32 s2, s59
	s_wait_alu 0xfffe
	s_cselect_b32 s2, s7, s5
	s_wait_alu 0xfffe
	s_xor_b32 s2, s2, s6
	s_wait_alu 0xfffe
	s_sub_co_i32 s2, s2, s6
	s_wait_alu 0xfffe
	s_mul_i32 s5, s2, s38
	s_mul_i32 s2, s2, s34
	s_wait_alu 0xfffe
	s_sub_co_i32 s5, s33, s5
	s_wait_alu 0xfffe
	s_mul_i32 s5, s5, s35
	s_wait_dscnt 0x0
	v_ashrrev_i32_e32 v1, 31, v0
	s_wait_alu 0xfffe
	s_add_co_i32 s6, s2, s5
	s_ashr_i32 s5, s4, 31
	s_wait_alu 0xfffe
	s_ashr_i32 s7, s6, 31
	s_lshl_b64 s[4:5], s[4:5], 3
	s_wait_alu 0xfffe
	s_lshl_b64 s[6:7], s[6:7], 3
	s_add_nc_u64 s[4:5], s[44:45], s[4:5]
	s_wait_alu 0xfffe
	s_add_nc_u64 s[6:7], s[42:43], s[6:7]
	s_clause 0x1
	global_store_b64 v2, v[0:1], s[6:7]
	global_store_b64 v2, v[4:5], s[4:5]
.LBB25_252:
	s_wait_alu 0xfffe
	s_or_b32 exec_lo, exec_lo, s3
.LBB25_253:
	s_wait_alu 0xfffe
	s_or_saveexec_b32 s1, s1
	s_mov_b32 s2, 0
	s_wait_alu 0xfffe
	s_xor_b32 exec_lo, exec_lo, s1
	s_cbranch_execnz .LBB25_256
.LBB25_254:
	s_or_b32 exec_lo, exec_lo, s1
	s_wait_alu 0xfffe
	s_and_b32 s1, s2, exec_lo
	s_and_not1_saveexec_b32 s0, s0
	s_cbranch_execz .LBB25_232
.LBB25_255:
	s_wait_alu 0xfffe
	s_or_b32 s1, s1, exec_lo
	s_trap 2
	s_or_b32 exec_lo, exec_lo, s0
	s_wait_alu 0xfffe
	s_and_saveexec_b32 s0, s1
	s_cbranch_execnz .LBB25_233
	s_branch .LBB25_234
.LBB25_256:
	s_mov_b32 s2, exec_lo
	s_trap 2
	s_branch .LBB25_254
	.section	.rodata,"a",@progbits
	.p2align	6, 0x0
	.amdhsa_kernel _ZN2at6native12_GLOBAL__N_114gatherKthValueIliLi2EEEvNS_4cuda6detail10TensorInfoIKT_T0_EES8_S8_S8_S8_NS5_IS6_S8_EENS5_IlS8_EE
		.amdhsa_group_segment_fixed_size 4112
		.amdhsa_private_segment_fixed_size 0
		.amdhsa_kernarg_size 920
		.amdhsa_user_sgpr_count 2
		.amdhsa_user_sgpr_dispatch_ptr 0
		.amdhsa_user_sgpr_queue_ptr 0
		.amdhsa_user_sgpr_kernarg_segment_ptr 1
		.amdhsa_user_sgpr_dispatch_id 0
		.amdhsa_user_sgpr_private_segment_size 0
		.amdhsa_wavefront_size32 1
		.amdhsa_uses_dynamic_stack 0
		.amdhsa_enable_private_segment 0
		.amdhsa_system_sgpr_workgroup_id_x 1
		.amdhsa_system_sgpr_workgroup_id_y 1
		.amdhsa_system_sgpr_workgroup_id_z 1
		.amdhsa_system_sgpr_workgroup_info 0
		.amdhsa_system_vgpr_workitem_id 0
		.amdhsa_next_free_vgpr 55
		.amdhsa_next_free_sgpr 92
		.amdhsa_reserve_vcc 1
		.amdhsa_float_round_mode_32 0
		.amdhsa_float_round_mode_16_64 0
		.amdhsa_float_denorm_mode_32 3
		.amdhsa_float_denorm_mode_16_64 3
		.amdhsa_fp16_overflow 0
		.amdhsa_workgroup_processor_mode 1
		.amdhsa_memory_ordered 1
		.amdhsa_forward_progress 1
		.amdhsa_inst_pref_size 90
		.amdhsa_round_robin_scheduling 0
		.amdhsa_exception_fp_ieee_invalid_op 0
		.amdhsa_exception_fp_denorm_src 0
		.amdhsa_exception_fp_ieee_div_zero 0
		.amdhsa_exception_fp_ieee_overflow 0
		.amdhsa_exception_fp_ieee_underflow 0
		.amdhsa_exception_fp_ieee_inexact 0
		.amdhsa_exception_int_div_zero 0
	.end_amdhsa_kernel
	.section	.text._ZN2at6native12_GLOBAL__N_114gatherKthValueIliLi2EEEvNS_4cuda6detail10TensorInfoIKT_T0_EES8_S8_S8_S8_NS5_IS6_S8_EENS5_IlS8_EE,"axG",@progbits,_ZN2at6native12_GLOBAL__N_114gatherKthValueIliLi2EEEvNS_4cuda6detail10TensorInfoIKT_T0_EES8_S8_S8_S8_NS5_IS6_S8_EENS5_IlS8_EE,comdat
.Lfunc_end25:
	.size	_ZN2at6native12_GLOBAL__N_114gatherKthValueIliLi2EEEvNS_4cuda6detail10TensorInfoIKT_T0_EES8_S8_S8_S8_NS5_IS6_S8_EENS5_IlS8_EE, .Lfunc_end25-_ZN2at6native12_GLOBAL__N_114gatherKthValueIliLi2EEEvNS_4cuda6detail10TensorInfoIKT_T0_EES8_S8_S8_S8_NS5_IS6_S8_EENS5_IlS8_EE
                                        ; -- End function
	.set _ZN2at6native12_GLOBAL__N_114gatherKthValueIliLi2EEEvNS_4cuda6detail10TensorInfoIKT_T0_EES8_S8_S8_S8_NS5_IS6_S8_EENS5_IlS8_EE.num_vgpr, 55
	.set _ZN2at6native12_GLOBAL__N_114gatherKthValueIliLi2EEEvNS_4cuda6detail10TensorInfoIKT_T0_EES8_S8_S8_S8_NS5_IS6_S8_EENS5_IlS8_EE.num_agpr, 0
	.set _ZN2at6native12_GLOBAL__N_114gatherKthValueIliLi2EEEvNS_4cuda6detail10TensorInfoIKT_T0_EES8_S8_S8_S8_NS5_IS6_S8_EENS5_IlS8_EE.numbered_sgpr, 92
	.set _ZN2at6native12_GLOBAL__N_114gatherKthValueIliLi2EEEvNS_4cuda6detail10TensorInfoIKT_T0_EES8_S8_S8_S8_NS5_IS6_S8_EENS5_IlS8_EE.num_named_barrier, 0
	.set _ZN2at6native12_GLOBAL__N_114gatherKthValueIliLi2EEEvNS_4cuda6detail10TensorInfoIKT_T0_EES8_S8_S8_S8_NS5_IS6_S8_EENS5_IlS8_EE.private_seg_size, 0
	.set _ZN2at6native12_GLOBAL__N_114gatherKthValueIliLi2EEEvNS_4cuda6detail10TensorInfoIKT_T0_EES8_S8_S8_S8_NS5_IS6_S8_EENS5_IlS8_EE.uses_vcc, 1
	.set _ZN2at6native12_GLOBAL__N_114gatherKthValueIliLi2EEEvNS_4cuda6detail10TensorInfoIKT_T0_EES8_S8_S8_S8_NS5_IS6_S8_EENS5_IlS8_EE.uses_flat_scratch, 0
	.set _ZN2at6native12_GLOBAL__N_114gatherKthValueIliLi2EEEvNS_4cuda6detail10TensorInfoIKT_T0_EES8_S8_S8_S8_NS5_IS6_S8_EENS5_IlS8_EE.has_dyn_sized_stack, 0
	.set _ZN2at6native12_GLOBAL__N_114gatherKthValueIliLi2EEEvNS_4cuda6detail10TensorInfoIKT_T0_EES8_S8_S8_S8_NS5_IS6_S8_EENS5_IlS8_EE.has_recursion, 0
	.set _ZN2at6native12_GLOBAL__N_114gatherKthValueIliLi2EEEvNS_4cuda6detail10TensorInfoIKT_T0_EES8_S8_S8_S8_NS5_IS6_S8_EENS5_IlS8_EE.has_indirect_call, 0
	.section	.AMDGPU.csdata,"",@progbits
; Kernel info:
; codeLenInByte = 11456
; TotalNumSgprs: 94
; NumVgprs: 55
; ScratchSize: 0
; MemoryBound: 0
; FloatMode: 240
; IeeeMode: 1
; LDSByteSize: 4112 bytes/workgroup (compile time only)
; SGPRBlocks: 0
; VGPRBlocks: 6
; NumSGPRsForWavesPerEU: 94
; NumVGPRsForWavesPerEU: 55
; Occupancy: 16
; WaveLimiterHint : 1
; COMPUTE_PGM_RSRC2:SCRATCH_EN: 0
; COMPUTE_PGM_RSRC2:USER_SGPR: 2
; COMPUTE_PGM_RSRC2:TRAP_HANDLER: 0
; COMPUTE_PGM_RSRC2:TGID_X_EN: 1
; COMPUTE_PGM_RSRC2:TGID_Y_EN: 1
; COMPUTE_PGM_RSRC2:TGID_Z_EN: 1
; COMPUTE_PGM_RSRC2:TIDIG_COMP_CNT: 0
	.section	.text._ZN2at6native12_GLOBAL__N_114gatherKthValueIliLi3EEEvNS_4cuda6detail10TensorInfoIKT_T0_EES8_S8_S8_S8_NS5_IS6_S8_EENS5_IlS8_EE,"axG",@progbits,_ZN2at6native12_GLOBAL__N_114gatherKthValueIliLi3EEEvNS_4cuda6detail10TensorInfoIKT_T0_EES8_S8_S8_S8_NS5_IS6_S8_EENS5_IlS8_EE,comdat
	.globl	_ZN2at6native12_GLOBAL__N_114gatherKthValueIliLi3EEEvNS_4cuda6detail10TensorInfoIKT_T0_EES8_S8_S8_S8_NS5_IS6_S8_EENS5_IlS8_EE ; -- Begin function _ZN2at6native12_GLOBAL__N_114gatherKthValueIliLi3EEEvNS_4cuda6detail10TensorInfoIKT_T0_EES8_S8_S8_S8_NS5_IS6_S8_EENS5_IlS8_EE
	.p2align	8
	.type	_ZN2at6native12_GLOBAL__N_114gatherKthValueIliLi3EEEvNS_4cuda6detail10TensorInfoIKT_T0_EES8_S8_S8_S8_NS5_IS6_S8_EENS5_IlS8_EE,@function
_ZN2at6native12_GLOBAL__N_114gatherKthValueIliLi3EEEvNS_4cuda6detail10TensorInfoIKT_T0_EES8_S8_S8_S8_NS5_IS6_S8_EENS5_IlS8_EE: ; @_ZN2at6native12_GLOBAL__N_114gatherKthValueIliLi3EEEvNS_4cuda6detail10TensorInfoIKT_T0_EES8_S8_S8_S8_NS5_IS6_S8_EENS5_IlS8_EE
; %bb.0:
	s_clause 0x1
	s_load_b64 s[8:9], s[0:1], 0x298
	s_load_b128 s[36:39], s[0:1], 0xd8
	s_lshr_b32 s2, ttmp7, 16
	s_and_b32 s3, ttmp7, 0xffff
	s_wait_kmcnt 0x0
	s_mul_i32 s2, s9, s2
	s_delay_alu instid0(SALU_CYCLE_1) | instskip(NEXT) | instid1(SALU_CYCLE_1)
	s_add_co_i32 s2, s2, s3
	s_mul_i32 s33, s2, s8
	s_delay_alu instid0(SALU_CYCLE_1) | instskip(NEXT) | instid1(SALU_CYCLE_1)
	s_add_co_i32 s33, s33, ttmp9
	s_cmp_ge_i32 s33, s38
	s_cbranch_scc1 .LBB26_234
; %bb.1:
	s_clause 0x2
	s_load_b64 s[12:13], s[0:1], 0xc
	s_load_b64 s[30:31], s[0:1], 0xf4
	;; [unrolled: 1-line block ×3, first 2 shown]
	s_abs_i32 s10, s33
	s_ashr_i32 s11, s33, 31
	s_mov_b32 s59, 0
	s_delay_alu instid0(SALU_CYCLE_1) | instskip(SKIP_3) | instid1(SALU_CYCLE_1)
	s_mov_b32 s49, s59
	s_mov_b32 s51, s59
	s_wait_kmcnt 0x0
	s_abs_i32 s2, s13
	s_cvt_f32_u32 s3, s2
	s_sub_co_i32 s4, 0, s2
	s_delay_alu instid0(SALU_CYCLE_2) | instskip(NEXT) | instid1(TRANS32_DEP_1)
	v_rcp_iflag_f32_e32 v1, s3
	v_readfirstlane_b32 s3, v1
	s_mul_f32 s3, s3, 0x4f7ffffe
	s_wait_alu 0xfffe
	s_delay_alu instid0(SALU_CYCLE_2) | instskip(SKIP_1) | instid1(SALU_CYCLE_2)
	s_cvt_u32_f32 s3, s3
	s_wait_alu 0xfffe
	s_mul_i32 s4, s4, s3
	s_delay_alu instid0(SALU_CYCLE_1) | instskip(NEXT) | instid1(SALU_CYCLE_1)
	s_mul_hi_u32 s4, s3, s4
	s_add_co_i32 s3, s3, s4
	s_ashr_i32 s4, s13, 31
	s_wait_alu 0xfffe
	s_mul_hi_u32 s3, s10, s3
	s_xor_b32 s7, s11, s4
	s_wait_alu 0xfffe
	s_mul_i32 s5, s3, s2
	s_delay_alu instid0(SALU_CYCLE_1)
	s_sub_co_i32 s4, s10, s5
	s_add_co_i32 s5, s3, 1
	s_sub_co_i32 s6, s4, s2
	s_cmp_ge_u32 s4, s2
	s_cselect_b32 s3, s5, s3
	s_cselect_b32 s4, s6, s4
	s_wait_alu 0xfffe
	s_add_co_i32 s9, s3, 1
	s_cmp_ge_u32 s4, s2
	s_load_b96 s[4:6], s[0:1], 0x6c
	s_cselect_b32 s2, s9, s3
	s_abs_i32 s3, s31
	s_abs_i32 s9, s12
	s_wait_alu 0xfffe
	s_cvt_f32_u32 s14, s3
	s_cvt_f32_u32 s15, s9
	s_xor_b32 s2, s2, s7
	s_sub_co_i32 s17, 0, s9
	v_rcp_iflag_f32_e32 v1, s14
	v_rcp_iflag_f32_e32 v2, s15
	s_ashr_i32 s15, s31, 31
	s_wait_alu 0xfffe
	s_sub_co_i32 s7, s2, s7
	s_xor_b32 s18, s11, s15
	s_sub_co_i32 s15, 0, s3
	s_ashr_i32 s20, s12, 31
	s_ashr_i32 s21, s7, 31
	s_delay_alu instid0(TRANS32_DEP_2) | instskip(NEXT) | instid1(TRANS32_DEP_1)
	v_readfirstlane_b32 s14, v1
	v_readfirstlane_b32 s16, v2
	s_mul_f32 s14, s14, 0x4f7ffffe
	s_wait_alu 0xfffe
	s_delay_alu instid0(SALU_CYCLE_2) | instskip(SKIP_2) | instid1(SALU_CYCLE_1)
	s_cvt_u32_f32 s2, s14
	s_mul_f32 s14, s16, 0x4f7ffffe
	s_wait_alu 0xfffe
	s_mul_i32 s15, s15, s2
	s_delay_alu instid0(SALU_CYCLE_1)
	s_cvt_u32_f32 s16, s14
	s_wait_alu 0xfffe
	s_mul_hi_u32 s15, s2, s15
	s_abs_i32 s14, s7
	s_wait_alu 0xfffe
	s_add_co_i32 s2, s2, s15
	s_mul_i32 s17, s17, s16
	s_wait_alu 0xfffe
	s_mul_hi_u32 s2, s10, s2
	s_mul_hi_u32 s15, s16, s17
	s_wait_alu 0xfffe
	s_mul_i32 s17, s2, s3
	s_add_co_i32 s58, s16, s15
	s_sub_co_i32 s15, s10, s17
	s_add_co_i32 s16, s2, 1
	s_wait_alu 0xfffe
	s_sub_co_i32 s17, s15, s3
	s_cmp_ge_u32 s15, s3
	s_cselect_b32 s2, s16, s2
	s_cselect_b32 s15, s17, s15
	s_wait_alu 0xfffe
	s_add_co_i32 s16, s2, 1
	s_cmp_ge_u32 s15, s3
	s_mov_b32 s15, s59
	s_cselect_b32 s16, s16, s2
	s_abs_i32 s17, s35
	s_abs_i32 s68, s30
	s_cvt_f32_u32 s2, s17
	s_cvt_f32_u32 s3, s68
	s_xor_b32 s16, s16, s18
	s_sub_co_i32 s22, 0, s68
	s_wait_alu 0xfffe
	v_rcp_iflag_f32_e32 v1, s2
	v_rcp_iflag_f32_e32 v2, s3
	s_mul_u64 s[2:3], s[14:15], s[58:59]
	s_ashr_i32 s2, s35, 31
	s_sub_co_i32 s43, s16, s18
	s_wait_alu 0xfffe
	s_xor_b32 s23, s11, s2
	s_abs_i32 s48, s43
	s_delay_alu instid0(TRANS32_DEP_2) | instskip(NEXT) | instid1(TRANS32_DEP_1)
	v_readfirstlane_b32 s19, v1
	v_readfirstlane_b32 s15, v2
	s_mul_f32 s19, s19, 0x4f7ffffe
	s_mul_f32 s11, s15, 0x4f7ffffe
	s_sub_co_i32 s15, 0, s17
	s_delay_alu instid0(SALU_CYCLE_1) | instskip(NEXT) | instid1(SALU_CYCLE_1)
	s_cvt_u32_f32 s2, s19
	s_cvt_u32_f32 s11, s11
	s_wait_alu 0xfffe
	s_delay_alu instid0(SALU_CYCLE_1) | instskip(NEXT) | instid1(SALU_CYCLE_1)
	s_mul_i32 s15, s15, s2
	s_mul_i32 s22, s22, s11
	s_wait_alu 0xfffe
	s_mul_hi_u32 s15, s2, s15
	s_wait_alu 0xfffe
	s_add_co_i32 s2, s2, s15
	s_mul_hi_u32 s15, s11, s22
	s_wait_alu 0xfffe
	s_mul_hi_u32 s2, s10, s2
	s_add_co_i32 s58, s11, s15
	s_wait_alu 0xfffe
	s_mul_i32 s16, s2, s17
	s_add_co_i32 s11, s2, 1
	s_sub_co_i32 s10, s10, s16
	s_delay_alu instid0(SALU_CYCLE_1)
	s_sub_co_i32 s15, s10, s17
	s_cmp_ge_u32 s10, s17
	s_cselect_b32 s2, s11, s2
	s_wait_alu 0xfffe
	s_cselect_b32 s10, s15, s10
	s_add_co_i32 s11, s2, 1
	s_cmp_ge_u32 s10, s17
	s_load_b64 s[16:17], s[0:1], 0x0
	s_cselect_b32 s15, s11, s2
	s_abs_i32 s38, s34
	s_wait_alu 0xfffe
	s_xor_b32 s15, s15, s23
	s_cvt_f32_u32 s2, s38
	s_sub_co_i32 s19, 0, s38
	s_wait_alu 0xfffe
	s_sub_co_i32 s47, s15, s23
	s_add_nc_u64 s[10:11], s[0:1], 0x298
	v_rcp_iflag_f32_e32 v1, s2
	s_abs_i32 s50, s47
	s_delay_alu instid0(TRANS32_DEP_1) | instskip(SKIP_2) | instid1(SALU_CYCLE_2)
	v_readfirstlane_b32 s2, v1
	s_mul_f32 s18, s2, 0x4f7ffffe
	v_cmp_eq_u32_e64 s2, 0, v0
	s_cvt_u32_f32 s18, s18
	s_delay_alu instid0(SALU_CYCLE_3) | instskip(NEXT) | instid1(SALU_CYCLE_1)
	s_mul_i32 s19, s19, s18
	s_mul_hi_u32 s15, s18, s19
	s_mov_b32 s19, s59
	s_wait_alu 0xfffe
	s_add_co_i32 s18, s18, s15
	s_and_saveexec_b32 s15, s2
; %bb.2:
	v_dual_mov_b32 v1, 0 :: v_dual_mov_b32 v2, s36
	s_delay_alu instid0(VALU_DEP_1)
	v_mov_b32_e32 v3, v1
	ds_store_b96 v1, v[1:3] offset:4096
; %bb.3:
	s_wait_alu 0xfffe
	s_or_b32 exec_lo, exec_lo, s15
	s_mul_i32 s15, s3, s9
	s_mul_i32 s13, s7, s13
	s_wait_alu 0xfffe
	s_sub_co_i32 s14, s14, s15
	s_ashr_i32 s71, s43, 31
	s_ashr_i32 s72, s30, 31
	;; [unrolled: 1-line block ×4, first 2 shown]
	s_sub_co_i32 s13, s33, s13
	s_xor_b32 s20, s21, s20
	s_add_co_i32 s15, s3, 1
	s_wait_alu 0xfffe
	s_sub_co_i32 s21, s14, s9
	s_cmp_ge_u32 s14, s9
	s_wait_dscnt 0x0
	s_cselect_b32 s3, s15, s3
	s_cselect_b32 s14, s21, s14
	s_wait_alu 0xfffe
	s_add_co_i32 s15, s3, 1
	s_cmp_ge_u32 s14, s9
	s_barrier_signal -1
	s_barrier_wait -1
	global_inv scope:SCOPE_SE
	s_load_b32 s9, s[10:11], 0xc
	s_cselect_b32 s3, s15, s3
	s_wait_kmcnt 0x0
	s_mul_i32 s13, s13, s6
	s_wait_alu 0xfffe
	s_xor_b32 s3, s3, s20
	s_clause 0x1
	s_load_b96 s[40:42], s[0:1], 0x22c
	s_load_b64 s[52:53], s[0:1], 0x1c0
	s_sub_co_i32 s3, s3, s20
	s_clause 0x1
	s_load_b96 s[44:46], s[0:1], 0x154
	s_load_b64 s[54:55], s[0:1], 0xe8
	s_mul_i32 s12, s3, s12
	s_mul_i32 s3, s3, s4
	s_sub_co_i32 s7, s7, s12
	s_mul_u64 s[56:57], s[48:49], s[58:59]
	s_mul_i32 s5, s7, s5
	s_mul_u64 s[28:29], s[50:51], s[18:19]
	s_add_co_i32 s5, s5, s13
	v_mbcnt_lo_u32_b32 v26, -1, 0
	s_wait_alu 0xfffe
	s_add_co_i32 s0, s5, s3
	v_cmp_gt_u32_e32 vcc_lo, 32, v0
	s_ashr_i32 s1, s0, 31
	v_dual_mov_b32 v12, 0 :: v_dual_lshlrev_b32 v27, 2, v0
	s_and_b32 s49, s9, 0xffff
	s_lshl_b64 s[0:1], s[0:1], 3
	s_lshl_b32 s51, s49, 2
	s_add_nc_u64 s[60:61], s[16:17], s[0:1]
	s_cvt_f32_u32 s1, s51
	v_cmp_gt_i32_e64 s0, 4, v26
	s_add_co_i32 s56, s49, -1
	s_bfe_u32 s3, s9, 0xb0005
	v_rcp_iflag_f32_e32 v1, s1
	s_add_co_i32 s82, s56, s36
	s_and_b32 s74, vcc_lo, s0
	s_cmp_gt_i32 s36, 0x180
	v_mul_lo_u32 v10, s39, v0
	s_cselect_b32 s75, -1, 0
	s_cmp_gt_u32 s49, 31
	v_dual_mov_b32 v11, v12 :: v_dual_lshlrev_b32 v28, 3, v0
	s_cselect_b32 s76, -1, 0
	s_cmp_lt_u32 ttmp9, s8
	v_readfirstlane_b32 s5, v1
	s_cselect_b32 s58, 12, 18
	s_wait_alu 0xfffe
	s_add_co_i32 s4, s3, -1
	s_bfe_u32 s77, s49, 0x30005
	s_and_b32 s4, s4, 0xffff
	v_lshlrev_b64_e32 v[1:2], 3, v[10:11]
	s_cmp_gt_u32 s4, 6
	s_mul_f32 s4, s5, 0x4f7ffffe
	s_cselect_b32 s78, -1, 0
	s_and_b32 s79, s3, 0x7f8
	s_cmp_lg_u32 s77, 0
	s_cvt_u32_f32 s3, s4
	s_cselect_b32 s80, -1, 0
	s_sub_co_i32 s4, 0, s51
	v_add_co_u32 v13, vcc_lo, s60, v1
	s_wait_alu 0xfffe
	s_mul_i32 s4, s4, s3
	v_add_co_ci_u32_e64 v14, null, s61, v2, vcc_lo
	s_mul_hi_u32 s4, s3, s4
	v_lshlrev_b64_e64 v[1:2], v26, -1
	s_add_co_i32 s62, s3, s4
	s_cvt_f32_u32 s3, s49
	s_mul_hi_u32 s4, s36, s62
	v_dual_mov_b32 v4, 0 :: v_dual_add_nc_u32 v29, 0xc00, v28
	s_mul_i32 s4, s4, s51
	s_wait_alu 0xfffe
	v_rcp_iflag_f32_e32 v3, s3
	s_sub_co_i32 s4, s36, s4
	v_not_b32_e32 v31, v1
	s_sub_co_i32 s5, s4, s51
	s_cmp_ge_u32 s4, s51
	v_mov_b32_e32 v5, 0
	s_cselect_b32 s4, s5, s4
	v_lshrrev_b32_e32 v2, 1, v0
	s_sub_co_i32 s6, s4, s51
	s_cmp_ge_u32 s4, s51
	v_readfirstlane_b32 s5, v3
	s_cselect_b32 s9, s6, s4
	s_sub_co_i32 s6, 0, s49
	s_sub_co_i32 s81, s36, s9
	s_abs_i32 s7, s82
	s_mul_f32 s5, s5, 0x4f7ffffe
	v_add_nc_u32_e32 v30, s81, v0
	v_or_b32_e32 v3, 3, v27
	s_mov_b32 s12, s39
	s_cvt_u32_f32 s5, s5
	v_mad_co_u64_u32 v[17:18], null, s39, v27, s[12:13]
	v_mul_lo_u32 v1, v30, s39
	s_delay_alu instid0(SALU_CYCLE_1)
	s_mul_i32 s6, s6, s5
	v_mul_lo_u32 v34, s39, v3
	s_mul_hi_u32 s6, s5, s6
	v_dual_mov_b32 v18, 0 :: v_dual_lshlrev_b32 v37, 5, v0
	s_add_co_i32 s64, s5, s6
	s_movk_i32 s5, 0x1f0
	s_mul_hi_u32 s6, s7, s64
	v_and_or_b32 v32, v2, s5, 0xc00
	v_ashrrev_i32_e32 v2, 31, v1
	s_mul_i32 s6, s6, s49
	v_mov_b32_e32 v20, 0
	s_sub_co_i32 s5, s7, s6
	s_ashr_i32 s7, s82, 31
	v_lshlrev_b64_e32 v[1:2], 3, v[1:2]
	s_wait_alu 0xfffe
	s_sub_co_i32 s6, s5, s49
	s_cmp_ge_u32 s5, s49
	v_cmp_eq_u32_e64 s0, 0, v26
	s_cselect_b32 s6, s6, s5
	v_cmp_gt_u32_e64 s1, 2, v0
	v_add_co_u32 v15, vcc_lo, s60, v1
	v_add3_u32 v1, s49, s36, v0
	s_sub_co_i32 s8, s6, s49
	s_cmp_ge_u32 s6, s49
	s_wait_alu 0xfffd
	v_add_co_ci_u32_e64 v16, null, s61, v2, vcc_lo
	s_cselect_b32 s8, s8, s6
	v_or_b32_e32 v2, 2, v27
	v_subrev_nc_u32_e32 v1, s9, v1
	s_xor_b32 s8, s8, s7
	v_cmp_gt_u32_e64 s3, s36, v0
	s_wait_alu 0xfffe
	s_sub_co_i32 s8, s7, s8
	v_mul_lo_u32 v33, s39, v2
	v_mul_lo_u32 v36, s39, v1
	s_wait_alu 0xfffe
	s_add_co_i32 s82, s82, s8
	v_mov_b32_e32 v1, 1
	v_cmp_gt_i32_e64 s4, s36, v0
	v_cmp_gt_i32_e64 s5, s81, v27
	v_cmp_gt_u32_e64 s6, s36, v30
	v_cmp_gt_i32_e64 s7, s36, v30
	v_cmp_gt_i32_e64 s8, s82, v0
	v_dual_mov_b32 v40, s37 :: v_dual_lshlrev_b32 v35, 2, v10
	v_lshl_or_b32 v38, v26, 2, 0xc00
	v_mov_b32_e32 v19, 0
	v_mov_b32_e32 v21, 0
	;; [unrolled: 1-line block ×3, first 2 shown]
	s_mul_i32 s73, s39, s49
	s_mov_b32 s63, s59
	s_mov_b32 s65, s59
	s_lshl_b32 s83, s73, 2
	s_lshl_b32 s84, s49, 5
	;; [unrolled: 1-line block ×3, first 2 shown]
	s_mov_b32 s92, 62
	s_add_nc_u64 s[66:67], s[10:11], s[58:59]
	s_mov_b32 s37, s59
                                        ; implicit-def: $sgpr89
                                        ; implicit-def: $sgpr91
                                        ; implicit-def: $sgpr86
                                        ; implicit-def: $sgpr88
                                        ; implicit-def: $sgpr90
                                        ; implicit-def: $sgpr87
	s_branch .LBB26_7
.LBB26_4:                               ;   in Loop: Header=BB26_7 Depth=1
	s_wait_alu 0xfffe
	s_or_b32 exec_lo, exec_lo, s12
	s_delay_alu instid0(SALU_CYCLE_1)
	s_and_b32 s10, s10, exec_lo
	s_and_not1_b32 s18, s18, exec_lo
	s_and_not1_b32 s17, s17, exec_lo
	s_or_not1_b32 s15, s11, exec_lo
.LBB26_5:                               ;   in Loop: Header=BB26_7 Depth=1
	s_wait_alu 0xfffe
	s_or_b32 exec_lo, exec_lo, s9
	s_delay_alu instid0(SALU_CYCLE_1)
	s_and_not1_b32 s9, s87, exec_lo
	s_and_b32 s10, s10, exec_lo
	s_and_not1_b32 s11, s88, exec_lo
	s_wait_alu 0xfffe
	s_or_b32 s87, s9, s10
	s_and_not1_b32 s9, s90, exec_lo
	s_and_b32 s10, s18, exec_lo
	s_and_b32 s12, s17, exec_lo
	s_wait_alu 0xfffe
	s_or_b32 s90, s9, s10
	s_or_b32 s88, s11, s12
	s_or_not1_b32 s16, s15, exec_lo
.LBB26_6:                               ;   in Loop: Header=BB26_7 Depth=1
	s_wait_alu 0xfffe
	s_or_b32 exec_lo, exec_lo, s14
	s_delay_alu instid0(SALU_CYCLE_1)
	s_and_b32 s9, exec_lo, s16
	v_mov_b32_e32 v40, v9
	s_wait_alu 0xfffe
	s_or_b32 s37, s9, s37
	s_and_not1_b32 s9, s86, exec_lo
	s_and_b32 s10, s87, exec_lo
	s_and_not1_b32 s11, s91, exec_lo
	s_wait_alu 0xfffe
	s_or_b32 s86, s9, s10
	s_and_b32 s9, s90, exec_lo
	s_and_not1_b32 s10, s89, exec_lo
	s_and_b32 s12, s88, exec_lo
	s_wait_alu 0xfffe
	s_or_b32 s91, s11, s9
	s_or_b32 s89, s10, s12
	s_mov_b32 s92, s23
	s_and_not1_b32 exec_lo, exec_lo, s37
	s_cbranch_execz .LBB26_230
.LBB26_7:                               ; =>This Loop Header: Depth=1
                                        ;     Child Loop BB26_13 Depth 2
                                        ;     Child Loop BB26_28 Depth 2
	;; [unrolled: 1-line block ×16, first 2 shown]
	ds_load_b64 v[2:3], v12 offset:4096
	s_wait_dscnt 0x0
	v_readfirstlane_b32 s58, v2
	s_cmp_gt_i32 s58, 0
	s_cbranch_scc1 .LBB26_35
; %bb.8:                                ;   in Loop: Header=BB26_7 Depth=1
	s_and_b32 vcc_lo, exec_lo, s75
	s_wait_alu 0xfffe
	s_cbranch_vccz .LBB26_21
; %bb.9:                                ;   in Loop: Header=BB26_7 Depth=1
	v_cmp_gt_i32_e32 vcc_lo, 0x181, v3
	s_mov_b32 s10, 0
	s_mov_b32 s9, 0
	s_cbranch_vccz .LBB26_22
; %bb.10:                               ;   in Loop: Header=BB26_7 Depth=1
	s_and_saveexec_b32 s11, s3
	s_cbranch_execz .LBB26_67
; %bb.11:                               ;   in Loop: Header=BB26_7 Depth=1
	global_load_b64 v[2:3], v[13:14], off
	s_load_u16 s12, s[66:67], 0x0
	v_mov_b32_e32 v8, v0
	s_mov_b32 s14, 0
	s_wait_kmcnt 0x0
	v_add_nc_u32_e32 v6, s12, v0
	s_mul_i32 s13, s39, s12
	s_delay_alu instid0(VALU_DEP_1)
	v_mul_lo_u32 v11, s39, v6
	s_branch .LBB26_13
.LBB26_12:                              ;   in Loop: Header=BB26_13 Depth=2
	s_wait_alu 0xfffe
	s_or_b32 exec_lo, exec_lo, s9
	v_cmp_le_i32_e32 vcc_lo, s36, v8
	v_dual_mov_b32 v2, v6 :: v_dual_add_nc_u32 v11, s13, v11
	v_mov_b32_e32 v3, v7
	s_or_b32 s14, vcc_lo, s14
	s_wait_alu 0xfffe
	s_and_not1_b32 exec_lo, exec_lo, s14
	s_cbranch_execz .LBB26_67
.LBB26_13:                              ;   Parent Loop BB26_7 Depth=1
                                        ; =>  This Inner Loop Header: Depth=2
	v_mov_b32_e32 v6, 0
	v_dual_mov_b32 v7, 0 :: v_dual_add_nc_u32 v8, s12, v8
	s_mov_b32 s9, exec_lo
	s_delay_alu instid0(VALU_DEP_1)
	v_cmpx_gt_u32_e64 s36, v8
	s_cbranch_execz .LBB26_15
; %bb.14:                               ;   in Loop: Header=BB26_13 Depth=2
	s_delay_alu instid0(VALU_DEP_4) | instskip(NEXT) | instid1(VALU_DEP_1)
	v_lshlrev_b64_e32 v[6:7], 3, v[11:12]
	v_add_co_u32 v6, vcc_lo, s60, v6
	s_wait_alu 0xfffd
	s_delay_alu instid0(VALU_DEP_2)
	v_add_co_ci_u32_e64 v7, null, s61, v7, vcc_lo
	global_load_b64 v[6:7], v[6:7], off
.LBB26_15:                              ;   in Loop: Header=BB26_13 Depth=2
	s_wait_alu 0xfffe
	s_or_b32 exec_lo, exec_lo, s9
	s_wait_loadcnt_dscnt 0x0
	v_xor_b32_e32 v9, 0x80000000, v3
	v_and_b32_e32 v22, v2, v20
	s_delay_alu instid0(VALU_DEP_2) | instskip(SKIP_1) | instid1(VALU_DEP_2)
	v_and_b32_e32 v23, v9, v21
	v_mov_b32_e32 v9, 0
	v_cmp_eq_u64_e32 vcc_lo, v[22:23], v[18:19]
	s_cmp_lg_u32 vcc_lo, 0
	s_cselect_b32 s9, -1, 0
	s_wait_alu 0xfffe
	s_and_b32 s9, s0, s9
	s_wait_alu 0xfffe
	s_and_saveexec_b32 s15, s9
	s_cbranch_execz .LBB26_19
; %bb.16:                               ;   in Loop: Header=BB26_13 Depth=2
	s_mov_b32 s18, exec_lo
	s_bcnt1_i32_b32 s16, vcc_lo
	s_wait_alu 0xfffe
	v_mbcnt_lo_u32_b32 v9, s18, 0
	s_mov_b32 s17, exec_lo
                                        ; implicit-def: $vgpr22
	s_delay_alu instid0(VALU_DEP_1)
	v_cmpx_eq_u32_e32 0, v9
; %bb.17:                               ;   in Loop: Header=BB26_13 Depth=2
	s_bcnt1_i32_b32 s9, s18
	s_wait_alu 0xfffe
	s_mul_i32 s9, s16, s9
	s_wait_alu 0xfffe
	v_mov_b32_e32 v22, s9
	ds_add_rtn_u32 v22, v12, v22 offset:4104
; %bb.18:                               ;   in Loop: Header=BB26_13 Depth=2
	s_or_b32 exec_lo, exec_lo, s17
	s_wait_dscnt 0x0
	v_readfirstlane_b32 s9, v22
	s_wait_alu 0xf1ff
	s_delay_alu instid0(VALU_DEP_1)
	v_mad_u32_u24 v9, s16, v9, s9
.LBB26_19:                              ;   in Loop: Header=BB26_13 Depth=2
	s_wait_alu 0xfffe
	s_or_b32 exec_lo, exec_lo, s15
	ds_bpermute_b32 v9, v12, v9
	s_and_saveexec_b32 s9, vcc_lo
	s_cbranch_execz .LBB26_12
; %bb.20:                               ;   in Loop: Header=BB26_13 Depth=2
	v_and_b32_e32 v22, vcc_lo, v31
	s_delay_alu instid0(VALU_DEP_1) | instskip(NEXT) | instid1(VALU_DEP_1)
	v_bcnt_u32_b32 v22, v22, 0
	v_lshlrev_b32_e32 v22, 3, v22
	s_wait_dscnt 0x0
	s_delay_alu instid0(VALU_DEP_1)
	v_lshl_add_u32 v9, v9, 3, v22
	ds_store_b64 v9, v[2:3]
	s_branch .LBB26_12
.LBB26_21:                              ;   in Loop: Header=BB26_7 Depth=1
	s_mov_b32 s10, -1
	s_mov_b32 s9, 0
.LBB26_22:                              ;   in Loop: Header=BB26_7 Depth=1
	s_wait_alu 0xfffe
	s_and_b32 vcc_lo, exec_lo, s10
	s_wait_alu 0xfffe
	s_cbranch_vccz .LBB26_33
.LBB26_23:                              ;   in Loop: Header=BB26_7 Depth=1
	v_mov_b32_e32 v2, 0
	v_mov_b32_e32 v3, 0
	s_and_saveexec_b32 s9, s3
	s_cbranch_execz .LBB26_25
; %bb.24:                               ;   in Loop: Header=BB26_7 Depth=1
	global_load_b64 v[2:3], v[13:14], off
.LBB26_25:                              ;   in Loop: Header=BB26_7 Depth=1
	s_wait_alu 0xfffe
	s_or_b32 exec_lo, exec_lo, s9
	s_and_saveexec_b32 s9, s4
	s_cbranch_execz .LBB26_30
; %bb.26:                               ;   in Loop: Header=BB26_7 Depth=1
	s_load_u16 s10, s[66:67], 0x0
	v_mov_b32_e32 v8, v28
	s_mov_b32 s13, 0
	s_wait_kmcnt 0x0
	v_dual_mov_b32 v9, v0 :: v_dual_add_nc_u32 v6, s10, v0
	s_lshl_b32 s11, s10, 3
	s_mul_i32 s12, s39, s10
	s_delay_alu instid0(VALU_DEP_1)
	v_mul_lo_u32 v11, s39, v6
	s_branch .LBB26_28
.LBB26_27:                              ;   in Loop: Header=BB26_28 Depth=2
	s_wait_alu 0xfffe
	s_or_b32 exec_lo, exec_lo, s14
	v_cmp_le_i32_e32 vcc_lo, s36, v9
	s_wait_loadcnt 0x0
	ds_store_b64 v8, v[2:3]
	v_dual_mov_b32 v2, v6 :: v_dual_add_nc_u32 v11, s12, v11
	v_dual_mov_b32 v3, v7 :: v_dual_add_nc_u32 v8, s11, v8
	s_or_b32 s13, vcc_lo, s13
	s_wait_alu 0xfffe
	s_and_not1_b32 exec_lo, exec_lo, s13
	s_cbranch_execz .LBB26_30
.LBB26_28:                              ;   Parent Loop BB26_7 Depth=1
                                        ; =>  This Inner Loop Header: Depth=2
	v_dual_mov_b32 v6, 0 :: v_dual_add_nc_u32 v9, s10, v9
	v_mov_b32_e32 v7, 0
	s_mov_b32 s14, exec_lo
	s_delay_alu instid0(VALU_DEP_2)
	v_cmpx_gt_u32_e64 s36, v9
	s_cbranch_execz .LBB26_27
; %bb.29:                               ;   in Loop: Header=BB26_28 Depth=2
	s_delay_alu instid0(VALU_DEP_4) | instskip(NEXT) | instid1(VALU_DEP_1)
	v_lshlrev_b64_e32 v[6:7], 3, v[11:12]
	v_add_co_u32 v6, vcc_lo, s60, v6
	s_wait_alu 0xfffd
	s_delay_alu instid0(VALU_DEP_2)
	v_add_co_ci_u32_e64 v7, null, s61, v7, vcc_lo
	global_load_b64 v[6:7], v[6:7], off
	s_branch .LBB26_27
.LBB26_30:                              ;   in Loop: Header=BB26_7 Depth=1
	s_wait_alu 0xfffe
	s_or_b32 exec_lo, exec_lo, s9
	s_wait_loadcnt_dscnt 0x0
	s_barrier_signal -1
	s_barrier_wait -1
	global_inv scope:SCOPE_SE
	s_and_saveexec_b32 s9, s2
; %bb.31:                               ;   in Loop: Header=BB26_7 Depth=1
	v_mov_b32_e32 v2, s36
	ds_store_b32 v12, v2 offset:4096
; %bb.32:                               ;   in Loop: Header=BB26_7 Depth=1
	s_wait_alu 0xfffe
	s_or_b32 exec_lo, exec_lo, s9
	s_mov_b32 s9, -1
	s_wait_loadcnt_dscnt 0x0
	s_barrier_signal -1
	s_barrier_wait -1
.LBB26_33:                              ;   in Loop: Header=BB26_7 Depth=1
	s_wait_alu 0xfffe
	s_and_b32 vcc_lo, exec_lo, s9
	s_wait_alu 0xfffe
	s_cbranch_vccz .LBB26_35
; %bb.34:                               ;   in Loop: Header=BB26_7 Depth=1
	s_wait_loadcnt 0x0
	global_inv scope:SCOPE_SE
	ds_load_b32 v2, v12 offset:4096
	s_wait_dscnt 0x0
	v_readfirstlane_b32 s58, v2
.LBB26_35:                              ;   in Loop: Header=BB26_7 Depth=1
	s_delay_alu instid0(VALU_DEP_1)
	s_cmp_lt_i32 s58, 1
	s_mov_b32 s9, -1
                                        ; implicit-def: $vgpr6
	s_cbranch_scc1 .LBB26_45
; %bb.36:                               ;   in Loop: Header=BB26_7 Depth=1
	s_wait_alu 0xfffe
	s_and_b32 vcc_lo, exec_lo, s9
	s_wait_alu 0xfffe
	s_cbranch_vccnz .LBB26_58
.LBB26_37:                              ;   in Loop: Header=BB26_7 Depth=1
	v_lshlrev_b32_e32 v2, 7, v39
	s_and_saveexec_b32 s9, s0
.LBB26_38:                              ;   in Loop: Header=BB26_7 Depth=1
	s_delay_alu instid0(VALU_DEP_1)
	v_lshl_add_u32 v3, v2, 2, v32
	ds_store_b128 v3, v[6:9]
.LBB26_39:                              ;   in Loop: Header=BB26_7 Depth=1
	s_wait_alu 0xfffe
	s_or_b32 exec_lo, exec_lo, s9
	s_wait_loadcnt_dscnt 0x0
	s_barrier_signal -1
	s_barrier_wait -1
	global_inv scope:SCOPE_SE
	s_and_saveexec_b32 s9, s74
	s_cbranch_execz .LBB26_74
; %bb.40:                               ;   in Loop: Header=BB26_7 Depth=1
	v_mov_b32_e32 v3, 0
	s_and_not1_b32 vcc_lo, exec_lo, s76
	s_wait_alu 0xfffe
	s_cbranch_vccnz .LBB26_73
; %bb.41:                               ;   in Loop: Header=BB26_7 Depth=1
	s_and_not1_b32 vcc_lo, exec_lo, s78
	s_wait_alu 0xfffe
	s_cbranch_vccnz .LBB26_70
; %bb.42:                               ;   in Loop: Header=BB26_7 Depth=1
	v_lshl_add_u32 v6, v39, 9, v38
	v_mov_b32_e32 v3, 0
	s_mov_b32 s10, 0
.LBB26_43:                              ;   Parent Loop BB26_7 Depth=1
                                        ; =>  This Inner Loop Header: Depth=2
	ds_load_2addr_b32 v[7:8], v6 offset1:4
	ds_load_2addr_b32 v[22:23], v6 offset0:8 offset1:12
	ds_load_2addr_b32 v[24:25], v6 offset0:16 offset1:20
	;; [unrolled: 1-line block ×3, first 2 shown]
	v_add_nc_u32_e32 v6, 0x80, v6
	s_wait_alu 0xfffe
	s_add_co_i32 s10, s10, 8
	s_wait_alu 0xfffe
	s_cmp_eq_u32 s79, s10
	s_wait_dscnt 0x3
	v_add3_u32 v3, v7, v3, v8
	s_wait_dscnt 0x2
	s_delay_alu instid0(VALU_DEP_1) | instskip(SKIP_1) | instid1(VALU_DEP_1)
	v_add3_u32 v3, v22, v3, v23
	s_wait_dscnt 0x1
	v_add3_u32 v3, v24, v3, v25
	s_wait_dscnt 0x0
	s_delay_alu instid0(VALU_DEP_1)
	v_add3_u32 v3, v41, v3, v42
	s_cbranch_scc0 .LBB26_43
; %bb.44:                               ;   in Loop: Header=BB26_7 Depth=1
	s_mov_b32 s10, s79
	s_and_not1_b32 vcc_lo, exec_lo, s80
	s_wait_alu 0xfffe
	s_cbranch_vccz .LBB26_71
	s_branch .LBB26_73
.LBB26_45:                              ;   in Loop: Header=BB26_7 Depth=1
	v_dual_mov_b32 v6, 0 :: v_dual_mov_b32 v7, 0
	v_dual_mov_b32 v8, 0 :: v_dual_mov_b32 v9, 0
	s_and_saveexec_b32 s93, s5
	s_cbranch_execz .LBB26_49
; %bb.46:                               ;   in Loop: Header=BB26_7 Depth=1
	v_mov_b32_e32 v2, v27
	s_mov_b32 s94, 0
	s_mov_b32 s95, 0
	;; [unrolled: 1-line block ×6, first 2 shown]
.LBB26_47:                              ;   Parent Loop BB26_7 Depth=1
                                        ; =>  This Inner Loop Header: Depth=2
	s_wait_alu 0xfffe
	v_add_nc_u32_e32 v6, s95, v35
	v_add_nc_u32_e32 v8, s95, v17
	;; [unrolled: 1-line block ×5, first 2 shown]
	v_ashrrev_i32_e32 v7, 31, v6
	v_ashrrev_i32_e32 v9, 31, v8
	;; [unrolled: 1-line block ×4, first 2 shown]
	s_add_co_i32 s95, s95, s83
	v_lshlrev_b64_e32 v[6:7], 3, v[6:7]
	v_lshlrev_b64_e32 v[8:9], 3, v[8:9]
	;; [unrolled: 1-line block ×4, first 2 shown]
	s_delay_alu instid0(VALU_DEP_4)
	v_add_co_u32 v6, vcc_lo, s60, v6
	s_wait_alu 0xfffd
	v_add_co_ci_u32_e64 v7, null, s61, v7, vcc_lo
	v_add_co_u32 v8, vcc_lo, s60, v8
	s_wait_alu 0xfffd
	v_add_co_ci_u32_e64 v9, null, s61, v9, vcc_lo
	;; [unrolled: 3-line block ×4, first 2 shown]
	s_clause 0x3
	global_load_b64 v[6:7], v[6:7], off
	global_load_b64 v[8:9], v[8:9], off
	;; [unrolled: 1-line block ×4, first 2 shown]
	v_mov_b32_e32 v42, v12
	v_mov_b32_e32 v44, v12
	v_cmp_le_i32_e32 vcc_lo, s81, v2
	s_wait_loadcnt 0x3
	v_xor_b32_e32 v7, 0x80000000, v7
	s_wait_loadcnt 0x2
	v_xor_b32_e32 v9, 0x80000000, v9
	;; [unrolled: 2-line block ×3, first 2 shown]
	v_and_b32_e32 v47, v6, v20
	s_wait_loadcnt 0x0
	v_xor_b32_e32 v25, 0x80000000, v25
	v_and_b32_e32 v48, v7, v21
	v_lshrrev_b64 v[6:7], s92, v[6:7]
	v_and_b32_e32 v49, v8, v20
	v_lshrrev_b64 v[7:8], s92, v[8:9]
	;; [unrolled: 2-line block ×3, first 2 shown]
	v_dual_mov_b32 v46, v12 :: v_dual_and_b32 v11, 3, v6
	v_and_b32_e32 v51, v22, v20
	v_and_b32_e32 v52, v23, v21
	v_lshrrev_b64 v[22:23], s92, v[24:25]
	v_and_b32_e32 v41, 3, v7
	v_and_b32_e32 v43, 3, v8
	v_cmp_eq_u64_e64 s9, v[47:48], v[18:19]
	v_cmp_eq_u64_e64 s13, 0, v[11:12]
	v_and_b32_e32 v53, v24, v20
	v_and_b32_e32 v54, v25, v21
	;; [unrolled: 1-line block ×3, first 2 shown]
	v_cmp_eq_u64_e64 s10, v[49:50], v[18:19]
	v_cmp_eq_u64_e64 s14, 0, v[41:42]
	;; [unrolled: 1-line block ×6, first 2 shown]
	s_and_b32 s13, s9, s13
	v_cmp_eq_u64_e64 s17, 1, v[11:12]
	s_wait_alu 0xfffe
	v_cndmask_b32_e64 v3, 0, 1, s13
	s_and_b32 s13, s10, s14
	v_cmp_eq_u64_e64 s18, 1, v[41:42]
	s_wait_alu 0xfffe
	v_cndmask_b32_e64 v6, 0, 1, s13
	s_and_b32 s13, s11, s15
	v_cmp_eq_u64_e64 s19, 1, v[43:44]
	s_wait_alu 0xfffe
	v_cndmask_b32_e64 v7, 0, 1, s13
	s_and_b32 s13, s12, s16
	v_cmp_eq_u64_e64 s20, 1, v[45:46]
	s_wait_alu 0xfffe
	v_cndmask_b32_e64 v8, 0, 1, s13
	s_and_b32 s13, s9, s17
	v_cmp_eq_u64_e64 s21, 2, v[11:12]
	v_cmp_eq_u64_e64 s25, 3, v[11:12]
	s_wait_alu 0xfffe
	v_cndmask_b32_e64 v9, 0, 1, s13
	s_and_b32 s13, s10, s18
	v_cmp_eq_u64_e64 s22, 2, v[41:42]
	v_cmp_eq_u64_e64 s26, 3, v[41:42]
	s_wait_alu 0xfffe
	v_cndmask_b32_e64 v11, 0, 1, s13
	;; [unrolled: 5-line block ×4, first 2 shown]
	s_and_b32 s13, s9, s21
	s_and_b32 s9, s9, s25
	s_wait_alu 0xfffe
	v_cndmask_b32_e64 v24, 0, 1, s13
	s_and_b32 s13, s10, s22
	v_cndmask_b32_e64 v43, 0, 1, s9
	s_and_b32 s9, s10, s26
	s_wait_alu 0xfffe
	v_cndmask_b32_e64 v25, 0, 1, s13
	s_and_b32 s13, s11, s23
	v_cndmask_b32_e64 v44, 0, 1, s9
	;; [unrolled: 5-line block ×3, first 2 shown]
	s_and_b32 s9, s12, s28
	s_wait_alu 0xfffe
	v_cndmask_b32_e64 v42, 0, 1, s13
	v_cndmask_b32_e64 v46, 0, 1, s9
	v_cmp_ne_u32_e64 s9, 0, v3
	v_cmp_ne_u32_e64 s13, 0, v9
	;; [unrolled: 1-line block ×12, first 2 shown]
	s_bcnt1_i32_b32 s9, s9
	s_bcnt1_i32_b32 s13, s13
	;; [unrolled: 1-line block ×4, first 2 shown]
	v_cmp_ne_u32_e64 s12, 0, v8
	v_cmp_ne_u32_e64 s16, 0, v23
	;; [unrolled: 1-line block ×4, first 2 shown]
	s_bcnt1_i32_b32 s10, s10
	s_bcnt1_i32_b32 s14, s14
	s_bcnt1_i32_b32 s18, s18
	s_bcnt1_i32_b32 s22, s22
	s_wait_alu 0xfffe
	s_add_co_i32 s9, s9, s99
	s_add_co_i32 s13, s13, s98
	s_add_co_i32 s17, s17, s97
	s_add_co_i32 s21, s21, s96
	s_bcnt1_i32_b32 s11, s11
	s_bcnt1_i32_b32 s15, s15
	s_bcnt1_i32_b32 s19, s19
	s_bcnt1_i32_b32 s23, s23
	s_wait_alu 0xfffe
	s_add_co_i32 s9, s9, s10
	s_add_co_i32 s10, s13, s14
	s_add_co_i32 s13, s17, s18
	s_add_co_i32 s14, s21, s22
	;; [unrolled: 9-line block ×3, first 2 shown]
	s_wait_alu 0xfffe
	s_add_co_i32 s99, s9, s12
	s_add_co_i32 s98, s10, s16
	;; [unrolled: 1-line block ×4, first 2 shown]
	s_wait_alu 0xfffe
	v_dual_mov_b32 v6, s99 :: v_dual_mov_b32 v7, s98
	v_dual_mov_b32 v8, s97 :: v_dual_mov_b32 v9, s96
	s_or_b32 s94, vcc_lo, s94
	s_wait_alu 0xfffe
	s_and_not1_b32 exec_lo, exec_lo, s94
	s_cbranch_execnz .LBB26_47
; %bb.48:                               ;   in Loop: Header=BB26_7 Depth=1
	s_or_b32 exec_lo, exec_lo, s94
.LBB26_49:                              ;   in Loop: Header=BB26_7 Depth=1
	s_wait_alu 0xfffe
	s_or_b32 exec_lo, exec_lo, s93
	v_mov_b32_e32 v22, 0
	v_mov_b32_e32 v23, 0
	s_and_saveexec_b32 s9, s6
	s_cbranch_execz .LBB26_51
; %bb.50:                               ;   in Loop: Header=BB26_7 Depth=1
	global_load_b64 v[22:23], v[15:16], off
.LBB26_51:                              ;   in Loop: Header=BB26_7 Depth=1
	s_wait_alu 0xfffe
	s_or_b32 exec_lo, exec_lo, s9
	s_and_saveexec_b32 s13, s7
	s_cbranch_execz .LBB26_57
; %bb.52:                               ;   in Loop: Header=BB26_7 Depth=1
	v_dual_mov_b32 v2, v36 :: v_dual_mov_b32 v41, v30
	s_mov_b32 s14, 0
	s_branch .LBB26_54
.LBB26_53:                              ;   in Loop: Header=BB26_54 Depth=2
	s_wait_alu 0xfffe
	s_or_b32 exec_lo, exec_lo, s9
	s_wait_loadcnt 0x0
	v_xor_b32_e32 v23, 0x80000000, v23
	v_add_nc_u32_e32 v2, s73, v2
	s_delay_alu instid0(VALU_DEP_2) | instskip(SKIP_2) | instid1(VALU_DEP_3)
	v_lshrrev_b64 v[42:43], s92, v[22:23]
	v_and_b32_e32 v22, v22, v20
	v_and_b32_e32 v23, v23, v21
	;; [unrolled: 1-line block ×3, first 2 shown]
	s_delay_alu instid0(VALU_DEP_2) | instskip(NEXT) | instid1(VALU_DEP_2)
	v_cmp_eq_u64_e32 vcc_lo, v[22:23], v[18:19]
	v_cmp_eq_u64_e64 s9, 0, v[11:12]
	v_cmp_eq_u64_e64 s10, 1, v[11:12]
	;; [unrolled: 1-line block ×4, first 2 shown]
	s_and_b32 s9, vcc_lo, s9
	s_wait_alu 0xfffe
	v_cndmask_b32_e64 v3, 0, 1, s9
	s_and_b32 s9, vcc_lo, s10
	s_wait_alu 0xfffe
	v_cndmask_b32_e64 v11, 0, 1, s9
	s_and_b32 s9, vcc_lo, s11
	s_wait_alu 0xfffe
	v_cndmask_b32_e64 v22, 0, 1, s9
	s_and_b32 s9, vcc_lo, s12
	v_cmp_ne_u32_e32 vcc_lo, 0, v3
	s_wait_alu 0xfffe
	v_cndmask_b32_e64 v23, 0, 1, s9
	v_cmp_ne_u32_e64 s9, 0, v11
	v_cmp_ne_u32_e64 s10, 0, v22
	v_cmp_le_i32_e64 s12, s36, v41
	s_bcnt1_i32_b32 s15, vcc_lo
	v_cmp_ne_u32_e64 s11, 0, v23
	s_bcnt1_i32_b32 s9, s9
	s_bcnt1_i32_b32 s10, s10
	v_mov_b32_e32 v22, v24
	s_wait_alu 0xfffe
	v_add_nc_u32_e32 v6, s15, v6
	s_bcnt1_i32_b32 s11, s11
	v_add_nc_u32_e32 v7, s9, v7
	v_add_nc_u32_e32 v8, s10, v8
	s_wait_alu 0xfffe
	v_add_nc_u32_e32 v9, s11, v9
	v_mov_b32_e32 v23, v25
	s_or_b32 s14, s12, s14
	s_wait_alu 0xfffe
	s_and_not1_b32 exec_lo, exec_lo, s14
	s_cbranch_execz .LBB26_56
.LBB26_54:                              ;   Parent Loop BB26_7 Depth=1
                                        ; =>  This Inner Loop Header: Depth=2
	s_delay_alu instid0(VALU_DEP_1) | instskip(SKIP_2) | instid1(VALU_DEP_2)
	v_dual_mov_b32 v24, 0 :: v_dual_add_nc_u32 v41, s49, v41
	v_mov_b32_e32 v25, 0
	s_mov_b32 s9, exec_lo
	v_cmpx_gt_u32_e64 s36, v41
	s_cbranch_execz .LBB26_53
; %bb.55:                               ;   in Loop: Header=BB26_54 Depth=2
	v_ashrrev_i32_e32 v3, 31, v2
	s_delay_alu instid0(VALU_DEP_1) | instskip(NEXT) | instid1(VALU_DEP_1)
	v_lshlrev_b64_e32 v[24:25], 3, v[2:3]
	v_add_co_u32 v24, vcc_lo, s60, v24
	s_wait_alu 0xfffd
	s_delay_alu instid0(VALU_DEP_2)
	v_add_co_ci_u32_e64 v25, null, s61, v25, vcc_lo
	global_load_b64 v[24:25], v[24:25], off
	s_branch .LBB26_53
.LBB26_56:                              ;   in Loop: Header=BB26_7 Depth=1
	s_or_b32 exec_lo, exec_lo, s14
.LBB26_57:                              ;   in Loop: Header=BB26_7 Depth=1
	s_wait_alu 0xfffe
	s_or_b32 exec_lo, exec_lo, s13
	s_branch .LBB26_37
.LBB26_58:                              ;   in Loop: Header=BB26_7 Depth=1
	s_mul_u64 s[10:11], s[58:59], s[62:63]
	v_dual_mov_b32 v6, 0 :: v_dual_mov_b32 v7, 0
	s_wait_alu 0xfffe
	s_mul_i32 s9, s11, s51
	v_dual_mov_b32 v8, 0 :: v_dual_mov_b32 v9, 0
	s_wait_alu 0xfffe
	s_sub_co_i32 s9, s58, s9
	s_mov_b32 s94, exec_lo
	s_wait_alu 0xfffe
	s_sub_co_i32 s10, s9, s51
	s_cmp_ge_u32 s9, s51
	s_wait_alu 0xfffe
	s_cselect_b32 s9, s10, s9
	s_wait_alu 0xfffe
	s_sub_co_i32 s10, s9, s51
	s_cmp_ge_u32 s9, s51
	s_wait_alu 0xfffe
	s_cselect_b32 s9, s10, s9
	s_wait_alu 0xfffe
	s_sub_co_i32 s93, s58, s9
	s_wait_alu 0xfffe
	v_cmpx_gt_u32_e64 s93, v27
	s_cbranch_execz .LBB26_62
; %bb.59:                               ;   in Loop: Header=BB26_7 Depth=1
	v_dual_mov_b32 v2, v37 :: v_dual_mov_b32 v3, v27
	s_mov_b32 s95, 0
	s_mov_b32 s96, 0
	;; [unrolled: 1-line block ×5, first 2 shown]
.LBB26_60:                              ;   Parent Loop BB26_7 Depth=1
                                        ; =>  This Inner Loop Header: Depth=2
	ds_load_b128 v[6:9], v2
	s_wait_loadcnt 0x0
	ds_load_b128 v[22:25], v2 offset:16
	v_mov_b32_e32 v44, v12
	v_dual_mov_b32 v46, v12 :: v_dual_add_nc_u32 v3, s51, v3
	v_mov_b32_e32 v42, v12
	s_delay_alu instid0(VALU_DEP_2)
	v_cmp_le_i32_e32 vcc_lo, s93, v3
	s_wait_dscnt 0x1
	v_xor_b32_e32 v7, 0x80000000, v7
	v_xor_b32_e32 v9, 0x80000000, v9
	s_wait_dscnt 0x0
	v_xor_b32_e32 v23, 0x80000000, v23
	v_and_b32_e32 v47, v6, v20
	v_xor_b32_e32 v25, 0x80000000, v25
	v_and_b32_e32 v48, v7, v21
	v_lshrrev_b64 v[6:7], s92, v[6:7]
	v_and_b32_e32 v49, v8, v20
	v_lshrrev_b64 v[7:8], s92, v[8:9]
	;; [unrolled: 2-line block ×3, first 2 shown]
	v_and_b32_e32 v51, v22, v20
	v_and_b32_e32 v52, v23, v21
	v_lshrrev_b64 v[22:23], s92, v[24:25]
	v_and_b32_e32 v11, 3, v6
	v_and_b32_e32 v41, 3, v7
	;; [unrolled: 1-line block ×3, first 2 shown]
	v_cmp_eq_u64_e64 s9, v[47:48], v[18:19]
	v_and_b32_e32 v53, v24, v20
	v_cmp_eq_u64_e64 s13, 0, v[11:12]
	v_and_b32_e32 v54, v25, v21
	v_and_b32_e32 v45, 3, v22
	v_cmp_eq_u64_e64 s10, v[49:50], v[18:19]
	v_cmp_eq_u64_e64 s14, 0, v[41:42]
	;; [unrolled: 1-line block ×6, first 2 shown]
	s_and_b32 s13, s9, s13
	v_cmp_eq_u64_e64 s17, 1, v[11:12]
	s_wait_alu 0xfffe
	v_cndmask_b32_e64 v6, 0, 1, s13
	s_and_b32 s13, s10, s14
	v_cmp_eq_u64_e64 s18, 1, v[41:42]
	s_wait_alu 0xfffe
	v_cndmask_b32_e64 v7, 0, 1, s13
	;; [unrolled: 4-line block ×4, first 2 shown]
	s_and_b32 s13, s9, s17
	v_cmp_eq_u64_e64 s21, 2, v[11:12]
	v_cmp_eq_u64_e64 s25, 3, v[11:12]
	s_wait_alu 0xfffe
	v_cndmask_b32_e64 v11, 0, 1, s13
	s_and_b32 s13, s10, s18
	v_cmp_eq_u64_e64 s22, 2, v[41:42]
	v_cmp_eq_u64_e64 s26, 3, v[41:42]
	s_wait_alu 0xfffe
	v_cndmask_b32_e64 v22, 0, 1, s13
	s_and_b32 s13, s11, s19
	v_cmp_eq_u64_e64 s23, 2, v[43:44]
	v_cmp_eq_u64_e64 s27, 3, v[43:44]
	s_wait_alu 0xfffe
	v_cndmask_b32_e64 v23, 0, 1, s13
	s_and_b32 s13, s12, s20
	v_cmp_eq_u64_e64 s24, 2, v[45:46]
	v_cmp_eq_u64_e64 s28, 3, v[45:46]
	s_wait_alu 0xfffe
	v_cndmask_b32_e64 v24, 0, 1, s13
	s_and_b32 s13, s9, s21
	s_and_b32 s9, s9, s25
	s_wait_alu 0xfffe
	v_cndmask_b32_e64 v25, 0, 1, s13
	s_and_b32 s13, s10, s22
	v_cndmask_b32_e64 v44, 0, 1, s9
	s_and_b32 s9, s10, s26
	s_wait_alu 0xfffe
	v_cndmask_b32_e64 v41, 0, 1, s13
	s_and_b32 s13, s11, s23
	v_cndmask_b32_e64 v45, 0, 1, s9
	;; [unrolled: 5-line block ×3, first 2 shown]
	s_and_b32 s9, s12, s28
	s_wait_alu 0xfffe
	v_cndmask_b32_e64 v43, 0, 1, s13
	v_cndmask_b32_e64 v47, 0, 1, s9
	v_cmp_ne_u32_e64 s9, 0, v6
	v_cmp_ne_u32_e64 s13, 0, v11
	;; [unrolled: 1-line block ×12, first 2 shown]
	s_bcnt1_i32_b32 s9, s9
	s_bcnt1_i32_b32 s13, s13
	;; [unrolled: 1-line block ×4, first 2 shown]
	v_cmp_ne_u32_e64 s12, 0, v9
	v_cmp_ne_u32_e64 s16, 0, v24
	;; [unrolled: 1-line block ×4, first 2 shown]
	s_bcnt1_i32_b32 s10, s10
	s_bcnt1_i32_b32 s14, s14
	s_bcnt1_i32_b32 s18, s18
	s_bcnt1_i32_b32 s22, s22
	s_wait_alu 0xfffe
	s_add_co_i32 s9, s9, s99
	s_add_co_i32 s13, s13, s98
	s_add_co_i32 s17, s17, s97
	s_add_co_i32 s21, s21, s96
	s_bcnt1_i32_b32 s11, s11
	s_bcnt1_i32_b32 s15, s15
	s_bcnt1_i32_b32 s19, s19
	s_bcnt1_i32_b32 s23, s23
	s_wait_alu 0xfffe
	s_add_co_i32 s9, s9, s10
	s_add_co_i32 s10, s13, s14
	s_add_co_i32 s13, s17, s18
	s_add_co_i32 s14, s21, s22
	;; [unrolled: 9-line block ×3, first 2 shown]
	s_wait_alu 0xfffe
	s_add_co_i32 s99, s9, s12
	s_add_co_i32 s98, s10, s16
	;; [unrolled: 1-line block ×4, first 2 shown]
	s_wait_alu 0xfffe
	v_dual_mov_b32 v7, s98 :: v_dual_add_nc_u32 v2, s84, v2
	v_mov_b32_e32 v6, s99
	v_dual_mov_b32 v8, s97 :: v_dual_mov_b32 v9, s96
	s_or_b32 s95, vcc_lo, s95
	s_wait_alu 0xfffe
	s_and_not1_b32 exec_lo, exec_lo, s95
	s_cbranch_execnz .LBB26_60
; %bb.61:                               ;   in Loop: Header=BB26_7 Depth=1
	s_or_b32 exec_lo, exec_lo, s95
.LBB26_62:                              ;   in Loop: Header=BB26_7 Depth=1
	s_delay_alu instid0(SALU_CYCLE_1) | instskip(SKIP_2) | instid1(VALU_DEP_1)
	s_or_b32 exec_lo, exec_lo, s94
	v_add_nc_u32_e32 v2, s93, v0
	s_mov_b32 s14, exec_lo
	v_cmpx_gt_i32_e64 s58, v2
	s_cbranch_execz .LBB26_66
; %bb.63:                               ;   in Loop: Header=BB26_7 Depth=1
	v_lshlrev_b32_e32 v3, 3, v2
	s_mov_b32 s15, 0
.LBB26_64:                              ;   Parent Loop BB26_7 Depth=1
                                        ; =>  This Inner Loop Header: Depth=2
	s_wait_loadcnt 0x0
	ds_load_b64 v[22:23], v3
	v_add_nc_u32_e32 v2, s49, v2
	v_add_nc_u32_e32 v3, s85, v3
	s_delay_alu instid0(VALU_DEP_2) | instskip(SKIP_3) | instid1(VALU_DEP_2)
	v_cmp_le_i32_e32 vcc_lo, s58, v2
	s_wait_dscnt 0x0
	v_xor_b32_e32 v23, 0x80000000, v23
	v_and_b32_e32 v24, v22, v20
	v_and_b32_e32 v25, v23, v21
	v_lshrrev_b64 v[22:23], s92, v[22:23]
	s_delay_alu instid0(VALU_DEP_2) | instskip(NEXT) | instid1(VALU_DEP_2)
	v_cmp_eq_u64_e64 s9, v[24:25], v[18:19]
	v_and_b32_e32 v11, 3, v22
	s_delay_alu instid0(VALU_DEP_1)
	v_cmp_eq_u64_e64 s10, 0, v[11:12]
	v_cmp_eq_u64_e64 s11, 1, v[11:12]
	;; [unrolled: 1-line block ×4, first 2 shown]
	s_and_b32 s10, s9, s10
	s_wait_alu 0xfffe
	v_cndmask_b32_e64 v11, 0, 1, s10
	s_and_b32 s10, s9, s11
	s_wait_alu 0xfffe
	v_cndmask_b32_e64 v22, 0, 1, s10
	s_and_b32 s10, s9, s12
	s_and_b32 s9, s9, s13
	s_wait_alu 0xfffe
	v_cndmask_b32_e64 v23, 0, 1, s10
	v_cndmask_b32_e64 v24, 0, 1, s9
	v_cmp_ne_u32_e64 s9, 0, v11
	v_cmp_ne_u32_e64 s10, 0, v22
	s_delay_alu instid0(VALU_DEP_4) | instskip(NEXT) | instid1(VALU_DEP_4)
	v_cmp_ne_u32_e64 s11, 0, v23
	v_cmp_ne_u32_e64 s12, 0, v24
	s_bcnt1_i32_b32 s9, s9
	s_bcnt1_i32_b32 s10, s10
	s_wait_alu 0xfffe
	v_add_nc_u32_e32 v6, s9, v6
	s_bcnt1_i32_b32 s11, s11
	s_bcnt1_i32_b32 s12, s12
	v_add_nc_u32_e32 v7, s10, v7
	s_wait_alu 0xfffe
	v_add_nc_u32_e32 v8, s11, v8
	v_add_nc_u32_e32 v9, s12, v9
	s_or_b32 s15, vcc_lo, s15
	s_wait_alu 0xfffe
	s_and_not1_b32 exec_lo, exec_lo, s15
	s_cbranch_execnz .LBB26_64
; %bb.65:                               ;   in Loop: Header=BB26_7 Depth=1
	s_or_b32 exec_lo, exec_lo, s15
.LBB26_66:                              ;   in Loop: Header=BB26_7 Depth=1
	s_wait_alu 0xfffe
	s_or_b32 exec_lo, exec_lo, s14
	v_lshlrev_b32_e32 v2, 7, v39
	s_and_saveexec_b32 s9, s0
	s_cbranch_execnz .LBB26_38
	s_branch .LBB26_39
.LBB26_67:                              ;   in Loop: Header=BB26_7 Depth=1
	s_wait_alu 0xfffe
	s_or_b32 exec_lo, exec_lo, s11
	s_wait_loadcnt_dscnt 0x0
	s_barrier_signal -1
	s_barrier_wait -1
	global_inv scope:SCOPE_SE
	s_and_saveexec_b32 s9, s2
	s_cbranch_execz .LBB26_69
; %bb.68:                               ;   in Loop: Header=BB26_7 Depth=1
	ds_load_b32 v2, v12 offset:4104
	s_wait_dscnt 0x0
	ds_store_b32 v12, v2 offset:4096
.LBB26_69:                              ;   in Loop: Header=BB26_7 Depth=1
	s_wait_alu 0xfffe
	s_or_b32 exec_lo, exec_lo, s9
	s_wait_loadcnt_dscnt 0x0
	s_barrier_signal -1
	s_mov_b32 s9, -1
	s_barrier_wait -1
	s_and_b32 vcc_lo, exec_lo, s10
	s_wait_alu 0xfffe
	s_cbranch_vccnz .LBB26_23
	s_branch .LBB26_33
.LBB26_70:                              ;   in Loop: Header=BB26_7 Depth=1
	v_mov_b32_e32 v3, 0
	s_mov_b32 s10, 0
	s_and_not1_b32 vcc_lo, exec_lo, s80
	s_wait_alu 0xfffe
	s_cbranch_vccnz .LBB26_73
.LBB26_71:                              ;   in Loop: Header=BB26_7 Depth=1
	v_lshlrev_b32_e32 v6, 9, v39
	s_lshl_b32 s10, s10, 4
	s_wait_alu 0xfffe
	s_delay_alu instid0(VALU_DEP_1)
	v_add3_u32 v6, v6, s10, v38
	s_mov_b32 s10, s77
.LBB26_72:                              ;   Parent Loop BB26_7 Depth=1
                                        ; =>  This Inner Loop Header: Depth=2
	ds_load_b32 v7, v6
	v_add_nc_u32_e32 v6, 16, v6
	s_wait_alu 0xfffe
	s_add_co_i32 s10, s10, -1
	s_wait_alu 0xfffe
	s_cmp_lg_u32 s10, 0
	s_wait_dscnt 0x0
	v_add_nc_u32_e32 v3, v7, v3
	s_cbranch_scc1 .LBB26_72
.LBB26_73:                              ;   in Loop: Header=BB26_7 Depth=1
	v_add_lshl_u32 v6, v2, v26, 2
	ds_store_b32 v6, v3 offset:3072
.LBB26_74:                              ;   in Loop: Header=BB26_7 Depth=1
	s_wait_alu 0xfffe
	s_or_b32 exec_lo, exec_lo, s9
	v_lshlrev_b32_e32 v2, 2, v2
	s_wait_loadcnt_dscnt 0x0
	s_barrier_signal -1
	s_barrier_wait -1
	global_inv scope:SCOPE_SE
	ds_load_b128 v[6:9], v2 offset:3072
	s_lshl_b64 s[10:11], 3, s92
	v_cmp_eq_u32_e32 vcc_lo, 1, v40
	s_wait_alu 0xfffe
	s_not_b64 s[12:13], s[10:11]
	s_mov_b32 s16, -1
	s_mov_b32 s18, -1
                                        ; implicit-def: $sgpr22
                                        ; implicit-def: $sgpr20
	s_wait_dscnt 0x0
	v_readfirstlane_b32 s15, v6
	v_readfirstlane_b32 s21, v7
	;; [unrolled: 1-line block ×4, first 2 shown]
	s_cmp_eq_u32 s15, 1
	s_cselect_b32 s14, -1, 0
	s_wait_alu 0xfffe
	s_and_b32 s17, s14, vcc_lo
	s_wait_alu 0xfffe
	s_and_saveexec_b32 s14, s17
	s_cbranch_execz .LBB26_100
; %bb.75:                               ;   in Loop: Header=BB26_7 Depth=1
	ds_load_b32 v2, v12 offset:4096
	s_wait_loadcnt_dscnt 0x0
	s_barrier_signal -1
	s_barrier_wait -1
	global_inv scope:SCOPE_SE
	v_readfirstlane_b32 s18, v2
	s_and_saveexec_b32 s20, s1
; %bb.76:                               ;   in Loop: Header=BB26_7 Depth=1
	v_mov_b32_e32 v11, v12
	ds_store_b64 v29, v[11:12]
; %bb.77:                               ;   in Loop: Header=BB26_7 Depth=1
	s_wait_alu 0xfffe
	s_or_b32 exec_lo, exec_lo, s20
	v_and_b32_e32 v19, s13, v19
	v_and_b32_e32 v18, s12, v18
	v_or_b32_e32 v21, s11, v21
	v_or_b32_e32 v20, s10, v20
	s_mov_b32 s20, -1
	s_mov_b32 s22, 0
	s_cmp_lt_i32 s18, 1
	s_mov_b32 s23, 0
	s_mov_b32 s24, -1
	s_wait_loadcnt_dscnt 0x0
	s_barrier_signal -1
	s_barrier_wait -1
	global_inv scope:SCOPE_SE
                                        ; implicit-def: $vgpr4_vgpr5
	s_cbranch_scc0 .LBB26_88
; %bb.78:                               ;   in Loop: Header=BB26_7 Depth=1
	s_mov_b32 s24, 0
                                        ; implicit-def: $vgpr4_vgpr5
	s_and_saveexec_b32 s25, s8
	s_cbranch_execz .LBB26_87
; %bb.79:                               ;   in Loop: Header=BB26_7 Depth=1
	v_mov_b32_e32 v6, v10
	v_mov_b32_e32 v8, v0
                                        ; implicit-def: $sgpr26
	s_branch .LBB26_82
.LBB26_80:                              ;   in Loop: Header=BB26_82 Depth=2
	s_wait_alu 0xfffe
	s_or_b32 exec_lo, exec_lo, s27
	s_wait_loadcnt_dscnt 0x0
	s_barrier_signal -1
	s_barrier_wait -1
	global_inv scope:SCOPE_SE
	ds_load_b128 v[2:5], v12 offset:3072
	s_mov_b32 s27, -1
	s_mov_b32 s28, -1
	s_wait_loadcnt_dscnt 0x0
	s_barrier_signal -1
	s_barrier_wait -1
	global_inv scope:SCOPE_SE
	v_cmp_ne_u64_e32 vcc_lo, 0, v[2:3]
	s_cbranch_vccz .LBB26_85
.LBB26_81:                              ;   in Loop: Header=BB26_82 Depth=2
	s_wait_alu 0xfffe
	s_and_b32 s27, exec_lo, s27
	s_wait_alu 0xfffe
	s_or_b32 s23, s27, s23
	s_and_not1_b32 s26, s26, exec_lo
	s_and_b32 s27, s28, exec_lo
	s_wait_alu 0xfffe
	s_or_b32 s26, s26, s27
	s_and_not1_b32 exec_lo, exec_lo, s23
	s_cbranch_execz .LBB26_86
.LBB26_82:                              ;   Parent Loop BB26_7 Depth=1
                                        ; =>  This Inner Loop Header: Depth=2
	s_mov_b32 s27, exec_lo
	s_delay_alu instid0(VALU_DEP_1)
	v_cmpx_gt_i32_e64 s36, v8
	s_cbranch_execz .LBB26_80
; %bb.83:                               ;   in Loop: Header=BB26_82 Depth=2
	v_ashrrev_i32_e32 v7, 31, v6
	s_delay_alu instid0(VALU_DEP_1) | instskip(NEXT) | instid1(VALU_DEP_1)
	v_lshlrev_b64_e32 v[2:3], 3, v[6:7]
	v_add_co_u32 v2, vcc_lo, s60, v2
	s_wait_alu 0xfffd
	s_delay_alu instid0(VALU_DEP_2) | instskip(SKIP_4) | instid1(VALU_DEP_2)
	v_add_co_ci_u32_e64 v3, null, s61, v3, vcc_lo
	global_load_b64 v[3:4], v[2:3], off
	s_wait_loadcnt 0x0
	v_xor_b32_e32 v2, 0x80000000, v4
	v_and_b32_e32 v22, v3, v20
	v_and_b32_e32 v23, v2, v21
	s_delay_alu instid0(VALU_DEP_1)
	v_cmp_eq_u64_e32 vcc_lo, v[22:23], v[18:19]
	s_and_b32 exec_lo, exec_lo, vcc_lo
	s_cbranch_execz .LBB26_80
; %bb.84:                               ;   in Loop: Header=BB26_82 Depth=2
	v_mov_b32_e32 v2, v12
	ds_store_b128 v12, v[1:4] offset:3072
	s_branch .LBB26_80
.LBB26_85:                              ;   in Loop: Header=BB26_82 Depth=2
	v_add_nc_u32_e32 v8, s49, v8
	v_add_nc_u32_e32 v6, s73, v6
	s_mov_b32 s28, 0
	s_delay_alu instid0(VALU_DEP_2)
	v_cmp_le_i32_e32 vcc_lo, s82, v8
	s_or_not1_b32 s27, vcc_lo, exec_lo
	s_branch .LBB26_81
.LBB26_86:                              ;   in Loop: Header=BB26_7 Depth=1
	s_or_b32 exec_lo, exec_lo, s23
	s_wait_alu 0xfffe
	s_and_b32 s23, s26, exec_lo
.LBB26_87:                              ;   in Loop: Header=BB26_7 Depth=1
	s_wait_alu 0xfffe
	s_or_b32 exec_lo, exec_lo, s25
.LBB26_88:                              ;   in Loop: Header=BB26_7 Depth=1
	s_wait_alu 0xfffe
	s_and_b32 vcc_lo, exec_lo, s24
	s_wait_alu 0xfffe
	s_cbranch_vccz .LBB26_99
; %bb.89:                               ;   in Loop: Header=BB26_7 Depth=1
	s_add_co_i32 s22, s18, s56
                                        ; implicit-def: $vgpr4_vgpr5
	s_wait_alu 0xfffe
	s_abs_i32 s58, s22
	s_wait_alu 0xfffe
	s_mul_u64 s[24:25], s[58:59], s[64:65]
	s_ashr_i32 s24, s22, 31
	s_wait_alu 0xfffe
	s_mul_i32 s20, s25, s49
	s_wait_alu 0xfffe
	s_sub_co_i32 s20, s58, s20
	s_wait_alu 0xfffe
	s_sub_co_i32 s25, s20, s49
	s_cmp_ge_u32 s20, s49
	s_wait_alu 0xfffe
	s_cselect_b32 s20, s25, s20
	s_wait_alu 0xfffe
	s_sub_co_i32 s25, s20, s49
	s_cmp_ge_u32 s20, s49
	s_wait_alu 0xfffe
	s_cselect_b32 s20, s25, s20
	s_wait_alu 0xfffe
	s_xor_b32 s20, s20, s24
	s_wait_alu 0xfffe
	s_sub_co_i32 s20, s24, s20
	s_wait_alu 0xfffe
	s_add_co_i32 s22, s22, s20
	s_mov_b32 s20, exec_lo
	s_wait_alu 0xfffe
	v_cmpx_gt_i32_e64 s22, v0
	s_cbranch_execz .LBB26_98
; %bb.90:                               ;   in Loop: Header=BB26_7 Depth=1
	v_dual_mov_b32 v6, v28 :: v_dual_mov_b32 v7, v0
	s_mov_b32 s25, 0
                                        ; implicit-def: $sgpr24
	s_branch .LBB26_93
.LBB26_91:                              ;   in Loop: Header=BB26_93 Depth=2
	s_wait_alu 0xfffe
	s_or_b32 exec_lo, exec_lo, s26
	s_wait_loadcnt_dscnt 0x0
	s_barrier_signal -1
	s_barrier_wait -1
	global_inv scope:SCOPE_SE
	ds_load_b128 v[2:5], v12 offset:3072
	s_mov_b32 s26, -1
	s_mov_b32 s27, -1
	s_wait_loadcnt_dscnt 0x0
	s_barrier_signal -1
	s_barrier_wait -1
	global_inv scope:SCOPE_SE
	v_cmp_ne_u64_e32 vcc_lo, 0, v[2:3]
	s_cbranch_vccz .LBB26_96
.LBB26_92:                              ;   in Loop: Header=BB26_93 Depth=2
	s_wait_alu 0xfffe
	s_and_b32 s26, exec_lo, s26
	s_wait_alu 0xfffe
	s_or_b32 s25, s26, s25
	s_and_not1_b32 s24, s24, exec_lo
	s_and_b32 s26, s27, exec_lo
	s_wait_alu 0xfffe
	s_or_b32 s24, s24, s26
	s_and_not1_b32 exec_lo, exec_lo, s25
	s_cbranch_execz .LBB26_97
.LBB26_93:                              ;   Parent Loop BB26_7 Depth=1
                                        ; =>  This Inner Loop Header: Depth=2
	s_mov_b32 s26, exec_lo
	s_delay_alu instid0(VALU_DEP_1)
	v_cmpx_gt_i32_e64 s18, v7
	s_cbranch_execz .LBB26_91
; %bb.94:                               ;   in Loop: Header=BB26_93 Depth=2
	ds_load_b64 v[3:4], v6
	s_wait_dscnt 0x0
	v_xor_b32_e32 v2, 0x80000000, v4
	v_and_b32_e32 v8, v3, v20
	s_delay_alu instid0(VALU_DEP_2) | instskip(NEXT) | instid1(VALU_DEP_1)
	v_and_b32_e32 v9, v2, v21
	v_cmp_eq_u64_e32 vcc_lo, v[8:9], v[18:19]
	s_and_b32 exec_lo, exec_lo, vcc_lo
	s_cbranch_execz .LBB26_91
; %bb.95:                               ;   in Loop: Header=BB26_93 Depth=2
	v_mov_b32_e32 v2, v12
	ds_store_b128 v12, v[1:4] offset:3072
	s_branch .LBB26_91
.LBB26_96:                              ;   in Loop: Header=BB26_93 Depth=2
	v_add_nc_u32_e32 v7, s49, v7
	v_add_nc_u32_e32 v6, s85, v6
	s_mov_b32 s27, 0
	s_delay_alu instid0(VALU_DEP_2)
	v_cmp_le_i32_e32 vcc_lo, s22, v7
	s_or_not1_b32 s26, vcc_lo, exec_lo
	s_branch .LBB26_92
.LBB26_97:                              ;   in Loop: Header=BB26_7 Depth=1
	s_or_b32 exec_lo, exec_lo, s25
	s_delay_alu instid0(SALU_CYCLE_1)
	s_and_not1_b32 s18, s23, exec_lo
	s_wait_alu 0xfffe
	s_and_b32 s22, s24, exec_lo
	s_wait_alu 0xfffe
	s_or_b32 s23, s18, s22
.LBB26_98:                              ;   in Loop: Header=BB26_7 Depth=1
	s_or_b32 exec_lo, exec_lo, s20
	s_mov_b32 s20, 0
	s_mov_b32 s22, -1
.LBB26_99:                              ;   in Loop: Header=BB26_7 Depth=1
	s_wait_alu 0xfffe
	s_or_not1_b32 s18, s23, exec_lo
.LBB26_100:                             ;   in Loop: Header=BB26_7 Depth=1
	s_wait_alu 0xfffe
	s_or_b32 exec_lo, exec_lo, s14
	v_readfirstlane_b32 s23, v0
	s_and_not1_b32 s14, s90, exec_lo
	s_and_b32 s22, s22, exec_lo
	s_and_not1_b32 s24, s88, exec_lo
	s_and_b32 s20, s20, exec_lo
	s_and_not1_b32 s87, s87, exec_lo
	s_wait_alu 0xfffe
	s_or_b32 s90, s14, s22
	s_or_b32 s88, s24, s20
                                        ; implicit-def: $vgpr9
	s_and_saveexec_b32 s14, s18
	s_cbranch_execz .LBB26_6
; %bb.101:                              ;   in Loop: Header=BB26_7 Depth=1
	v_dual_mov_b32 v9, 1 :: v_dual_mov_b32 v8, 1
	s_xor_b32 s17, s17, -1
	s_mov_b32 s22, 0
	s_wait_alu 0xfffe
	s_and_saveexec_b32 s16, s17
	s_cbranch_execz .LBB26_110
; %bb.102:                              ;   in Loop: Header=BB26_7 Depth=1
	s_mov_b32 s17, exec_lo
	v_cmpx_ge_i32_e64 s15, v40
	s_wait_alu 0xfffe
	s_xor_b32 s17, exec_lo, s17
	s_cbranch_execz .LBB26_107
; %bb.103:                              ;   in Loop: Header=BB26_7 Depth=1
	ds_load_b32 v2, v12 offset:4096
	v_and_b32_e32 v19, s13, v19
	v_and_b32_e32 v18, s12, v18
	v_or_b32_e32 v21, s11, v21
	v_or_b32_e32 v20, s10, v20
	s_wait_dscnt 0x0
	v_cmp_ne_u32_e32 vcc_lo, 0, v2
	s_cbranch_vccnz .LBB26_107
; %bb.104:                              ;   in Loop: Header=BB26_7 Depth=1
	s_and_saveexec_b32 s18, s2
; %bb.105:                              ;   in Loop: Header=BB26_7 Depth=1
	v_mov_b32_e32 v2, s15
	ds_store_b32 v12, v2 offset:4100
; %bb.106:                              ;   in Loop: Header=BB26_7 Depth=1
	s_wait_alu 0xfffe
	s_or_b32 exec_lo, exec_lo, s18
	s_wait_loadcnt_dscnt 0x0
	s_barrier_signal -1
	s_barrier_wait -1
	global_inv scope:SCOPE_SE
.LBB26_107:                             ;   in Loop: Header=BB26_7 Depth=1
	s_wait_alu 0xfffe
	s_or_saveexec_b32 s17, s17
	v_mov_b32_e32 v8, 8
	s_mov_b32 s18, 0
	s_wait_alu 0xfffe
	s_xor_b32 exec_lo, exec_lo, s17
; %bb.108:                              ;   in Loop: Header=BB26_7 Depth=1
	v_subrev_nc_u32_e32 v40, s15, v40
	v_mov_b32_e32 v8, 0
	s_mov_b32 s18, exec_lo
; %bb.109:                              ;   in Loop: Header=BB26_7 Depth=1
	s_or_b32 exec_lo, exec_lo, s17
	s_delay_alu instid0(VALU_DEP_2)
	v_mov_b32_e32 v9, v40
	s_wait_alu 0xfffe
	s_and_b32 s22, s18, exec_lo
.LBB26_110:                             ;   in Loop: Header=BB26_7 Depth=1
	s_wait_alu 0xfffe
	s_or_b32 exec_lo, exec_lo, s16
	s_mov_b32 s15, -1
	s_mov_b32 s20, -1
                                        ; implicit-def: $sgpr17
                                        ; implicit-def: $sgpr18
	s_and_saveexec_b32 s16, s22
	s_wait_alu 0xfffe
	s_xor_b32 s16, exec_lo, s16
	s_cbranch_execz .LBB26_227
; %bb.111:                              ;   in Loop: Header=BB26_7 Depth=1
	v_cmp_eq_u32_e32 vcc_lo, 1, v9
	s_cmp_eq_u32 s21, 1
	s_mov_b32 s23, -1
	s_cselect_b32 s17, -1, 0
                                        ; implicit-def: $sgpr18
	s_wait_alu 0xfffe
	s_and_b32 s22, s17, vcc_lo
                                        ; implicit-def: $sgpr17
	s_wait_alu 0xfffe
	s_and_saveexec_b32 s20, s22
	s_cbranch_execz .LBB26_137
; %bb.112:                              ;   in Loop: Header=BB26_7 Depth=1
	ds_load_b32 v2, v12 offset:4096
	s_wait_loadcnt_dscnt 0x0
	s_barrier_signal -1
	s_barrier_wait -1
	global_inv scope:SCOPE_SE
	v_readfirstlane_b32 s23, v2
	s_and_saveexec_b32 s17, s1
; %bb.113:                              ;   in Loop: Header=BB26_7 Depth=1
	v_mov_b32_e32 v11, v12
	ds_store_b64 v29, v[11:12]
; %bb.114:                              ;   in Loop: Header=BB26_7 Depth=1
	s_wait_alu 0xfffe
	s_or_b32 exec_lo, exec_lo, s17
	v_and_b32_e32 v2, s13, v19
	v_and_b32_e32 v3, s12, v18
	s_lshl_b64 s[24:25], 1, s92
	v_or_b32_e32 v21, s11, v21
	v_or_b32_e32 v20, s10, v20
	s_wait_alu 0xfffe
	v_or_b32_e32 v19, s25, v2
	v_or_b32_e32 v18, s24, v3
	s_mov_b32 s17, -1
	s_mov_b32 s18, 0
	s_cmp_gt_i32 s23, 0
	s_mov_b32 s24, 0
	s_mov_b32 s25, -1
	s_wait_loadcnt_dscnt 0x0
	s_barrier_signal -1
	s_barrier_wait -1
	global_inv scope:SCOPE_SE
                                        ; implicit-def: $vgpr4_vgpr5
	s_cbranch_scc1 .LBB26_125
; %bb.115:                              ;   in Loop: Header=BB26_7 Depth=1
	s_mov_b32 s25, 0
                                        ; implicit-def: $vgpr4_vgpr5
	s_and_saveexec_b32 s26, s8
	s_cbranch_execz .LBB26_124
; %bb.116:                              ;   in Loop: Header=BB26_7 Depth=1
	v_dual_mov_b32 v6, v10 :: v_dual_mov_b32 v11, v0
                                        ; implicit-def: $sgpr27
	s_branch .LBB26_119
.LBB26_117:                             ;   in Loop: Header=BB26_119 Depth=2
	s_or_b32 exec_lo, exec_lo, s28
	s_wait_loadcnt_dscnt 0x0
	s_barrier_signal -1
	s_barrier_wait -1
	global_inv scope:SCOPE_SE
	ds_load_b128 v[2:5], v12 offset:3072
	s_mov_b32 s28, -1
	s_mov_b32 s58, -1
	s_wait_loadcnt_dscnt 0x0
	s_barrier_signal -1
	s_barrier_wait -1
	global_inv scope:SCOPE_SE
	v_cmp_ne_u64_e32 vcc_lo, 0, v[2:3]
	s_cbranch_vccz .LBB26_122
.LBB26_118:                             ;   in Loop: Header=BB26_119 Depth=2
	s_and_b32 s28, exec_lo, s28
	s_wait_alu 0xfffe
	s_or_b32 s24, s28, s24
	s_and_not1_b32 s27, s27, exec_lo
	s_and_b32 s28, s58, exec_lo
	s_wait_alu 0xfffe
	s_or_b32 s27, s27, s28
	s_and_not1_b32 exec_lo, exec_lo, s24
	s_cbranch_execz .LBB26_123
.LBB26_119:                             ;   Parent Loop BB26_7 Depth=1
                                        ; =>  This Inner Loop Header: Depth=2
	s_mov_b32 s28, exec_lo
	s_delay_alu instid0(VALU_DEP_1)
	v_cmpx_gt_i32_e64 s36, v11
	s_cbranch_execz .LBB26_117
; %bb.120:                              ;   in Loop: Header=BB26_119 Depth=2
	v_ashrrev_i32_e32 v7, 31, v6
	s_delay_alu instid0(VALU_DEP_1) | instskip(NEXT) | instid1(VALU_DEP_1)
	v_lshlrev_b64_e32 v[2:3], 3, v[6:7]
	v_add_co_u32 v2, vcc_lo, s60, v2
	s_wait_alu 0xfffd
	s_delay_alu instid0(VALU_DEP_2) | instskip(SKIP_4) | instid1(VALU_DEP_2)
	v_add_co_ci_u32_e64 v3, null, s61, v3, vcc_lo
	global_load_b64 v[3:4], v[2:3], off
	s_wait_loadcnt 0x0
	v_xor_b32_e32 v2, 0x80000000, v4
	v_and_b32_e32 v22, v3, v20
	v_and_b32_e32 v23, v2, v21
	s_delay_alu instid0(VALU_DEP_1)
	v_cmp_eq_u64_e32 vcc_lo, v[22:23], v[18:19]
	s_and_b32 exec_lo, exec_lo, vcc_lo
	s_cbranch_execz .LBB26_117
; %bb.121:                              ;   in Loop: Header=BB26_119 Depth=2
	v_mov_b32_e32 v2, v12
	ds_store_b128 v12, v[1:4] offset:3072
	s_branch .LBB26_117
.LBB26_122:                             ;   in Loop: Header=BB26_119 Depth=2
	v_add_nc_u32_e32 v11, s49, v11
	v_add_nc_u32_e32 v6, s73, v6
	s_mov_b32 s58, 0
	s_delay_alu instid0(VALU_DEP_2)
	v_cmp_le_i32_e32 vcc_lo, s82, v11
	s_or_not1_b32 s28, vcc_lo, exec_lo
	s_branch .LBB26_118
.LBB26_123:                             ;   in Loop: Header=BB26_7 Depth=1
	s_or_b32 exec_lo, exec_lo, s24
	s_wait_alu 0xfffe
	s_and_b32 s24, s27, exec_lo
.LBB26_124:                             ;   in Loop: Header=BB26_7 Depth=1
	s_wait_alu 0xfffe
	s_or_b32 exec_lo, exec_lo, s26
.LBB26_125:                             ;   in Loop: Header=BB26_7 Depth=1
	s_wait_alu 0xfffe
	s_and_b32 vcc_lo, exec_lo, s25
	s_wait_alu 0xfffe
	s_cbranch_vccz .LBB26_136
; %bb.126:                              ;   in Loop: Header=BB26_7 Depth=1
	s_add_co_i32 s18, s23, s56
                                        ; implicit-def: $vgpr4_vgpr5
	s_wait_alu 0xfffe
	s_abs_i32 s58, s18
	s_ashr_i32 s25, s18, 31
	s_wait_alu 0xfffe
	s_mul_u64 s[26:27], s[58:59], s[64:65]
	s_wait_alu 0xfffe
	s_mul_i32 s17, s27, s49
	s_wait_alu 0xfffe
	s_sub_co_i32 s17, s58, s17
	s_wait_alu 0xfffe
	s_sub_co_i32 s26, s17, s49
	s_cmp_ge_u32 s17, s49
	s_wait_alu 0xfffe
	s_cselect_b32 s17, s26, s17
	s_wait_alu 0xfffe
	s_sub_co_i32 s26, s17, s49
	s_cmp_ge_u32 s17, s49
	s_wait_alu 0xfffe
	s_cselect_b32 s17, s26, s17
	s_wait_alu 0xfffe
	s_xor_b32 s17, s17, s25
	s_wait_alu 0xfffe
	s_sub_co_i32 s17, s25, s17
	s_wait_alu 0xfffe
	s_add_co_i32 s18, s18, s17
	s_mov_b32 s17, exec_lo
	s_wait_alu 0xfffe
	v_cmpx_gt_i32_e64 s18, v0
	s_cbranch_execz .LBB26_135
; %bb.127:                              ;   in Loop: Header=BB26_7 Depth=1
	v_dual_mov_b32 v6, v28 :: v_dual_mov_b32 v7, v0
	s_mov_b32 s25, 0
                                        ; implicit-def: $sgpr26
	s_branch .LBB26_130
.LBB26_128:                             ;   in Loop: Header=BB26_130 Depth=2
	s_wait_alu 0xfffe
	s_or_b32 exec_lo, exec_lo, s27
	s_wait_loadcnt_dscnt 0x0
	s_barrier_signal -1
	s_barrier_wait -1
	global_inv scope:SCOPE_SE
	ds_load_b128 v[2:5], v12 offset:3072
	s_mov_b32 s27, -1
	s_mov_b32 s28, -1
	s_wait_loadcnt_dscnt 0x0
	s_barrier_signal -1
	s_barrier_wait -1
	global_inv scope:SCOPE_SE
	v_cmp_eq_u64_e32 vcc_lo, 0, v[2:3]
	s_cbranch_vccnz .LBB26_133
.LBB26_129:                             ;   in Loop: Header=BB26_130 Depth=2
	s_wait_alu 0xfffe
	s_and_b32 s27, exec_lo, s27
	s_wait_alu 0xfffe
	s_or_b32 s25, s27, s25
	s_and_not1_b32 s26, s26, exec_lo
	s_and_b32 s27, s28, exec_lo
	s_wait_alu 0xfffe
	s_or_b32 s26, s26, s27
	s_and_not1_b32 exec_lo, exec_lo, s25
	s_cbranch_execz .LBB26_134
.LBB26_130:                             ;   Parent Loop BB26_7 Depth=1
                                        ; =>  This Inner Loop Header: Depth=2
	s_mov_b32 s27, exec_lo
	s_delay_alu instid0(VALU_DEP_1)
	v_cmpx_gt_i32_e64 s23, v7
	s_cbranch_execz .LBB26_128
; %bb.131:                              ;   in Loop: Header=BB26_130 Depth=2
	ds_load_b64 v[3:4], v6
	s_wait_dscnt 0x0
	v_xor_b32_e32 v2, 0x80000000, v4
	v_and_b32_e32 v22, v3, v20
	s_delay_alu instid0(VALU_DEP_2) | instskip(NEXT) | instid1(VALU_DEP_1)
	v_and_b32_e32 v23, v2, v21
	v_cmp_eq_u64_e32 vcc_lo, v[22:23], v[18:19]
	s_and_b32 exec_lo, exec_lo, vcc_lo
	s_cbranch_execz .LBB26_128
; %bb.132:                              ;   in Loop: Header=BB26_130 Depth=2
	v_mov_b32_e32 v2, v12
	ds_store_b128 v12, v[1:4] offset:3072
	s_branch .LBB26_128
.LBB26_133:                             ;   in Loop: Header=BB26_130 Depth=2
	v_add_nc_u32_e32 v7, s49, v7
	v_add_nc_u32_e32 v6, s85, v6
	s_mov_b32 s28, 0
	s_delay_alu instid0(VALU_DEP_2)
	v_cmp_le_i32_e32 vcc_lo, s18, v7
	s_or_not1_b32 s27, vcc_lo, exec_lo
	s_branch .LBB26_129
.LBB26_134:                             ;   in Loop: Header=BB26_7 Depth=1
	s_or_b32 exec_lo, exec_lo, s25
	s_delay_alu instid0(SALU_CYCLE_1)
	s_and_not1_b32 s18, s24, exec_lo
	s_wait_alu 0xfffe
	s_and_b32 s23, s26, exec_lo
	s_wait_alu 0xfffe
	s_or_b32 s24, s18, s23
.LBB26_135:                             ;   in Loop: Header=BB26_7 Depth=1
	s_or_b32 exec_lo, exec_lo, s17
	s_mov_b32 s17, 0
	s_mov_b32 s18, -1
.LBB26_136:                             ;   in Loop: Header=BB26_7 Depth=1
	s_wait_alu 0xfffe
	s_or_not1_b32 s23, s24, exec_lo
.LBB26_137:                             ;   in Loop: Header=BB26_7 Depth=1
	s_wait_alu 0xfffe
	s_or_b32 exec_lo, exec_lo, s20
	s_mov_b32 s24, 0
	s_and_saveexec_b32 s20, s23
	s_cbranch_execz .LBB26_226
; %bb.138:                              ;   in Loop: Header=BB26_7 Depth=1
	v_mov_b32_e32 v22, 1
	v_mov_b32_e32 v8, 1
	s_xor_b32 s23, s22, -1
	s_mov_b32 s25, 0
	s_wait_alu 0xfffe
	s_and_saveexec_b32 s22, s23
	s_cbranch_execz .LBB26_147
; %bb.139:                              ;   in Loop: Header=BB26_7 Depth=1
	s_mov_b32 s23, exec_lo
	v_cmpx_ge_i32_e64 s21, v9
	s_wait_alu 0xfffe
	s_xor_b32 s23, exec_lo, s23
	s_cbranch_execz .LBB26_144
; %bb.140:                              ;   in Loop: Header=BB26_7 Depth=1
	ds_load_b32 v2, v12 offset:4096
	v_and_b32_e32 v3, s13, v19
	v_and_b32_e32 v6, s12, v18
	s_lshl_b64 s[24:25], 1, s92
	v_or_b32_e32 v21, s11, v21
	v_or_b32_e32 v20, s10, v20
	s_wait_alu 0xfffe
	v_or_b32_e32 v19, s25, v3
	v_or_b32_e32 v18, s24, v6
	s_wait_dscnt 0x0
	v_cmp_ne_u32_e32 vcc_lo, 0, v2
	s_cbranch_vccnz .LBB26_144
; %bb.141:                              ;   in Loop: Header=BB26_7 Depth=1
	s_and_saveexec_b32 s24, s2
; %bb.142:                              ;   in Loop: Header=BB26_7 Depth=1
	v_mov_b32_e32 v2, s21
	ds_store_b32 v12, v2 offset:4100
; %bb.143:                              ;   in Loop: Header=BB26_7 Depth=1
	s_wait_alu 0xfffe
	s_or_b32 exec_lo, exec_lo, s24
	s_wait_loadcnt_dscnt 0x0
	s_barrier_signal -1
	s_barrier_wait -1
	global_inv scope:SCOPE_SE
.LBB26_144:                             ;   in Loop: Header=BB26_7 Depth=1
	s_wait_alu 0xfffe
	s_or_saveexec_b32 s23, s23
	v_mov_b32_e32 v8, 8
	s_mov_b32 s24, 0
	s_wait_alu 0xfffe
	s_xor_b32 exec_lo, exec_lo, s23
; %bb.145:                              ;   in Loop: Header=BB26_7 Depth=1
	v_subrev_nc_u32_e32 v9, s21, v9
	v_mov_b32_e32 v8, 0
	s_mov_b32 s24, exec_lo
; %bb.146:                              ;   in Loop: Header=BB26_7 Depth=1
	s_or_b32 exec_lo, exec_lo, s23
	s_delay_alu instid0(VALU_DEP_2)
	v_mov_b32_e32 v22, v9
	s_wait_alu 0xfffe
	s_and_b32 s25, s24, exec_lo
.LBB26_147:                             ;   in Loop: Header=BB26_7 Depth=1
	s_wait_alu 0xfffe
	s_or_b32 exec_lo, exec_lo, s22
	s_mov_b32 s24, -1
                                        ; implicit-def: $sgpr22
                                        ; implicit-def: $sgpr23
	s_and_saveexec_b32 s21, s25
	s_cbranch_execz .LBB26_225
; %bb.148:                              ;   in Loop: Header=BB26_7 Depth=1
	v_cmp_eq_u32_e32 vcc_lo, 1, v22
	s_cmp_eq_u32 s19, 1
	s_mov_b32 s26, -1
	s_cselect_b32 s22, -1, 0
                                        ; implicit-def: $sgpr23
	s_wait_alu 0xfffe
	s_and_b32 s25, s22, vcc_lo
                                        ; implicit-def: $sgpr22
	s_wait_alu 0xfffe
	s_and_saveexec_b32 s24, s25
	s_cbranch_execz .LBB26_174
; %bb.149:                              ;   in Loop: Header=BB26_7 Depth=1
	ds_load_b32 v2, v12 offset:4096
	s_wait_loadcnt_dscnt 0x0
	s_barrier_signal -1
	s_barrier_wait -1
	global_inv scope:SCOPE_SE
	v_readfirstlane_b32 s26, v2
	s_and_saveexec_b32 s22, s1
; %bb.150:                              ;   in Loop: Header=BB26_7 Depth=1
	v_mov_b32_e32 v11, v12
	ds_store_b64 v29, v[11:12]
; %bb.151:                              ;   in Loop: Header=BB26_7 Depth=1
	s_wait_alu 0xfffe
	s_or_b32 exec_lo, exec_lo, s22
	v_and_b32_e32 v2, s13, v19
	v_and_b32_e32 v3, s12, v18
	s_lshl_b64 s[22:23], 2, s92
	v_or_b32_e32 v21, s11, v21
	v_or_b32_e32 v20, s10, v20
	s_wait_alu 0xfffe
	v_or_b32_e32 v19, s23, v2
	v_or_b32_e32 v18, s22, v3
	s_mov_b32 s22, -1
	s_mov_b32 s23, 0
	s_cmp_gt_i32 s26, 0
	s_mov_b32 s27, 0
	s_mov_b32 s28, -1
	s_wait_loadcnt_dscnt 0x0
	s_barrier_signal -1
	s_barrier_wait -1
	global_inv scope:SCOPE_SE
                                        ; implicit-def: $vgpr4_vgpr5
	s_cbranch_scc1 .LBB26_162
; %bb.152:                              ;   in Loop: Header=BB26_7 Depth=1
	s_mov_b32 s28, 0
                                        ; implicit-def: $vgpr4_vgpr5
	s_and_saveexec_b32 s58, s8
	s_cbranch_execz .LBB26_161
; %bb.153:                              ;   in Loop: Header=BB26_7 Depth=1
	v_dual_mov_b32 v6, v10 :: v_dual_mov_b32 v9, v0
                                        ; implicit-def: $sgpr93
	s_branch .LBB26_156
.LBB26_154:                             ;   in Loop: Header=BB26_156 Depth=2
	s_wait_alu 0xfffe
	s_or_b32 exec_lo, exec_lo, s94
	s_wait_loadcnt_dscnt 0x0
	s_barrier_signal -1
	s_barrier_wait -1
	global_inv scope:SCOPE_SE
	ds_load_b128 v[2:5], v12 offset:3072
	s_mov_b32 s94, -1
	s_mov_b32 s95, -1
	s_wait_loadcnt_dscnt 0x0
	s_barrier_signal -1
	s_barrier_wait -1
	global_inv scope:SCOPE_SE
	v_cmp_ne_u64_e32 vcc_lo, 0, v[2:3]
	s_cbranch_vccz .LBB26_159
.LBB26_155:                             ;   in Loop: Header=BB26_156 Depth=2
	s_wait_alu 0xfffe
	s_and_b32 s94, exec_lo, s94
	s_wait_alu 0xfffe
	s_or_b32 s27, s94, s27
	s_and_not1_b32 s93, s93, exec_lo
	s_and_b32 s94, s95, exec_lo
	s_wait_alu 0xfffe
	s_or_b32 s93, s93, s94
	s_and_not1_b32 exec_lo, exec_lo, s27
	s_cbranch_execz .LBB26_160
.LBB26_156:                             ;   Parent Loop BB26_7 Depth=1
                                        ; =>  This Inner Loop Header: Depth=2
	s_mov_b32 s94, exec_lo
	s_delay_alu instid0(VALU_DEP_1)
	v_cmpx_gt_i32_e64 s36, v9
	s_cbranch_execz .LBB26_154
; %bb.157:                              ;   in Loop: Header=BB26_156 Depth=2
	v_ashrrev_i32_e32 v7, 31, v6
	s_delay_alu instid0(VALU_DEP_1) | instskip(NEXT) | instid1(VALU_DEP_1)
	v_lshlrev_b64_e32 v[2:3], 3, v[6:7]
	v_add_co_u32 v2, vcc_lo, s60, v2
	s_wait_alu 0xfffd
	s_delay_alu instid0(VALU_DEP_2) | instskip(SKIP_4) | instid1(VALU_DEP_2)
	v_add_co_ci_u32_e64 v3, null, s61, v3, vcc_lo
	global_load_b64 v[3:4], v[2:3], off
	s_wait_loadcnt 0x0
	v_xor_b32_e32 v2, 0x80000000, v4
	v_and_b32_e32 v23, v3, v20
	v_and_b32_e32 v24, v2, v21
	s_delay_alu instid0(VALU_DEP_1)
	v_cmp_eq_u64_e32 vcc_lo, v[23:24], v[18:19]
	s_and_b32 exec_lo, exec_lo, vcc_lo
	s_cbranch_execz .LBB26_154
; %bb.158:                              ;   in Loop: Header=BB26_156 Depth=2
	v_mov_b32_e32 v2, v12
	ds_store_b128 v12, v[1:4] offset:3072
	s_branch .LBB26_154
.LBB26_159:                             ;   in Loop: Header=BB26_156 Depth=2
	v_add_nc_u32_e32 v9, s49, v9
	v_add_nc_u32_e32 v6, s73, v6
	s_mov_b32 s95, 0
	s_delay_alu instid0(VALU_DEP_2)
	v_cmp_le_i32_e32 vcc_lo, s82, v9
	s_or_not1_b32 s94, vcc_lo, exec_lo
	s_branch .LBB26_155
.LBB26_160:                             ;   in Loop: Header=BB26_7 Depth=1
	s_or_b32 exec_lo, exec_lo, s27
	s_wait_alu 0xfffe
	s_and_b32 s27, s93, exec_lo
.LBB26_161:                             ;   in Loop: Header=BB26_7 Depth=1
	s_wait_alu 0xfffe
	s_or_b32 exec_lo, exec_lo, s58
.LBB26_162:                             ;   in Loop: Header=BB26_7 Depth=1
	s_delay_alu instid0(SALU_CYCLE_1)
	s_and_b32 vcc_lo, exec_lo, s28
	s_wait_alu 0xfffe
	s_cbranch_vccz .LBB26_173
; %bb.163:                              ;   in Loop: Header=BB26_7 Depth=1
	s_add_co_i32 s28, s26, s56
                                        ; implicit-def: $vgpr4_vgpr5
	s_delay_alu instid0(SALU_CYCLE_1)
	s_abs_i32 s58, s28
	s_wait_alu 0xfffe
	s_mul_u64 s[22:23], s[58:59], s[64:65]
	s_wait_alu 0xfffe
	s_mul_i32 s22, s23, s49
	s_ashr_i32 s23, s28, 31
	s_wait_alu 0xfffe
	s_sub_co_i32 s22, s58, s22
	s_wait_alu 0xfffe
	s_sub_co_i32 s58, s22, s49
	s_cmp_ge_u32 s22, s49
	s_wait_alu 0xfffe
	s_cselect_b32 s22, s58, s22
	s_wait_alu 0xfffe
	s_sub_co_i32 s58, s22, s49
	s_cmp_ge_u32 s22, s49
	s_wait_alu 0xfffe
	s_cselect_b32 s22, s58, s22
	s_wait_alu 0xfffe
	s_xor_b32 s22, s22, s23
	s_wait_alu 0xfffe
	s_sub_co_i32 s22, s23, s22
	s_wait_alu 0xfffe
	s_add_co_i32 s23, s28, s22
	s_mov_b32 s22, exec_lo
	s_wait_alu 0xfffe
	v_cmpx_gt_i32_e64 s23, v0
	s_cbranch_execz .LBB26_172
; %bb.164:                              ;   in Loop: Header=BB26_7 Depth=1
	v_dual_mov_b32 v6, v28 :: v_dual_mov_b32 v7, v0
	s_mov_b32 s28, 0
                                        ; implicit-def: $sgpr58
	s_branch .LBB26_167
.LBB26_165:                             ;   in Loop: Header=BB26_167 Depth=2
	s_wait_alu 0xfffe
	s_or_b32 exec_lo, exec_lo, s93
	s_wait_loadcnt_dscnt 0x0
	s_barrier_signal -1
	s_barrier_wait -1
	global_inv scope:SCOPE_SE
	ds_load_b128 v[2:5], v12 offset:3072
	s_mov_b32 s93, -1
	s_mov_b32 s94, -1
	s_wait_loadcnt_dscnt 0x0
	s_barrier_signal -1
	s_barrier_wait -1
	global_inv scope:SCOPE_SE
	v_cmp_eq_u64_e32 vcc_lo, 0, v[2:3]
	s_cbranch_vccnz .LBB26_170
.LBB26_166:                             ;   in Loop: Header=BB26_167 Depth=2
	s_wait_alu 0xfffe
	s_and_b32 s93, exec_lo, s93
	s_wait_alu 0xfffe
	s_or_b32 s28, s93, s28
	s_and_not1_b32 s58, s58, exec_lo
	s_and_b32 s93, s94, exec_lo
	s_wait_alu 0xfffe
	s_or_b32 s58, s58, s93
	s_and_not1_b32 exec_lo, exec_lo, s28
	s_cbranch_execz .LBB26_171
.LBB26_167:                             ;   Parent Loop BB26_7 Depth=1
                                        ; =>  This Inner Loop Header: Depth=2
	s_mov_b32 s93, exec_lo
	s_delay_alu instid0(VALU_DEP_1)
	v_cmpx_gt_i32_e64 s26, v7
	s_cbranch_execz .LBB26_165
; %bb.168:                              ;   in Loop: Header=BB26_167 Depth=2
	ds_load_b64 v[3:4], v6
	s_wait_dscnt 0x0
	v_xor_b32_e32 v2, 0x80000000, v4
	v_and_b32_e32 v23, v3, v20
	s_delay_alu instid0(VALU_DEP_2) | instskip(NEXT) | instid1(VALU_DEP_1)
	v_and_b32_e32 v24, v2, v21
	v_cmp_eq_u64_e32 vcc_lo, v[23:24], v[18:19]
	s_and_b32 exec_lo, exec_lo, vcc_lo
	s_cbranch_execz .LBB26_165
; %bb.169:                              ;   in Loop: Header=BB26_167 Depth=2
	v_mov_b32_e32 v2, v12
	ds_store_b128 v12, v[1:4] offset:3072
	s_branch .LBB26_165
.LBB26_170:                             ;   in Loop: Header=BB26_167 Depth=2
	v_add_nc_u32_e32 v7, s49, v7
	v_add_nc_u32_e32 v6, s85, v6
	s_mov_b32 s94, 0
	s_delay_alu instid0(VALU_DEP_2)
	v_cmp_le_i32_e32 vcc_lo, s23, v7
	s_or_not1_b32 s93, vcc_lo, exec_lo
	s_branch .LBB26_166
.LBB26_171:                             ;   in Loop: Header=BB26_7 Depth=1
	s_or_b32 exec_lo, exec_lo, s28
	s_delay_alu instid0(SALU_CYCLE_1)
	s_and_not1_b32 s23, s27, exec_lo
	s_wait_alu 0xfffe
	s_and_b32 s26, s58, exec_lo
	s_wait_alu 0xfffe
	s_or_b32 s27, s23, s26
.LBB26_172:                             ;   in Loop: Header=BB26_7 Depth=1
	s_or_b32 exec_lo, exec_lo, s22
	s_mov_b32 s22, 0
	s_mov_b32 s23, -1
.LBB26_173:                             ;   in Loop: Header=BB26_7 Depth=1
	s_wait_alu 0xfffe
	s_or_not1_b32 s26, s27, exec_lo
.LBB26_174:                             ;   in Loop: Header=BB26_7 Depth=1
	s_wait_alu 0xfffe
	s_or_b32 exec_lo, exec_lo, s24
	s_mov_b32 s27, 0
	s_and_saveexec_b32 s24, s26
	s_cbranch_execz .LBB26_224
; %bb.175:                              ;   in Loop: Header=BB26_7 Depth=1
	v_dual_mov_b32 v9, 1 :: v_dual_mov_b32 v8, 1
	s_xor_b32 s27, s25, -1
	s_mov_b32 s26, 0
	s_wait_alu 0xfffe
	s_and_saveexec_b32 s25, s27
	s_cbranch_execz .LBB26_184
; %bb.176:                              ;   in Loop: Header=BB26_7 Depth=1
	s_mov_b32 s26, exec_lo
	v_cmpx_ge_i32_e64 s19, v22
	s_wait_alu 0xfffe
	s_xor_b32 s26, exec_lo, s26
	s_cbranch_execz .LBB26_181
; %bb.177:                              ;   in Loop: Header=BB26_7 Depth=1
	ds_load_b32 v2, v12 offset:4096
	v_and_b32_e32 v3, s13, v19
	v_and_b32_e32 v6, s12, v18
	s_lshl_b64 s[12:13], 2, s92
	v_or_b32_e32 v21, s11, v21
	v_or_b32_e32 v20, s10, v20
	s_wait_alu 0xfffe
	v_or_b32_e32 v19, s13, v3
	v_or_b32_e32 v18, s12, v6
	s_wait_dscnt 0x0
	v_cmp_ne_u32_e32 vcc_lo, 0, v2
	s_cbranch_vccnz .LBB26_181
; %bb.178:                              ;   in Loop: Header=BB26_7 Depth=1
	s_and_saveexec_b32 s12, s2
; %bb.179:                              ;   in Loop: Header=BB26_7 Depth=1
	v_mov_b32_e32 v2, s19
	ds_store_b32 v12, v2 offset:4100
; %bb.180:                              ;   in Loop: Header=BB26_7 Depth=1
	s_wait_alu 0xfffe
	s_or_b32 exec_lo, exec_lo, s12
	s_wait_loadcnt_dscnt 0x0
	s_barrier_signal -1
	s_barrier_wait -1
	global_inv scope:SCOPE_SE
.LBB26_181:                             ;   in Loop: Header=BB26_7 Depth=1
	s_wait_alu 0xfffe
	s_or_saveexec_b32 s12, s26
	v_mov_b32_e32 v8, 8
	s_mov_b32 s13, 0
	s_wait_alu 0xfffe
	s_xor_b32 exec_lo, exec_lo, s12
; %bb.182:                              ;   in Loop: Header=BB26_7 Depth=1
	v_subrev_nc_u32_e32 v22, s19, v22
	v_mov_b32_e32 v8, 0
	s_mov_b32 s13, exec_lo
; %bb.183:                              ;   in Loop: Header=BB26_7 Depth=1
	s_or_b32 exec_lo, exec_lo, s12
	s_delay_alu instid0(VALU_DEP_2)
	v_mov_b32_e32 v9, v22
	s_wait_alu 0xfffe
	s_and_b32 s26, s13, exec_lo
.LBB26_184:                             ;   in Loop: Header=BB26_7 Depth=1
	s_wait_alu 0xfffe
	s_or_b32 exec_lo, exec_lo, s25
	s_mov_b32 s13, -1
                                        ; implicit-def: $sgpr25
                                        ; implicit-def: $sgpr19
	s_and_saveexec_b32 s12, s26
	s_cbranch_execz .LBB26_223
; %bb.185:                              ;   in Loop: Header=BB26_7 Depth=1
	v_cmp_eq_u32_e32 vcc_lo, 1, v9
	s_cmp_eq_u32 s9, 1
	s_mov_b32 s27, -1
	s_cselect_b32 s13, -1, 0
                                        ; implicit-def: $sgpr25
                                        ; implicit-def: $sgpr19
	s_wait_alu 0xfffe
	s_and_b32 s13, s13, vcc_lo
	s_wait_alu 0xfffe
	s_and_saveexec_b32 s26, s13
	s_cbranch_execz .LBB26_211
; %bb.186:                              ;   in Loop: Header=BB26_7 Depth=1
	ds_load_b32 v2, v12 offset:4096
	s_wait_loadcnt_dscnt 0x0
	s_barrier_signal -1
	s_barrier_wait -1
	global_inv scope:SCOPE_SE
	v_readfirstlane_b32 s27, v2
	s_and_saveexec_b32 s19, s1
; %bb.187:                              ;   in Loop: Header=BB26_7 Depth=1
	v_mov_b32_e32 v11, v12
	ds_store_b64 v29, v[11:12]
; %bb.188:                              ;   in Loop: Header=BB26_7 Depth=1
	s_wait_alu 0xfffe
	s_or_b32 exec_lo, exec_lo, s19
	v_or_b32_e32 v19, s11, v19
	v_or_b32_e32 v18, s10, v18
	;; [unrolled: 1-line block ×4, first 2 shown]
	s_mov_b32 s19, -1
	s_mov_b32 s25, 0
	s_cmp_gt_i32 s27, 0
	s_mov_b32 s28, 0
	s_mov_b32 s58, -1
	s_wait_loadcnt_dscnt 0x0
	s_barrier_signal -1
	s_barrier_wait -1
	global_inv scope:SCOPE_SE
                                        ; implicit-def: $vgpr4_vgpr5
	s_cbranch_scc1 .LBB26_199
; %bb.189:                              ;   in Loop: Header=BB26_7 Depth=1
	s_mov_b32 s58, 0
                                        ; implicit-def: $vgpr4_vgpr5
	s_and_saveexec_b32 s93, s8
	s_cbranch_execz .LBB26_198
; %bb.190:                              ;   in Loop: Header=BB26_7 Depth=1
	v_dual_mov_b32 v6, v10 :: v_dual_mov_b32 v11, v0
                                        ; implicit-def: $sgpr94
	s_branch .LBB26_193
.LBB26_191:                             ;   in Loop: Header=BB26_193 Depth=2
	s_wait_alu 0xfffe
	s_or_b32 exec_lo, exec_lo, s95
	s_wait_loadcnt_dscnt 0x0
	s_barrier_signal -1
	s_barrier_wait -1
	global_inv scope:SCOPE_SE
	ds_load_b128 v[2:5], v12 offset:3072
	s_mov_b32 s95, -1
	s_mov_b32 s96, -1
	s_wait_loadcnt_dscnt 0x0
	s_barrier_signal -1
	s_barrier_wait -1
	global_inv scope:SCOPE_SE
	v_cmp_ne_u64_e32 vcc_lo, 0, v[2:3]
	s_cbranch_vccz .LBB26_196
.LBB26_192:                             ;   in Loop: Header=BB26_193 Depth=2
	s_wait_alu 0xfffe
	s_and_b32 s95, exec_lo, s95
	s_wait_alu 0xfffe
	s_or_b32 s28, s95, s28
	s_and_not1_b32 s94, s94, exec_lo
	s_and_b32 s95, s96, exec_lo
	s_wait_alu 0xfffe
	s_or_b32 s94, s94, s95
	s_and_not1_b32 exec_lo, exec_lo, s28
	s_cbranch_execz .LBB26_197
.LBB26_193:                             ;   Parent Loop BB26_7 Depth=1
                                        ; =>  This Inner Loop Header: Depth=2
	s_mov_b32 s95, exec_lo
	s_delay_alu instid0(VALU_DEP_1)
	v_cmpx_gt_i32_e64 s36, v11
	s_cbranch_execz .LBB26_191
; %bb.194:                              ;   in Loop: Header=BB26_193 Depth=2
	v_ashrrev_i32_e32 v7, 31, v6
	s_delay_alu instid0(VALU_DEP_1) | instskip(NEXT) | instid1(VALU_DEP_1)
	v_lshlrev_b64_e32 v[2:3], 3, v[6:7]
	v_add_co_u32 v2, vcc_lo, s60, v2
	s_wait_alu 0xfffd
	s_delay_alu instid0(VALU_DEP_2) | instskip(SKIP_4) | instid1(VALU_DEP_2)
	v_add_co_ci_u32_e64 v3, null, s61, v3, vcc_lo
	global_load_b64 v[3:4], v[2:3], off
	s_wait_loadcnt 0x0
	v_xor_b32_e32 v2, 0x80000000, v4
	v_and_b32_e32 v22, v3, v20
	v_and_b32_e32 v23, v2, v21
	s_delay_alu instid0(VALU_DEP_1)
	v_cmp_eq_u64_e32 vcc_lo, v[22:23], v[18:19]
	s_and_b32 exec_lo, exec_lo, vcc_lo
	s_cbranch_execz .LBB26_191
; %bb.195:                              ;   in Loop: Header=BB26_193 Depth=2
	v_mov_b32_e32 v2, v12
	ds_store_b128 v12, v[1:4] offset:3072
	s_branch .LBB26_191
.LBB26_196:                             ;   in Loop: Header=BB26_193 Depth=2
	v_add_nc_u32_e32 v11, s49, v11
	v_add_nc_u32_e32 v6, s73, v6
	s_mov_b32 s96, 0
	s_delay_alu instid0(VALU_DEP_2)
	v_cmp_le_i32_e32 vcc_lo, s82, v11
	s_or_not1_b32 s95, vcc_lo, exec_lo
	s_branch .LBB26_192
.LBB26_197:                             ;   in Loop: Header=BB26_7 Depth=1
	s_or_b32 exec_lo, exec_lo, s28
	s_wait_alu 0xfffe
	s_and_b32 s28, s94, exec_lo
.LBB26_198:                             ;   in Loop: Header=BB26_7 Depth=1
	s_wait_alu 0xfffe
	s_or_b32 exec_lo, exec_lo, s93
.LBB26_199:                             ;   in Loop: Header=BB26_7 Depth=1
	s_wait_alu 0xfffe
	s_and_b32 vcc_lo, exec_lo, s58
	s_wait_alu 0xfffe
	s_cbranch_vccz .LBB26_210
; %bb.200:                              ;   in Loop: Header=BB26_7 Depth=1
	s_add_co_i32 s25, s27, s56
                                        ; implicit-def: $vgpr4_vgpr5
	s_wait_alu 0xfffe
	s_abs_i32 s58, s25
	s_wait_alu 0xfffe
	s_mul_u64 s[94:95], s[58:59], s[64:65]
	s_wait_alu 0xfffe
	s_mul_i32 s19, s95, s49
	s_wait_alu 0xfffe
	s_sub_co_i32 s19, s58, s19
	s_ashr_i32 s58, s25, 31
	s_wait_alu 0xfffe
	s_sub_co_i32 s93, s19, s49
	s_cmp_ge_u32 s19, s49
	s_wait_alu 0xfffe
	s_cselect_b32 s19, s93, s19
	s_wait_alu 0xfffe
	s_sub_co_i32 s93, s19, s49
	s_cmp_ge_u32 s19, s49
	s_wait_alu 0xfffe
	s_cselect_b32 s19, s93, s19
	s_wait_alu 0xfffe
	s_xor_b32 s19, s19, s58
	s_wait_alu 0xfffe
	s_sub_co_i32 s19, s58, s19
	s_wait_alu 0xfffe
	s_add_co_i32 s25, s25, s19
	s_mov_b32 s19, exec_lo
	s_wait_alu 0xfffe
	v_cmpx_gt_i32_e64 s25, v0
	s_cbranch_execz .LBB26_209
; %bb.201:                              ;   in Loop: Header=BB26_7 Depth=1
	v_dual_mov_b32 v6, v28 :: v_dual_mov_b32 v7, v0
	s_mov_b32 s58, 0
                                        ; implicit-def: $sgpr93
	s_branch .LBB26_204
.LBB26_202:                             ;   in Loop: Header=BB26_204 Depth=2
	s_wait_alu 0xfffe
	s_or_b32 exec_lo, exec_lo, s94
	s_wait_loadcnt_dscnt 0x0
	s_barrier_signal -1
	s_barrier_wait -1
	global_inv scope:SCOPE_SE
	ds_load_b128 v[2:5], v12 offset:3072
	s_mov_b32 s94, -1
	s_mov_b32 s95, -1
	s_wait_loadcnt_dscnt 0x0
	s_barrier_signal -1
	s_barrier_wait -1
	global_inv scope:SCOPE_SE
	v_cmp_eq_u64_e32 vcc_lo, 0, v[2:3]
	s_cbranch_vccnz .LBB26_207
.LBB26_203:                             ;   in Loop: Header=BB26_204 Depth=2
	s_wait_alu 0xfffe
	s_and_b32 s94, exec_lo, s94
	s_wait_alu 0xfffe
	s_or_b32 s58, s94, s58
	s_and_not1_b32 s93, s93, exec_lo
	s_and_b32 s94, s95, exec_lo
	s_wait_alu 0xfffe
	s_or_b32 s93, s93, s94
	s_and_not1_b32 exec_lo, exec_lo, s58
	s_cbranch_execz .LBB26_208
.LBB26_204:                             ;   Parent Loop BB26_7 Depth=1
                                        ; =>  This Inner Loop Header: Depth=2
	s_mov_b32 s94, exec_lo
	s_delay_alu instid0(VALU_DEP_1)
	v_cmpx_gt_i32_e64 s27, v7
	s_cbranch_execz .LBB26_202
; %bb.205:                              ;   in Loop: Header=BB26_204 Depth=2
	ds_load_b64 v[3:4], v6
	s_wait_dscnt 0x0
	v_xor_b32_e32 v2, 0x80000000, v4
	v_and_b32_e32 v22, v3, v20
	s_delay_alu instid0(VALU_DEP_2) | instskip(NEXT) | instid1(VALU_DEP_1)
	v_and_b32_e32 v23, v2, v21
	v_cmp_eq_u64_e32 vcc_lo, v[22:23], v[18:19]
	s_and_b32 exec_lo, exec_lo, vcc_lo
	s_cbranch_execz .LBB26_202
; %bb.206:                              ;   in Loop: Header=BB26_204 Depth=2
	v_mov_b32_e32 v2, v12
	ds_store_b128 v12, v[1:4] offset:3072
	s_branch .LBB26_202
.LBB26_207:                             ;   in Loop: Header=BB26_204 Depth=2
	v_add_nc_u32_e32 v7, s49, v7
	v_add_nc_u32_e32 v6, s85, v6
	s_mov_b32 s95, 0
	s_delay_alu instid0(VALU_DEP_2)
	v_cmp_le_i32_e32 vcc_lo, s25, v7
	s_or_not1_b32 s94, vcc_lo, exec_lo
	s_branch .LBB26_203
.LBB26_208:                             ;   in Loop: Header=BB26_7 Depth=1
	s_or_b32 exec_lo, exec_lo, s58
	s_delay_alu instid0(SALU_CYCLE_1)
	s_and_not1_b32 s25, s28, exec_lo
	s_wait_alu 0xfffe
	s_and_b32 s27, s93, exec_lo
	s_wait_alu 0xfffe
	s_or_b32 s28, s25, s27
.LBB26_209:                             ;   in Loop: Header=BB26_7 Depth=1
	s_or_b32 exec_lo, exec_lo, s19
	s_mov_b32 s19, 0
	s_mov_b32 s25, -1
.LBB26_210:                             ;   in Loop: Header=BB26_7 Depth=1
	s_or_not1_b32 s27, s28, exec_lo
.LBB26_211:                             ;   in Loop: Header=BB26_7 Depth=1
	s_wait_alu 0xfffe
	s_or_b32 exec_lo, exec_lo, s26
	s_mov_b32 s28, 0
	s_and_saveexec_b32 s26, s27
	s_cbranch_execz .LBB26_222
; %bb.212:                              ;   in Loop: Header=BB26_7 Depth=1
	v_mov_b32_e32 v8, 1
	v_mov_b32_e32 v2, 1
	s_xor_b32 s27, s13, -1
	s_wait_alu 0xfffe
	s_and_saveexec_b32 s13, s27
	s_cbranch_execz .LBB26_221
; %bb.213:                              ;   in Loop: Header=BB26_7 Depth=1
	s_mov_b32 s27, exec_lo
	v_cmpx_ge_i32_e64 s9, v9
	s_wait_alu 0xfffe
	s_xor_b32 s27, exec_lo, s27
	s_cbranch_execz .LBB26_218
; %bb.214:                              ;   in Loop: Header=BB26_7 Depth=1
	ds_load_b32 v2, v12 offset:4096
	v_or_b32_e32 v19, s11, v19
	v_or_b32_e32 v18, s10, v18
	;; [unrolled: 1-line block ×4, first 2 shown]
	s_wait_dscnt 0x0
	v_cmp_ne_u32_e32 vcc_lo, 0, v2
	s_cbranch_vccnz .LBB26_218
; %bb.215:                              ;   in Loop: Header=BB26_7 Depth=1
	s_and_saveexec_b32 s10, s2
; %bb.216:                              ;   in Loop: Header=BB26_7 Depth=1
	v_mov_b32_e32 v2, s9
	ds_store_b32 v12, v2 offset:4100
; %bb.217:                              ;   in Loop: Header=BB26_7 Depth=1
	s_wait_alu 0xfffe
	s_or_b32 exec_lo, exec_lo, s10
	s_wait_loadcnt_dscnt 0x0
	s_barrier_signal -1
	s_barrier_wait -1
	global_inv scope:SCOPE_SE
.LBB26_218:                             ;   in Loop: Header=BB26_7 Depth=1
	s_wait_alu 0xfffe
	s_and_not1_saveexec_b32 s10, s27
; %bb.219:                              ;   in Loop: Header=BB26_7 Depth=1
	v_subrev_nc_u32_e32 v9, s9, v9
; %bb.220:                              ;   in Loop: Header=BB26_7 Depth=1
	s_wait_alu 0xfffe
	s_or_b32 exec_lo, exec_lo, s10
	v_mov_b32_e32 v8, 8
	s_delay_alu instid0(VALU_DEP_2)
	v_mov_b32_e32 v2, v9
.LBB26_221:                             ;   in Loop: Header=BB26_7 Depth=1
	s_wait_alu 0xfffe
	s_or_b32 exec_lo, exec_lo, s13
	s_delay_alu instid0(VALU_DEP_1)
	v_mov_b32_e32 v9, v2
	s_mov_b32 s28, exec_lo
.LBB26_222:                             ;   in Loop: Header=BB26_7 Depth=1
	s_wait_alu 0xfffe
	s_or_b32 exec_lo, exec_lo, s26
	s_delay_alu instid0(SALU_CYCLE_1)
	s_or_not1_b32 s13, s28, exec_lo
.LBB26_223:                             ;   in Loop: Header=BB26_7 Depth=1
	s_wait_alu 0xfffe
	s_or_b32 exec_lo, exec_lo, s12
	v_mov_b32_e32 v22, v9
	s_and_not1_b32 s9, s23, exec_lo
	s_and_b32 s10, s25, exec_lo
	s_and_not1_b32 s11, s22, exec_lo
	s_and_b32 s12, s19, exec_lo
	s_wait_alu 0xfffe
	s_or_b32 s23, s9, s10
	s_or_b32 s22, s11, s12
	s_and_b32 s27, s13, exec_lo
.LBB26_224:                             ;   in Loop: Header=BB26_7 Depth=1
	s_wait_alu 0xfffe
	s_or_b32 exec_lo, exec_lo, s24
	s_delay_alu instid0(SALU_CYCLE_1)
	s_or_not1_b32 s24, s27, exec_lo
.LBB26_225:                             ;   in Loop: Header=BB26_7 Depth=1
	s_wait_alu 0xfffe
	s_or_b32 exec_lo, exec_lo, s21
	v_mov_b32_e32 v9, v22
	s_and_not1_b32 s9, s18, exec_lo
	s_and_b32 s10, s23, exec_lo
	s_and_not1_b32 s11, s17, exec_lo
	s_and_b32 s12, s22, exec_lo
	s_wait_alu 0xfffe
	s_or_b32 s18, s9, s10
	s_or_b32 s17, s11, s12
	s_and_b32 s24, s24, exec_lo
.LBB26_226:                             ;   in Loop: Header=BB26_7 Depth=1
	s_wait_alu 0xfffe
	s_or_b32 exec_lo, exec_lo, s20
	s_delay_alu instid0(SALU_CYCLE_1)
	s_or_not1_b32 s20, s24, exec_lo
.LBB26_227:                             ;   in Loop: Header=BB26_7 Depth=1
	s_wait_alu 0xfffe
	s_or_b32 exec_lo, exec_lo, s16
	s_mov_b32 s10, 0
                                        ; implicit-def: $sgpr23
	s_and_saveexec_b32 s9, s20
	s_wait_alu 0xfffe
	s_xor_b32 s9, exec_lo, s9
	s_cbranch_execz .LBB26_5
; %bb.228:                              ;   in Loop: Header=BB26_7 Depth=1
	v_and_b32_e32 v2, 7, v8
	s_mov_b32 s11, -1
	s_mov_b32 s10, -1
	s_mov_b32 s12, exec_lo
                                        ; implicit-def: $sgpr23
	s_delay_alu instid0(VALU_DEP_1)
	v_cmpx_eq_u32_e32 0, v2
	s_cbranch_execz .LBB26_4
; %bb.229:                              ;   in Loop: Header=BB26_7 Depth=1
	s_add_co_i32 s23, s92, -2
	s_cmp_eq_u32 s92, 0
	v_xor_b32_e32 v39, 1, v39
	s_cselect_b32 s11, -1, 0
	s_xor_b32 s10, exec_lo, -1
	s_wait_alu 0xfffe
	s_or_not1_b32 s11, s11, exec_lo
	s_branch .LBB26_4
.LBB26_230:
	s_or_b32 exec_lo, exec_lo, s37
	s_xor_b32 s4, s91, -1
	s_xor_b32 s0, s89, -1
	s_xor_b32 s3, s86, -1
	s_mov_b32 s1, 0
	s_wait_alu 0xfffe
	s_and_saveexec_b32 s5, s0
	s_wait_alu 0xfffe
	s_xor_b32 s0, exec_lo, s5
	s_cbranch_execnz .LBB26_235
; %bb.231:
	s_wait_alu 0xfffe
	s_and_not1_saveexec_b32 s0, s0
	s_cbranch_execnz .LBB26_255
.LBB26_232:
	s_wait_alu 0xfffe
	s_or_b32 exec_lo, exec_lo, s0
	s_and_saveexec_b32 s0, s1
.LBB26_233:
	; divergent unreachable
.LBB26_234:
	s_endpgm
.LBB26_235:
	s_and_saveexec_b32 s1, s4
	s_wait_alu 0xfffe
	s_xor_b32 s1, exec_lo, s1
	s_cbranch_execz .LBB26_253
; %bb.236:
	s_and_saveexec_b32 s4, s3
	s_wait_alu 0xfffe
	s_xor_b32 s3, exec_lo, s4
; %bb.237:
	v_xor_b32_e32 v19, 0x80000000, v19
	s_delay_alu instid0(VALU_DEP_1)
	v_dual_mov_b32 v4, v18 :: v_dual_mov_b32 v5, v19
; %bb.238:
	s_wait_alu 0xfffe
	s_or_b32 exec_lo, exec_lo, s3
	s_and_saveexec_b32 s3, s2
; %bb.239:
	v_dual_mov_b32 v1, 0 :: v_dual_mov_b32 v2, s36
	ds_store_b32 v1, v2 offset:4108
; %bb.240:
	s_wait_alu 0xfffe
	s_or_b32 exec_lo, exec_lo, s3
	v_mov_b32_e32 v1, 0
	s_wait_loadcnt_dscnt 0x0
	s_barrier_signal -1
	s_barrier_wait -1
	global_inv scope:SCOPE_SE
	ds_load_b32 v1, v1 offset:4108
	s_mov_b32 s3, exec_lo
	s_wait_dscnt 0x0
	v_min_i32_e32 v1, s36, v1
	s_delay_alu instid0(VALU_DEP_1)
	v_cmpx_lt_i32_e64 v0, v1
	s_cbranch_execz .LBB26_250
; %bb.241:
	s_mov_b32 s4, 0
                                        ; implicit-def: $sgpr5
                                        ; implicit-def: $sgpr7
                                        ; implicit-def: $sgpr6
	s_branch .LBB26_243
.LBB26_242:                             ;   in Loop: Header=BB26_243 Depth=1
	s_wait_alu 0xfffe
	s_or_b32 exec_lo, exec_lo, s8
	s_delay_alu instid0(SALU_CYCLE_1)
	s_and_b32 s8, exec_lo, s7
	s_wait_alu 0xfffe
	s_or_b32 s4, s8, s4
	s_and_not1_b32 s5, s5, exec_lo
	s_and_b32 s8, s6, exec_lo
	s_wait_alu 0xfffe
	s_or_b32 s5, s5, s8
	s_and_not1_b32 exec_lo, exec_lo, s4
	s_cbranch_execz .LBB26_245
.LBB26_243:                             ; =>This Inner Loop Header: Depth=1
	v_ashrrev_i32_e32 v11, 31, v10
	s_or_b32 s6, s6, exec_lo
	s_or_b32 s7, s7, exec_lo
	s_delay_alu instid0(VALU_DEP_1) | instskip(NEXT) | instid1(VALU_DEP_1)
	v_lshlrev_b64_e32 v[2:3], 3, v[10:11]
	v_add_co_u32 v2, vcc_lo, s60, v2
	s_wait_alu 0xfffd
	s_delay_alu instid0(VALU_DEP_2)
	v_add_co_ci_u32_e64 v3, null, s61, v3, vcc_lo
	global_load_b64 v[2:3], v[2:3], off
	s_wait_loadcnt 0x0
	v_cmp_ne_u64_e32 vcc_lo, v[2:3], v[4:5]
	v_mov_b32_e32 v2, v0
                                        ; implicit-def: $vgpr0
	s_and_saveexec_b32 s8, vcc_lo
	s_cbranch_execz .LBB26_242
; %bb.244:                              ;   in Loop: Header=BB26_243 Depth=1
	s_delay_alu instid0(VALU_DEP_1) | instskip(SKIP_3) | instid1(VALU_DEP_2)
	v_add_nc_u32_e32 v0, s49, v2
	v_add_nc_u32_e32 v10, s73, v10
	s_and_not1_b32 s7, s7, exec_lo
	s_and_not1_b32 s6, s6, exec_lo
	v_cmp_ge_i32_e32 vcc_lo, v0, v1
	s_and_b32 s9, vcc_lo, exec_lo
	s_wait_alu 0xfffe
	s_or_b32 s7, s7, s9
	s_branch .LBB26_242
.LBB26_245:
	s_or_b32 exec_lo, exec_lo, s4
	s_wait_alu 0xfffe
	s_and_saveexec_b32 s4, s5
	s_wait_alu 0xfffe
	s_xor_b32 s4, exec_lo, s4
	s_cbranch_execz .LBB26_250
; %bb.246:
	s_mov_b32 s5, exec_lo
	s_brev_b32 s4, -2
.LBB26_247:                             ; =>This Inner Loop Header: Depth=1
	s_wait_alu 0xfffe
	s_ctz_i32_b32 s6, s5
	s_wait_alu 0xfffe
	v_readlane_b32 s7, v2, s6
	s_lshl_b32 s6, 1, s6
	s_wait_alu 0xfffe
	s_and_not1_b32 s5, s5, s6
	s_min_i32 s4, s4, s7
	s_wait_alu 0xfffe
	s_cmp_lg_u32 s5, 0
	s_cbranch_scc1 .LBB26_247
; %bb.248:
	v_mbcnt_lo_u32_b32 v0, exec_lo, 0
	s_mov_b32 s5, exec_lo
	s_delay_alu instid0(VALU_DEP_1)
	v_cmpx_eq_u32_e32 0, v0
	s_wait_alu 0xfffe
	s_xor_b32 s5, exec_lo, s5
; %bb.249:
	v_dual_mov_b32 v0, 0 :: v_dual_mov_b32 v1, s4
	ds_min_i32 v0, v1 offset:4108
.LBB26_250:
	s_wait_alu 0xfffe
	s_or_b32 exec_lo, exec_lo, s3
	s_wait_loadcnt_dscnt 0x0
	s_barrier_signal -1
	s_barrier_wait -1
	global_inv scope:SCOPE_SE
	s_and_saveexec_b32 s3, s2
	s_cbranch_execz .LBB26_252
; %bb.251:
	s_mul_i32 s4, s57, s68
	s_mul_i32 s2, s43, s31
	s_wait_alu 0xfffe
	s_sub_co_i32 s4, s48, s4
	s_sub_co_i32 s2, s33, s2
	s_xor_b32 s5, s71, s72
	s_add_co_i32 s6, s57, 1
	s_wait_alu 0xfffe
	s_sub_co_i32 s7, s4, s68
	s_cmp_ge_u32 s4, s68
	s_wait_kmcnt 0x0
	s_mul_i32 s2, s2, s46
	s_cselect_b32 s6, s6, s57
	s_wait_alu 0xfffe
	s_cselect_b32 s4, s7, s4
	s_add_co_i32 s7, s6, 1
	s_wait_alu 0xfffe
	s_cmp_ge_u32 s4, s68
	v_mov_b32_e32 v2, 0
	s_cselect_b32 s4, s7, s6
	s_mul_i32 s7, s29, s38
	s_wait_alu 0xfffe
	s_xor_b32 s4, s4, s5
	s_mul_i32 s6, s47, s35
	s_wait_alu 0xfffe
	s_sub_co_i32 s4, s4, s5
	s_sub_co_i32 s6, s33, s6
	s_wait_alu 0xfffe
	s_mul_i32 s5, s4, s30
	s_mul_i32 s4, s4, s44
	s_wait_alu 0xfffe
	s_sub_co_i32 s5, s43, s5
	s_xor_b32 s8, s69, s70
	s_wait_alu 0xfffe
	s_mul_i32 s5, s5, s45
	ds_load_b32 v0, v2 offset:4108
	s_wait_alu 0xfffe
	s_add_co_i32 s2, s5, s2
	s_sub_co_i32 s5, s50, s7
	s_wait_alu 0xfffe
	s_add_co_i32 s4, s2, s4
	s_add_co_i32 s2, s29, 1
	s_sub_co_i32 s7, s5, s38
	s_cmp_ge_u32 s5, s38
	s_mul_i32 s6, s6, s42
	s_wait_alu 0xfffe
	s_cselect_b32 s2, s2, s29
	s_cselect_b32 s5, s7, s5
	s_wait_alu 0xfffe
	s_add_co_i32 s7, s2, 1
	s_cmp_ge_u32 s5, s38
	s_wait_alu 0xfffe
	s_cselect_b32 s2, s7, s2
	s_wait_alu 0xfffe
	s_xor_b32 s2, s2, s8
	s_wait_alu 0xfffe
	s_sub_co_i32 s2, s2, s8
	s_wait_alu 0xfffe
	s_mul_i32 s5, s2, s34
	s_mul_i32 s2, s2, s40
	s_wait_alu 0xfffe
	s_sub_co_i32 s5, s47, s5
	s_wait_dscnt 0x0
	v_ashrrev_i32_e32 v1, 31, v0
	s_wait_alu 0xfffe
	s_mul_i32 s5, s5, s41
	s_wait_alu 0xfffe
	s_add_co_i32 s5, s5, s6
	s_wait_alu 0xfffe
	s_add_co_i32 s6, s5, s2
	s_ashr_i32 s5, s4, 31
	s_wait_alu 0xfffe
	s_ashr_i32 s7, s6, 31
	s_lshl_b64 s[4:5], s[4:5], 3
	s_wait_alu 0xfffe
	s_lshl_b64 s[6:7], s[6:7], 3
	s_add_nc_u64 s[4:5], s[54:55], s[4:5]
	s_wait_alu 0xfffe
	s_add_nc_u64 s[6:7], s[52:53], s[6:7]
	s_clause 0x1
	global_store_b64 v2, v[0:1], s[6:7]
	global_store_b64 v2, v[4:5], s[4:5]
.LBB26_252:
	s_wait_alu 0xfffe
	s_or_b32 exec_lo, exec_lo, s3
.LBB26_253:
	s_wait_alu 0xfffe
	s_or_saveexec_b32 s1, s1
	s_mov_b32 s2, 0
	s_wait_alu 0xfffe
	s_xor_b32 exec_lo, exec_lo, s1
	s_cbranch_execnz .LBB26_256
.LBB26_254:
	s_or_b32 exec_lo, exec_lo, s1
	s_wait_alu 0xfffe
	s_and_b32 s1, s2, exec_lo
	s_and_not1_saveexec_b32 s0, s0
	s_cbranch_execz .LBB26_232
.LBB26_255:
	s_wait_alu 0xfffe
	s_or_b32 s1, s1, exec_lo
	s_trap 2
	s_or_b32 exec_lo, exec_lo, s0
	s_wait_alu 0xfffe
	s_and_saveexec_b32 s0, s1
	s_cbranch_execnz .LBB26_233
	s_branch .LBB26_234
.LBB26_256:
	s_mov_b32 s2, exec_lo
	s_trap 2
	s_branch .LBB26_254
	.section	.rodata,"a",@progbits
	.p2align	6, 0x0
	.amdhsa_kernel _ZN2at6native12_GLOBAL__N_114gatherKthValueIliLi3EEEvNS_4cuda6detail10TensorInfoIKT_T0_EES8_S8_S8_S8_NS5_IS6_S8_EENS5_IlS8_EE
		.amdhsa_group_segment_fixed_size 4112
		.amdhsa_private_segment_fixed_size 0
		.amdhsa_kernarg_size 920
		.amdhsa_user_sgpr_count 2
		.amdhsa_user_sgpr_dispatch_ptr 0
		.amdhsa_user_sgpr_queue_ptr 0
		.amdhsa_user_sgpr_kernarg_segment_ptr 1
		.amdhsa_user_sgpr_dispatch_id 0
		.amdhsa_user_sgpr_private_segment_size 0
		.amdhsa_wavefront_size32 1
		.amdhsa_uses_dynamic_stack 0
		.amdhsa_enable_private_segment 0
		.amdhsa_system_sgpr_workgroup_id_x 1
		.amdhsa_system_sgpr_workgroup_id_y 1
		.amdhsa_system_sgpr_workgroup_id_z 1
		.amdhsa_system_sgpr_workgroup_info 0
		.amdhsa_system_vgpr_workitem_id 0
		.amdhsa_next_free_vgpr 55
		.amdhsa_next_free_sgpr 100
		.amdhsa_reserve_vcc 1
		.amdhsa_float_round_mode_32 0
		.amdhsa_float_round_mode_16_64 0
		.amdhsa_float_denorm_mode_32 3
		.amdhsa_float_denorm_mode_16_64 3
		.amdhsa_fp16_overflow 0
		.amdhsa_workgroup_processor_mode 1
		.amdhsa_memory_ordered 1
		.amdhsa_forward_progress 1
		.amdhsa_inst_pref_size 94
		.amdhsa_round_robin_scheduling 0
		.amdhsa_exception_fp_ieee_invalid_op 0
		.amdhsa_exception_fp_denorm_src 0
		.amdhsa_exception_fp_ieee_div_zero 0
		.amdhsa_exception_fp_ieee_overflow 0
		.amdhsa_exception_fp_ieee_underflow 0
		.amdhsa_exception_fp_ieee_inexact 0
		.amdhsa_exception_int_div_zero 0
	.end_amdhsa_kernel
	.section	.text._ZN2at6native12_GLOBAL__N_114gatherKthValueIliLi3EEEvNS_4cuda6detail10TensorInfoIKT_T0_EES8_S8_S8_S8_NS5_IS6_S8_EENS5_IlS8_EE,"axG",@progbits,_ZN2at6native12_GLOBAL__N_114gatherKthValueIliLi3EEEvNS_4cuda6detail10TensorInfoIKT_T0_EES8_S8_S8_S8_NS5_IS6_S8_EENS5_IlS8_EE,comdat
.Lfunc_end26:
	.size	_ZN2at6native12_GLOBAL__N_114gatherKthValueIliLi3EEEvNS_4cuda6detail10TensorInfoIKT_T0_EES8_S8_S8_S8_NS5_IS6_S8_EENS5_IlS8_EE, .Lfunc_end26-_ZN2at6native12_GLOBAL__N_114gatherKthValueIliLi3EEEvNS_4cuda6detail10TensorInfoIKT_T0_EES8_S8_S8_S8_NS5_IS6_S8_EENS5_IlS8_EE
                                        ; -- End function
	.set _ZN2at6native12_GLOBAL__N_114gatherKthValueIliLi3EEEvNS_4cuda6detail10TensorInfoIKT_T0_EES8_S8_S8_S8_NS5_IS6_S8_EENS5_IlS8_EE.num_vgpr, 55
	.set _ZN2at6native12_GLOBAL__N_114gatherKthValueIliLi3EEEvNS_4cuda6detail10TensorInfoIKT_T0_EES8_S8_S8_S8_NS5_IS6_S8_EENS5_IlS8_EE.num_agpr, 0
	.set _ZN2at6native12_GLOBAL__N_114gatherKthValueIliLi3EEEvNS_4cuda6detail10TensorInfoIKT_T0_EES8_S8_S8_S8_NS5_IS6_S8_EENS5_IlS8_EE.numbered_sgpr, 100
	.set _ZN2at6native12_GLOBAL__N_114gatherKthValueIliLi3EEEvNS_4cuda6detail10TensorInfoIKT_T0_EES8_S8_S8_S8_NS5_IS6_S8_EENS5_IlS8_EE.num_named_barrier, 0
	.set _ZN2at6native12_GLOBAL__N_114gatherKthValueIliLi3EEEvNS_4cuda6detail10TensorInfoIKT_T0_EES8_S8_S8_S8_NS5_IS6_S8_EENS5_IlS8_EE.private_seg_size, 0
	.set _ZN2at6native12_GLOBAL__N_114gatherKthValueIliLi3EEEvNS_4cuda6detail10TensorInfoIKT_T0_EES8_S8_S8_S8_NS5_IS6_S8_EENS5_IlS8_EE.uses_vcc, 1
	.set _ZN2at6native12_GLOBAL__N_114gatherKthValueIliLi3EEEvNS_4cuda6detail10TensorInfoIKT_T0_EES8_S8_S8_S8_NS5_IS6_S8_EENS5_IlS8_EE.uses_flat_scratch, 0
	.set _ZN2at6native12_GLOBAL__N_114gatherKthValueIliLi3EEEvNS_4cuda6detail10TensorInfoIKT_T0_EES8_S8_S8_S8_NS5_IS6_S8_EENS5_IlS8_EE.has_dyn_sized_stack, 0
	.set _ZN2at6native12_GLOBAL__N_114gatherKthValueIliLi3EEEvNS_4cuda6detail10TensorInfoIKT_T0_EES8_S8_S8_S8_NS5_IS6_S8_EENS5_IlS8_EE.has_recursion, 0
	.set _ZN2at6native12_GLOBAL__N_114gatherKthValueIliLi3EEEvNS_4cuda6detail10TensorInfoIKT_T0_EES8_S8_S8_S8_NS5_IS6_S8_EENS5_IlS8_EE.has_indirect_call, 0
	.section	.AMDGPU.csdata,"",@progbits
; Kernel info:
; codeLenInByte = 11980
; TotalNumSgprs: 102
; NumVgprs: 55
; ScratchSize: 0
; MemoryBound: 0
; FloatMode: 240
; IeeeMode: 1
; LDSByteSize: 4112 bytes/workgroup (compile time only)
; SGPRBlocks: 0
; VGPRBlocks: 6
; NumSGPRsForWavesPerEU: 102
; NumVGPRsForWavesPerEU: 55
; Occupancy: 16
; WaveLimiterHint : 1
; COMPUTE_PGM_RSRC2:SCRATCH_EN: 0
; COMPUTE_PGM_RSRC2:USER_SGPR: 2
; COMPUTE_PGM_RSRC2:TRAP_HANDLER: 0
; COMPUTE_PGM_RSRC2:TGID_X_EN: 1
; COMPUTE_PGM_RSRC2:TGID_Y_EN: 1
; COMPUTE_PGM_RSRC2:TGID_Z_EN: 1
; COMPUTE_PGM_RSRC2:TIDIG_COMP_CNT: 0
	.section	.text._ZN2at6native12_GLOBAL__N_114gatherKthValueIliLin1EEEvNS_4cuda6detail10TensorInfoIKT_T0_EES8_S8_S8_S8_NS5_IS6_S8_EENS5_IlS8_EE,"axG",@progbits,_ZN2at6native12_GLOBAL__N_114gatherKthValueIliLin1EEEvNS_4cuda6detail10TensorInfoIKT_T0_EES8_S8_S8_S8_NS5_IS6_S8_EENS5_IlS8_EE,comdat
	.globl	_ZN2at6native12_GLOBAL__N_114gatherKthValueIliLin1EEEvNS_4cuda6detail10TensorInfoIKT_T0_EES8_S8_S8_S8_NS5_IS6_S8_EENS5_IlS8_EE ; -- Begin function _ZN2at6native12_GLOBAL__N_114gatherKthValueIliLin1EEEvNS_4cuda6detail10TensorInfoIKT_T0_EES8_S8_S8_S8_NS5_IS6_S8_EENS5_IlS8_EE
	.p2align	8
	.type	_ZN2at6native12_GLOBAL__N_114gatherKthValueIliLin1EEEvNS_4cuda6detail10TensorInfoIKT_T0_EES8_S8_S8_S8_NS5_IS6_S8_EENS5_IlS8_EE,@function
_ZN2at6native12_GLOBAL__N_114gatherKthValueIliLin1EEEvNS_4cuda6detail10TensorInfoIKT_T0_EES8_S8_S8_S8_NS5_IS6_S8_EENS5_IlS8_EE: ; @_ZN2at6native12_GLOBAL__N_114gatherKthValueIliLin1EEEvNS_4cuda6detail10TensorInfoIKT_T0_EES8_S8_S8_S8_NS5_IS6_S8_EENS5_IlS8_EE
; %bb.0:
	s_clause 0x1
	s_load_b64 s[4:5], s[0:1], 0x298
	s_load_b128 s[36:39], s[0:1], 0xd8
	s_lshr_b32 s2, ttmp7, 16
	s_and_b32 s3, ttmp7, 0xffff
	s_wait_kmcnt 0x0
	s_mul_i32 s2, s5, s2
	s_delay_alu instid0(SALU_CYCLE_1) | instskip(NEXT) | instid1(SALU_CYCLE_1)
	s_add_co_i32 s2, s2, s3
	s_mul_i32 s2, s2, s4
	s_delay_alu instid0(SALU_CYCLE_1) | instskip(NEXT) | instid1(SALU_CYCLE_1)
	s_add_co_i32 s33, s2, ttmp9
	s_cmp_ge_i32 s33, s38
	s_cbranch_scc1 .LBB27_243
; %bb.1:
	s_load_b32 s6, s[0:1], 0xd0
	s_mov_b32 s3, 0
	s_mov_b32 s5, s33
	s_wait_kmcnt 0x0
	s_cmp_lt_i32 s6, 2
	s_cbranch_scc1 .LBB27_4
; %bb.2:
	s_add_co_i32 s2, s6, -1
	s_mov_b32 s5, s33
	s_lshl_b64 s[8:9], s[2:3], 2
	s_add_co_i32 s2, s6, 1
	s_add_nc_u64 s[8:9], s[0:1], s[8:9]
	s_delay_alu instid0(SALU_CYCLE_1)
	s_add_nc_u64 s[6:7], s[8:9], 8
.LBB27_3:                               ; =>This Inner Loop Header: Depth=1
	s_clause 0x1
	s_load_b32 s8, s[6:7], 0x0
	s_load_b32 s9, s[6:7], 0x64
	s_mov_b32 s13, s5
	s_add_nc_u64 s[6:7], s[6:7], -4
	s_wait_kmcnt 0x0
	s_abs_i32 s10, s8
	s_wait_alu 0xfffe
	s_cvt_f32_u32 s11, s10
	s_sub_co_i32 s12, 0, s10
	s_wait_alu 0xfffe
	s_delay_alu instid0(SALU_CYCLE_1) | instskip(NEXT) | instid1(TRANS32_DEP_1)
	v_rcp_iflag_f32_e32 v1, s11
	v_readfirstlane_b32 s11, v1
	s_mul_f32 s11, s11, 0x4f7ffffe
	s_wait_alu 0xfffe
	s_delay_alu instid0(SALU_CYCLE_2) | instskip(SKIP_1) | instid1(SALU_CYCLE_2)
	s_cvt_u32_f32 s11, s11
	s_wait_alu 0xfffe
	s_mul_i32 s12, s12, s11
	s_delay_alu instid0(SALU_CYCLE_1)
	s_mul_hi_u32 s5, s11, s12
	s_abs_i32 s12, s13
	s_add_co_i32 s11, s11, s5
	s_wait_alu 0xfffe
	s_mul_hi_u32 s5, s12, s11
	s_xor_b32 s11, s13, s8
	s_mul_i32 s14, s5, s10
	s_wait_alu 0xfffe
	s_ashr_i32 s11, s11, 31
	s_sub_co_i32 s12, s12, s14
	s_add_co_i32 s14, s5, 1
	s_sub_co_i32 s15, s12, s10
	s_cmp_ge_u32 s12, s10
	s_cselect_b32 s5, s14, s5
	s_cselect_b32 s12, s15, s12
	s_add_co_i32 s14, s5, 1
	s_cmp_ge_u32 s12, s10
	s_cselect_b32 s5, s14, s5
	s_add_co_i32 s2, s2, -1
	s_wait_alu 0xfffe
	s_xor_b32 s5, s5, s11
	s_delay_alu instid0(SALU_CYCLE_1) | instskip(NEXT) | instid1(SALU_CYCLE_1)
	s_sub_co_i32 s5, s5, s11
	s_mul_i32 s8, s5, s8
	s_delay_alu instid0(SALU_CYCLE_1) | instskip(NEXT) | instid1(SALU_CYCLE_1)
	s_sub_co_i32 s8, s13, s8
	s_mul_i32 s8, s9, s8
	s_delay_alu instid0(SALU_CYCLE_1)
	s_add_co_i32 s3, s8, s3
	s_cmp_gt_u32 s2, 2
	s_cbranch_scc1 .LBB27_3
.LBB27_4:
	s_load_b32 s2, s[0:1], 0x1b8
	s_add_nc_u64 s[10:11], s[0:1], 0x298
	s_add_nc_u64 s[6:7], s[0:1], 0xe8
	s_mov_b32 s29, 0
	s_mov_b32 s38, s33
	s_wait_kmcnt 0x0
	s_cmp_lt_i32 s2, 2
	s_cbranch_scc1 .LBB27_7
; %bb.5:
	s_add_co_i32 s28, s2, -1
	s_add_co_i32 s2, s2, 1
	s_lshl_b64 s[8:9], s[28:29], 2
	s_mov_b32 s38, s33
	s_add_nc_u64 s[8:9], s[6:7], s[8:9]
	s_delay_alu instid0(SALU_CYCLE_1)
	s_add_nc_u64 s[8:9], s[8:9], 8
.LBB27_6:                               ; =>This Inner Loop Header: Depth=1
	s_clause 0x1
	s_load_b32 s12, s[8:9], 0x0
	s_load_b32 s13, s[8:9], 0x64
	s_abs_i32 s18, s38
	s_mov_b32 s17, s38
	s_add_nc_u64 s[8:9], s[8:9], -4
	s_wait_kmcnt 0x0
	s_abs_i32 s14, s12
	s_wait_alu 0xfffe
	s_cvt_f32_u32 s15, s14
	s_sub_co_i32 s16, 0, s14
	s_wait_alu 0xfffe
	s_delay_alu instid0(SALU_CYCLE_1) | instskip(NEXT) | instid1(TRANS32_DEP_1)
	v_rcp_iflag_f32_e32 v1, s15
	v_readfirstlane_b32 s15, v1
	s_mul_f32 s15, s15, 0x4f7ffffe
	s_wait_alu 0xfffe
	s_delay_alu instid0(SALU_CYCLE_2) | instskip(SKIP_1) | instid1(SALU_CYCLE_2)
	s_cvt_u32_f32 s15, s15
	s_wait_alu 0xfffe
	s_mul_i32 s16, s16, s15
	s_delay_alu instid0(SALU_CYCLE_1) | instskip(NEXT) | instid1(SALU_CYCLE_1)
	s_mul_hi_u32 s16, s15, s16
	s_add_co_i32 s15, s15, s16
	s_xor_b32 s16, s38, s12
	s_wait_alu 0xfffe
	s_mul_hi_u32 s15, s18, s15
	s_ashr_i32 s16, s16, 31
	s_wait_alu 0xfffe
	s_mul_i32 s19, s15, s14
	s_delay_alu instid0(SALU_CYCLE_1)
	s_sub_co_i32 s18, s18, s19
	s_add_co_i32 s19, s15, 1
	s_sub_co_i32 s20, s18, s14
	s_cmp_ge_u32 s18, s14
	s_cselect_b32 s15, s19, s15
	s_cselect_b32 s18, s20, s18
	s_wait_alu 0xfffe
	s_add_co_i32 s19, s15, 1
	s_cmp_ge_u32 s18, s14
	s_cselect_b32 s14, s19, s15
	s_add_co_i32 s2, s2, -1
	s_wait_alu 0xfffe
	s_xor_b32 s14, s14, s16
	s_wait_alu 0xfffe
	s_sub_co_i32 s38, s14, s16
	s_delay_alu instid0(SALU_CYCLE_1) | instskip(NEXT) | instid1(SALU_CYCLE_1)
	s_mul_i32 s12, s38, s12
	s_sub_co_i32 s12, s17, s12
	s_delay_alu instid0(SALU_CYCLE_1) | instskip(NEXT) | instid1(SALU_CYCLE_1)
	s_mul_i32 s12, s13, s12
	s_add_co_i32 s29, s12, s29
	s_cmp_gt_u32 s2, 2
	s_cbranch_scc1 .LBB27_6
.LBB27_7:
	s_clause 0x1
	s_load_b32 s12, s[0:1], 0x6c
	s_load_b32 s2, s[0:1], 0x290
	s_mov_b32 s31, 0
	s_wait_kmcnt 0x0
	s_cmp_lt_i32 s2, 2
	s_cbranch_scc1 .LBB27_10
; %bb.8:
	s_add_co_i32 s30, s2, -1
	s_add_nc_u64 s[8:9], s[0:1], 0x1c0
	s_lshl_b64 s[14:15], s[30:31], 2
	s_add_co_i32 s2, s2, 1
	s_wait_alu 0xfffe
	s_add_nc_u64 s[8:9], s[8:9], s[14:15]
	s_delay_alu instid0(SALU_CYCLE_1)
	s_add_nc_u64 s[8:9], s[8:9], 8
.LBB27_9:                               ; =>This Inner Loop Header: Depth=1
	s_clause 0x1
	s_load_b32 s13, s[8:9], 0x0
	s_load_b32 s14, s[8:9], 0x64
	s_abs_i32 s19, s33
	s_mov_b32 s18, s33
	s_add_nc_u64 s[8:9], s[8:9], -4
	s_wait_kmcnt 0x0
	s_abs_i32 s15, s13
	s_wait_alu 0xfffe
	s_cvt_f32_u32 s16, s15
	s_sub_co_i32 s17, 0, s15
	s_wait_alu 0xfffe
	s_delay_alu instid0(SALU_CYCLE_1) | instskip(NEXT) | instid1(TRANS32_DEP_1)
	v_rcp_iflag_f32_e32 v1, s16
	v_readfirstlane_b32 s16, v1
	s_mul_f32 s16, s16, 0x4f7ffffe
	s_wait_alu 0xfffe
	s_delay_alu instid0(SALU_CYCLE_2) | instskip(SKIP_1) | instid1(SALU_CYCLE_2)
	s_cvt_u32_f32 s16, s16
	s_wait_alu 0xfffe
	s_mul_i32 s17, s17, s16
	s_wait_alu 0xfffe
	s_mul_hi_u32 s17, s16, s17
	s_wait_alu 0xfffe
	s_add_co_i32 s16, s16, s17
	s_xor_b32 s17, s33, s13
	s_wait_alu 0xfffe
	s_mul_hi_u32 s16, s19, s16
	s_ashr_i32 s17, s17, 31
	s_wait_alu 0xfffe
	s_mul_i32 s20, s16, s15
	s_delay_alu instid0(SALU_CYCLE_1)
	s_sub_co_i32 s19, s19, s20
	s_add_co_i32 s20, s16, 1
	s_sub_co_i32 s21, s19, s15
	s_cmp_ge_u32 s19, s15
	s_cselect_b32 s16, s20, s16
	s_cselect_b32 s19, s21, s19
	s_wait_alu 0xfffe
	s_add_co_i32 s20, s16, 1
	s_cmp_ge_u32 s19, s15
	s_cselect_b32 s15, s20, s16
	s_add_co_i32 s2, s2, -1
	s_wait_alu 0xfffe
	s_xor_b32 s15, s15, s17
	s_wait_alu 0xfffe
	s_sub_co_i32 s33, s15, s17
	s_delay_alu instid0(SALU_CYCLE_1) | instskip(NEXT) | instid1(SALU_CYCLE_1)
	s_mul_i32 s13, s33, s13
	s_sub_co_i32 s13, s18, s13
	s_delay_alu instid0(SALU_CYCLE_1) | instskip(NEXT) | instid1(SALU_CYCLE_1)
	s_mul_i32 s13, s14, s13
	s_add_co_i32 s31, s13, s31
	s_cmp_gt_u32 s2, 2
	s_cbranch_scc1 .LBB27_9
.LBB27_10:
	s_clause 0x1
	s_load_b32 s30, s[6:7], 0x6c
	s_load_b64 s[6:7], s[0:1], 0x0
	v_cmp_eq_u32_e64 s2, 0, v0
	s_mov_b32 s43, 0
	s_and_saveexec_b32 s8, s2
; %bb.11:
	v_dual_mov_b32 v1, 0 :: v_dual_mov_b32 v2, s36
	s_delay_alu instid0(VALU_DEP_1)
	v_mov_b32_e32 v3, v1
	ds_store_b96 v1, v[1:3] offset:4096
; %bb.12:
	s_or_b32 exec_lo, exec_lo, s8
	s_wait_dscnt 0x0
	s_barrier_signal -1
	s_barrier_wait -1
	global_inv scope:SCOPE_SE
	s_load_b32 s13, s[10:11], 0xc
	s_clause 0x2
	s_load_b32 s52, s[0:1], 0x22c
	s_load_b64 s[34:35], s[0:1], 0xe8
	s_load_b64 s[40:41], s[0:1], 0x1c0
	v_mbcnt_lo_u32_b32 v26, -1, 0
	v_cmp_gt_u32_e32 vcc_lo, 32, v0
	s_mul_i32 s0, s12, s5
	v_dual_mov_b32 v12, 0 :: v_dual_lshlrev_b32 v27, 2, v0
	s_delay_alu instid0(VALU_DEP_3)
	v_cmp_gt_i32_e64 s1, 4, v26
	s_add_co_i32 s8, s0, s3
	v_mul_lo_u32 v10, s39, v0
	s_ashr_i32 s9, s8, 31
	v_dual_mov_b32 v11, v12 :: v_dual_lshlrev_b32 v28, 3, v0
	s_and_b32 s54, vcc_lo, s1
	s_lshl_b64 s[8:9], s[8:9], 3
	v_lshlrev_b32_e32 v37, 5, v0
	s_wait_kmcnt 0x0
	s_add_nc_u64 s[44:45], s[6:7], s[8:9]
	v_add_nc_u32_e32 v29, 0xc00, v28
	s_and_b32 s53, s13, 0xffff
	s_bfe_u32 s3, s13, 0xb0005
	s_lshl_b32 s55, s53, 2
	s_add_co_i32 s56, s53, -1
	s_cvt_f32_u32 s1, s55
	s_add_co_i32 s65, s56, s36
	s_cmp_gt_i32 s36, 0x180
	s_cvt_f32_u32 s12, s53
	v_rcp_iflag_f32_e32 v1, s1
	s_cselect_b32 s58, -1, 0
	s_cmp_gt_u32 s53, 31
	v_rcp_iflag_f32_e32 v4, s12
	s_cselect_b32 s59, -1, 0
	s_cmp_lt_u32 ttmp9, s4
	v_cmp_gt_u32_e64 s0, 2, v0
	s_cselect_b32 s42, 12, 18
	s_add_co_i32 s4, s3, -1
	s_bfe_u32 s60, s53, 0x30005
	v_readfirstlane_b32 s5, v1
	s_and_b32 s4, s4, 0xffff
	v_lshlrev_b64_e64 v[1:2], v26, -1
	s_cmp_gt_u32 s4, 6
	v_lshlrev_b64_e32 v[2:3], 3, v[10:11]
	s_mul_f32 s4, s5, 0x4f7ffffe
	s_cselect_b32 s61, -1, 0
	s_and_b32 s62, s3, 0x7f8
	s_cmp_lg_u32 s60, 0
	s_cvt_u32_f32 s5, s4
	s_cselect_b32 s63, -1, 0
	s_sub_co_i32 s4, 0, s55
	v_not_b32_e32 v31, v1
	s_mul_i32 s4, s4, s5
	v_add_co_u32 v13, vcc_lo, s44, v2
	s_mul_hi_u32 s13, s5, s4
	v_lshrrev_b32_e32 v2, 1, v0
	s_wait_alu 0xfffe
	s_add_co_i32 s46, s5, s13
	v_add_co_ci_u32_e64 v14, null, s45, v3, vcc_lo
	s_mul_hi_u32 s5, s36, s46
	v_or_b32_e32 v3, 3, v27
	s_mul_i32 s5, s5, s55
	v_cmp_gt_u32_e64 s1, s36, v0
	s_sub_co_i32 s5, s36, s5
	v_cmp_gt_i32_e64 s3, s36, v0
	s_sub_co_i32 s12, s5, s55
	s_cmp_ge_u32 s5, s55
	v_mul_lo_u32 v34, s39, v3
	s_wait_alu 0xfffe
	s_cselect_b32 s5, s12, s5
	v_readfirstlane_b32 s12, v4
	s_sub_co_i32 s13, s5, s55
	s_cmp_ge_u32 s5, s55
	v_mov_b32_e32 v4, 0
	s_wait_alu 0xfffe
	s_cselect_b32 s9, s13, s5
	s_mul_f32 s5, s12, 0x4f7ffffe
	s_sub_co_i32 s64, s36, s9
	s_sub_co_i32 s6, 0, s53
	v_dual_mov_b32 v5, 0 :: v_dual_add_nc_u32 v30, s64, v0
	s_cvt_u32_f32 s5, s5
	s_abs_i32 s7, s65
	s_mov_b32 s12, s39
	s_delay_alu instid0(VALU_DEP_1)
	v_mul_lo_u32 v1, v30, s39
	s_mul_i32 s6, s6, s5
	s_wait_alu 0xfffe
	v_mad_co_u64_u32 v[17:18], null, s39, v27, s[12:13]
	s_mul_hi_u32 s6, s5, s6
	v_mov_b32_e32 v18, 0
	s_add_co_i32 s48, s5, s6
	s_movk_i32 s5, 0x1f0
	s_mul_hi_u32 s6, s7, s48
	v_and_or_b32 v32, v2, s5, 0xc00
	v_ashrrev_i32_e32 v2, 31, v1
	s_mul_i32 s6, s6, s53
	v_cmp_eq_u32_e64 s4, 0, v26
	s_sub_co_i32 s5, s7, s6
	s_ashr_i32 s7, s65, 31
	v_lshlrev_b64_e32 v[1:2], 3, v[1:2]
	s_wait_alu 0xfffe
	s_sub_co_i32 s6, s5, s53
	s_cmp_ge_u32 s5, s53
	v_dual_mov_b32 v40, s37 :: v_dual_lshlrev_b32 v35, 2, v10
	s_cselect_b32 s6, s6, s5
	v_add_co_u32 v15, vcc_lo, s44, v1
	v_add3_u32 v1, s53, s36, v0
	s_sub_co_i32 s8, s6, s53
	s_cmp_ge_u32 s6, s53
	s_wait_alu 0xfffd
	v_add_co_ci_u32_e64 v16, null, s45, v2, vcc_lo
	s_cselect_b32 s8, s8, s6
	v_or_b32_e32 v2, 2, v27
	v_subrev_nc_u32_e32 v1, s9, v1
	s_xor_b32 s8, s8, s7
	v_mov_b32_e32 v20, 0
	s_wait_alu 0xfffe
	s_sub_co_i32 s8, s7, s8
	v_mul_lo_u32 v33, s39, v2
	v_mul_lo_u32 v36, s39, v1
	s_wait_alu 0xfffe
	s_add_co_i32 s65, s65, s8
	v_mov_b32_e32 v1, 1
	v_cmp_gt_i32_e64 s5, s64, v27
	v_cmp_gt_u32_e64 s6, s36, v30
	v_cmp_gt_i32_e64 s7, s36, v30
	s_wait_alu 0xfffe
	v_cmp_gt_i32_e64 s8, s65, v0
	v_lshl_or_b32 v38, v26, 2, 0xc00
	v_mov_b32_e32 v19, 0
	v_mov_b32_e32 v21, 0
	;; [unrolled: 1-line block ×3, first 2 shown]
	s_mul_i32 s57, s39, s53
	s_mov_b32 s47, s43
	s_mov_b32 s49, s43
	s_lshl_b32 s66, s57, 2
	s_lshl_b32 s67, s53, 5
	;; [unrolled: 1-line block ×3, first 2 shown]
	s_mov_b32 s75, 62
	s_add_nc_u64 s[50:51], s[10:11], s[42:43]
	s_mov_b32 s37, 0
                                        ; implicit-def: $sgpr72
                                        ; implicit-def: $sgpr74
                                        ; implicit-def: $sgpr69
                                        ; implicit-def: $sgpr71
                                        ; implicit-def: $sgpr73
                                        ; implicit-def: $sgpr70
	s_branch .LBB27_16
.LBB27_13:                              ;   in Loop: Header=BB27_16 Depth=1
	s_wait_alu 0xfffe
	s_or_b32 exec_lo, exec_lo, s12
	s_delay_alu instid0(SALU_CYCLE_1)
	s_and_b32 s10, s10, exec_lo
	s_and_not1_b32 s18, s18, exec_lo
	s_and_not1_b32 s17, s17, exec_lo
	s_or_not1_b32 s15, s11, exec_lo
.LBB27_14:                              ;   in Loop: Header=BB27_16 Depth=1
	s_wait_alu 0xfffe
	s_or_b32 exec_lo, exec_lo, s9
	s_delay_alu instid0(SALU_CYCLE_1)
	s_and_not1_b32 s9, s70, exec_lo
	s_and_b32 s10, s10, exec_lo
	s_and_not1_b32 s11, s71, exec_lo
	s_wait_alu 0xfffe
	s_or_b32 s70, s9, s10
	s_and_not1_b32 s9, s73, exec_lo
	s_and_b32 s10, s18, exec_lo
	s_and_b32 s12, s17, exec_lo
	s_wait_alu 0xfffe
	s_or_b32 s73, s9, s10
	s_or_b32 s71, s11, s12
	s_or_not1_b32 s16, s15, exec_lo
.LBB27_15:                              ;   in Loop: Header=BB27_16 Depth=1
	s_wait_alu 0xfffe
	s_or_b32 exec_lo, exec_lo, s14
	s_delay_alu instid0(SALU_CYCLE_1)
	s_and_b32 s9, exec_lo, s16
	v_mov_b32_e32 v40, v9
	s_wait_alu 0xfffe
	s_or_b32 s37, s9, s37
	s_and_not1_b32 s9, s69, exec_lo
	s_and_b32 s10, s70, exec_lo
	s_and_not1_b32 s11, s74, exec_lo
	s_wait_alu 0xfffe
	s_or_b32 s69, s9, s10
	s_and_b32 s9, s73, exec_lo
	s_and_not1_b32 s10, s72, exec_lo
	s_and_b32 s12, s71, exec_lo
	s_wait_alu 0xfffe
	s_or_b32 s74, s11, s9
	s_or_b32 s72, s10, s12
	s_mov_b32 s75, s23
	s_and_not1_b32 exec_lo, exec_lo, s37
	s_cbranch_execz .LBB27_239
.LBB27_16:                              ; =>This Loop Header: Depth=1
                                        ;     Child Loop BB27_22 Depth 2
                                        ;     Child Loop BB27_37 Depth 2
	;; [unrolled: 1-line block ×16, first 2 shown]
	ds_load_b64 v[2:3], v12 offset:4096
	s_wait_dscnt 0x0
	v_readfirstlane_b32 s42, v2
	s_cmp_gt_i32 s42, 0
	s_cbranch_scc1 .LBB27_44
; %bb.17:                               ;   in Loop: Header=BB27_16 Depth=1
	s_and_b32 vcc_lo, exec_lo, s58
	s_wait_alu 0xfffe
	s_cbranch_vccz .LBB27_30
; %bb.18:                               ;   in Loop: Header=BB27_16 Depth=1
	v_cmp_gt_i32_e32 vcc_lo, 0x181, v3
	s_mov_b32 s10, 0
	s_mov_b32 s9, 0
	s_cbranch_vccz .LBB27_31
; %bb.19:                               ;   in Loop: Header=BB27_16 Depth=1
	s_and_saveexec_b32 s11, s1
	s_cbranch_execz .LBB27_76
; %bb.20:                               ;   in Loop: Header=BB27_16 Depth=1
	global_load_b64 v[2:3], v[13:14], off
	s_load_u16 s12, s[50:51], 0x0
	v_mov_b32_e32 v8, v0
	s_mov_b32 s14, 0
	s_wait_kmcnt 0x0
	v_add_nc_u32_e32 v6, s12, v0
	s_mul_i32 s13, s39, s12
	s_delay_alu instid0(VALU_DEP_1)
	v_mul_lo_u32 v11, s39, v6
	s_branch .LBB27_22
.LBB27_21:                              ;   in Loop: Header=BB27_22 Depth=2
	s_wait_alu 0xfffe
	s_or_b32 exec_lo, exec_lo, s9
	v_cmp_le_i32_e32 vcc_lo, s36, v8
	v_dual_mov_b32 v2, v6 :: v_dual_add_nc_u32 v11, s13, v11
	v_mov_b32_e32 v3, v7
	s_or_b32 s14, vcc_lo, s14
	s_wait_alu 0xfffe
	s_and_not1_b32 exec_lo, exec_lo, s14
	s_cbranch_execz .LBB27_76
.LBB27_22:                              ;   Parent Loop BB27_16 Depth=1
                                        ; =>  This Inner Loop Header: Depth=2
	v_mov_b32_e32 v6, 0
	v_dual_mov_b32 v7, 0 :: v_dual_add_nc_u32 v8, s12, v8
	s_mov_b32 s9, exec_lo
	s_delay_alu instid0(VALU_DEP_1)
	v_cmpx_gt_u32_e64 s36, v8
	s_cbranch_execz .LBB27_24
; %bb.23:                               ;   in Loop: Header=BB27_22 Depth=2
	s_delay_alu instid0(VALU_DEP_4) | instskip(NEXT) | instid1(VALU_DEP_1)
	v_lshlrev_b64_e32 v[6:7], 3, v[11:12]
	v_add_co_u32 v6, vcc_lo, s44, v6
	s_wait_alu 0xfffd
	s_delay_alu instid0(VALU_DEP_2)
	v_add_co_ci_u32_e64 v7, null, s45, v7, vcc_lo
	global_load_b64 v[6:7], v[6:7], off
.LBB27_24:                              ;   in Loop: Header=BB27_22 Depth=2
	s_wait_alu 0xfffe
	s_or_b32 exec_lo, exec_lo, s9
	s_wait_loadcnt_dscnt 0x0
	v_xor_b32_e32 v9, 0x80000000, v3
	v_and_b32_e32 v22, v2, v20
	s_delay_alu instid0(VALU_DEP_2) | instskip(SKIP_1) | instid1(VALU_DEP_2)
	v_and_b32_e32 v23, v9, v21
	v_mov_b32_e32 v9, 0
	v_cmp_eq_u64_e32 vcc_lo, v[22:23], v[18:19]
	s_cmp_lg_u32 vcc_lo, 0
	s_cselect_b32 s9, -1, 0
	s_wait_alu 0xfffe
	s_and_b32 s9, s4, s9
	s_wait_alu 0xfffe
	s_and_saveexec_b32 s15, s9
	s_cbranch_execz .LBB27_28
; %bb.25:                               ;   in Loop: Header=BB27_22 Depth=2
	s_mov_b32 s18, exec_lo
	s_bcnt1_i32_b32 s16, vcc_lo
	s_wait_alu 0xfffe
	v_mbcnt_lo_u32_b32 v9, s18, 0
	s_mov_b32 s17, exec_lo
                                        ; implicit-def: $vgpr22
	s_delay_alu instid0(VALU_DEP_1)
	v_cmpx_eq_u32_e32 0, v9
; %bb.26:                               ;   in Loop: Header=BB27_22 Depth=2
	s_bcnt1_i32_b32 s9, s18
	s_wait_alu 0xfffe
	s_mul_i32 s9, s16, s9
	s_wait_alu 0xfffe
	v_mov_b32_e32 v22, s9
	ds_add_rtn_u32 v22, v12, v22 offset:4104
; %bb.27:                               ;   in Loop: Header=BB27_22 Depth=2
	s_or_b32 exec_lo, exec_lo, s17
	s_wait_dscnt 0x0
	v_readfirstlane_b32 s9, v22
	s_wait_alu 0xf1ff
	s_delay_alu instid0(VALU_DEP_1)
	v_mad_u32_u24 v9, s16, v9, s9
.LBB27_28:                              ;   in Loop: Header=BB27_22 Depth=2
	s_wait_alu 0xfffe
	s_or_b32 exec_lo, exec_lo, s15
	ds_bpermute_b32 v9, v12, v9
	s_and_saveexec_b32 s9, vcc_lo
	s_cbranch_execz .LBB27_21
; %bb.29:                               ;   in Loop: Header=BB27_22 Depth=2
	v_and_b32_e32 v22, vcc_lo, v31
	s_delay_alu instid0(VALU_DEP_1) | instskip(NEXT) | instid1(VALU_DEP_1)
	v_bcnt_u32_b32 v22, v22, 0
	v_lshlrev_b32_e32 v22, 3, v22
	s_wait_dscnt 0x0
	s_delay_alu instid0(VALU_DEP_1)
	v_lshl_add_u32 v9, v9, 3, v22
	ds_store_b64 v9, v[2:3]
	s_branch .LBB27_21
.LBB27_30:                              ;   in Loop: Header=BB27_16 Depth=1
	s_mov_b32 s10, -1
	s_mov_b32 s9, 0
.LBB27_31:                              ;   in Loop: Header=BB27_16 Depth=1
	s_wait_alu 0xfffe
	s_and_b32 vcc_lo, exec_lo, s10
	s_wait_alu 0xfffe
	s_cbranch_vccz .LBB27_42
.LBB27_32:                              ;   in Loop: Header=BB27_16 Depth=1
	v_mov_b32_e32 v2, 0
	v_mov_b32_e32 v3, 0
	s_and_saveexec_b32 s9, s1
	s_cbranch_execz .LBB27_34
; %bb.33:                               ;   in Loop: Header=BB27_16 Depth=1
	global_load_b64 v[2:3], v[13:14], off
.LBB27_34:                              ;   in Loop: Header=BB27_16 Depth=1
	s_wait_alu 0xfffe
	s_or_b32 exec_lo, exec_lo, s9
	s_and_saveexec_b32 s9, s3
	s_cbranch_execz .LBB27_39
; %bb.35:                               ;   in Loop: Header=BB27_16 Depth=1
	s_load_u16 s10, s[50:51], 0x0
	v_mov_b32_e32 v8, v28
	s_mov_b32 s13, 0
	s_wait_kmcnt 0x0
	v_dual_mov_b32 v9, v0 :: v_dual_add_nc_u32 v6, s10, v0
	s_lshl_b32 s11, s10, 3
	s_mul_i32 s12, s39, s10
	s_delay_alu instid0(VALU_DEP_1)
	v_mul_lo_u32 v11, s39, v6
	s_branch .LBB27_37
.LBB27_36:                              ;   in Loop: Header=BB27_37 Depth=2
	s_wait_alu 0xfffe
	s_or_b32 exec_lo, exec_lo, s14
	v_cmp_le_i32_e32 vcc_lo, s36, v9
	s_wait_loadcnt 0x0
	ds_store_b64 v8, v[2:3]
	v_dual_mov_b32 v2, v6 :: v_dual_add_nc_u32 v11, s12, v11
	v_dual_mov_b32 v3, v7 :: v_dual_add_nc_u32 v8, s11, v8
	s_or_b32 s13, vcc_lo, s13
	s_wait_alu 0xfffe
	s_and_not1_b32 exec_lo, exec_lo, s13
	s_cbranch_execz .LBB27_39
.LBB27_37:                              ;   Parent Loop BB27_16 Depth=1
                                        ; =>  This Inner Loop Header: Depth=2
	v_dual_mov_b32 v6, 0 :: v_dual_add_nc_u32 v9, s10, v9
	v_mov_b32_e32 v7, 0
	s_mov_b32 s14, exec_lo
	s_delay_alu instid0(VALU_DEP_2)
	v_cmpx_gt_u32_e64 s36, v9
	s_cbranch_execz .LBB27_36
; %bb.38:                               ;   in Loop: Header=BB27_37 Depth=2
	s_delay_alu instid0(VALU_DEP_4) | instskip(NEXT) | instid1(VALU_DEP_1)
	v_lshlrev_b64_e32 v[6:7], 3, v[11:12]
	v_add_co_u32 v6, vcc_lo, s44, v6
	s_wait_alu 0xfffd
	s_delay_alu instid0(VALU_DEP_2)
	v_add_co_ci_u32_e64 v7, null, s45, v7, vcc_lo
	global_load_b64 v[6:7], v[6:7], off
	s_branch .LBB27_36
.LBB27_39:                              ;   in Loop: Header=BB27_16 Depth=1
	s_wait_alu 0xfffe
	s_or_b32 exec_lo, exec_lo, s9
	s_wait_loadcnt_dscnt 0x0
	s_barrier_signal -1
	s_barrier_wait -1
	global_inv scope:SCOPE_SE
	s_and_saveexec_b32 s9, s2
; %bb.40:                               ;   in Loop: Header=BB27_16 Depth=1
	v_mov_b32_e32 v2, s36
	ds_store_b32 v12, v2 offset:4096
; %bb.41:                               ;   in Loop: Header=BB27_16 Depth=1
	s_wait_alu 0xfffe
	s_or_b32 exec_lo, exec_lo, s9
	s_mov_b32 s9, -1
	s_wait_loadcnt_dscnt 0x0
	s_barrier_signal -1
	s_barrier_wait -1
.LBB27_42:                              ;   in Loop: Header=BB27_16 Depth=1
	s_wait_alu 0xfffe
	s_and_b32 vcc_lo, exec_lo, s9
	s_wait_alu 0xfffe
	s_cbranch_vccz .LBB27_44
; %bb.43:                               ;   in Loop: Header=BB27_16 Depth=1
	s_wait_loadcnt 0x0
	global_inv scope:SCOPE_SE
	ds_load_b32 v2, v12 offset:4096
	s_wait_dscnt 0x0
	v_readfirstlane_b32 s42, v2
.LBB27_44:                              ;   in Loop: Header=BB27_16 Depth=1
	s_delay_alu instid0(VALU_DEP_1)
	s_cmp_lt_i32 s42, 1
	s_mov_b32 s9, -1
                                        ; implicit-def: $vgpr6
	s_cbranch_scc1 .LBB27_54
; %bb.45:                               ;   in Loop: Header=BB27_16 Depth=1
	s_wait_alu 0xfffe
	s_and_b32 vcc_lo, exec_lo, s9
	s_wait_alu 0xfffe
	s_cbranch_vccnz .LBB27_67
.LBB27_46:                              ;   in Loop: Header=BB27_16 Depth=1
	v_lshlrev_b32_e32 v2, 7, v39
	s_and_saveexec_b32 s9, s4
.LBB27_47:                              ;   in Loop: Header=BB27_16 Depth=1
	s_delay_alu instid0(VALU_DEP_1)
	v_lshl_add_u32 v3, v2, 2, v32
	ds_store_b128 v3, v[6:9]
.LBB27_48:                              ;   in Loop: Header=BB27_16 Depth=1
	s_wait_alu 0xfffe
	s_or_b32 exec_lo, exec_lo, s9
	s_wait_loadcnt_dscnt 0x0
	s_barrier_signal -1
	s_barrier_wait -1
	global_inv scope:SCOPE_SE
	s_and_saveexec_b32 s9, s54
	s_cbranch_execz .LBB27_83
; %bb.49:                               ;   in Loop: Header=BB27_16 Depth=1
	v_mov_b32_e32 v3, 0
	s_and_not1_b32 vcc_lo, exec_lo, s59
	s_wait_alu 0xfffe
	s_cbranch_vccnz .LBB27_82
; %bb.50:                               ;   in Loop: Header=BB27_16 Depth=1
	s_and_not1_b32 vcc_lo, exec_lo, s61
	s_wait_alu 0xfffe
	s_cbranch_vccnz .LBB27_79
; %bb.51:                               ;   in Loop: Header=BB27_16 Depth=1
	v_lshl_add_u32 v6, v39, 9, v38
	v_mov_b32_e32 v3, 0
	s_mov_b32 s10, 0
.LBB27_52:                              ;   Parent Loop BB27_16 Depth=1
                                        ; =>  This Inner Loop Header: Depth=2
	ds_load_2addr_b32 v[7:8], v6 offset1:4
	ds_load_2addr_b32 v[22:23], v6 offset0:8 offset1:12
	ds_load_2addr_b32 v[24:25], v6 offset0:16 offset1:20
	;; [unrolled: 1-line block ×3, first 2 shown]
	v_add_nc_u32_e32 v6, 0x80, v6
	s_wait_alu 0xfffe
	s_add_co_i32 s10, s10, 8
	s_wait_alu 0xfffe
	s_cmp_eq_u32 s62, s10
	s_wait_dscnt 0x3
	v_add3_u32 v3, v7, v3, v8
	s_wait_dscnt 0x2
	s_delay_alu instid0(VALU_DEP_1) | instskip(SKIP_1) | instid1(VALU_DEP_1)
	v_add3_u32 v3, v22, v3, v23
	s_wait_dscnt 0x1
	v_add3_u32 v3, v24, v3, v25
	s_wait_dscnt 0x0
	s_delay_alu instid0(VALU_DEP_1)
	v_add3_u32 v3, v41, v3, v42
	s_cbranch_scc0 .LBB27_52
; %bb.53:                               ;   in Loop: Header=BB27_16 Depth=1
	s_mov_b32 s10, s62
	s_and_not1_b32 vcc_lo, exec_lo, s63
	s_wait_alu 0xfffe
	s_cbranch_vccz .LBB27_80
	s_branch .LBB27_82
.LBB27_54:                              ;   in Loop: Header=BB27_16 Depth=1
	v_dual_mov_b32 v6, 0 :: v_dual_mov_b32 v7, 0
	v_dual_mov_b32 v8, 0 :: v_dual_mov_b32 v9, 0
	s_and_saveexec_b32 s76, s5
	s_cbranch_execz .LBB27_58
; %bb.55:                               ;   in Loop: Header=BB27_16 Depth=1
	v_mov_b32_e32 v2, v27
	s_mov_b32 s77, 0
	s_mov_b32 s78, 0
	;; [unrolled: 1-line block ×6, first 2 shown]
.LBB27_56:                              ;   Parent Loop BB27_16 Depth=1
                                        ; =>  This Inner Loop Header: Depth=2
	s_wait_alu 0xfffe
	v_add_nc_u32_e32 v6, s78, v35
	v_add_nc_u32_e32 v8, s78, v17
	;; [unrolled: 1-line block ×5, first 2 shown]
	v_ashrrev_i32_e32 v7, 31, v6
	v_ashrrev_i32_e32 v9, 31, v8
	;; [unrolled: 1-line block ×4, first 2 shown]
	s_add_co_i32 s78, s78, s66
	v_lshlrev_b64_e32 v[6:7], 3, v[6:7]
	v_lshlrev_b64_e32 v[8:9], 3, v[8:9]
	;; [unrolled: 1-line block ×4, first 2 shown]
	s_delay_alu instid0(VALU_DEP_4)
	v_add_co_u32 v6, vcc_lo, s44, v6
	s_wait_alu 0xfffd
	v_add_co_ci_u32_e64 v7, null, s45, v7, vcc_lo
	v_add_co_u32 v8, vcc_lo, s44, v8
	s_wait_alu 0xfffd
	v_add_co_ci_u32_e64 v9, null, s45, v9, vcc_lo
	;; [unrolled: 3-line block ×4, first 2 shown]
	s_clause 0x3
	global_load_b64 v[6:7], v[6:7], off
	global_load_b64 v[8:9], v[8:9], off
	;; [unrolled: 1-line block ×4, first 2 shown]
	v_mov_b32_e32 v42, v12
	v_mov_b32_e32 v44, v12
	v_cmp_le_i32_e32 vcc_lo, s64, v2
	s_wait_loadcnt 0x3
	v_xor_b32_e32 v7, 0x80000000, v7
	s_wait_loadcnt 0x2
	v_xor_b32_e32 v9, 0x80000000, v9
	;; [unrolled: 2-line block ×3, first 2 shown]
	v_and_b32_e32 v47, v6, v20
	s_wait_loadcnt 0x0
	v_xor_b32_e32 v25, 0x80000000, v25
	v_and_b32_e32 v48, v7, v21
	v_lshrrev_b64 v[6:7], s75, v[6:7]
	v_and_b32_e32 v49, v8, v20
	v_lshrrev_b64 v[7:8], s75, v[8:9]
	v_and_b32_e32 v50, v9, v21
	v_lshrrev_b64 v[8:9], s75, v[22:23]
	v_dual_mov_b32 v46, v12 :: v_dual_and_b32 v11, 3, v6
	v_and_b32_e32 v51, v22, v20
	v_and_b32_e32 v52, v23, v21
	v_lshrrev_b64 v[22:23], s75, v[24:25]
	v_and_b32_e32 v41, 3, v7
	v_and_b32_e32 v43, 3, v8
	v_cmp_eq_u64_e64 s9, v[47:48], v[18:19]
	v_cmp_eq_u64_e64 s13, 0, v[11:12]
	v_and_b32_e32 v53, v24, v20
	v_and_b32_e32 v54, v25, v21
	;; [unrolled: 1-line block ×3, first 2 shown]
	v_cmp_eq_u64_e64 s10, v[49:50], v[18:19]
	v_cmp_eq_u64_e64 s14, 0, v[41:42]
	;; [unrolled: 1-line block ×6, first 2 shown]
	s_and_b32 s13, s9, s13
	v_cmp_eq_u64_e64 s17, 1, v[11:12]
	s_wait_alu 0xfffe
	v_cndmask_b32_e64 v3, 0, 1, s13
	s_and_b32 s13, s10, s14
	v_cmp_eq_u64_e64 s18, 1, v[41:42]
	s_wait_alu 0xfffe
	v_cndmask_b32_e64 v6, 0, 1, s13
	;; [unrolled: 4-line block ×4, first 2 shown]
	s_and_b32 s13, s9, s17
	v_cmp_eq_u64_e64 s21, 2, v[11:12]
	v_cmp_eq_u64_e64 s25, 3, v[11:12]
	s_wait_alu 0xfffe
	v_cndmask_b32_e64 v9, 0, 1, s13
	s_and_b32 s13, s10, s18
	v_cmp_eq_u64_e64 s22, 2, v[41:42]
	v_cmp_eq_u64_e64 s26, 3, v[41:42]
	s_wait_alu 0xfffe
	v_cndmask_b32_e64 v11, 0, 1, s13
	;; [unrolled: 5-line block ×4, first 2 shown]
	s_and_b32 s13, s9, s21
	s_and_b32 s9, s9, s25
	s_wait_alu 0xfffe
	v_cndmask_b32_e64 v24, 0, 1, s13
	s_and_b32 s13, s10, s22
	v_cndmask_b32_e64 v43, 0, 1, s9
	s_and_b32 s9, s10, s26
	s_wait_alu 0xfffe
	v_cndmask_b32_e64 v25, 0, 1, s13
	s_and_b32 s13, s11, s23
	v_cndmask_b32_e64 v44, 0, 1, s9
	;; [unrolled: 5-line block ×3, first 2 shown]
	s_and_b32 s9, s12, s28
	s_wait_alu 0xfffe
	v_cndmask_b32_e64 v42, 0, 1, s13
	v_cndmask_b32_e64 v46, 0, 1, s9
	v_cmp_ne_u32_e64 s9, 0, v3
	v_cmp_ne_u32_e64 s13, 0, v9
	v_cmp_ne_u32_e64 s17, 0, v24
	v_cmp_ne_u32_e64 s21, 0, v43
	v_cmp_ne_u32_e64 s10, 0, v6
	v_cmp_ne_u32_e64 s14, 0, v11
	v_cmp_ne_u32_e64 s18, 0, v25
	v_cmp_ne_u32_e64 s22, 0, v44
	v_cmp_ne_u32_e64 s11, 0, v7
	v_cmp_ne_u32_e64 s15, 0, v22
	v_cmp_ne_u32_e64 s19, 0, v41
	v_cmp_ne_u32_e64 s23, 0, v45
	s_bcnt1_i32_b32 s9, s9
	s_bcnt1_i32_b32 s13, s13
	;; [unrolled: 1-line block ×4, first 2 shown]
	v_cmp_ne_u32_e64 s12, 0, v8
	v_cmp_ne_u32_e64 s16, 0, v23
	;; [unrolled: 1-line block ×4, first 2 shown]
	s_bcnt1_i32_b32 s10, s10
	s_bcnt1_i32_b32 s14, s14
	s_bcnt1_i32_b32 s18, s18
	s_bcnt1_i32_b32 s22, s22
	s_wait_alu 0xfffe
	s_add_co_i32 s9, s9, s82
	s_add_co_i32 s13, s13, s81
	s_add_co_i32 s17, s17, s80
	s_add_co_i32 s21, s21, s79
	s_bcnt1_i32_b32 s11, s11
	s_bcnt1_i32_b32 s15, s15
	s_bcnt1_i32_b32 s19, s19
	s_bcnt1_i32_b32 s23, s23
	s_wait_alu 0xfffe
	s_add_co_i32 s9, s9, s10
	s_add_co_i32 s10, s13, s14
	s_add_co_i32 s13, s17, s18
	s_add_co_i32 s14, s21, s22
	;; [unrolled: 9-line block ×3, first 2 shown]
	s_wait_alu 0xfffe
	s_add_co_i32 s82, s9, s12
	s_add_co_i32 s81, s10, s16
	s_add_co_i32 s80, s11, s20
	s_add_co_i32 s79, s13, s24
	s_wait_alu 0xfffe
	v_dual_mov_b32 v6, s82 :: v_dual_mov_b32 v7, s81
	v_dual_mov_b32 v8, s80 :: v_dual_mov_b32 v9, s79
	s_or_b32 s77, vcc_lo, s77
	s_wait_alu 0xfffe
	s_and_not1_b32 exec_lo, exec_lo, s77
	s_cbranch_execnz .LBB27_56
; %bb.57:                               ;   in Loop: Header=BB27_16 Depth=1
	s_or_b32 exec_lo, exec_lo, s77
.LBB27_58:                              ;   in Loop: Header=BB27_16 Depth=1
	s_wait_alu 0xfffe
	s_or_b32 exec_lo, exec_lo, s76
	v_mov_b32_e32 v22, 0
	v_mov_b32_e32 v23, 0
	s_and_saveexec_b32 s9, s6
	s_cbranch_execz .LBB27_60
; %bb.59:                               ;   in Loop: Header=BB27_16 Depth=1
	global_load_b64 v[22:23], v[15:16], off
.LBB27_60:                              ;   in Loop: Header=BB27_16 Depth=1
	s_wait_alu 0xfffe
	s_or_b32 exec_lo, exec_lo, s9
	s_and_saveexec_b32 s13, s7
	s_cbranch_execz .LBB27_66
; %bb.61:                               ;   in Loop: Header=BB27_16 Depth=1
	v_dual_mov_b32 v2, v36 :: v_dual_mov_b32 v41, v30
	s_mov_b32 s14, 0
	s_branch .LBB27_63
.LBB27_62:                              ;   in Loop: Header=BB27_63 Depth=2
	s_wait_alu 0xfffe
	s_or_b32 exec_lo, exec_lo, s9
	s_wait_loadcnt 0x0
	v_xor_b32_e32 v23, 0x80000000, v23
	v_add_nc_u32_e32 v2, s57, v2
	s_delay_alu instid0(VALU_DEP_2) | instskip(SKIP_2) | instid1(VALU_DEP_3)
	v_lshrrev_b64 v[42:43], s75, v[22:23]
	v_and_b32_e32 v22, v22, v20
	v_and_b32_e32 v23, v23, v21
	;; [unrolled: 1-line block ×3, first 2 shown]
	s_delay_alu instid0(VALU_DEP_2) | instskip(NEXT) | instid1(VALU_DEP_2)
	v_cmp_eq_u64_e32 vcc_lo, v[22:23], v[18:19]
	v_cmp_eq_u64_e64 s9, 0, v[11:12]
	v_cmp_eq_u64_e64 s10, 1, v[11:12]
	;; [unrolled: 1-line block ×4, first 2 shown]
	s_and_b32 s9, vcc_lo, s9
	s_wait_alu 0xfffe
	v_cndmask_b32_e64 v3, 0, 1, s9
	s_and_b32 s9, vcc_lo, s10
	s_wait_alu 0xfffe
	v_cndmask_b32_e64 v11, 0, 1, s9
	;; [unrolled: 3-line block ×3, first 2 shown]
	s_and_b32 s9, vcc_lo, s12
	v_cmp_ne_u32_e32 vcc_lo, 0, v3
	s_wait_alu 0xfffe
	v_cndmask_b32_e64 v23, 0, 1, s9
	v_cmp_ne_u32_e64 s9, 0, v11
	v_cmp_ne_u32_e64 s10, 0, v22
	v_cmp_le_i32_e64 s12, s36, v41
	s_bcnt1_i32_b32 s15, vcc_lo
	v_cmp_ne_u32_e64 s11, 0, v23
	s_bcnt1_i32_b32 s9, s9
	s_bcnt1_i32_b32 s10, s10
	v_mov_b32_e32 v22, v24
	s_wait_alu 0xfffe
	v_add_nc_u32_e32 v6, s15, v6
	s_bcnt1_i32_b32 s11, s11
	v_add_nc_u32_e32 v7, s9, v7
	v_add_nc_u32_e32 v8, s10, v8
	s_wait_alu 0xfffe
	v_add_nc_u32_e32 v9, s11, v9
	v_mov_b32_e32 v23, v25
	s_or_b32 s14, s12, s14
	s_wait_alu 0xfffe
	s_and_not1_b32 exec_lo, exec_lo, s14
	s_cbranch_execz .LBB27_65
.LBB27_63:                              ;   Parent Loop BB27_16 Depth=1
                                        ; =>  This Inner Loop Header: Depth=2
	s_delay_alu instid0(VALU_DEP_1) | instskip(SKIP_2) | instid1(VALU_DEP_2)
	v_dual_mov_b32 v24, 0 :: v_dual_add_nc_u32 v41, s53, v41
	v_mov_b32_e32 v25, 0
	s_mov_b32 s9, exec_lo
	v_cmpx_gt_u32_e64 s36, v41
	s_cbranch_execz .LBB27_62
; %bb.64:                               ;   in Loop: Header=BB27_63 Depth=2
	v_ashrrev_i32_e32 v3, 31, v2
	s_delay_alu instid0(VALU_DEP_1) | instskip(NEXT) | instid1(VALU_DEP_1)
	v_lshlrev_b64_e32 v[24:25], 3, v[2:3]
	v_add_co_u32 v24, vcc_lo, s44, v24
	s_wait_alu 0xfffd
	s_delay_alu instid0(VALU_DEP_2)
	v_add_co_ci_u32_e64 v25, null, s45, v25, vcc_lo
	global_load_b64 v[24:25], v[24:25], off
	s_branch .LBB27_62
.LBB27_65:                              ;   in Loop: Header=BB27_16 Depth=1
	s_or_b32 exec_lo, exec_lo, s14
.LBB27_66:                              ;   in Loop: Header=BB27_16 Depth=1
	s_wait_alu 0xfffe
	s_or_b32 exec_lo, exec_lo, s13
	s_branch .LBB27_46
.LBB27_67:                              ;   in Loop: Header=BB27_16 Depth=1
	s_mul_u64 s[10:11], s[42:43], s[46:47]
	v_dual_mov_b32 v6, 0 :: v_dual_mov_b32 v7, 0
	s_wait_alu 0xfffe
	s_mul_i32 s9, s11, s55
	v_dual_mov_b32 v8, 0 :: v_dual_mov_b32 v9, 0
	s_wait_alu 0xfffe
	s_sub_co_i32 s9, s42, s9
	s_mov_b32 s77, exec_lo
	s_wait_alu 0xfffe
	s_sub_co_i32 s10, s9, s55
	s_cmp_ge_u32 s9, s55
	s_wait_alu 0xfffe
	s_cselect_b32 s9, s10, s9
	s_wait_alu 0xfffe
	s_sub_co_i32 s10, s9, s55
	s_cmp_ge_u32 s9, s55
	s_wait_alu 0xfffe
	s_cselect_b32 s9, s10, s9
	s_wait_alu 0xfffe
	s_sub_co_i32 s76, s42, s9
	s_wait_alu 0xfffe
	v_cmpx_gt_u32_e64 s76, v27
	s_cbranch_execz .LBB27_71
; %bb.68:                               ;   in Loop: Header=BB27_16 Depth=1
	v_dual_mov_b32 v2, v37 :: v_dual_mov_b32 v3, v27
	s_mov_b32 s78, 0
	s_mov_b32 s79, 0
	;; [unrolled: 1-line block ×5, first 2 shown]
.LBB27_69:                              ;   Parent Loop BB27_16 Depth=1
                                        ; =>  This Inner Loop Header: Depth=2
	ds_load_b128 v[6:9], v2
	s_wait_loadcnt 0x0
	ds_load_b128 v[22:25], v2 offset:16
	v_mov_b32_e32 v44, v12
	v_dual_mov_b32 v46, v12 :: v_dual_add_nc_u32 v3, s55, v3
	v_mov_b32_e32 v42, v12
	s_delay_alu instid0(VALU_DEP_2)
	v_cmp_le_i32_e32 vcc_lo, s76, v3
	s_wait_dscnt 0x1
	v_xor_b32_e32 v7, 0x80000000, v7
	v_xor_b32_e32 v9, 0x80000000, v9
	s_wait_dscnt 0x0
	v_xor_b32_e32 v23, 0x80000000, v23
	v_and_b32_e32 v47, v6, v20
	v_xor_b32_e32 v25, 0x80000000, v25
	v_and_b32_e32 v48, v7, v21
	v_lshrrev_b64 v[6:7], s75, v[6:7]
	v_and_b32_e32 v49, v8, v20
	v_lshrrev_b64 v[7:8], s75, v[8:9]
	;; [unrolled: 2-line block ×3, first 2 shown]
	v_and_b32_e32 v51, v22, v20
	v_and_b32_e32 v52, v23, v21
	v_lshrrev_b64 v[22:23], s75, v[24:25]
	v_and_b32_e32 v11, 3, v6
	v_and_b32_e32 v41, 3, v7
	;; [unrolled: 1-line block ×3, first 2 shown]
	v_cmp_eq_u64_e64 s9, v[47:48], v[18:19]
	v_and_b32_e32 v53, v24, v20
	v_cmp_eq_u64_e64 s13, 0, v[11:12]
	v_and_b32_e32 v54, v25, v21
	v_and_b32_e32 v45, 3, v22
	v_cmp_eq_u64_e64 s10, v[49:50], v[18:19]
	v_cmp_eq_u64_e64 s14, 0, v[41:42]
	;; [unrolled: 1-line block ×6, first 2 shown]
	s_and_b32 s13, s9, s13
	v_cmp_eq_u64_e64 s17, 1, v[11:12]
	s_wait_alu 0xfffe
	v_cndmask_b32_e64 v6, 0, 1, s13
	s_and_b32 s13, s10, s14
	v_cmp_eq_u64_e64 s18, 1, v[41:42]
	s_wait_alu 0xfffe
	v_cndmask_b32_e64 v7, 0, 1, s13
	;; [unrolled: 4-line block ×4, first 2 shown]
	s_and_b32 s13, s9, s17
	v_cmp_eq_u64_e64 s21, 2, v[11:12]
	v_cmp_eq_u64_e64 s25, 3, v[11:12]
	s_wait_alu 0xfffe
	v_cndmask_b32_e64 v11, 0, 1, s13
	s_and_b32 s13, s10, s18
	v_cmp_eq_u64_e64 s22, 2, v[41:42]
	v_cmp_eq_u64_e64 s26, 3, v[41:42]
	s_wait_alu 0xfffe
	v_cndmask_b32_e64 v22, 0, 1, s13
	;; [unrolled: 5-line block ×4, first 2 shown]
	s_and_b32 s13, s9, s21
	s_and_b32 s9, s9, s25
	s_wait_alu 0xfffe
	v_cndmask_b32_e64 v25, 0, 1, s13
	s_and_b32 s13, s10, s22
	v_cndmask_b32_e64 v44, 0, 1, s9
	s_and_b32 s9, s10, s26
	s_wait_alu 0xfffe
	v_cndmask_b32_e64 v41, 0, 1, s13
	s_and_b32 s13, s11, s23
	v_cndmask_b32_e64 v45, 0, 1, s9
	;; [unrolled: 5-line block ×3, first 2 shown]
	s_and_b32 s9, s12, s28
	s_wait_alu 0xfffe
	v_cndmask_b32_e64 v43, 0, 1, s13
	v_cndmask_b32_e64 v47, 0, 1, s9
	v_cmp_ne_u32_e64 s9, 0, v6
	v_cmp_ne_u32_e64 s13, 0, v11
	;; [unrolled: 1-line block ×12, first 2 shown]
	s_bcnt1_i32_b32 s9, s9
	s_bcnt1_i32_b32 s13, s13
	;; [unrolled: 1-line block ×4, first 2 shown]
	v_cmp_ne_u32_e64 s12, 0, v9
	v_cmp_ne_u32_e64 s16, 0, v24
	;; [unrolled: 1-line block ×4, first 2 shown]
	s_bcnt1_i32_b32 s10, s10
	s_bcnt1_i32_b32 s14, s14
	s_bcnt1_i32_b32 s18, s18
	s_bcnt1_i32_b32 s22, s22
	s_wait_alu 0xfffe
	s_add_co_i32 s9, s9, s82
	s_add_co_i32 s13, s13, s81
	s_add_co_i32 s17, s17, s80
	s_add_co_i32 s21, s21, s79
	s_bcnt1_i32_b32 s11, s11
	s_bcnt1_i32_b32 s15, s15
	s_bcnt1_i32_b32 s19, s19
	s_bcnt1_i32_b32 s23, s23
	s_wait_alu 0xfffe
	s_add_co_i32 s9, s9, s10
	s_add_co_i32 s10, s13, s14
	s_add_co_i32 s13, s17, s18
	s_add_co_i32 s14, s21, s22
	;; [unrolled: 9-line block ×3, first 2 shown]
	s_wait_alu 0xfffe
	s_add_co_i32 s82, s9, s12
	s_add_co_i32 s81, s10, s16
	;; [unrolled: 1-line block ×4, first 2 shown]
	s_wait_alu 0xfffe
	v_dual_mov_b32 v7, s81 :: v_dual_add_nc_u32 v2, s67, v2
	v_mov_b32_e32 v6, s82
	v_dual_mov_b32 v8, s80 :: v_dual_mov_b32 v9, s79
	s_or_b32 s78, vcc_lo, s78
	s_wait_alu 0xfffe
	s_and_not1_b32 exec_lo, exec_lo, s78
	s_cbranch_execnz .LBB27_69
; %bb.70:                               ;   in Loop: Header=BB27_16 Depth=1
	s_or_b32 exec_lo, exec_lo, s78
.LBB27_71:                              ;   in Loop: Header=BB27_16 Depth=1
	s_delay_alu instid0(SALU_CYCLE_1) | instskip(SKIP_2) | instid1(VALU_DEP_1)
	s_or_b32 exec_lo, exec_lo, s77
	v_add_nc_u32_e32 v2, s76, v0
	s_mov_b32 s14, exec_lo
	v_cmpx_gt_i32_e64 s42, v2
	s_cbranch_execz .LBB27_75
; %bb.72:                               ;   in Loop: Header=BB27_16 Depth=1
	v_lshlrev_b32_e32 v3, 3, v2
	s_mov_b32 s15, 0
.LBB27_73:                              ;   Parent Loop BB27_16 Depth=1
                                        ; =>  This Inner Loop Header: Depth=2
	s_wait_loadcnt 0x0
	ds_load_b64 v[22:23], v3
	v_add_nc_u32_e32 v2, s53, v2
	v_add_nc_u32_e32 v3, s68, v3
	s_delay_alu instid0(VALU_DEP_2) | instskip(SKIP_3) | instid1(VALU_DEP_2)
	v_cmp_le_i32_e32 vcc_lo, s42, v2
	s_wait_dscnt 0x0
	v_xor_b32_e32 v23, 0x80000000, v23
	v_and_b32_e32 v24, v22, v20
	v_and_b32_e32 v25, v23, v21
	v_lshrrev_b64 v[22:23], s75, v[22:23]
	s_delay_alu instid0(VALU_DEP_2) | instskip(NEXT) | instid1(VALU_DEP_2)
	v_cmp_eq_u64_e64 s9, v[24:25], v[18:19]
	v_and_b32_e32 v11, 3, v22
	s_delay_alu instid0(VALU_DEP_1)
	v_cmp_eq_u64_e64 s10, 0, v[11:12]
	v_cmp_eq_u64_e64 s11, 1, v[11:12]
	;; [unrolled: 1-line block ×4, first 2 shown]
	s_and_b32 s10, s9, s10
	s_wait_alu 0xfffe
	v_cndmask_b32_e64 v11, 0, 1, s10
	s_and_b32 s10, s9, s11
	s_wait_alu 0xfffe
	v_cndmask_b32_e64 v22, 0, 1, s10
	s_and_b32 s10, s9, s12
	s_and_b32 s9, s9, s13
	s_wait_alu 0xfffe
	v_cndmask_b32_e64 v23, 0, 1, s10
	v_cndmask_b32_e64 v24, 0, 1, s9
	v_cmp_ne_u32_e64 s9, 0, v11
	v_cmp_ne_u32_e64 s10, 0, v22
	s_delay_alu instid0(VALU_DEP_4) | instskip(NEXT) | instid1(VALU_DEP_4)
	v_cmp_ne_u32_e64 s11, 0, v23
	v_cmp_ne_u32_e64 s12, 0, v24
	s_bcnt1_i32_b32 s9, s9
	s_bcnt1_i32_b32 s10, s10
	s_wait_alu 0xfffe
	v_add_nc_u32_e32 v6, s9, v6
	s_bcnt1_i32_b32 s11, s11
	s_bcnt1_i32_b32 s12, s12
	v_add_nc_u32_e32 v7, s10, v7
	s_wait_alu 0xfffe
	v_add_nc_u32_e32 v8, s11, v8
	v_add_nc_u32_e32 v9, s12, v9
	s_or_b32 s15, vcc_lo, s15
	s_wait_alu 0xfffe
	s_and_not1_b32 exec_lo, exec_lo, s15
	s_cbranch_execnz .LBB27_73
; %bb.74:                               ;   in Loop: Header=BB27_16 Depth=1
	s_or_b32 exec_lo, exec_lo, s15
.LBB27_75:                              ;   in Loop: Header=BB27_16 Depth=1
	s_wait_alu 0xfffe
	s_or_b32 exec_lo, exec_lo, s14
	v_lshlrev_b32_e32 v2, 7, v39
	s_and_saveexec_b32 s9, s4
	s_cbranch_execnz .LBB27_47
	s_branch .LBB27_48
.LBB27_76:                              ;   in Loop: Header=BB27_16 Depth=1
	s_wait_alu 0xfffe
	s_or_b32 exec_lo, exec_lo, s11
	s_wait_loadcnt_dscnt 0x0
	s_barrier_signal -1
	s_barrier_wait -1
	global_inv scope:SCOPE_SE
	s_and_saveexec_b32 s9, s2
	s_cbranch_execz .LBB27_78
; %bb.77:                               ;   in Loop: Header=BB27_16 Depth=1
	ds_load_b32 v2, v12 offset:4104
	s_wait_dscnt 0x0
	ds_store_b32 v12, v2 offset:4096
.LBB27_78:                              ;   in Loop: Header=BB27_16 Depth=1
	s_wait_alu 0xfffe
	s_or_b32 exec_lo, exec_lo, s9
	s_wait_loadcnt_dscnt 0x0
	s_barrier_signal -1
	s_mov_b32 s9, -1
	s_barrier_wait -1
	s_and_b32 vcc_lo, exec_lo, s10
	s_wait_alu 0xfffe
	s_cbranch_vccnz .LBB27_32
	s_branch .LBB27_42
.LBB27_79:                              ;   in Loop: Header=BB27_16 Depth=1
	v_mov_b32_e32 v3, 0
	s_mov_b32 s10, 0
	s_and_not1_b32 vcc_lo, exec_lo, s63
	s_wait_alu 0xfffe
	s_cbranch_vccnz .LBB27_82
.LBB27_80:                              ;   in Loop: Header=BB27_16 Depth=1
	v_lshlrev_b32_e32 v6, 9, v39
	s_lshl_b32 s10, s10, 4
	s_wait_alu 0xfffe
	s_delay_alu instid0(VALU_DEP_1)
	v_add3_u32 v6, v6, s10, v38
	s_mov_b32 s10, s60
.LBB27_81:                              ;   Parent Loop BB27_16 Depth=1
                                        ; =>  This Inner Loop Header: Depth=2
	ds_load_b32 v7, v6
	v_add_nc_u32_e32 v6, 16, v6
	s_wait_alu 0xfffe
	s_add_co_i32 s10, s10, -1
	s_wait_alu 0xfffe
	s_cmp_lg_u32 s10, 0
	s_wait_dscnt 0x0
	v_add_nc_u32_e32 v3, v7, v3
	s_cbranch_scc1 .LBB27_81
.LBB27_82:                              ;   in Loop: Header=BB27_16 Depth=1
	v_add_lshl_u32 v6, v2, v26, 2
	ds_store_b32 v6, v3 offset:3072
.LBB27_83:                              ;   in Loop: Header=BB27_16 Depth=1
	s_wait_alu 0xfffe
	s_or_b32 exec_lo, exec_lo, s9
	v_lshlrev_b32_e32 v2, 2, v2
	s_wait_loadcnt_dscnt 0x0
	s_barrier_signal -1
	s_barrier_wait -1
	global_inv scope:SCOPE_SE
	ds_load_b128 v[6:9], v2 offset:3072
	s_lshl_b64 s[10:11], 3, s75
	v_cmp_eq_u32_e32 vcc_lo, 1, v40
	s_wait_alu 0xfffe
	s_not_b64 s[12:13], s[10:11]
	s_mov_b32 s16, -1
	s_mov_b32 s18, -1
                                        ; implicit-def: $sgpr22
                                        ; implicit-def: $sgpr20
	s_wait_dscnt 0x0
	v_readfirstlane_b32 s15, v6
	v_readfirstlane_b32 s21, v7
	;; [unrolled: 1-line block ×4, first 2 shown]
	s_cmp_eq_u32 s15, 1
	s_cselect_b32 s14, -1, 0
	s_wait_alu 0xfffe
	s_and_b32 s17, s14, vcc_lo
	s_wait_alu 0xfffe
	s_and_saveexec_b32 s14, s17
	s_cbranch_execz .LBB27_109
; %bb.84:                               ;   in Loop: Header=BB27_16 Depth=1
	ds_load_b32 v2, v12 offset:4096
	s_wait_loadcnt_dscnt 0x0
	s_barrier_signal -1
	s_barrier_wait -1
	global_inv scope:SCOPE_SE
	v_readfirstlane_b32 s18, v2
	s_and_saveexec_b32 s20, s0
; %bb.85:                               ;   in Loop: Header=BB27_16 Depth=1
	v_mov_b32_e32 v11, v12
	ds_store_b64 v29, v[11:12]
; %bb.86:                               ;   in Loop: Header=BB27_16 Depth=1
	s_wait_alu 0xfffe
	s_or_b32 exec_lo, exec_lo, s20
	v_and_b32_e32 v19, s13, v19
	v_and_b32_e32 v18, s12, v18
	v_or_b32_e32 v21, s11, v21
	v_or_b32_e32 v20, s10, v20
	s_mov_b32 s20, -1
	s_mov_b32 s22, 0
	s_cmp_lt_i32 s18, 1
	s_mov_b32 s23, 0
	s_mov_b32 s24, -1
	s_wait_loadcnt_dscnt 0x0
	s_barrier_signal -1
	s_barrier_wait -1
	global_inv scope:SCOPE_SE
                                        ; implicit-def: $vgpr4_vgpr5
	s_cbranch_scc0 .LBB27_97
; %bb.87:                               ;   in Loop: Header=BB27_16 Depth=1
	s_mov_b32 s24, 0
                                        ; implicit-def: $vgpr4_vgpr5
	s_and_saveexec_b32 s25, s8
	s_cbranch_execz .LBB27_96
; %bb.88:                               ;   in Loop: Header=BB27_16 Depth=1
	v_mov_b32_e32 v6, v10
	v_mov_b32_e32 v8, v0
                                        ; implicit-def: $sgpr26
	s_branch .LBB27_91
.LBB27_89:                              ;   in Loop: Header=BB27_91 Depth=2
	s_wait_alu 0xfffe
	s_or_b32 exec_lo, exec_lo, s27
	s_wait_loadcnt_dscnt 0x0
	s_barrier_signal -1
	s_barrier_wait -1
	global_inv scope:SCOPE_SE
	ds_load_b128 v[2:5], v12 offset:3072
	s_mov_b32 s27, -1
	s_mov_b32 s28, -1
	s_wait_loadcnt_dscnt 0x0
	s_barrier_signal -1
	s_barrier_wait -1
	global_inv scope:SCOPE_SE
	v_cmp_ne_u64_e32 vcc_lo, 0, v[2:3]
	s_cbranch_vccz .LBB27_94
.LBB27_90:                              ;   in Loop: Header=BB27_91 Depth=2
	s_wait_alu 0xfffe
	s_and_b32 s27, exec_lo, s27
	s_wait_alu 0xfffe
	s_or_b32 s23, s27, s23
	s_and_not1_b32 s26, s26, exec_lo
	s_and_b32 s27, s28, exec_lo
	s_wait_alu 0xfffe
	s_or_b32 s26, s26, s27
	s_and_not1_b32 exec_lo, exec_lo, s23
	s_cbranch_execz .LBB27_95
.LBB27_91:                              ;   Parent Loop BB27_16 Depth=1
                                        ; =>  This Inner Loop Header: Depth=2
	s_mov_b32 s27, exec_lo
	s_delay_alu instid0(VALU_DEP_1)
	v_cmpx_gt_i32_e64 s36, v8
	s_cbranch_execz .LBB27_89
; %bb.92:                               ;   in Loop: Header=BB27_91 Depth=2
	v_ashrrev_i32_e32 v7, 31, v6
	s_delay_alu instid0(VALU_DEP_1) | instskip(NEXT) | instid1(VALU_DEP_1)
	v_lshlrev_b64_e32 v[2:3], 3, v[6:7]
	v_add_co_u32 v2, vcc_lo, s44, v2
	s_wait_alu 0xfffd
	s_delay_alu instid0(VALU_DEP_2) | instskip(SKIP_4) | instid1(VALU_DEP_2)
	v_add_co_ci_u32_e64 v3, null, s45, v3, vcc_lo
	global_load_b64 v[3:4], v[2:3], off
	s_wait_loadcnt 0x0
	v_xor_b32_e32 v2, 0x80000000, v4
	v_and_b32_e32 v22, v3, v20
	v_and_b32_e32 v23, v2, v21
	s_delay_alu instid0(VALU_DEP_1)
	v_cmp_eq_u64_e32 vcc_lo, v[22:23], v[18:19]
	s_and_b32 exec_lo, exec_lo, vcc_lo
	s_cbranch_execz .LBB27_89
; %bb.93:                               ;   in Loop: Header=BB27_91 Depth=2
	v_mov_b32_e32 v2, v12
	ds_store_b128 v12, v[1:4] offset:3072
	s_branch .LBB27_89
.LBB27_94:                              ;   in Loop: Header=BB27_91 Depth=2
	v_add_nc_u32_e32 v8, s53, v8
	v_add_nc_u32_e32 v6, s57, v6
	s_mov_b32 s28, 0
	s_delay_alu instid0(VALU_DEP_2)
	v_cmp_le_i32_e32 vcc_lo, s65, v8
	s_or_not1_b32 s27, vcc_lo, exec_lo
	s_branch .LBB27_90
.LBB27_95:                              ;   in Loop: Header=BB27_16 Depth=1
	s_or_b32 exec_lo, exec_lo, s23
	s_wait_alu 0xfffe
	s_and_b32 s23, s26, exec_lo
.LBB27_96:                              ;   in Loop: Header=BB27_16 Depth=1
	s_wait_alu 0xfffe
	s_or_b32 exec_lo, exec_lo, s25
.LBB27_97:                              ;   in Loop: Header=BB27_16 Depth=1
	s_wait_alu 0xfffe
	s_and_b32 vcc_lo, exec_lo, s24
	s_wait_alu 0xfffe
	s_cbranch_vccz .LBB27_108
; %bb.98:                               ;   in Loop: Header=BB27_16 Depth=1
	s_add_co_i32 s22, s18, s56
                                        ; implicit-def: $vgpr4_vgpr5
	s_wait_alu 0xfffe
	s_abs_i32 s42, s22
	s_wait_alu 0xfffe
	s_mul_u64 s[24:25], s[42:43], s[48:49]
	s_ashr_i32 s24, s22, 31
	s_wait_alu 0xfffe
	s_mul_i32 s20, s25, s53
	s_wait_alu 0xfffe
	s_sub_co_i32 s20, s42, s20
	s_wait_alu 0xfffe
	s_sub_co_i32 s25, s20, s53
	s_cmp_ge_u32 s20, s53
	s_wait_alu 0xfffe
	s_cselect_b32 s20, s25, s20
	s_wait_alu 0xfffe
	s_sub_co_i32 s25, s20, s53
	s_cmp_ge_u32 s20, s53
	s_wait_alu 0xfffe
	s_cselect_b32 s20, s25, s20
	s_wait_alu 0xfffe
	s_xor_b32 s20, s20, s24
	s_wait_alu 0xfffe
	s_sub_co_i32 s20, s24, s20
	s_wait_alu 0xfffe
	s_add_co_i32 s22, s22, s20
	s_mov_b32 s20, exec_lo
	s_wait_alu 0xfffe
	v_cmpx_gt_i32_e64 s22, v0
	s_cbranch_execz .LBB27_107
; %bb.99:                               ;   in Loop: Header=BB27_16 Depth=1
	v_dual_mov_b32 v6, v28 :: v_dual_mov_b32 v7, v0
	s_mov_b32 s25, 0
                                        ; implicit-def: $sgpr24
	s_branch .LBB27_102
.LBB27_100:                             ;   in Loop: Header=BB27_102 Depth=2
	s_wait_alu 0xfffe
	s_or_b32 exec_lo, exec_lo, s26
	s_wait_loadcnt_dscnt 0x0
	s_barrier_signal -1
	s_barrier_wait -1
	global_inv scope:SCOPE_SE
	ds_load_b128 v[2:5], v12 offset:3072
	s_mov_b32 s26, -1
	s_mov_b32 s27, -1
	s_wait_loadcnt_dscnt 0x0
	s_barrier_signal -1
	s_barrier_wait -1
	global_inv scope:SCOPE_SE
	v_cmp_ne_u64_e32 vcc_lo, 0, v[2:3]
	s_cbranch_vccz .LBB27_105
.LBB27_101:                             ;   in Loop: Header=BB27_102 Depth=2
	s_wait_alu 0xfffe
	s_and_b32 s26, exec_lo, s26
	s_wait_alu 0xfffe
	s_or_b32 s25, s26, s25
	s_and_not1_b32 s24, s24, exec_lo
	s_and_b32 s26, s27, exec_lo
	s_wait_alu 0xfffe
	s_or_b32 s24, s24, s26
	s_and_not1_b32 exec_lo, exec_lo, s25
	s_cbranch_execz .LBB27_106
.LBB27_102:                             ;   Parent Loop BB27_16 Depth=1
                                        ; =>  This Inner Loop Header: Depth=2
	s_mov_b32 s26, exec_lo
	s_delay_alu instid0(VALU_DEP_1)
	v_cmpx_gt_i32_e64 s18, v7
	s_cbranch_execz .LBB27_100
; %bb.103:                              ;   in Loop: Header=BB27_102 Depth=2
	ds_load_b64 v[3:4], v6
	s_wait_dscnt 0x0
	v_xor_b32_e32 v2, 0x80000000, v4
	v_and_b32_e32 v8, v3, v20
	s_delay_alu instid0(VALU_DEP_2) | instskip(NEXT) | instid1(VALU_DEP_1)
	v_and_b32_e32 v9, v2, v21
	v_cmp_eq_u64_e32 vcc_lo, v[8:9], v[18:19]
	s_and_b32 exec_lo, exec_lo, vcc_lo
	s_cbranch_execz .LBB27_100
; %bb.104:                              ;   in Loop: Header=BB27_102 Depth=2
	v_mov_b32_e32 v2, v12
	ds_store_b128 v12, v[1:4] offset:3072
	s_branch .LBB27_100
.LBB27_105:                             ;   in Loop: Header=BB27_102 Depth=2
	v_add_nc_u32_e32 v7, s53, v7
	v_add_nc_u32_e32 v6, s68, v6
	s_mov_b32 s27, 0
	s_delay_alu instid0(VALU_DEP_2)
	v_cmp_le_i32_e32 vcc_lo, s22, v7
	s_or_not1_b32 s26, vcc_lo, exec_lo
	s_branch .LBB27_101
.LBB27_106:                             ;   in Loop: Header=BB27_16 Depth=1
	s_or_b32 exec_lo, exec_lo, s25
	s_delay_alu instid0(SALU_CYCLE_1)
	s_and_not1_b32 s18, s23, exec_lo
	s_wait_alu 0xfffe
	s_and_b32 s22, s24, exec_lo
	s_wait_alu 0xfffe
	s_or_b32 s23, s18, s22
.LBB27_107:                             ;   in Loop: Header=BB27_16 Depth=1
	s_or_b32 exec_lo, exec_lo, s20
	s_mov_b32 s20, 0
	s_mov_b32 s22, -1
.LBB27_108:                             ;   in Loop: Header=BB27_16 Depth=1
	s_wait_alu 0xfffe
	s_or_not1_b32 s18, s23, exec_lo
.LBB27_109:                             ;   in Loop: Header=BB27_16 Depth=1
	s_wait_alu 0xfffe
	s_or_b32 exec_lo, exec_lo, s14
	v_readfirstlane_b32 s23, v0
	s_and_not1_b32 s14, s73, exec_lo
	s_and_b32 s22, s22, exec_lo
	s_and_not1_b32 s24, s71, exec_lo
	s_and_b32 s20, s20, exec_lo
	s_and_not1_b32 s70, s70, exec_lo
	s_wait_alu 0xfffe
	s_or_b32 s73, s14, s22
	s_or_b32 s71, s24, s20
                                        ; implicit-def: $vgpr9
	s_and_saveexec_b32 s14, s18
	s_cbranch_execz .LBB27_15
; %bb.110:                              ;   in Loop: Header=BB27_16 Depth=1
	v_dual_mov_b32 v9, 1 :: v_dual_mov_b32 v8, 1
	s_xor_b32 s17, s17, -1
	s_mov_b32 s22, 0
	s_wait_alu 0xfffe
	s_and_saveexec_b32 s16, s17
	s_cbranch_execz .LBB27_119
; %bb.111:                              ;   in Loop: Header=BB27_16 Depth=1
	s_mov_b32 s17, exec_lo
	v_cmpx_ge_i32_e64 s15, v40
	s_wait_alu 0xfffe
	s_xor_b32 s17, exec_lo, s17
	s_cbranch_execz .LBB27_116
; %bb.112:                              ;   in Loop: Header=BB27_16 Depth=1
	ds_load_b32 v2, v12 offset:4096
	v_and_b32_e32 v19, s13, v19
	v_and_b32_e32 v18, s12, v18
	v_or_b32_e32 v21, s11, v21
	v_or_b32_e32 v20, s10, v20
	s_wait_dscnt 0x0
	v_cmp_ne_u32_e32 vcc_lo, 0, v2
	s_cbranch_vccnz .LBB27_116
; %bb.113:                              ;   in Loop: Header=BB27_16 Depth=1
	s_and_saveexec_b32 s18, s2
; %bb.114:                              ;   in Loop: Header=BB27_16 Depth=1
	v_mov_b32_e32 v2, s15
	ds_store_b32 v12, v2 offset:4100
; %bb.115:                              ;   in Loop: Header=BB27_16 Depth=1
	s_wait_alu 0xfffe
	s_or_b32 exec_lo, exec_lo, s18
	s_wait_loadcnt_dscnt 0x0
	s_barrier_signal -1
	s_barrier_wait -1
	global_inv scope:SCOPE_SE
.LBB27_116:                             ;   in Loop: Header=BB27_16 Depth=1
	s_wait_alu 0xfffe
	s_or_saveexec_b32 s17, s17
	v_mov_b32_e32 v8, 8
	s_mov_b32 s18, 0
	s_wait_alu 0xfffe
	s_xor_b32 exec_lo, exec_lo, s17
; %bb.117:                              ;   in Loop: Header=BB27_16 Depth=1
	v_subrev_nc_u32_e32 v40, s15, v40
	v_mov_b32_e32 v8, 0
	s_mov_b32 s18, exec_lo
; %bb.118:                              ;   in Loop: Header=BB27_16 Depth=1
	s_or_b32 exec_lo, exec_lo, s17
	s_delay_alu instid0(VALU_DEP_2)
	v_mov_b32_e32 v9, v40
	s_wait_alu 0xfffe
	s_and_b32 s22, s18, exec_lo
.LBB27_119:                             ;   in Loop: Header=BB27_16 Depth=1
	s_wait_alu 0xfffe
	s_or_b32 exec_lo, exec_lo, s16
	s_mov_b32 s15, -1
	s_mov_b32 s20, -1
                                        ; implicit-def: $sgpr17
                                        ; implicit-def: $sgpr18
	s_and_saveexec_b32 s16, s22
	s_wait_alu 0xfffe
	s_xor_b32 s16, exec_lo, s16
	s_cbranch_execz .LBB27_236
; %bb.120:                              ;   in Loop: Header=BB27_16 Depth=1
	v_cmp_eq_u32_e32 vcc_lo, 1, v9
	s_cmp_eq_u32 s21, 1
	s_mov_b32 s23, -1
	s_cselect_b32 s17, -1, 0
                                        ; implicit-def: $sgpr18
	s_wait_alu 0xfffe
	s_and_b32 s22, s17, vcc_lo
                                        ; implicit-def: $sgpr17
	s_wait_alu 0xfffe
	s_and_saveexec_b32 s20, s22
	s_cbranch_execz .LBB27_146
; %bb.121:                              ;   in Loop: Header=BB27_16 Depth=1
	ds_load_b32 v2, v12 offset:4096
	s_wait_loadcnt_dscnt 0x0
	s_barrier_signal -1
	s_barrier_wait -1
	global_inv scope:SCOPE_SE
	v_readfirstlane_b32 s23, v2
	s_and_saveexec_b32 s17, s0
; %bb.122:                              ;   in Loop: Header=BB27_16 Depth=1
	v_mov_b32_e32 v11, v12
	ds_store_b64 v29, v[11:12]
; %bb.123:                              ;   in Loop: Header=BB27_16 Depth=1
	s_wait_alu 0xfffe
	s_or_b32 exec_lo, exec_lo, s17
	v_and_b32_e32 v2, s13, v19
	v_and_b32_e32 v3, s12, v18
	s_lshl_b64 s[24:25], 1, s75
	v_or_b32_e32 v21, s11, v21
	v_or_b32_e32 v20, s10, v20
	s_wait_alu 0xfffe
	v_or_b32_e32 v19, s25, v2
	v_or_b32_e32 v18, s24, v3
	s_mov_b32 s17, -1
	s_mov_b32 s18, 0
	s_cmp_gt_i32 s23, 0
	s_mov_b32 s24, 0
	s_mov_b32 s25, -1
	s_wait_loadcnt_dscnt 0x0
	s_barrier_signal -1
	s_barrier_wait -1
	global_inv scope:SCOPE_SE
                                        ; implicit-def: $vgpr4_vgpr5
	s_cbranch_scc1 .LBB27_134
; %bb.124:                              ;   in Loop: Header=BB27_16 Depth=1
	s_mov_b32 s25, 0
                                        ; implicit-def: $vgpr4_vgpr5
	s_and_saveexec_b32 s26, s8
	s_cbranch_execz .LBB27_133
; %bb.125:                              ;   in Loop: Header=BB27_16 Depth=1
	v_dual_mov_b32 v6, v10 :: v_dual_mov_b32 v11, v0
                                        ; implicit-def: $sgpr27
	s_branch .LBB27_128
.LBB27_126:                             ;   in Loop: Header=BB27_128 Depth=2
	s_or_b32 exec_lo, exec_lo, s28
	s_wait_loadcnt_dscnt 0x0
	s_barrier_signal -1
	s_barrier_wait -1
	global_inv scope:SCOPE_SE
	ds_load_b128 v[2:5], v12 offset:3072
	s_mov_b32 s28, -1
	s_mov_b32 s42, -1
	s_wait_loadcnt_dscnt 0x0
	s_barrier_signal -1
	s_barrier_wait -1
	global_inv scope:SCOPE_SE
	v_cmp_ne_u64_e32 vcc_lo, 0, v[2:3]
	s_cbranch_vccz .LBB27_131
.LBB27_127:                             ;   in Loop: Header=BB27_128 Depth=2
	s_and_b32 s28, exec_lo, s28
	s_wait_alu 0xfffe
	s_or_b32 s24, s28, s24
	s_and_not1_b32 s27, s27, exec_lo
	s_and_b32 s28, s42, exec_lo
	s_wait_alu 0xfffe
	s_or_b32 s27, s27, s28
	s_and_not1_b32 exec_lo, exec_lo, s24
	s_cbranch_execz .LBB27_132
.LBB27_128:                             ;   Parent Loop BB27_16 Depth=1
                                        ; =>  This Inner Loop Header: Depth=2
	s_mov_b32 s28, exec_lo
	s_delay_alu instid0(VALU_DEP_1)
	v_cmpx_gt_i32_e64 s36, v11
	s_cbranch_execz .LBB27_126
; %bb.129:                              ;   in Loop: Header=BB27_128 Depth=2
	v_ashrrev_i32_e32 v7, 31, v6
	s_delay_alu instid0(VALU_DEP_1) | instskip(NEXT) | instid1(VALU_DEP_1)
	v_lshlrev_b64_e32 v[2:3], 3, v[6:7]
	v_add_co_u32 v2, vcc_lo, s44, v2
	s_wait_alu 0xfffd
	s_delay_alu instid0(VALU_DEP_2) | instskip(SKIP_4) | instid1(VALU_DEP_2)
	v_add_co_ci_u32_e64 v3, null, s45, v3, vcc_lo
	global_load_b64 v[3:4], v[2:3], off
	s_wait_loadcnt 0x0
	v_xor_b32_e32 v2, 0x80000000, v4
	v_and_b32_e32 v22, v3, v20
	v_and_b32_e32 v23, v2, v21
	s_delay_alu instid0(VALU_DEP_1)
	v_cmp_eq_u64_e32 vcc_lo, v[22:23], v[18:19]
	s_and_b32 exec_lo, exec_lo, vcc_lo
	s_cbranch_execz .LBB27_126
; %bb.130:                              ;   in Loop: Header=BB27_128 Depth=2
	v_mov_b32_e32 v2, v12
	ds_store_b128 v12, v[1:4] offset:3072
	s_branch .LBB27_126
.LBB27_131:                             ;   in Loop: Header=BB27_128 Depth=2
	v_add_nc_u32_e32 v11, s53, v11
	v_add_nc_u32_e32 v6, s57, v6
	s_mov_b32 s42, 0
	s_delay_alu instid0(VALU_DEP_2)
	v_cmp_le_i32_e32 vcc_lo, s65, v11
	s_or_not1_b32 s28, vcc_lo, exec_lo
	s_branch .LBB27_127
.LBB27_132:                             ;   in Loop: Header=BB27_16 Depth=1
	s_or_b32 exec_lo, exec_lo, s24
	s_wait_alu 0xfffe
	s_and_b32 s24, s27, exec_lo
.LBB27_133:                             ;   in Loop: Header=BB27_16 Depth=1
	s_wait_alu 0xfffe
	s_or_b32 exec_lo, exec_lo, s26
.LBB27_134:                             ;   in Loop: Header=BB27_16 Depth=1
	s_wait_alu 0xfffe
	s_and_b32 vcc_lo, exec_lo, s25
	s_wait_alu 0xfffe
	s_cbranch_vccz .LBB27_145
; %bb.135:                              ;   in Loop: Header=BB27_16 Depth=1
	s_add_co_i32 s18, s23, s56
                                        ; implicit-def: $vgpr4_vgpr5
	s_wait_alu 0xfffe
	s_abs_i32 s42, s18
	s_ashr_i32 s25, s18, 31
	s_wait_alu 0xfffe
	s_mul_u64 s[26:27], s[42:43], s[48:49]
	s_wait_alu 0xfffe
	s_mul_i32 s17, s27, s53
	s_wait_alu 0xfffe
	s_sub_co_i32 s17, s42, s17
	s_wait_alu 0xfffe
	s_sub_co_i32 s26, s17, s53
	s_cmp_ge_u32 s17, s53
	s_wait_alu 0xfffe
	s_cselect_b32 s17, s26, s17
	s_wait_alu 0xfffe
	s_sub_co_i32 s26, s17, s53
	s_cmp_ge_u32 s17, s53
	s_wait_alu 0xfffe
	s_cselect_b32 s17, s26, s17
	s_wait_alu 0xfffe
	s_xor_b32 s17, s17, s25
	s_wait_alu 0xfffe
	s_sub_co_i32 s17, s25, s17
	s_wait_alu 0xfffe
	s_add_co_i32 s18, s18, s17
	s_mov_b32 s17, exec_lo
	s_wait_alu 0xfffe
	v_cmpx_gt_i32_e64 s18, v0
	s_cbranch_execz .LBB27_144
; %bb.136:                              ;   in Loop: Header=BB27_16 Depth=1
	v_dual_mov_b32 v6, v28 :: v_dual_mov_b32 v7, v0
	s_mov_b32 s25, 0
                                        ; implicit-def: $sgpr26
	s_branch .LBB27_139
.LBB27_137:                             ;   in Loop: Header=BB27_139 Depth=2
	s_wait_alu 0xfffe
	s_or_b32 exec_lo, exec_lo, s27
	s_wait_loadcnt_dscnt 0x0
	s_barrier_signal -1
	s_barrier_wait -1
	global_inv scope:SCOPE_SE
	ds_load_b128 v[2:5], v12 offset:3072
	s_mov_b32 s27, -1
	s_mov_b32 s28, -1
	s_wait_loadcnt_dscnt 0x0
	s_barrier_signal -1
	s_barrier_wait -1
	global_inv scope:SCOPE_SE
	v_cmp_eq_u64_e32 vcc_lo, 0, v[2:3]
	s_cbranch_vccnz .LBB27_142
.LBB27_138:                             ;   in Loop: Header=BB27_139 Depth=2
	s_wait_alu 0xfffe
	s_and_b32 s27, exec_lo, s27
	s_wait_alu 0xfffe
	s_or_b32 s25, s27, s25
	s_and_not1_b32 s26, s26, exec_lo
	s_and_b32 s27, s28, exec_lo
	s_wait_alu 0xfffe
	s_or_b32 s26, s26, s27
	s_and_not1_b32 exec_lo, exec_lo, s25
	s_cbranch_execz .LBB27_143
.LBB27_139:                             ;   Parent Loop BB27_16 Depth=1
                                        ; =>  This Inner Loop Header: Depth=2
	s_mov_b32 s27, exec_lo
	s_delay_alu instid0(VALU_DEP_1)
	v_cmpx_gt_i32_e64 s23, v7
	s_cbranch_execz .LBB27_137
; %bb.140:                              ;   in Loop: Header=BB27_139 Depth=2
	ds_load_b64 v[3:4], v6
	s_wait_dscnt 0x0
	v_xor_b32_e32 v2, 0x80000000, v4
	v_and_b32_e32 v22, v3, v20
	s_delay_alu instid0(VALU_DEP_2) | instskip(NEXT) | instid1(VALU_DEP_1)
	v_and_b32_e32 v23, v2, v21
	v_cmp_eq_u64_e32 vcc_lo, v[22:23], v[18:19]
	s_and_b32 exec_lo, exec_lo, vcc_lo
	s_cbranch_execz .LBB27_137
; %bb.141:                              ;   in Loop: Header=BB27_139 Depth=2
	v_mov_b32_e32 v2, v12
	ds_store_b128 v12, v[1:4] offset:3072
	s_branch .LBB27_137
.LBB27_142:                             ;   in Loop: Header=BB27_139 Depth=2
	v_add_nc_u32_e32 v7, s53, v7
	v_add_nc_u32_e32 v6, s68, v6
	s_mov_b32 s28, 0
	s_delay_alu instid0(VALU_DEP_2)
	v_cmp_le_i32_e32 vcc_lo, s18, v7
	s_or_not1_b32 s27, vcc_lo, exec_lo
	s_branch .LBB27_138
.LBB27_143:                             ;   in Loop: Header=BB27_16 Depth=1
	s_or_b32 exec_lo, exec_lo, s25
	s_delay_alu instid0(SALU_CYCLE_1)
	s_and_not1_b32 s18, s24, exec_lo
	s_wait_alu 0xfffe
	s_and_b32 s23, s26, exec_lo
	s_wait_alu 0xfffe
	s_or_b32 s24, s18, s23
.LBB27_144:                             ;   in Loop: Header=BB27_16 Depth=1
	s_or_b32 exec_lo, exec_lo, s17
	s_mov_b32 s17, 0
	s_mov_b32 s18, -1
.LBB27_145:                             ;   in Loop: Header=BB27_16 Depth=1
	s_wait_alu 0xfffe
	s_or_not1_b32 s23, s24, exec_lo
.LBB27_146:                             ;   in Loop: Header=BB27_16 Depth=1
	s_wait_alu 0xfffe
	s_or_b32 exec_lo, exec_lo, s20
	s_mov_b32 s24, 0
	s_and_saveexec_b32 s20, s23
	s_cbranch_execz .LBB27_235
; %bb.147:                              ;   in Loop: Header=BB27_16 Depth=1
	v_mov_b32_e32 v22, 1
	v_mov_b32_e32 v8, 1
	s_xor_b32 s23, s22, -1
	s_mov_b32 s25, 0
	s_wait_alu 0xfffe
	s_and_saveexec_b32 s22, s23
	s_cbranch_execz .LBB27_156
; %bb.148:                              ;   in Loop: Header=BB27_16 Depth=1
	s_mov_b32 s23, exec_lo
	v_cmpx_ge_i32_e64 s21, v9
	s_wait_alu 0xfffe
	s_xor_b32 s23, exec_lo, s23
	s_cbranch_execz .LBB27_153
; %bb.149:                              ;   in Loop: Header=BB27_16 Depth=1
	ds_load_b32 v2, v12 offset:4096
	v_and_b32_e32 v3, s13, v19
	v_and_b32_e32 v6, s12, v18
	s_lshl_b64 s[24:25], 1, s75
	v_or_b32_e32 v21, s11, v21
	v_or_b32_e32 v20, s10, v20
	s_wait_alu 0xfffe
	v_or_b32_e32 v19, s25, v3
	v_or_b32_e32 v18, s24, v6
	s_wait_dscnt 0x0
	v_cmp_ne_u32_e32 vcc_lo, 0, v2
	s_cbranch_vccnz .LBB27_153
; %bb.150:                              ;   in Loop: Header=BB27_16 Depth=1
	s_and_saveexec_b32 s24, s2
; %bb.151:                              ;   in Loop: Header=BB27_16 Depth=1
	v_mov_b32_e32 v2, s21
	ds_store_b32 v12, v2 offset:4100
; %bb.152:                              ;   in Loop: Header=BB27_16 Depth=1
	s_wait_alu 0xfffe
	s_or_b32 exec_lo, exec_lo, s24
	s_wait_loadcnt_dscnt 0x0
	s_barrier_signal -1
	s_barrier_wait -1
	global_inv scope:SCOPE_SE
.LBB27_153:                             ;   in Loop: Header=BB27_16 Depth=1
	s_wait_alu 0xfffe
	s_or_saveexec_b32 s23, s23
	v_mov_b32_e32 v8, 8
	s_mov_b32 s24, 0
	s_wait_alu 0xfffe
	s_xor_b32 exec_lo, exec_lo, s23
; %bb.154:                              ;   in Loop: Header=BB27_16 Depth=1
	v_subrev_nc_u32_e32 v9, s21, v9
	v_mov_b32_e32 v8, 0
	s_mov_b32 s24, exec_lo
; %bb.155:                              ;   in Loop: Header=BB27_16 Depth=1
	s_or_b32 exec_lo, exec_lo, s23
	s_delay_alu instid0(VALU_DEP_2)
	v_mov_b32_e32 v22, v9
	s_wait_alu 0xfffe
	s_and_b32 s25, s24, exec_lo
.LBB27_156:                             ;   in Loop: Header=BB27_16 Depth=1
	s_wait_alu 0xfffe
	s_or_b32 exec_lo, exec_lo, s22
	s_mov_b32 s24, -1
                                        ; implicit-def: $sgpr22
                                        ; implicit-def: $sgpr23
	s_and_saveexec_b32 s21, s25
	s_cbranch_execz .LBB27_234
; %bb.157:                              ;   in Loop: Header=BB27_16 Depth=1
	v_cmp_eq_u32_e32 vcc_lo, 1, v22
	s_cmp_eq_u32 s19, 1
	s_mov_b32 s26, -1
	s_cselect_b32 s22, -1, 0
                                        ; implicit-def: $sgpr23
	s_wait_alu 0xfffe
	s_and_b32 s25, s22, vcc_lo
                                        ; implicit-def: $sgpr22
	s_wait_alu 0xfffe
	s_and_saveexec_b32 s24, s25
	s_cbranch_execz .LBB27_183
; %bb.158:                              ;   in Loop: Header=BB27_16 Depth=1
	ds_load_b32 v2, v12 offset:4096
	s_wait_loadcnt_dscnt 0x0
	s_barrier_signal -1
	s_barrier_wait -1
	global_inv scope:SCOPE_SE
	v_readfirstlane_b32 s26, v2
	s_and_saveexec_b32 s22, s0
; %bb.159:                              ;   in Loop: Header=BB27_16 Depth=1
	v_mov_b32_e32 v11, v12
	ds_store_b64 v29, v[11:12]
; %bb.160:                              ;   in Loop: Header=BB27_16 Depth=1
	s_wait_alu 0xfffe
	s_or_b32 exec_lo, exec_lo, s22
	v_and_b32_e32 v2, s13, v19
	v_and_b32_e32 v3, s12, v18
	s_lshl_b64 s[22:23], 2, s75
	v_or_b32_e32 v21, s11, v21
	v_or_b32_e32 v20, s10, v20
	s_wait_alu 0xfffe
	v_or_b32_e32 v19, s23, v2
	v_or_b32_e32 v18, s22, v3
	s_mov_b32 s22, -1
	s_mov_b32 s23, 0
	s_cmp_gt_i32 s26, 0
	s_mov_b32 s27, 0
	s_mov_b32 s28, -1
	s_wait_loadcnt_dscnt 0x0
	s_barrier_signal -1
	s_barrier_wait -1
	global_inv scope:SCOPE_SE
                                        ; implicit-def: $vgpr4_vgpr5
	s_cbranch_scc1 .LBB27_171
; %bb.161:                              ;   in Loop: Header=BB27_16 Depth=1
	s_mov_b32 s28, 0
                                        ; implicit-def: $vgpr4_vgpr5
	s_and_saveexec_b32 s42, s8
	s_cbranch_execz .LBB27_170
; %bb.162:                              ;   in Loop: Header=BB27_16 Depth=1
	v_dual_mov_b32 v6, v10 :: v_dual_mov_b32 v9, v0
                                        ; implicit-def: $sgpr76
	s_branch .LBB27_165
.LBB27_163:                             ;   in Loop: Header=BB27_165 Depth=2
	s_wait_alu 0xfffe
	s_or_b32 exec_lo, exec_lo, s77
	s_wait_loadcnt_dscnt 0x0
	s_barrier_signal -1
	s_barrier_wait -1
	global_inv scope:SCOPE_SE
	ds_load_b128 v[2:5], v12 offset:3072
	s_mov_b32 s77, -1
	s_mov_b32 s78, -1
	s_wait_loadcnt_dscnt 0x0
	s_barrier_signal -1
	s_barrier_wait -1
	global_inv scope:SCOPE_SE
	v_cmp_ne_u64_e32 vcc_lo, 0, v[2:3]
	s_cbranch_vccz .LBB27_168
.LBB27_164:                             ;   in Loop: Header=BB27_165 Depth=2
	s_wait_alu 0xfffe
	s_and_b32 s77, exec_lo, s77
	s_wait_alu 0xfffe
	s_or_b32 s27, s77, s27
	s_and_not1_b32 s76, s76, exec_lo
	s_and_b32 s77, s78, exec_lo
	s_wait_alu 0xfffe
	s_or_b32 s76, s76, s77
	s_and_not1_b32 exec_lo, exec_lo, s27
	s_cbranch_execz .LBB27_169
.LBB27_165:                             ;   Parent Loop BB27_16 Depth=1
                                        ; =>  This Inner Loop Header: Depth=2
	s_mov_b32 s77, exec_lo
	s_delay_alu instid0(VALU_DEP_1)
	v_cmpx_gt_i32_e64 s36, v9
	s_cbranch_execz .LBB27_163
; %bb.166:                              ;   in Loop: Header=BB27_165 Depth=2
	v_ashrrev_i32_e32 v7, 31, v6
	s_delay_alu instid0(VALU_DEP_1) | instskip(NEXT) | instid1(VALU_DEP_1)
	v_lshlrev_b64_e32 v[2:3], 3, v[6:7]
	v_add_co_u32 v2, vcc_lo, s44, v2
	s_wait_alu 0xfffd
	s_delay_alu instid0(VALU_DEP_2) | instskip(SKIP_4) | instid1(VALU_DEP_2)
	v_add_co_ci_u32_e64 v3, null, s45, v3, vcc_lo
	global_load_b64 v[3:4], v[2:3], off
	s_wait_loadcnt 0x0
	v_xor_b32_e32 v2, 0x80000000, v4
	v_and_b32_e32 v23, v3, v20
	v_and_b32_e32 v24, v2, v21
	s_delay_alu instid0(VALU_DEP_1)
	v_cmp_eq_u64_e32 vcc_lo, v[23:24], v[18:19]
	s_and_b32 exec_lo, exec_lo, vcc_lo
	s_cbranch_execz .LBB27_163
; %bb.167:                              ;   in Loop: Header=BB27_165 Depth=2
	v_mov_b32_e32 v2, v12
	ds_store_b128 v12, v[1:4] offset:3072
	s_branch .LBB27_163
.LBB27_168:                             ;   in Loop: Header=BB27_165 Depth=2
	v_add_nc_u32_e32 v9, s53, v9
	v_add_nc_u32_e32 v6, s57, v6
	s_mov_b32 s78, 0
	s_delay_alu instid0(VALU_DEP_2)
	v_cmp_le_i32_e32 vcc_lo, s65, v9
	s_or_not1_b32 s77, vcc_lo, exec_lo
	s_branch .LBB27_164
.LBB27_169:                             ;   in Loop: Header=BB27_16 Depth=1
	s_or_b32 exec_lo, exec_lo, s27
	s_wait_alu 0xfffe
	s_and_b32 s27, s76, exec_lo
.LBB27_170:                             ;   in Loop: Header=BB27_16 Depth=1
	s_wait_alu 0xfffe
	s_or_b32 exec_lo, exec_lo, s42
.LBB27_171:                             ;   in Loop: Header=BB27_16 Depth=1
	s_delay_alu instid0(SALU_CYCLE_1)
	s_and_b32 vcc_lo, exec_lo, s28
	s_wait_alu 0xfffe
	s_cbranch_vccz .LBB27_182
; %bb.172:                              ;   in Loop: Header=BB27_16 Depth=1
	s_add_co_i32 s28, s26, s56
                                        ; implicit-def: $vgpr4_vgpr5
	s_delay_alu instid0(SALU_CYCLE_1)
	s_abs_i32 s42, s28
	s_wait_alu 0xfffe
	s_mul_u64 s[22:23], s[42:43], s[48:49]
	s_wait_alu 0xfffe
	s_mul_i32 s22, s23, s53
	s_ashr_i32 s23, s28, 31
	s_wait_alu 0xfffe
	s_sub_co_i32 s22, s42, s22
	s_wait_alu 0xfffe
	s_sub_co_i32 s42, s22, s53
	s_cmp_ge_u32 s22, s53
	s_wait_alu 0xfffe
	s_cselect_b32 s22, s42, s22
	s_wait_alu 0xfffe
	s_sub_co_i32 s42, s22, s53
	s_cmp_ge_u32 s22, s53
	s_wait_alu 0xfffe
	s_cselect_b32 s22, s42, s22
	s_wait_alu 0xfffe
	s_xor_b32 s22, s22, s23
	s_wait_alu 0xfffe
	s_sub_co_i32 s22, s23, s22
	s_wait_alu 0xfffe
	s_add_co_i32 s23, s28, s22
	s_mov_b32 s22, exec_lo
	s_wait_alu 0xfffe
	v_cmpx_gt_i32_e64 s23, v0
	s_cbranch_execz .LBB27_181
; %bb.173:                              ;   in Loop: Header=BB27_16 Depth=1
	v_dual_mov_b32 v6, v28 :: v_dual_mov_b32 v7, v0
	s_mov_b32 s28, 0
                                        ; implicit-def: $sgpr42
	s_branch .LBB27_176
.LBB27_174:                             ;   in Loop: Header=BB27_176 Depth=2
	s_wait_alu 0xfffe
	s_or_b32 exec_lo, exec_lo, s76
	s_wait_loadcnt_dscnt 0x0
	s_barrier_signal -1
	s_barrier_wait -1
	global_inv scope:SCOPE_SE
	ds_load_b128 v[2:5], v12 offset:3072
	s_mov_b32 s76, -1
	s_mov_b32 s77, -1
	s_wait_loadcnt_dscnt 0x0
	s_barrier_signal -1
	s_barrier_wait -1
	global_inv scope:SCOPE_SE
	v_cmp_eq_u64_e32 vcc_lo, 0, v[2:3]
	s_cbranch_vccnz .LBB27_179
.LBB27_175:                             ;   in Loop: Header=BB27_176 Depth=2
	s_wait_alu 0xfffe
	s_and_b32 s76, exec_lo, s76
	s_wait_alu 0xfffe
	s_or_b32 s28, s76, s28
	s_and_not1_b32 s42, s42, exec_lo
	s_and_b32 s76, s77, exec_lo
	s_wait_alu 0xfffe
	s_or_b32 s42, s42, s76
	s_and_not1_b32 exec_lo, exec_lo, s28
	s_cbranch_execz .LBB27_180
.LBB27_176:                             ;   Parent Loop BB27_16 Depth=1
                                        ; =>  This Inner Loop Header: Depth=2
	s_mov_b32 s76, exec_lo
	s_delay_alu instid0(VALU_DEP_1)
	v_cmpx_gt_i32_e64 s26, v7
	s_cbranch_execz .LBB27_174
; %bb.177:                              ;   in Loop: Header=BB27_176 Depth=2
	ds_load_b64 v[3:4], v6
	s_wait_dscnt 0x0
	v_xor_b32_e32 v2, 0x80000000, v4
	v_and_b32_e32 v23, v3, v20
	s_delay_alu instid0(VALU_DEP_2) | instskip(NEXT) | instid1(VALU_DEP_1)
	v_and_b32_e32 v24, v2, v21
	v_cmp_eq_u64_e32 vcc_lo, v[23:24], v[18:19]
	s_and_b32 exec_lo, exec_lo, vcc_lo
	s_cbranch_execz .LBB27_174
; %bb.178:                              ;   in Loop: Header=BB27_176 Depth=2
	v_mov_b32_e32 v2, v12
	ds_store_b128 v12, v[1:4] offset:3072
	s_branch .LBB27_174
.LBB27_179:                             ;   in Loop: Header=BB27_176 Depth=2
	v_add_nc_u32_e32 v7, s53, v7
	v_add_nc_u32_e32 v6, s68, v6
	s_mov_b32 s77, 0
	s_delay_alu instid0(VALU_DEP_2)
	v_cmp_le_i32_e32 vcc_lo, s23, v7
	s_or_not1_b32 s76, vcc_lo, exec_lo
	s_branch .LBB27_175
.LBB27_180:                             ;   in Loop: Header=BB27_16 Depth=1
	s_or_b32 exec_lo, exec_lo, s28
	s_delay_alu instid0(SALU_CYCLE_1)
	s_and_not1_b32 s23, s27, exec_lo
	s_wait_alu 0xfffe
	s_and_b32 s26, s42, exec_lo
	s_wait_alu 0xfffe
	s_or_b32 s27, s23, s26
.LBB27_181:                             ;   in Loop: Header=BB27_16 Depth=1
	s_or_b32 exec_lo, exec_lo, s22
	s_mov_b32 s22, 0
	s_mov_b32 s23, -1
.LBB27_182:                             ;   in Loop: Header=BB27_16 Depth=1
	s_wait_alu 0xfffe
	s_or_not1_b32 s26, s27, exec_lo
.LBB27_183:                             ;   in Loop: Header=BB27_16 Depth=1
	s_wait_alu 0xfffe
	s_or_b32 exec_lo, exec_lo, s24
	s_mov_b32 s27, 0
	s_and_saveexec_b32 s24, s26
	s_cbranch_execz .LBB27_233
; %bb.184:                              ;   in Loop: Header=BB27_16 Depth=1
	v_dual_mov_b32 v9, 1 :: v_dual_mov_b32 v8, 1
	s_xor_b32 s27, s25, -1
	s_mov_b32 s26, 0
	s_wait_alu 0xfffe
	s_and_saveexec_b32 s25, s27
	s_cbranch_execz .LBB27_193
; %bb.185:                              ;   in Loop: Header=BB27_16 Depth=1
	s_mov_b32 s26, exec_lo
	v_cmpx_ge_i32_e64 s19, v22
	s_wait_alu 0xfffe
	s_xor_b32 s26, exec_lo, s26
	s_cbranch_execz .LBB27_190
; %bb.186:                              ;   in Loop: Header=BB27_16 Depth=1
	ds_load_b32 v2, v12 offset:4096
	v_and_b32_e32 v3, s13, v19
	v_and_b32_e32 v6, s12, v18
	s_lshl_b64 s[12:13], 2, s75
	v_or_b32_e32 v21, s11, v21
	v_or_b32_e32 v20, s10, v20
	s_wait_alu 0xfffe
	v_or_b32_e32 v19, s13, v3
	v_or_b32_e32 v18, s12, v6
	s_wait_dscnt 0x0
	v_cmp_ne_u32_e32 vcc_lo, 0, v2
	s_cbranch_vccnz .LBB27_190
; %bb.187:                              ;   in Loop: Header=BB27_16 Depth=1
	s_and_saveexec_b32 s12, s2
; %bb.188:                              ;   in Loop: Header=BB27_16 Depth=1
	v_mov_b32_e32 v2, s19
	ds_store_b32 v12, v2 offset:4100
; %bb.189:                              ;   in Loop: Header=BB27_16 Depth=1
	s_wait_alu 0xfffe
	s_or_b32 exec_lo, exec_lo, s12
	s_wait_loadcnt_dscnt 0x0
	s_barrier_signal -1
	s_barrier_wait -1
	global_inv scope:SCOPE_SE
.LBB27_190:                             ;   in Loop: Header=BB27_16 Depth=1
	s_wait_alu 0xfffe
	s_or_saveexec_b32 s12, s26
	v_mov_b32_e32 v8, 8
	s_mov_b32 s13, 0
	s_wait_alu 0xfffe
	s_xor_b32 exec_lo, exec_lo, s12
; %bb.191:                              ;   in Loop: Header=BB27_16 Depth=1
	v_subrev_nc_u32_e32 v22, s19, v22
	v_mov_b32_e32 v8, 0
	s_mov_b32 s13, exec_lo
; %bb.192:                              ;   in Loop: Header=BB27_16 Depth=1
	s_or_b32 exec_lo, exec_lo, s12
	s_delay_alu instid0(VALU_DEP_2)
	v_mov_b32_e32 v9, v22
	s_wait_alu 0xfffe
	s_and_b32 s26, s13, exec_lo
.LBB27_193:                             ;   in Loop: Header=BB27_16 Depth=1
	s_wait_alu 0xfffe
	s_or_b32 exec_lo, exec_lo, s25
	s_mov_b32 s13, -1
                                        ; implicit-def: $sgpr25
                                        ; implicit-def: $sgpr19
	s_and_saveexec_b32 s12, s26
	s_cbranch_execz .LBB27_232
; %bb.194:                              ;   in Loop: Header=BB27_16 Depth=1
	v_cmp_eq_u32_e32 vcc_lo, 1, v9
	s_cmp_eq_u32 s9, 1
	s_mov_b32 s27, -1
	s_cselect_b32 s13, -1, 0
                                        ; implicit-def: $sgpr25
                                        ; implicit-def: $sgpr19
	s_wait_alu 0xfffe
	s_and_b32 s13, s13, vcc_lo
	s_wait_alu 0xfffe
	s_and_saveexec_b32 s26, s13
	s_cbranch_execz .LBB27_220
; %bb.195:                              ;   in Loop: Header=BB27_16 Depth=1
	ds_load_b32 v2, v12 offset:4096
	s_wait_loadcnt_dscnt 0x0
	s_barrier_signal -1
	s_barrier_wait -1
	global_inv scope:SCOPE_SE
	v_readfirstlane_b32 s27, v2
	s_and_saveexec_b32 s19, s0
; %bb.196:                              ;   in Loop: Header=BB27_16 Depth=1
	v_mov_b32_e32 v11, v12
	ds_store_b64 v29, v[11:12]
; %bb.197:                              ;   in Loop: Header=BB27_16 Depth=1
	s_wait_alu 0xfffe
	s_or_b32 exec_lo, exec_lo, s19
	v_or_b32_e32 v19, s11, v19
	v_or_b32_e32 v18, s10, v18
	;; [unrolled: 1-line block ×4, first 2 shown]
	s_mov_b32 s19, -1
	s_mov_b32 s25, 0
	s_cmp_gt_i32 s27, 0
	s_mov_b32 s28, 0
	s_mov_b32 s42, -1
	s_wait_loadcnt_dscnt 0x0
	s_barrier_signal -1
	s_barrier_wait -1
	global_inv scope:SCOPE_SE
                                        ; implicit-def: $vgpr4_vgpr5
	s_cbranch_scc1 .LBB27_208
; %bb.198:                              ;   in Loop: Header=BB27_16 Depth=1
	s_mov_b32 s42, 0
                                        ; implicit-def: $vgpr4_vgpr5
	s_and_saveexec_b32 s76, s8
	s_cbranch_execz .LBB27_207
; %bb.199:                              ;   in Loop: Header=BB27_16 Depth=1
	v_dual_mov_b32 v6, v10 :: v_dual_mov_b32 v11, v0
                                        ; implicit-def: $sgpr77
	s_branch .LBB27_202
.LBB27_200:                             ;   in Loop: Header=BB27_202 Depth=2
	s_wait_alu 0xfffe
	s_or_b32 exec_lo, exec_lo, s78
	s_wait_loadcnt_dscnt 0x0
	s_barrier_signal -1
	s_barrier_wait -1
	global_inv scope:SCOPE_SE
	ds_load_b128 v[2:5], v12 offset:3072
	s_mov_b32 s78, -1
	s_mov_b32 s79, -1
	s_wait_loadcnt_dscnt 0x0
	s_barrier_signal -1
	s_barrier_wait -1
	global_inv scope:SCOPE_SE
	v_cmp_ne_u64_e32 vcc_lo, 0, v[2:3]
	s_cbranch_vccz .LBB27_205
.LBB27_201:                             ;   in Loop: Header=BB27_202 Depth=2
	s_wait_alu 0xfffe
	s_and_b32 s78, exec_lo, s78
	s_wait_alu 0xfffe
	s_or_b32 s28, s78, s28
	s_and_not1_b32 s77, s77, exec_lo
	s_and_b32 s78, s79, exec_lo
	s_wait_alu 0xfffe
	s_or_b32 s77, s77, s78
	s_and_not1_b32 exec_lo, exec_lo, s28
	s_cbranch_execz .LBB27_206
.LBB27_202:                             ;   Parent Loop BB27_16 Depth=1
                                        ; =>  This Inner Loop Header: Depth=2
	s_mov_b32 s78, exec_lo
	s_delay_alu instid0(VALU_DEP_1)
	v_cmpx_gt_i32_e64 s36, v11
	s_cbranch_execz .LBB27_200
; %bb.203:                              ;   in Loop: Header=BB27_202 Depth=2
	v_ashrrev_i32_e32 v7, 31, v6
	s_delay_alu instid0(VALU_DEP_1) | instskip(NEXT) | instid1(VALU_DEP_1)
	v_lshlrev_b64_e32 v[2:3], 3, v[6:7]
	v_add_co_u32 v2, vcc_lo, s44, v2
	s_wait_alu 0xfffd
	s_delay_alu instid0(VALU_DEP_2) | instskip(SKIP_4) | instid1(VALU_DEP_2)
	v_add_co_ci_u32_e64 v3, null, s45, v3, vcc_lo
	global_load_b64 v[3:4], v[2:3], off
	s_wait_loadcnt 0x0
	v_xor_b32_e32 v2, 0x80000000, v4
	v_and_b32_e32 v22, v3, v20
	v_and_b32_e32 v23, v2, v21
	s_delay_alu instid0(VALU_DEP_1)
	v_cmp_eq_u64_e32 vcc_lo, v[22:23], v[18:19]
	s_and_b32 exec_lo, exec_lo, vcc_lo
	s_cbranch_execz .LBB27_200
; %bb.204:                              ;   in Loop: Header=BB27_202 Depth=2
	v_mov_b32_e32 v2, v12
	ds_store_b128 v12, v[1:4] offset:3072
	s_branch .LBB27_200
.LBB27_205:                             ;   in Loop: Header=BB27_202 Depth=2
	v_add_nc_u32_e32 v11, s53, v11
	v_add_nc_u32_e32 v6, s57, v6
	s_mov_b32 s79, 0
	s_delay_alu instid0(VALU_DEP_2)
	v_cmp_le_i32_e32 vcc_lo, s65, v11
	s_or_not1_b32 s78, vcc_lo, exec_lo
	s_branch .LBB27_201
.LBB27_206:                             ;   in Loop: Header=BB27_16 Depth=1
	s_or_b32 exec_lo, exec_lo, s28
	s_wait_alu 0xfffe
	s_and_b32 s28, s77, exec_lo
.LBB27_207:                             ;   in Loop: Header=BB27_16 Depth=1
	s_wait_alu 0xfffe
	s_or_b32 exec_lo, exec_lo, s76
.LBB27_208:                             ;   in Loop: Header=BB27_16 Depth=1
	s_wait_alu 0xfffe
	s_and_b32 vcc_lo, exec_lo, s42
	s_wait_alu 0xfffe
	s_cbranch_vccz .LBB27_219
; %bb.209:                              ;   in Loop: Header=BB27_16 Depth=1
	s_add_co_i32 s25, s27, s56
                                        ; implicit-def: $vgpr4_vgpr5
	s_wait_alu 0xfffe
	s_abs_i32 s42, s25
	s_wait_alu 0xfffe
	s_mul_u64 s[76:77], s[42:43], s[48:49]
	s_wait_alu 0xfffe
	s_mul_i32 s19, s77, s53
	s_wait_alu 0xfffe
	s_sub_co_i32 s19, s42, s19
	s_ashr_i32 s42, s25, 31
	s_wait_alu 0xfffe
	s_sub_co_i32 s76, s19, s53
	s_cmp_ge_u32 s19, s53
	s_wait_alu 0xfffe
	s_cselect_b32 s19, s76, s19
	s_wait_alu 0xfffe
	s_sub_co_i32 s76, s19, s53
	s_cmp_ge_u32 s19, s53
	s_wait_alu 0xfffe
	s_cselect_b32 s19, s76, s19
	s_wait_alu 0xfffe
	s_xor_b32 s19, s19, s42
	s_wait_alu 0xfffe
	s_sub_co_i32 s19, s42, s19
	s_wait_alu 0xfffe
	s_add_co_i32 s25, s25, s19
	s_mov_b32 s19, exec_lo
	s_wait_alu 0xfffe
	v_cmpx_gt_i32_e64 s25, v0
	s_cbranch_execz .LBB27_218
; %bb.210:                              ;   in Loop: Header=BB27_16 Depth=1
	v_dual_mov_b32 v6, v28 :: v_dual_mov_b32 v7, v0
	s_mov_b32 s42, 0
                                        ; implicit-def: $sgpr76
	s_branch .LBB27_213
.LBB27_211:                             ;   in Loop: Header=BB27_213 Depth=2
	s_wait_alu 0xfffe
	s_or_b32 exec_lo, exec_lo, s77
	s_wait_loadcnt_dscnt 0x0
	s_barrier_signal -1
	s_barrier_wait -1
	global_inv scope:SCOPE_SE
	ds_load_b128 v[2:5], v12 offset:3072
	s_mov_b32 s77, -1
	s_mov_b32 s78, -1
	s_wait_loadcnt_dscnt 0x0
	s_barrier_signal -1
	s_barrier_wait -1
	global_inv scope:SCOPE_SE
	v_cmp_eq_u64_e32 vcc_lo, 0, v[2:3]
	s_cbranch_vccnz .LBB27_216
.LBB27_212:                             ;   in Loop: Header=BB27_213 Depth=2
	s_wait_alu 0xfffe
	s_and_b32 s77, exec_lo, s77
	s_wait_alu 0xfffe
	s_or_b32 s42, s77, s42
	s_and_not1_b32 s76, s76, exec_lo
	s_and_b32 s77, s78, exec_lo
	s_wait_alu 0xfffe
	s_or_b32 s76, s76, s77
	s_and_not1_b32 exec_lo, exec_lo, s42
	s_cbranch_execz .LBB27_217
.LBB27_213:                             ;   Parent Loop BB27_16 Depth=1
                                        ; =>  This Inner Loop Header: Depth=2
	s_mov_b32 s77, exec_lo
	s_delay_alu instid0(VALU_DEP_1)
	v_cmpx_gt_i32_e64 s27, v7
	s_cbranch_execz .LBB27_211
; %bb.214:                              ;   in Loop: Header=BB27_213 Depth=2
	ds_load_b64 v[3:4], v6
	s_wait_dscnt 0x0
	v_xor_b32_e32 v2, 0x80000000, v4
	v_and_b32_e32 v22, v3, v20
	s_delay_alu instid0(VALU_DEP_2) | instskip(NEXT) | instid1(VALU_DEP_1)
	v_and_b32_e32 v23, v2, v21
	v_cmp_eq_u64_e32 vcc_lo, v[22:23], v[18:19]
	s_and_b32 exec_lo, exec_lo, vcc_lo
	s_cbranch_execz .LBB27_211
; %bb.215:                              ;   in Loop: Header=BB27_213 Depth=2
	v_mov_b32_e32 v2, v12
	ds_store_b128 v12, v[1:4] offset:3072
	s_branch .LBB27_211
.LBB27_216:                             ;   in Loop: Header=BB27_213 Depth=2
	v_add_nc_u32_e32 v7, s53, v7
	v_add_nc_u32_e32 v6, s68, v6
	s_mov_b32 s78, 0
	s_delay_alu instid0(VALU_DEP_2)
	v_cmp_le_i32_e32 vcc_lo, s25, v7
	s_or_not1_b32 s77, vcc_lo, exec_lo
	s_branch .LBB27_212
.LBB27_217:                             ;   in Loop: Header=BB27_16 Depth=1
	s_or_b32 exec_lo, exec_lo, s42
	s_delay_alu instid0(SALU_CYCLE_1)
	s_and_not1_b32 s25, s28, exec_lo
	s_wait_alu 0xfffe
	s_and_b32 s27, s76, exec_lo
	s_wait_alu 0xfffe
	s_or_b32 s28, s25, s27
.LBB27_218:                             ;   in Loop: Header=BB27_16 Depth=1
	s_or_b32 exec_lo, exec_lo, s19
	s_mov_b32 s19, 0
	s_mov_b32 s25, -1
.LBB27_219:                             ;   in Loop: Header=BB27_16 Depth=1
	s_or_not1_b32 s27, s28, exec_lo
.LBB27_220:                             ;   in Loop: Header=BB27_16 Depth=1
	s_wait_alu 0xfffe
	s_or_b32 exec_lo, exec_lo, s26
	s_mov_b32 s28, 0
	s_and_saveexec_b32 s26, s27
	s_cbranch_execz .LBB27_231
; %bb.221:                              ;   in Loop: Header=BB27_16 Depth=1
	v_mov_b32_e32 v8, 1
	v_mov_b32_e32 v2, 1
	s_xor_b32 s27, s13, -1
	s_wait_alu 0xfffe
	s_and_saveexec_b32 s13, s27
	s_cbranch_execz .LBB27_230
; %bb.222:                              ;   in Loop: Header=BB27_16 Depth=1
	s_mov_b32 s27, exec_lo
	v_cmpx_ge_i32_e64 s9, v9
	s_wait_alu 0xfffe
	s_xor_b32 s27, exec_lo, s27
	s_cbranch_execz .LBB27_227
; %bb.223:                              ;   in Loop: Header=BB27_16 Depth=1
	ds_load_b32 v2, v12 offset:4096
	v_or_b32_e32 v19, s11, v19
	v_or_b32_e32 v18, s10, v18
	;; [unrolled: 1-line block ×4, first 2 shown]
	s_wait_dscnt 0x0
	v_cmp_ne_u32_e32 vcc_lo, 0, v2
	s_cbranch_vccnz .LBB27_227
; %bb.224:                              ;   in Loop: Header=BB27_16 Depth=1
	s_and_saveexec_b32 s10, s2
; %bb.225:                              ;   in Loop: Header=BB27_16 Depth=1
	v_mov_b32_e32 v2, s9
	ds_store_b32 v12, v2 offset:4100
; %bb.226:                              ;   in Loop: Header=BB27_16 Depth=1
	s_wait_alu 0xfffe
	s_or_b32 exec_lo, exec_lo, s10
	s_wait_loadcnt_dscnt 0x0
	s_barrier_signal -1
	s_barrier_wait -1
	global_inv scope:SCOPE_SE
.LBB27_227:                             ;   in Loop: Header=BB27_16 Depth=1
	s_wait_alu 0xfffe
	s_and_not1_saveexec_b32 s10, s27
; %bb.228:                              ;   in Loop: Header=BB27_16 Depth=1
	v_subrev_nc_u32_e32 v9, s9, v9
; %bb.229:                              ;   in Loop: Header=BB27_16 Depth=1
	s_wait_alu 0xfffe
	s_or_b32 exec_lo, exec_lo, s10
	v_mov_b32_e32 v8, 8
	s_delay_alu instid0(VALU_DEP_2)
	v_mov_b32_e32 v2, v9
.LBB27_230:                             ;   in Loop: Header=BB27_16 Depth=1
	s_wait_alu 0xfffe
	s_or_b32 exec_lo, exec_lo, s13
	s_delay_alu instid0(VALU_DEP_1)
	v_mov_b32_e32 v9, v2
	s_mov_b32 s28, exec_lo
.LBB27_231:                             ;   in Loop: Header=BB27_16 Depth=1
	s_wait_alu 0xfffe
	s_or_b32 exec_lo, exec_lo, s26
	s_delay_alu instid0(SALU_CYCLE_1)
	s_or_not1_b32 s13, s28, exec_lo
.LBB27_232:                             ;   in Loop: Header=BB27_16 Depth=1
	s_wait_alu 0xfffe
	s_or_b32 exec_lo, exec_lo, s12
	v_mov_b32_e32 v22, v9
	s_and_not1_b32 s9, s23, exec_lo
	s_and_b32 s10, s25, exec_lo
	s_and_not1_b32 s11, s22, exec_lo
	s_and_b32 s12, s19, exec_lo
	s_wait_alu 0xfffe
	s_or_b32 s23, s9, s10
	s_or_b32 s22, s11, s12
	s_and_b32 s27, s13, exec_lo
.LBB27_233:                             ;   in Loop: Header=BB27_16 Depth=1
	s_wait_alu 0xfffe
	s_or_b32 exec_lo, exec_lo, s24
	s_delay_alu instid0(SALU_CYCLE_1)
	s_or_not1_b32 s24, s27, exec_lo
.LBB27_234:                             ;   in Loop: Header=BB27_16 Depth=1
	s_wait_alu 0xfffe
	s_or_b32 exec_lo, exec_lo, s21
	v_mov_b32_e32 v9, v22
	s_and_not1_b32 s9, s18, exec_lo
	s_and_b32 s10, s23, exec_lo
	s_and_not1_b32 s11, s17, exec_lo
	s_and_b32 s12, s22, exec_lo
	s_wait_alu 0xfffe
	s_or_b32 s18, s9, s10
	s_or_b32 s17, s11, s12
	s_and_b32 s24, s24, exec_lo
.LBB27_235:                             ;   in Loop: Header=BB27_16 Depth=1
	s_wait_alu 0xfffe
	s_or_b32 exec_lo, exec_lo, s20
	s_delay_alu instid0(SALU_CYCLE_1)
	s_or_not1_b32 s20, s24, exec_lo
.LBB27_236:                             ;   in Loop: Header=BB27_16 Depth=1
	s_wait_alu 0xfffe
	s_or_b32 exec_lo, exec_lo, s16
	s_mov_b32 s10, 0
                                        ; implicit-def: $sgpr23
	s_and_saveexec_b32 s9, s20
	s_wait_alu 0xfffe
	s_xor_b32 s9, exec_lo, s9
	s_cbranch_execz .LBB27_14
; %bb.237:                              ;   in Loop: Header=BB27_16 Depth=1
	v_and_b32_e32 v2, 7, v8
	s_mov_b32 s11, -1
	s_mov_b32 s10, -1
	s_mov_b32 s12, exec_lo
                                        ; implicit-def: $sgpr23
	s_delay_alu instid0(VALU_DEP_1)
	v_cmpx_eq_u32_e32 0, v2
	s_cbranch_execz .LBB27_13
; %bb.238:                              ;   in Loop: Header=BB27_16 Depth=1
	s_add_co_i32 s23, s75, -2
	s_cmp_eq_u32 s75, 0
	v_xor_b32_e32 v39, 1, v39
	s_cselect_b32 s11, -1, 0
	s_xor_b32 s10, exec_lo, -1
	s_wait_alu 0xfffe
	s_or_not1_b32 s11, s11, exec_lo
	s_branch .LBB27_13
.LBB27_239:
	s_or_b32 exec_lo, exec_lo, s37
	s_wait_alu 0xfffe
	s_xor_b32 s4, s74, -1
	s_xor_b32 s0, s72, -1
	;; [unrolled: 1-line block ×3, first 2 shown]
	s_mov_b32 s1, 0
	s_wait_alu 0xfffe
	s_and_saveexec_b32 s5, s0
	s_wait_alu 0xfffe
	s_xor_b32 s0, exec_lo, s5
	s_cbranch_execnz .LBB27_244
; %bb.240:
	s_wait_alu 0xfffe
	s_and_not1_saveexec_b32 s0, s0
	s_cbranch_execnz .LBB27_264
.LBB27_241:
	s_wait_alu 0xfffe
	s_or_b32 exec_lo, exec_lo, s0
	s_and_saveexec_b32 s0, s1
.LBB27_242:
	; divergent unreachable
.LBB27_243:
	s_endpgm
.LBB27_244:
	s_and_saveexec_b32 s1, s4
	s_wait_alu 0xfffe
	s_xor_b32 s1, exec_lo, s1
	s_cbranch_execz .LBB27_262
; %bb.245:
	s_and_saveexec_b32 s4, s3
	s_wait_alu 0xfffe
	s_xor_b32 s3, exec_lo, s4
; %bb.246:
	v_xor_b32_e32 v19, 0x80000000, v19
	s_delay_alu instid0(VALU_DEP_1)
	v_dual_mov_b32 v4, v18 :: v_dual_mov_b32 v5, v19
; %bb.247:
	s_or_b32 exec_lo, exec_lo, s3
	s_and_saveexec_b32 s3, s2
; %bb.248:
	v_dual_mov_b32 v1, 0 :: v_dual_mov_b32 v2, s36
	ds_store_b32 v1, v2 offset:4108
; %bb.249:
	s_or_b32 exec_lo, exec_lo, s3
	v_mov_b32_e32 v1, 0
	s_wait_loadcnt_dscnt 0x0
	s_barrier_signal -1
	s_barrier_wait -1
	global_inv scope:SCOPE_SE
	ds_load_b32 v1, v1 offset:4108
	s_mov_b32 s3, exec_lo
	s_wait_dscnt 0x0
	v_min_i32_e32 v1, s36, v1
	s_delay_alu instid0(VALU_DEP_1)
	v_cmpx_lt_i32_e64 v0, v1
	s_cbranch_execz .LBB27_259
; %bb.250:
	s_mov_b32 s4, 0
                                        ; implicit-def: $sgpr5
                                        ; implicit-def: $sgpr7
                                        ; implicit-def: $sgpr6
	s_branch .LBB27_252
.LBB27_251:                             ;   in Loop: Header=BB27_252 Depth=1
	s_wait_alu 0xfffe
	s_or_b32 exec_lo, exec_lo, s8
	s_delay_alu instid0(SALU_CYCLE_1)
	s_and_b32 s8, exec_lo, s7
	s_wait_alu 0xfffe
	s_or_b32 s4, s8, s4
	s_and_not1_b32 s5, s5, exec_lo
	s_and_b32 s8, s6, exec_lo
	s_wait_alu 0xfffe
	s_or_b32 s5, s5, s8
	s_and_not1_b32 exec_lo, exec_lo, s4
	s_cbranch_execz .LBB27_254
.LBB27_252:                             ; =>This Inner Loop Header: Depth=1
	v_ashrrev_i32_e32 v11, 31, v10
	s_or_b32 s6, s6, exec_lo
	s_or_b32 s7, s7, exec_lo
	s_delay_alu instid0(VALU_DEP_1) | instskip(NEXT) | instid1(VALU_DEP_1)
	v_lshlrev_b64_e32 v[2:3], 3, v[10:11]
	v_add_co_u32 v2, vcc_lo, s44, v2
	s_wait_alu 0xfffd
	s_delay_alu instid0(VALU_DEP_2)
	v_add_co_ci_u32_e64 v3, null, s45, v3, vcc_lo
	global_load_b64 v[2:3], v[2:3], off
	s_wait_loadcnt 0x0
	v_cmp_ne_u64_e32 vcc_lo, v[2:3], v[4:5]
	v_mov_b32_e32 v2, v0
                                        ; implicit-def: $vgpr0
	s_and_saveexec_b32 s8, vcc_lo
	s_cbranch_execz .LBB27_251
; %bb.253:                              ;   in Loop: Header=BB27_252 Depth=1
	s_delay_alu instid0(VALU_DEP_1) | instskip(SKIP_3) | instid1(VALU_DEP_2)
	v_add_nc_u32_e32 v0, s53, v2
	v_add_nc_u32_e32 v10, s57, v10
	s_and_not1_b32 s7, s7, exec_lo
	s_and_not1_b32 s6, s6, exec_lo
	v_cmp_ge_i32_e32 vcc_lo, v0, v1
	s_and_b32 s9, vcc_lo, exec_lo
	s_wait_alu 0xfffe
	s_or_b32 s7, s7, s9
	s_branch .LBB27_251
.LBB27_254:
	s_or_b32 exec_lo, exec_lo, s4
	s_wait_alu 0xfffe
	s_and_saveexec_b32 s4, s5
	s_wait_alu 0xfffe
	s_xor_b32 s4, exec_lo, s4
	s_cbranch_execz .LBB27_259
; %bb.255:
	s_mov_b32 s5, exec_lo
	s_brev_b32 s4, -2
.LBB27_256:                             ; =>This Inner Loop Header: Depth=1
	s_wait_alu 0xfffe
	s_ctz_i32_b32 s6, s5
	s_wait_alu 0xfffe
	v_readlane_b32 s7, v2, s6
	s_lshl_b32 s6, 1, s6
	s_wait_alu 0xfffe
	s_and_not1_b32 s5, s5, s6
	s_min_i32 s4, s4, s7
	s_wait_alu 0xfffe
	s_cmp_lg_u32 s5, 0
	s_cbranch_scc1 .LBB27_256
; %bb.257:
	v_mbcnt_lo_u32_b32 v0, exec_lo, 0
	s_mov_b32 s5, exec_lo
	s_delay_alu instid0(VALU_DEP_1)
	v_cmpx_eq_u32_e32 0, v0
	s_wait_alu 0xfffe
	s_xor_b32 s5, exec_lo, s5
; %bb.258:
	v_dual_mov_b32 v0, 0 :: v_dual_mov_b32 v1, s4
	ds_min_i32 v0, v1 offset:4108
.LBB27_259:
	s_or_b32 exec_lo, exec_lo, s3
	s_wait_loadcnt_dscnt 0x0
	s_barrier_signal -1
	s_barrier_wait -1
	global_inv scope:SCOPE_SE
	s_and_saveexec_b32 s3, s2
	s_cbranch_execz .LBB27_261
; %bb.260:
	v_mov_b32_e32 v2, 0
	s_mul_i32 s5, s52, s33
	s_mul_i32 s2, s30, s38
	s_wait_alu 0xfffe
	s_add_co_i32 s6, s5, s31
	s_add_co_i32 s4, s2, s29
	ds_load_b32 v0, v2 offset:4108
	s_wait_alu 0xfffe
	s_ashr_i32 s7, s6, 31
	s_ashr_i32 s5, s4, 31
	s_wait_alu 0xfffe
	s_lshl_b64 s[6:7], s[6:7], 3
	s_lshl_b64 s[4:5], s[4:5], 3
	s_wait_alu 0xfffe
	s_add_nc_u64 s[6:7], s[40:41], s[6:7]
	s_add_nc_u64 s[4:5], s[34:35], s[4:5]
	s_wait_dscnt 0x0
	v_ashrrev_i32_e32 v1, 31, v0
	s_clause 0x1
	global_store_b64 v2, v[0:1], s[6:7]
	global_store_b64 v2, v[4:5], s[4:5]
.LBB27_261:
	s_or_b32 exec_lo, exec_lo, s3
.LBB27_262:
	s_wait_alu 0xfffe
	s_or_saveexec_b32 s1, s1
	s_mov_b32 s2, 0
	s_wait_alu 0xfffe
	s_xor_b32 exec_lo, exec_lo, s1
	s_cbranch_execnz .LBB27_265
.LBB27_263:
	s_or_b32 exec_lo, exec_lo, s1
	s_delay_alu instid0(SALU_CYCLE_1)
	s_and_b32 s1, s2, exec_lo
	s_and_not1_saveexec_b32 s0, s0
	s_cbranch_execz .LBB27_241
.LBB27_264:
	s_wait_alu 0xfffe
	s_or_b32 s1, s1, exec_lo
	s_trap 2
	s_or_b32 exec_lo, exec_lo, s0
	s_wait_alu 0xfffe
	s_and_saveexec_b32 s0, s1
	s_cbranch_execnz .LBB27_242
	s_branch .LBB27_243
.LBB27_265:
	s_mov_b32 s2, exec_lo
	s_trap 2
	s_branch .LBB27_263
	.section	.rodata,"a",@progbits
	.p2align	6, 0x0
	.amdhsa_kernel _ZN2at6native12_GLOBAL__N_114gatherKthValueIliLin1EEEvNS_4cuda6detail10TensorInfoIKT_T0_EES8_S8_S8_S8_NS5_IS6_S8_EENS5_IlS8_EE
		.amdhsa_group_segment_fixed_size 4112
		.amdhsa_private_segment_fixed_size 0
		.amdhsa_kernarg_size 920
		.amdhsa_user_sgpr_count 2
		.amdhsa_user_sgpr_dispatch_ptr 0
		.amdhsa_user_sgpr_queue_ptr 0
		.amdhsa_user_sgpr_kernarg_segment_ptr 1
		.amdhsa_user_sgpr_dispatch_id 0
		.amdhsa_user_sgpr_private_segment_size 0
		.amdhsa_wavefront_size32 1
		.amdhsa_uses_dynamic_stack 0
		.amdhsa_enable_private_segment 0
		.amdhsa_system_sgpr_workgroup_id_x 1
		.amdhsa_system_sgpr_workgroup_id_y 1
		.amdhsa_system_sgpr_workgroup_id_z 1
		.amdhsa_system_sgpr_workgroup_info 0
		.amdhsa_system_vgpr_workitem_id 0
		.amdhsa_next_free_vgpr 55
		.amdhsa_next_free_sgpr 83
		.amdhsa_reserve_vcc 1
		.amdhsa_float_round_mode_32 0
		.amdhsa_float_round_mode_16_64 0
		.amdhsa_float_denorm_mode_32 3
		.amdhsa_float_denorm_mode_16_64 3
		.amdhsa_fp16_overflow 0
		.amdhsa_workgroup_processor_mode 1
		.amdhsa_memory_ordered 1
		.amdhsa_forward_progress 1
		.amdhsa_inst_pref_size 93
		.amdhsa_round_robin_scheduling 0
		.amdhsa_exception_fp_ieee_invalid_op 0
		.amdhsa_exception_fp_denorm_src 0
		.amdhsa_exception_fp_ieee_div_zero 0
		.amdhsa_exception_fp_ieee_overflow 0
		.amdhsa_exception_fp_ieee_underflow 0
		.amdhsa_exception_fp_ieee_inexact 0
		.amdhsa_exception_int_div_zero 0
	.end_amdhsa_kernel
	.section	.text._ZN2at6native12_GLOBAL__N_114gatherKthValueIliLin1EEEvNS_4cuda6detail10TensorInfoIKT_T0_EES8_S8_S8_S8_NS5_IS6_S8_EENS5_IlS8_EE,"axG",@progbits,_ZN2at6native12_GLOBAL__N_114gatherKthValueIliLin1EEEvNS_4cuda6detail10TensorInfoIKT_T0_EES8_S8_S8_S8_NS5_IS6_S8_EENS5_IlS8_EE,comdat
.Lfunc_end27:
	.size	_ZN2at6native12_GLOBAL__N_114gatherKthValueIliLin1EEEvNS_4cuda6detail10TensorInfoIKT_T0_EES8_S8_S8_S8_NS5_IS6_S8_EENS5_IlS8_EE, .Lfunc_end27-_ZN2at6native12_GLOBAL__N_114gatherKthValueIliLin1EEEvNS_4cuda6detail10TensorInfoIKT_T0_EES8_S8_S8_S8_NS5_IS6_S8_EENS5_IlS8_EE
                                        ; -- End function
	.set _ZN2at6native12_GLOBAL__N_114gatherKthValueIliLin1EEEvNS_4cuda6detail10TensorInfoIKT_T0_EES8_S8_S8_S8_NS5_IS6_S8_EENS5_IlS8_EE.num_vgpr, 55
	.set _ZN2at6native12_GLOBAL__N_114gatherKthValueIliLin1EEEvNS_4cuda6detail10TensorInfoIKT_T0_EES8_S8_S8_S8_NS5_IS6_S8_EENS5_IlS8_EE.num_agpr, 0
	.set _ZN2at6native12_GLOBAL__N_114gatherKthValueIliLin1EEEvNS_4cuda6detail10TensorInfoIKT_T0_EES8_S8_S8_S8_NS5_IS6_S8_EENS5_IlS8_EE.numbered_sgpr, 83
	.set _ZN2at6native12_GLOBAL__N_114gatherKthValueIliLin1EEEvNS_4cuda6detail10TensorInfoIKT_T0_EES8_S8_S8_S8_NS5_IS6_S8_EENS5_IlS8_EE.num_named_barrier, 0
	.set _ZN2at6native12_GLOBAL__N_114gatherKthValueIliLin1EEEvNS_4cuda6detail10TensorInfoIKT_T0_EES8_S8_S8_S8_NS5_IS6_S8_EENS5_IlS8_EE.private_seg_size, 0
	.set _ZN2at6native12_GLOBAL__N_114gatherKthValueIliLin1EEEvNS_4cuda6detail10TensorInfoIKT_T0_EES8_S8_S8_S8_NS5_IS6_S8_EENS5_IlS8_EE.uses_vcc, 1
	.set _ZN2at6native12_GLOBAL__N_114gatherKthValueIliLin1EEEvNS_4cuda6detail10TensorInfoIKT_T0_EES8_S8_S8_S8_NS5_IS6_S8_EENS5_IlS8_EE.uses_flat_scratch, 0
	.set _ZN2at6native12_GLOBAL__N_114gatherKthValueIliLin1EEEvNS_4cuda6detail10TensorInfoIKT_T0_EES8_S8_S8_S8_NS5_IS6_S8_EENS5_IlS8_EE.has_dyn_sized_stack, 0
	.set _ZN2at6native12_GLOBAL__N_114gatherKthValueIliLin1EEEvNS_4cuda6detail10TensorInfoIKT_T0_EES8_S8_S8_S8_NS5_IS6_S8_EENS5_IlS8_EE.has_recursion, 0
	.set _ZN2at6native12_GLOBAL__N_114gatherKthValueIliLin1EEEvNS_4cuda6detail10TensorInfoIKT_T0_EES8_S8_S8_S8_NS5_IS6_S8_EENS5_IlS8_EE.has_indirect_call, 0
	.section	.AMDGPU.csdata,"",@progbits
; Kernel info:
; codeLenInByte = 11788
; TotalNumSgprs: 85
; NumVgprs: 55
; ScratchSize: 0
; MemoryBound: 0
; FloatMode: 240
; IeeeMode: 1
; LDSByteSize: 4112 bytes/workgroup (compile time only)
; SGPRBlocks: 0
; VGPRBlocks: 6
; NumSGPRsForWavesPerEU: 85
; NumVGPRsForWavesPerEU: 55
; Occupancy: 16
; WaveLimiterHint : 1
; COMPUTE_PGM_RSRC2:SCRATCH_EN: 0
; COMPUTE_PGM_RSRC2:USER_SGPR: 2
; COMPUTE_PGM_RSRC2:TRAP_HANDLER: 0
; COMPUTE_PGM_RSRC2:TGID_X_EN: 1
; COMPUTE_PGM_RSRC2:TGID_Y_EN: 1
; COMPUTE_PGM_RSRC2:TGID_Z_EN: 1
; COMPUTE_PGM_RSRC2:TIDIG_COMP_CNT: 0
	.section	.text._ZN2at6native12_GLOBAL__N_114gatherKthValueIllLi1EEEvNS_4cuda6detail10TensorInfoIKT_T0_EES8_S8_S8_S8_NS5_IS6_S8_EENS5_IlS8_EE,"axG",@progbits,_ZN2at6native12_GLOBAL__N_114gatherKthValueIllLi1EEEvNS_4cuda6detail10TensorInfoIKT_T0_EES8_S8_S8_S8_NS5_IS6_S8_EENS5_IlS8_EE,comdat
	.globl	_ZN2at6native12_GLOBAL__N_114gatherKthValueIllLi1EEEvNS_4cuda6detail10TensorInfoIKT_T0_EES8_S8_S8_S8_NS5_IS6_S8_EENS5_IlS8_EE ; -- Begin function _ZN2at6native12_GLOBAL__N_114gatherKthValueIllLi1EEEvNS_4cuda6detail10TensorInfoIKT_T0_EES8_S8_S8_S8_NS5_IS6_S8_EENS5_IlS8_EE
	.p2align	8
	.type	_ZN2at6native12_GLOBAL__N_114gatherKthValueIllLi1EEEvNS_4cuda6detail10TensorInfoIKT_T0_EES8_S8_S8_S8_NS5_IS6_S8_EENS5_IlS8_EE,@function
_ZN2at6native12_GLOBAL__N_114gatherKthValueIllLi1EEEvNS_4cuda6detail10TensorInfoIKT_T0_EES8_S8_S8_S8_NS5_IS6_S8_EENS5_IlS8_EE: ; @_ZN2at6native12_GLOBAL__N_114gatherKthValueIllLi1EEEvNS_4cuda6detail10TensorInfoIKT_T0_EES8_S8_S8_S8_NS5_IS6_S8_EENS5_IlS8_EE
; %bb.0:
	s_clause 0x1
	s_load_b64 s[8:9], s[0:1], 0x500
	s_load_b256 s[36:43], s[0:1], 0x1a0
	s_lshr_b32 s2, ttmp7, 16
	s_and_b32 s3, ttmp7, 0xffff
	s_mov_b32 s27, 0
	s_wait_kmcnt 0x0
	s_mul_i32 s2, s9, s2
	s_delay_alu instid0(SALU_CYCLE_1) | instskip(NEXT) | instid1(SALU_CYCLE_1)
	s_add_co_i32 s2, s2, s3
	s_mul_i32 s2, s2, s8
	s_delay_alu instid0(SALU_CYCLE_1) | instskip(NEXT) | instid1(SALU_CYCLE_1)
	s_add_co_i32 s26, s2, ttmp9
	v_cmp_le_i64_e64 s2, s[40:41], s[26:27]
	s_and_b32 vcc_lo, exec_lo, s2
	s_cbranch_vccnz .LBB28_268
; %bb.1:
	s_clause 0x1
	s_load_b64 s[10:11], s[0:1], 0xd0
	s_load_b64 s[4:5], s[0:1], 0x0
	v_cmp_eq_u32_e64 s2, 0, v0
	s_add_nc_u64 s[6:7], s[0:1], 0x500
	s_and_saveexec_b32 s3, s2
	s_cbranch_execz .LBB28_3
; %bb.2:
	v_dual_mov_b32 v1, 0 :: v_dual_mov_b32 v4, s37
	s_delay_alu instid0(VALU_DEP_1)
	v_dual_mov_b32 v3, s36 :: v_dual_mov_b32 v2, v1
	ds_store_b32 v1, v1 offset:5136
	ds_store_b128 v1, v[1:4] offset:5120
.LBB28_3:
	s_or_b32 exec_lo, exec_lo, s3
	v_mad_co_u64_u32 v[2:3], null, s42, v0, 0
	v_lshlrev_b32_e32 v44, 5, v0
	v_mbcnt_lo_u32_b32 v40, -1, 0
	s_wait_kmcnt 0x0
	s_mul_u64 s[10:11], s[10:11], s[26:27]
	s_clause 0x3
	s_load_b64 s[34:35], s[0:1], 0x430
	s_load_b64 s[28:29], s[0:1], 0x360
	;; [unrolled: 1-line block ×4, first 2 shown]
	s_lshl_b64 s[10:11], s[10:11], 3
	v_or_b32_e32 v9, 16, v44
	v_dual_mov_b32 v1, v3 :: v_dual_mov_b32 v18, 0
	v_cmp_gt_u32_e32 vcc_lo, 32, v0
	v_cmp_gt_i32_e64 s0, 4, v40
	s_delay_alu instid0(VALU_DEP_4) | instskip(NEXT) | instid1(VALU_DEP_4)
	v_mad_co_u64_u32 v[23:24], null, s42, v9, 0
	v_mad_co_u64_u32 v[3:4], null, s43, v0, v[1:2]
	s_add_nc_u64 s[48:49], s[4:5], s[10:11]
	s_wait_dscnt 0x0
	s_barrier_signal -1
	s_barrier_wait -1
	global_inv scope:SCOPE_SE
	s_load_b32 s5, s[6:7], 0xc
	v_lshlrev_b64_e32 v[4:5], 3, v[2:3]
	s_and_b32 s33, vcc_lo, s0
	v_lshlrev_b64_e64 v[6:7], v40, -1
	v_dual_mov_b32 v20, v18 :: v_dual_lshlrev_b32 v41, 3, v0
	v_mov_b32_e32 v1, v18
	s_delay_alu instid0(VALU_DEP_4) | instskip(NEXT) | instid1(VALU_DEP_1)
	v_add_co_u32 v15, vcc_lo, s48, v4
	v_add_co_ci_u32_e64 v16, null, s49, v5, vcc_lo
	v_mov_b32_e32 v5, v24
	v_or_b32_e32 v7, 24, v44
	v_or_b32_e32 v10, 8, v44
	v_not_b32_e32 v43, v6
	s_mov_b32 s25, 0
	v_add_nc_u32_e32 v42, 0xc00, v41
	v_mad_co_u64_u32 v[21:22], null, s42, v7, 0
	v_mad_co_u64_u32 v[25:26], null, s42, v10, 0
	v_lshlrev_b32_e32 v19, 2, v0
	s_wait_kmcnt 0x0
	s_and_b32 s44, s5, 0xffff
	s_bfe_u32 s5, s5, 0xb0005
	s_cmp_gt_u32 s44, 31
	s_delay_alu instid0(VALU_DEP_3)
	v_mov_b32_e32 v4, v22
	s_cselect_b32 s81, -1, 0
	v_mov_b32_e32 v6, v26
	s_cmp_lt_u32 ttmp9, s8
	v_cmp_lt_i64_e64 s80, 0x180, s[36:37]
	v_mad_co_u64_u32 v[7:8], null, s43, v7, v[4:5]
	s_delay_alu instid0(VALU_DEP_3)
	v_mad_co_u64_u32 v[4:5], null, s43, v9, v[5:6]
	s_cselect_b32 s24, 12, 18
	s_add_co_i32 s8, s5, -1
	s_bfe_u32 s82, s44, 0x30005
	s_and_b32 s8, s8, 0xffff
	v_cmp_gt_u64_e64 s4, s[36:37], v[0:1]
	s_cmp_gt_u32 s8, 6
	v_mov_b32_e32 v45, v4
	v_mad_co_u64_u32 v[5:6], null, s43, v10, v[6:7]
	s_cselect_b32 s83, -1, 0
	s_and_b32 s84, s5, 0x7f8
	s_cmp_lg_u32 s82, 0
	s_movk_i32 s8, 0x3e0
	s_cselect_b32 s85, -1, 0
	s_lshl_b64 s[54:55], s[42:43], 3
	v_add_co_u32 v47, s5, s36, v0
	v_mul_lo_u32 v50, 0, s54
	v_cmp_gt_i64_e64 s0, s[36:37], v[0:1]
	s_mov_b32 s45, s25
	v_mov_b32_e32 v24, v7
	v_mov_b32_e32 v46, v5
	v_lshlrev_b64_e32 v[26:27], 5, v[2:3]
	v_dual_mov_b32 v5, 0 :: v_dual_mov_b32 v32, s38
	v_mov_b32_e32 v28, 0
	v_mov_b32_e32 v30, 0
	v_cmp_eq_u32_e64 s1, 0, v40
	v_cmp_gt_u32_e64 s3, 2, v0
	v_and_or_b32 v22, v0, s8, 0xc00
	v_add_co_ci_u32_e64 v48, null, s37, 0, s5
	v_lshl_or_b32 v49, v40, 3, 0xc00
	v_dual_mov_b32 v6, 0 :: v_dual_mov_b32 v29, 0
	v_mov_b32_e32 v33, s39
	v_dual_mov_b32 v31, 0 :: v_dual_mov_b32 v2, 1
	s_add_nc_u64 s[50:51], s[44:45], -1
	s_mul_u64 s[8:9], s[42:43], s[44:45]
	s_add_nc_u64 s[52:53], s[50:51], s[36:37]
	s_lshl_b64 s[56:57], s[42:43], 5
	s_wait_alu 0xfffe
	s_lshl_b64 s[46:47], s[8:9], 3
	s_lshl_b32 s86, s44, 3
	s_mov_b32 s87, 62
	s_add_nc_u64 s[38:39], s[6:7], s[24:25]
	s_mov_b32 s88, 0
	s_mov_b32 s89, 0
                                        ; implicit-def: $sgpr93
                                        ; implicit-def: $sgpr95
                                        ; implicit-def: $sgpr90
                                        ; implicit-def: $sgpr92
                                        ; implicit-def: $sgpr94
                                        ; implicit-def: $sgpr91
	s_branch .LBB28_7
.LBB28_4:                               ;   in Loop: Header=BB28_7 Depth=1
	s_wait_alu 0xfffe
	s_or_b32 exec_lo, exec_lo, s8
	s_delay_alu instid0(SALU_CYCLE_1)
	s_and_b32 s6, s6, exec_lo
	s_and_not1_b32 s58, s58, exec_lo
	s_and_not1_b32 s23, s23, exec_lo
	s_or_not1_b32 s21, s7, exec_lo
.LBB28_5:                               ;   in Loop: Header=BB28_7 Depth=1
	s_wait_alu 0xfffe
	s_or_b32 exec_lo, exec_lo, s5
	s_delay_alu instid0(SALU_CYCLE_1)
	s_and_not1_b32 s5, s91, exec_lo
	s_and_b32 s6, s6, exec_lo
	s_and_not1_b32 s7, s92, exec_lo
	s_wait_alu 0xfffe
	s_or_b32 s91, s5, s6
	s_and_not1_b32 s5, s94, exec_lo
	s_and_b32 s6, s58, exec_lo
	s_and_b32 s8, s23, exec_lo
	s_wait_alu 0xfffe
	s_or_b32 s94, s5, s6
	s_or_b32 s92, s7, s8
	s_or_not1_b32 s21, s21, exec_lo
.LBB28_6:                               ;   in Loop: Header=BB28_7 Depth=1
	s_or_b32 exec_lo, exec_lo, s20
	s_delay_alu instid0(SALU_CYCLE_1)
	s_and_b32 s5, exec_lo, s21
	v_dual_mov_b32 v33, v12 :: v_dual_mov_b32 v32, v11
	s_wait_alu 0xfffe
	s_or_b32 s88, s5, s88
	s_and_not1_b32 s5, s90, exec_lo
	s_and_b32 s6, s91, exec_lo
	s_and_not1_b32 s7, s95, exec_lo
	s_wait_alu 0xfffe
	s_or_b32 s90, s5, s6
	s_and_b32 s5, s94, exec_lo
	s_and_not1_b32 s6, s93, exec_lo
	s_and_b32 s8, s92, exec_lo
	s_wait_alu 0xfffe
	s_or_b32 s95, s7, s5
	s_or_b32 s93, s6, s8
	s_and_not1_b32 exec_lo, exec_lo, s88
	s_cbranch_execz .LBB28_264
.LBB28_7:                               ; =>This Loop Header: Depth=1
                                        ;     Child Loop BB28_13 Depth 2
                                        ;     Child Loop BB28_26 Depth 2
	;; [unrolled: 1-line block ×16, first 2 shown]
	ds_load_b128 v[7:10], v18 offset:5120
	s_wait_dscnt 0x0
	v_readfirstlane_b32 s59, v8
	v_readfirstlane_b32 s58, v7
	s_wait_alu 0xf1ff
	s_delay_alu instid0(VALU_DEP_1)
	v_cmp_gt_i64_e64 s5, s[58:59], 0
	s_and_b32 vcc_lo, exec_lo, s5
	s_wait_alu 0xfffe
	s_cbranch_vccnz .LBB28_34
; %bb.8:                                ;   in Loop: Header=BB28_7 Depth=1
	s_and_b32 vcc_lo, exec_lo, s80
	s_wait_alu 0xfffe
	s_cbranch_vccz .LBB28_21
; %bb.9:                                ;   in Loop: Header=BB28_7 Depth=1
	v_cmp_gt_i64_e32 vcc_lo, 0x181, v[9:10]
	s_mov_b32 s7, 0
	s_mov_b32 s5, 0
	s_cbranch_vccz .LBB28_22
; %bb.10:                               ;   in Loop: Header=BB28_7 Depth=1
	s_and_saveexec_b32 s8, s4
	s_cbranch_execz .LBB28_68
; %bb.11:                               ;   in Loop: Header=BB28_7 Depth=1
	global_load_u16 v3, v18, s[38:39]
	global_load_b64 v[7:8], v[15:16], off
	s_mov_b32 s9, 0
	s_wait_loadcnt 0x1
	v_and_b32_e32 v13, 0xffff, v3
	s_delay_alu instid0(VALU_DEP_1) | instskip(SKIP_2) | instid1(VALU_DEP_3)
	v_add_nc_u32_e32 v9, v0, v13
	v_mul_lo_u32 v11, v13, s55
	v_mul_hi_u32 v12, v13, s54
	v_mad_co_u64_u32 v[3:4], null, s54, v9, s[48:49]
	s_delay_alu instid0(VALU_DEP_1) | instskip(NEXT) | instid1(VALU_DEP_4)
	v_mad_co_u64_u32 v[9:10], null, s55, v9, v[4:5]
	v_add_nc_u32_e32 v4, v11, v50
	s_delay_alu instid0(VALU_DEP_1)
	v_dual_mov_b32 v4, v9 :: v_dual_add_nc_u32 v17, v4, v12
	v_mul_lo_u32 v14, v13, s54
	v_dual_mov_b32 v10, v1 :: v_dual_mov_b32 v9, v0
	s_branch .LBB28_13
.LBB28_12:                              ;   in Loop: Header=BB28_13 Depth=2
	s_wait_alu 0xfffe
	s_or_b32 exec_lo, exec_lo, s6
	v_add_co_u32 v3, vcc_lo, v3, v14
	s_wait_alu 0xfffd
	v_add_co_ci_u32_e64 v4, null, v4, v17, vcc_lo
	v_dual_mov_b32 v7, v11 :: v_dual_mov_b32 v8, v12
	s_and_not1_b32 exec_lo, exec_lo, s9
	s_cbranch_execz .LBB28_68
.LBB28_13:                              ;   Parent Loop BB28_7 Depth=1
                                        ; =>  This Inner Loop Header: Depth=2
	s_delay_alu instid0(VALU_DEP_1)
	v_add_co_u32 v9, vcc_lo, v9, v13
	v_mov_b32_e32 v11, 0
	s_wait_alu 0xfffd
	v_add_co_ci_u32_e64 v10, null, 0, v10, vcc_lo
	v_mov_b32_e32 v12, 0
	s_mov_b32 s6, exec_lo
	s_delay_alu instid0(VALU_DEP_2)
	v_cmp_le_i64_e32 vcc_lo, s[36:37], v[9:10]
	v_cmpx_gt_i64_e64 s[36:37], v[9:10]
	s_cbranch_execz .LBB28_15
; %bb.14:                               ;   in Loop: Header=BB28_13 Depth=2
	global_load_b64 v[11:12], v[3:4], off
.LBB28_15:                              ;   in Loop: Header=BB28_13 Depth=2
	s_wait_alu 0xfffe
	s_or_b32 exec_lo, exec_lo, s6
	s_wait_loadcnt_dscnt 0x0
	v_xor_b32_e32 v34, 0x80000000, v8
	s_delay_alu instid0(VALU_DEP_1) | instskip(SKIP_1) | instid1(VALU_DEP_1)
	v_and_b32_e32 v35, v34, v31
	v_and_b32_e32 v34, v7, v30
	v_cmp_eq_u64_e64 s5, v[34:35], v[28:29]
	v_mov_b32_e32 v34, 0
	s_cmp_lg_u32 s5, 0
	s_cselect_b32 s6, -1, 0
	s_wait_alu 0xfffe
	s_and_b32 s6, s1, s6
	s_wait_alu 0xfffe
	s_and_saveexec_b32 s10, s6
	s_cbranch_execz .LBB28_19
; %bb.16:                               ;   in Loop: Header=BB28_13 Depth=2
	s_mov_b32 s13, exec_lo
	s_bcnt1_i32_b32 s11, s5
	s_wait_alu 0xfffe
	v_mbcnt_lo_u32_b32 v34, s13, 0
	s_mov_b32 s12, exec_lo
                                        ; implicit-def: $vgpr35
	s_delay_alu instid0(VALU_DEP_1)
	v_cmpx_eq_u32_e32 0, v34
; %bb.17:                               ;   in Loop: Header=BB28_13 Depth=2
	s_bcnt1_i32_b32 s6, s13
	s_wait_alu 0xfffe
	s_mul_i32 s6, s11, s6
	s_wait_alu 0xfffe
	v_mov_b32_e32 v35, s6
	ds_add_rtn_u32 v35, v18, v35 offset:5136
; %bb.18:                               ;   in Loop: Header=BB28_13 Depth=2
	s_or_b32 exec_lo, exec_lo, s12
	s_wait_dscnt 0x0
	v_readfirstlane_b32 s6, v35
	s_wait_alu 0xf1ff
	s_delay_alu instid0(VALU_DEP_1)
	v_mad_u32_u24 v34, s11, v34, s6
.LBB28_19:                              ;   in Loop: Header=BB28_13 Depth=2
	s_wait_alu 0xfffe
	s_or_b32 exec_lo, exec_lo, s10
	ds_bpermute_b32 v34, v18, v34
	s_and_b32 s6, exec_lo, vcc_lo
	s_wait_alu 0xfffe
	s_or_b32 s9, s6, s9
	s_and_saveexec_b32 s6, s5
	s_cbranch_execz .LBB28_12
; %bb.20:                               ;   in Loop: Header=BB28_13 Depth=2
	v_and_b32_e32 v35, s5, v43
	s_delay_alu instid0(VALU_DEP_1) | instskip(NEXT) | instid1(VALU_DEP_1)
	v_bcnt_u32_b32 v35, v35, 0
	v_lshlrev_b32_e32 v35, 3, v35
	s_wait_dscnt 0x0
	s_delay_alu instid0(VALU_DEP_1)
	v_lshl_add_u32 v34, v34, 3, v35
	ds_store_b64 v34, v[7:8]
	s_branch .LBB28_12
.LBB28_21:                              ;   in Loop: Header=BB28_7 Depth=1
	s_mov_b32 s7, -1
	s_mov_b32 s5, 0
.LBB28_22:                              ;   in Loop: Header=BB28_7 Depth=1
	s_wait_alu 0xfffe
	s_and_b32 vcc_lo, exec_lo, s7
	s_wait_alu 0xfffe
	s_cbranch_vccz .LBB28_32
.LBB28_23:                              ;   in Loop: Header=BB28_7 Depth=1
	s_and_saveexec_b32 s6, s0
	s_cbranch_execz .LBB28_29
; %bb.24:                               ;   in Loop: Header=BB28_7 Depth=1
	global_load_u16 v7, v18, s[38:39]
	global_load_b64 v[3:4], v[15:16], off
	s_mov_b32 s7, exec_lo
	s_wait_loadcnt 0x1
	v_dual_mov_b32 v7, v0 :: v_dual_and_b32 v34, 0xffff, v7
	s_delay_alu instid0(VALU_DEP_1) | instskip(NEXT) | instid1(VALU_DEP_1)
	v_add_nc_u32_e32 v17, v34, v0
	v_cmpx_gt_i64_e64 s[36:37], v[17:18]
	s_cbranch_execz .LBB28_28
; %bb.25:                               ;   in Loop: Header=BB28_7 Depth=1
	v_mul_lo_u32 v10, v34, s55
	v_mad_co_u64_u32 v[7:8], null, s54, v17, s[48:49]
	v_mul_hi_u32 v11, v34, s54
	v_mul_lo_u32 v35, v34, s54
	v_dual_mov_b32 v14, v1 :: v_dual_mov_b32 v13, v0
	s_mov_b32 s8, 0
	v_add_nc_u32_e32 v12, v10, v50
	v_mad_co_u64_u32 v[8:9], null, s55, v17, v[8:9]
	v_dual_mov_b32 v9, v17 :: v_dual_mov_b32 v10, v18
	s_delay_alu instid0(VALU_DEP_3)
	v_add_nc_u32_e32 v17, v12, v11
.LBB28_26:                              ;   Parent Loop BB28_7 Depth=1
                                        ; =>  This Inner Loop Header: Depth=2
	global_load_b64 v[11:12], v[7:8], off
	v_dual_mov_b32 v37, v10 :: v_dual_mov_b32 v36, v9
	v_lshlrev_b32_e32 v13, 3, v13
	s_delay_alu instid0(VALU_DEP_2) | instskip(SKIP_1) | instid1(VALU_DEP_3)
	v_add_co_u32 v9, vcc_lo, v36, v34
	s_wait_alu 0xfffd
	v_add_co_ci_u32_e64 v10, null, 0, v37, vcc_lo
	v_add_co_u32 v7, vcc_lo, v7, v35
	s_wait_loadcnt 0x1
	ds_store_b64 v13, v[3:4]
	v_cmp_le_i64_e64 s5, s[36:37], v[9:10]
	s_wait_alu 0xfffd
	v_add_co_ci_u32_e64 v8, null, v8, v17, vcc_lo
	v_dual_mov_b32 v13, v36 :: v_dual_mov_b32 v14, v37
	s_wait_alu 0xfffe
	s_delay_alu instid0(VALU_DEP_3)
	s_or_b32 s8, s5, s8
	s_wait_loadcnt 0x0
	v_dual_mov_b32 v3, v11 :: v_dual_mov_b32 v4, v12
	s_wait_alu 0xfffe
	s_and_not1_b32 exec_lo, exec_lo, s8
	s_cbranch_execnz .LBB28_26
; %bb.27:                               ;   in Loop: Header=BB28_7 Depth=1
	s_or_b32 exec_lo, exec_lo, s8
	v_sub_nc_u32_e32 v7, v9, v34
	v_dual_mov_b32 v3, v11 :: v_dual_mov_b32 v4, v12
.LBB28_28:                              ;   in Loop: Header=BB28_7 Depth=1
	s_wait_alu 0xfffe
	s_or_b32 exec_lo, exec_lo, s7
	s_delay_alu instid0(VALU_DEP_2)
	v_lshlrev_b32_e32 v7, 3, v7
	s_wait_loadcnt 0x0
	ds_store_b64 v7, v[3:4]
.LBB28_29:                              ;   in Loop: Header=BB28_7 Depth=1
	s_wait_alu 0xfffe
	s_or_b32 exec_lo, exec_lo, s6
	s_wait_loadcnt_dscnt 0x0
	s_barrier_signal -1
	s_barrier_wait -1
	global_inv scope:SCOPE_SE
	s_and_saveexec_b32 s5, s2
; %bb.30:                               ;   in Loop: Header=BB28_7 Depth=1
	v_dual_mov_b32 v3, s36 :: v_dual_mov_b32 v4, s37
	ds_store_b64 v18, v[3:4] offset:5120
; %bb.31:                               ;   in Loop: Header=BB28_7 Depth=1
	s_wait_alu 0xfffe
	s_or_b32 exec_lo, exec_lo, s5
	s_mov_b32 s5, -1
	s_wait_loadcnt_dscnt 0x0
	s_barrier_signal -1
	s_barrier_wait -1
.LBB28_32:                              ;   in Loop: Header=BB28_7 Depth=1
	s_wait_alu 0xfffe
	s_and_b32 vcc_lo, exec_lo, s5
	s_wait_alu 0xfffe
	s_cbranch_vccz .LBB28_34
; %bb.33:                               ;   in Loop: Header=BB28_7 Depth=1
	s_wait_loadcnt 0x0
	global_inv scope:SCOPE_SE
	ds_load_b64 v[3:4], v18 offset:5120
	s_wait_dscnt 0x0
	v_readfirstlane_b32 s58, v3
.LBB28_34:                              ;   in Loop: Header=BB28_7 Depth=1
	s_delay_alu instid0(VALU_DEP_1)
	s_cmp_lt_i32 s58, 1
	s_mov_b32 s5, -1
                                        ; implicit-def: $vgpr13_vgpr14
                                        ; implicit-def: $vgpr9_vgpr10
	s_cbranch_scc1 .LBB28_44
; %bb.35:                               ;   in Loop: Header=BB28_7 Depth=1
	s_wait_alu 0xfffe
	s_and_b32 vcc_lo, exec_lo, s5
	s_wait_alu 0xfffe
	s_cbranch_vccnz .LBB28_58
.LBB28_36:                              ;   in Loop: Header=BB28_7 Depth=1
	s_lshl_b32 s5, s89, 7
	s_and_saveexec_b32 s6, s1
	s_cbranch_execz .LBB28_38
.LBB28_37:                              ;   in Loop: Header=BB28_7 Depth=1
	s_wait_alu 0xfffe
	v_lshl_add_u32 v3, s5, 3, v22
	ds_store_b128 v3, v[7:10]
	ds_store_b128 v3, v[11:14] offset:16
.LBB28_38:                              ;   in Loop: Header=BB28_7 Depth=1
	s_wait_alu 0xfffe
	s_or_b32 exec_lo, exec_lo, s6
	s_wait_loadcnt_dscnt 0x0
	s_barrier_signal -1
	s_barrier_wait -1
	global_inv scope:SCOPE_SE
	s_and_saveexec_b32 s6, s33
	s_cbranch_execz .LBB28_75
; %bb.39:                               ;   in Loop: Header=BB28_7 Depth=1
	v_mov_b32_e32 v3, 0
	v_mov_b32_e32 v4, 0
	s_and_not1_b32 vcc_lo, exec_lo, s81
	s_wait_alu 0xfffe
	s_cbranch_vccnz .LBB28_74
; %bb.40:                               ;   in Loop: Header=BB28_7 Depth=1
	v_mov_b32_e32 v3, 0
	v_mov_b32_e32 v4, 0
	s_and_not1_b32 vcc_lo, exec_lo, s83
	s_wait_alu 0xfffe
	s_cbranch_vccnz .LBB28_71
; %bb.41:                               ;   in Loop: Header=BB28_7 Depth=1
	v_lshl_add_u32 v7, s89, 10, v49
	s_mov_b32 s7, 0
.LBB28_42:                              ;   Parent Loop BB28_7 Depth=1
                                        ; =>  This Inner Loop Header: Depth=2
	ds_load_2addr_b64 v[8:11], v7 offset1:4
	ds_load_2addr_b64 v[34:37], v7 offset0:8 offset1:12
	ds_load_2addr_b64 v[51:54], v7 offset0:16 offset1:20
	s_wait_alu 0xfffe
	s_add_co_i32 s7, s7, 8
	s_wait_alu 0xfffe
	s_cmp_eq_u32 s84, s7
	s_wait_dscnt 0x2
	v_add_co_u32 v3, vcc_lo, v8, v3
	s_wait_alu 0xfffd
	v_add_co_ci_u32_e64 v4, null, v9, v4, vcc_lo
	s_delay_alu instid0(VALU_DEP_2) | instskip(SKIP_1) | instid1(VALU_DEP_2)
	v_add_co_u32 v3, vcc_lo, v10, v3
	s_wait_alu 0xfffd
	v_add_co_ci_u32_e64 v4, null, v11, v4, vcc_lo
	ds_load_2addr_b64 v[8:11], v7 offset0:24 offset1:28
	s_wait_dscnt 0x2
	v_add_co_u32 v3, vcc_lo, v34, v3
	s_wait_alu 0xfffd
	v_add_co_ci_u32_e64 v4, null, v35, v4, vcc_lo
	v_add_nc_u32_e32 v7, 0x100, v7
	s_delay_alu instid0(VALU_DEP_3) | instskip(SKIP_1) | instid1(VALU_DEP_3)
	v_add_co_u32 v3, vcc_lo, v36, v3
	s_wait_alu 0xfffd
	v_add_co_ci_u32_e64 v4, null, v37, v4, vcc_lo
	s_wait_dscnt 0x1
	s_delay_alu instid0(VALU_DEP_2) | instskip(SKIP_1) | instid1(VALU_DEP_2)
	v_add_co_u32 v3, vcc_lo, v51, v3
	s_wait_alu 0xfffd
	v_add_co_ci_u32_e64 v4, null, v52, v4, vcc_lo
	s_delay_alu instid0(VALU_DEP_2) | instskip(SKIP_1) | instid1(VALU_DEP_2)
	v_add_co_u32 v3, vcc_lo, v53, v3
	s_wait_alu 0xfffd
	v_add_co_ci_u32_e64 v4, null, v54, v4, vcc_lo
	s_wait_dscnt 0x0
	s_delay_alu instid0(VALU_DEP_2) | instskip(SKIP_1) | instid1(VALU_DEP_2)
	v_add_co_u32 v3, vcc_lo, v8, v3
	s_wait_alu 0xfffd
	v_add_co_ci_u32_e64 v4, null, v9, v4, vcc_lo
	s_delay_alu instid0(VALU_DEP_2) | instskip(SKIP_1) | instid1(VALU_DEP_2)
	v_add_co_u32 v3, vcc_lo, v10, v3
	s_wait_alu 0xfffd
	v_add_co_ci_u32_e64 v4, null, v11, v4, vcc_lo
	s_cbranch_scc0 .LBB28_42
; %bb.43:                               ;   in Loop: Header=BB28_7 Depth=1
	s_mov_b32 s7, s84
	s_and_not1_b32 vcc_lo, exec_lo, s85
	s_wait_alu 0xfffe
	s_cbranch_vccz .LBB28_72
	s_branch .LBB28_74
.LBB28_44:                              ;   in Loop: Header=BB28_7 Depth=1
	global_load_u16 v3, v18, s[38:39]
	s_mov_b32 s6, s25
	s_mov_b32 s7, s37
	s_wait_loadcnt 0x0
	v_readfirstlane_b32 s5, v3
	s_wait_alu 0xfffe
	s_and_b32 s60, s5, 0xffff
	s_wait_alu 0xfffe
	s_lshl_b32 s62, s60, 2
	s_cmp_lg_u64 s[6:7], 0
	s_cbranch_scc0 .LBB28_67
; %bb.45:                               ;   in Loop: Header=BB28_7 Depth=1
	s_mov_b32 s63, s25
	s_wait_alu 0xfffe
	s_add_nc_u64 s[6:7], s[62:63], 0
	s_wait_alu 0xfffe
	s_xor_b64 s[6:7], s[6:7], 0
	s_wait_alu 0xfffe
	s_cvt_f32_u32 s5, s6
	s_cvt_f32_u32 s8, s7
	s_sub_nc_u64 s[10:11], 0, s[6:7]
	s_wait_alu 0xfffe
	s_delay_alu instid0(SALU_CYCLE_1) | instskip(SKIP_1) | instid1(SALU_CYCLE_2)
	s_fmamk_f32 s5, s8, 0x4f800000, s5
	s_wait_alu 0xfffe
	v_s_rcp_f32 s5, s5
	s_delay_alu instid0(TRANS32_DEP_1) | instskip(SKIP_1) | instid1(SALU_CYCLE_2)
	s_mul_f32 s5, s5, 0x5f7ffffc
	s_wait_alu 0xfffe
	s_mul_f32 s8, s5, 0x2f800000
	s_wait_alu 0xfffe
	s_delay_alu instid0(SALU_CYCLE_2) | instskip(SKIP_1) | instid1(SALU_CYCLE_2)
	s_trunc_f32 s8, s8
	s_wait_alu 0xfffe
	s_fmamk_f32 s5, s8, 0xcf800000, s5
	s_cvt_u32_f32 s9, s8
	s_wait_alu 0xfffe
	s_delay_alu instid0(SALU_CYCLE_1) | instskip(SKIP_1) | instid1(SALU_CYCLE_2)
	s_cvt_u32_f32 s8, s5
	s_wait_alu 0xfffe
	s_mul_u64 s[12:13], s[10:11], s[8:9]
	s_wait_alu 0xfffe
	s_mul_hi_u32 s15, s8, s13
	s_mul_i32 s14, s8, s13
	s_mul_hi_u32 s24, s8, s12
	s_mul_i32 s16, s9, s12
	s_wait_alu 0xfffe
	s_add_nc_u64 s[14:15], s[24:25], s[14:15]
	s_mul_hi_u32 s5, s9, s12
	s_mul_hi_u32 s17, s9, s13
	s_mul_i32 s12, s9, s13
	s_wait_alu 0xfffe
	s_add_co_u32 s13, s14, s16
	s_add_co_ci_u32 s24, s15, s5
	s_add_co_ci_u32 s13, s17, 0
	s_wait_alu 0xfffe
	s_add_nc_u64 s[12:13], s[24:25], s[12:13]
	s_wait_alu 0xfffe
	s_add_co_u32 s8, s8, s12
	s_cselect_b32 s5, -1, 0
	s_wait_alu 0xfffe
	s_cmp_lg_u32 s5, 0
	s_add_co_ci_u32 s9, s9, s13
	s_wait_alu 0xfffe
	s_mul_u64 s[10:11], s[10:11], s[8:9]
	s_wait_alu 0xfffe
	s_mul_hi_u32 s13, s8, s11
	s_mul_i32 s12, s8, s11
	s_mul_hi_u32 s24, s8, s10
	s_mul_i32 s14, s9, s10
	s_wait_alu 0xfffe
	s_add_nc_u64 s[12:13], s[24:25], s[12:13]
	s_mul_hi_u32 s5, s9, s10
	s_mul_hi_u32 s15, s9, s11
	s_mul_i32 s10, s9, s11
	s_wait_alu 0xfffe
	s_add_co_u32 s11, s12, s14
	s_add_co_ci_u32 s24, s13, s5
	s_add_co_ci_u32 s11, s15, 0
	s_wait_alu 0xfffe
	s_add_nc_u64 s[10:11], s[24:25], s[10:11]
	s_wait_alu 0xfffe
	s_add_co_u32 s5, s8, s10
	s_cselect_b32 s8, -1, 0
	s_wait_alu 0xfffe
	s_cmp_lg_u32 s8, 0
	s_add_co_ci_u32 s14, s9, s11
	s_ashr_i32 s8, s37, 31
	s_wait_alu 0xfffe
	s_mov_b32 s9, s8
	s_wait_alu 0xfffe
	s_add_nc_u64 s[10:11], s[36:37], s[8:9]
	s_wait_alu 0xfffe
	s_xor_b64 s[10:11], s[10:11], s[8:9]
	s_wait_alu 0xfffe
	s_mul_hi_u32 s13, s10, s14
	s_mul_i32 s12, s10, s14
	s_mul_hi_u32 s24, s10, s5
	s_mul_hi_u32 s16, s11, s5
	s_mul_i32 s5, s11, s5
	s_wait_alu 0xfffe
	s_add_nc_u64 s[12:13], s[24:25], s[12:13]
	s_mul_hi_u32 s15, s11, s14
	s_wait_alu 0xfffe
	s_add_co_u32 s5, s12, s5
	s_add_co_ci_u32 s24, s13, s16
	s_mul_i32 s14, s11, s14
	s_add_co_ci_u32 s15, s15, 0
	s_wait_alu 0xfffe
	s_add_nc_u64 s[12:13], s[24:25], s[14:15]
	s_wait_alu 0xfffe
	s_mul_u64 s[12:13], s[6:7], s[12:13]
	s_wait_alu 0xfffe
	s_sub_co_u32 s5, s10, s12
	s_cselect_b32 s10, -1, 0
	s_sub_co_i32 s12, s11, s13
	s_wait_alu 0xfffe
	s_cmp_lg_u32 s10, 0
	s_sub_co_ci_u32 s12, s12, s7
	s_sub_co_u32 s14, s5, s6
	s_cselect_b32 s15, -1, 0
	s_wait_alu 0xfffe
	s_cmp_lg_u32 s15, 0
	s_sub_co_ci_u32 s16, s12, 0
	s_wait_alu 0xfffe
	s_cmp_ge_u32 s16, s7
	s_cselect_b32 s17, -1, 0
	s_cmp_ge_u32 s14, s6
	s_cselect_b32 s18, -1, 0
	s_cmp_eq_u32 s16, s7
	s_wait_alu 0xfffe
	s_cselect_b32 s17, s18, s17
	s_cmp_lg_u32 s15, 0
	s_sub_co_ci_u32 s12, s12, s7
	s_sub_co_u32 s15, s14, s6
	s_cselect_b32 s18, -1, 0
	s_delay_alu instid0(SALU_CYCLE_1)
	s_cmp_lg_u32 s18, 0
	s_wait_alu 0xfffe
	s_sub_co_ci_u32 s12, s12, 0
	s_cmp_lg_u32 s17, 0
	s_cselect_b32 s14, s15, s14
	s_wait_alu 0xfffe
	s_cselect_b32 s12, s12, s16
	s_cmp_lg_u32 s10, 0
	s_sub_co_ci_u32 s10, s11, s13
	s_wait_alu 0xfffe
	s_cmp_ge_u32 s10, s7
	s_cselect_b32 s11, -1, 0
	s_cmp_ge_u32 s5, s6
	s_cselect_b32 s6, -1, 0
	s_cmp_eq_u32 s10, s7
	s_wait_alu 0xfffe
	s_cselect_b32 s6, s6, s11
	s_wait_alu 0xfffe
	s_cmp_lg_u32 s6, 0
	s_cselect_b32 s7, s12, s10
	s_cselect_b32 s6, s14, s5
	s_wait_alu 0xfffe
	s_xor_b64 s[6:7], s[6:7], s[8:9]
	s_wait_alu 0xfffe
	s_sub_nc_u64 s[64:65], s[6:7], s[8:9]
	s_cbranch_execnz .LBB28_47
.LBB28_46:                              ;   in Loop: Header=BB28_7 Depth=1
	s_wait_alu 0xfffe
	v_cvt_f32_u32_e32 v3, s62
	s_sub_co_i32 s6, 0, s62
	s_delay_alu instid0(VALU_DEP_1) | instskip(NEXT) | instid1(TRANS32_DEP_1)
	v_rcp_iflag_f32_e32 v3, v3
	v_mul_f32_e32 v3, 0x4f7ffffe, v3
	s_delay_alu instid0(VALU_DEP_1) | instskip(NEXT) | instid1(VALU_DEP_1)
	v_cvt_u32_f32_e32 v3, v3
	v_readfirstlane_b32 s5, v3
	s_wait_alu 0xfffe
	s_mul_i32 s6, s6, s5
	s_wait_alu 0xfffe
	s_mul_hi_u32 s6, s5, s6
	s_wait_alu 0xfffe
	s_add_co_i32 s5, s5, s6
	s_wait_alu 0xfffe
	s_mul_hi_u32 s5, s36, s5
	s_wait_alu 0xfffe
	s_mul_i32 s5, s5, s62
	s_wait_alu 0xfffe
	s_sub_co_i32 s5, s36, s5
	s_wait_alu 0xfffe
	s_sub_co_i32 s6, s5, s62
	s_cmp_ge_u32 s5, s62
	s_wait_alu 0xfffe
	s_cselect_b32 s5, s6, s5
	s_wait_alu 0xfffe
	s_sub_co_i32 s6, s5, s62
	s_cmp_ge_u32 s5, s62
	s_wait_alu 0xfffe
	s_cselect_b32 s24, s6, s5
	s_wait_alu 0xfffe
	s_mov_b64 s[64:65], s[24:25]
.LBB28_47:                              ;   in Loop: Header=BB28_7 Depth=1
	v_mov_b32_e32 v7, 0
	v_dual_mov_b32 v11, 0 :: v_dual_mov_b32 v8, 0
	v_dual_mov_b32 v9, 0 :: v_dual_mov_b32 v12, 0
	;; [unrolled: 1-line block ×3, first 2 shown]
	v_mov_b32_e32 v14, 0
	s_wait_alu 0xfffe
	s_sub_nc_u64 s[66:67], s[36:37], s[64:65]
	s_mov_b32 s61, s25
	s_mov_b32 s59, exec_lo
	s_wait_alu 0xfffe
	v_cmpx_gt_i64_e64 s[66:67], v[19:20]
	s_cbranch_execz .LBB28_51
; %bb.48:                               ;   in Loop: Header=BB28_7 Depth=1
	v_dual_mov_b32 v3, v19 :: v_dual_mov_b32 v4, v20
	s_mul_u64 s[68:69], s[56:57], s[60:61]
	s_mov_b64 s[70:71], 0
	s_mov_b32 s63, 0
	s_mov_b64 s[72:73], s[48:49]
	s_mov_b64 s[74:75], 0
	;; [unrolled: 1-line block ×4, first 2 shown]
.LBB28_49:                              ;   Parent Loop BB28_7 Depth=1
                                        ; =>  This Inner Loop Header: Depth=2
	s_wait_alu 0xfffe
	v_add_co_u32 v7, vcc_lo, s72, v26
	s_wait_alu 0xfffd
	v_add_co_ci_u32_e64 v8, null, s73, v27, vcc_lo
	v_add_co_u32 v9, vcc_lo, s72, v25
	s_wait_alu 0xfffd
	v_add_co_ci_u32_e64 v10, null, s73, v46, vcc_lo
	;; [unrolled: 3-line block ×4, first 2 shown]
	s_clause 0x3
	global_load_b64 v[7:8], v[7:8], off
	global_load_b64 v[9:10], v[9:10], off
	global_load_b64 v[11:12], v[11:12], off
	global_load_b64 v[13:14], v[13:14], off
	v_add_co_u32 v3, vcc_lo, v3, s62
	s_wait_alu 0xfffd
	v_add_co_ci_u32_e64 v4, null, 0, v4, vcc_lo
	s_add_nc_u64 s[72:73], s[72:73], s[68:69]
	v_cmp_le_i64_e32 vcc_lo, s[66:67], v[3:4]
	s_wait_loadcnt 0x3
	v_xor_b32_e32 v8, 0x80000000, v8
	s_wait_loadcnt 0x2
	v_xor_b32_e32 v10, 0x80000000, v10
	;; [unrolled: 2-line block ×3, first 2 shown]
	v_mov_b32_e32 v35, v18
	v_and_b32_e32 v51, v7, v30
	v_and_b32_e32 v52, v8, v31
	v_lshrrev_b64 v[7:8], s87, v[7:8]
	s_wait_loadcnt 0x0
	v_xor_b32_e32 v14, 0x80000000, v14
	v_and_b32_e32 v53, v9, v30
	v_lshrrev_b64 v[8:9], s87, v[9:10]
	v_and_b32_e32 v54, v10, v31
	v_lshrrev_b64 v[9:10], s87, v[11:12]
	;; [unrolled: 2-line block ×3, first 2 shown]
	v_and_b32_e32 v17, 3, v7
	v_dual_mov_b32 v39, v18 :: v_dual_and_b32 v34, 3, v8
	v_dual_mov_b32 v37, v18 :: v_dual_and_b32 v56, v12, v31
	v_and_b32_e32 v36, 3, v9
	v_cmp_eq_u64_e64 s5, v[51:52], v[28:29]
	v_cmp_eq_u64_e64 s9, 0, v[17:18]
	v_and_b32_e32 v57, v13, v30
	v_and_b32_e32 v58, v14, v31
	;; [unrolled: 1-line block ×3, first 2 shown]
	v_cmp_eq_u64_e64 s6, v[53:54], v[28:29]
	v_cmp_eq_u64_e64 s10, 0, v[34:35]
	;; [unrolled: 1-line block ×6, first 2 shown]
	s_and_b32 s9, s5, s9
	v_cmp_eq_u64_e64 s13, 1, v[17:18]
	s_wait_alu 0xfffe
	v_cndmask_b32_e64 v7, 0, 1, s9
	s_and_b32 s9, s6, s10
	v_cmp_eq_u64_e64 s14, 1, v[34:35]
	s_wait_alu 0xfffe
	v_cndmask_b32_e64 v8, 0, 1, s9
	;; [unrolled: 4-line block ×4, first 2 shown]
	s_and_b32 s9, s5, s13
	v_cmp_eq_u64_e64 s17, 2, v[17:18]
	v_cmp_eq_u64_e64 s21, 3, v[17:18]
	s_wait_alu 0xfffe
	v_cndmask_b32_e64 v11, 0, 1, s9
	s_and_b32 s9, s6, s14
	v_cmp_eq_u64_e64 s22, 3, v[34:35]
	s_wait_alu 0xfffe
	v_cndmask_b32_e64 v12, 0, 1, s9
	s_and_b32 s9, s7, s15
	v_cmp_eq_u64_e64 s18, 2, v[34:35]
	v_cmp_eq_u64_e64 s23, 3, v[36:37]
	s_wait_alu 0xfffe
	v_cndmask_b32_e64 v13, 0, 1, s9
	s_and_b32 s9, s8, s16
	v_cmp_eq_u64_e64 s19, 2, v[36:37]
	v_cmp_eq_u64_e64 s24, 3, v[38:39]
	s_wait_alu 0xfffe
	v_cndmask_b32_e64 v14, 0, 1, s9
	s_and_b32 s9, s5, s17
	s_and_b32 s5, s5, s21
	v_cmp_eq_u64_e64 s20, 2, v[38:39]
	s_wait_alu 0xfffe
	v_cndmask_b32_e64 v37, 0, 1, s5
	s_and_b32 s5, s6, s22
	v_cndmask_b32_e64 v17, 0, 1, s9
	s_and_b32 s9, s6, s18
	s_wait_alu 0xfffe
	v_cndmask_b32_e64 v38, 0, 1, s5
	s_and_b32 s5, s7, s23
	v_cndmask_b32_e64 v34, 0, 1, s9
	s_and_b32 s9, s7, s19
	;; [unrolled: 5-line block ×3, first 2 shown]
	s_wait_alu 0xfffe
	v_cndmask_b32_e64 v51, 0, 1, s5
	v_cmp_ne_u32_e64 s5, 0, v7
	v_cmp_ne_u32_e64 s6, 0, v8
	v_cndmask_b32_e64 v36, 0, 1, s9
	v_cmp_ne_u32_e64 s7, 0, v9
	v_cmp_ne_u32_e64 s9, 0, v11
	;; [unrolled: 1-line block ×7, first 2 shown]
	s_bcnt1_i32_b32 s5, s5
	s_bcnt1_i32_b32 s6, s6
	v_cmp_ne_u32_e64 s12, 0, v14
	v_cmp_ne_u32_e64 s15, 0, v35
	;; [unrolled: 1-line block ×4, first 2 shown]
	s_bcnt1_i32_b32 s7, s7
	s_bcnt1_i32_b32 s9, s9
	;; [unrolled: 1-line block ×3, first 2 shown]
	s_wait_alu 0xfffe
	s_add_co_i32 s5, s6, s5
	v_cmp_ne_u32_e64 s16, 0, v36
	v_cmp_ne_u32_e64 s19, 0, v39
	s_bcnt1_i32_b32 s8, s8
	s_bcnt1_i32_b32 s11, s11
	;; [unrolled: 1-line block ×4, first 2 shown]
	s_add_co_i32 s6, s10, s9
	s_wait_alu 0xfffe
	s_add_co_i32 s5, s5, s7
	v_cmp_ne_u32_e64 s20, 0, v51
	s_bcnt1_i32_b32 s12, s12
	s_bcnt1_i32_b32 s15, s15
	;; [unrolled: 1-line block ×4, first 2 shown]
	s_add_co_i32 s9, s14, s13
	s_add_co_i32 s6, s6, s11
	s_wait_alu 0xfffe
	s_add_co_i32 s24, s5, s8
	s_bcnt1_i32_b32 s16, s16
	s_bcnt1_i32_b32 s19, s19
	s_add_co_i32 s10, s18, s17
	s_add_co_i32 s7, s9, s15
	s_wait_alu 0xfffe
	s_add_nc_u64 s[78:79], s[78:79], s[24:25]
	s_add_co_i32 s24, s6, s12
	s_bcnt1_i32_b32 s20, s20
	s_add_co_i32 s9, s10, s19
	s_wait_alu 0xfffe
	s_add_nc_u64 s[76:77], s[76:77], s[24:25]
	s_add_co_i32 s24, s7, s16
	v_mov_b32_e32 v7, s78
	s_wait_alu 0xfffe
	s_add_nc_u64 s[74:75], s[74:75], s[24:25]
	s_add_co_i32 s24, s9, s20
	v_mov_b32_e32 v9, s76
	s_wait_alu 0xfffe
	s_add_nc_u64 s[70:71], s[70:71], s[24:25]
	v_mov_b32_e32 v11, s74
	s_wait_alu 0xfffe
	v_dual_mov_b32 v13, s70 :: v_dual_mov_b32 v8, s79
	v_mov_b32_e32 v10, s77
	v_mov_b32_e32 v12, s75
	v_mov_b32_e32 v14, s71
	s_or_b32 s63, vcc_lo, s63
	s_wait_alu 0xfffe
	s_and_not1_b32 exec_lo, exec_lo, s63
	s_cbranch_execnz .LBB28_49
; %bb.50:                               ;   in Loop: Header=BB28_7 Depth=1
	s_or_b32 exec_lo, exec_lo, s63
.LBB28_51:                              ;   in Loop: Header=BB28_7 Depth=1
	s_wait_alu 0xfffe
	s_or_b32 exec_lo, exec_lo, s59
	v_add_co_u32 v3, s5, s66, v0
	s_wait_alu 0xf1ff
	v_add_co_ci_u32_e64 v4, null, s67, 0, s5
	s_mov_b32 s9, exec_lo
	v_cmpx_gt_i64_e64 s[36:37], v[3:4]
	s_cbranch_execz .LBB28_57
; %bb.52:                               ;   in Loop: Header=BB28_7 Depth=1
	v_mul_lo_u32 v17, v4, s42
	v_mul_lo_u32 v36, v3, s43
	v_mad_co_u64_u32 v[34:35], null, v3, s42, 0
	s_mul_u64 s[10:11], s[54:55], s[60:61]
	s_mov_b32 s12, 0
	v_add3_u32 v35, v35, v36, v17
	s_delay_alu instid0(VALU_DEP_1) | instskip(NEXT) | instid1(VALU_DEP_1)
	v_lshlrev_b64_e32 v[34:35], 3, v[34:35]
	v_add_co_u32 v34, vcc_lo, s48, v34
	s_wait_alu 0xfffd
	s_delay_alu instid0(VALU_DEP_2)
	v_add_co_ci_u32_e64 v35, null, s49, v35, vcc_lo
	v_add_co_u32 v17, vcc_lo, v47, s60
	global_load_b64 v[38:39], v[34:35], off
	s_wait_alu 0xfffd
	v_add_co_ci_u32_e64 v34, null, 0, v48, vcc_lo
	v_sub_co_u32 v17, vcc_lo, v17, s64
	s_wait_alu 0xfffd
	s_delay_alu instid0(VALU_DEP_2) | instskip(NEXT) | instid1(VALU_DEP_2)
	v_subrev_co_ci_u32_e64 v34, null, s65, v34, vcc_lo
	v_mul_lo_u32 v37, s55, v17
	s_delay_alu instid0(VALU_DEP_2) | instskip(SKIP_1) | instid1(VALU_DEP_1)
	v_mul_lo_u32 v36, s54, v34
	v_mad_co_u64_u32 v[34:35], null, s54, v17, s[48:49]
	v_add3_u32 v35, v37, v35, v36
	s_branch .LBB28_54
.LBB28_53:                              ;   in Loop: Header=BB28_54 Depth=2
	s_wait_alu 0xfffe
	s_or_b32 exec_lo, exec_lo, s6
	s_wait_loadcnt 0x0
	v_xor_b32_e32 v39, 0x80000000, v39
	s_and_b32 s7, exec_lo, vcc_lo
	s_wait_alu 0xfffe
	s_or_b32 s12, s7, s12
	s_delay_alu instid0(VALU_DEP_1) | instskip(SKIP_2) | instid1(VALU_DEP_3)
	v_lshrrev_b64 v[51:52], s87, v[38:39]
	v_and_b32_e32 v38, v38, v30
	v_and_b32_e32 v39, v39, v31
	;; [unrolled: 1-line block ×3, first 2 shown]
	s_delay_alu instid0(VALU_DEP_2) | instskip(NEXT) | instid1(VALU_DEP_2)
	v_cmp_eq_u64_e64 s5, v[38:39], v[28:29]
	v_cmp_eq_u64_e64 s6, 0, v[17:18]
	v_cmp_eq_u64_e32 vcc_lo, 1, v[17:18]
	v_cmp_eq_u64_e64 s7, 2, v[17:18]
	v_cmp_eq_u64_e64 s8, 3, v[17:18]
	s_and_b32 s6, s5, s6
	s_wait_alu 0xfffe
	v_cndmask_b32_e64 v17, 0, 1, s6
	s_and_b32 s6, s5, vcc_lo
	s_wait_alu 0xfffe
	v_cndmask_b32_e64 v38, 0, 1, s6
	s_and_b32 s6, s5, s7
	s_and_b32 s5, s5, s8
	s_wait_alu 0xfffe
	v_cndmask_b32_e64 v39, 0, 1, s6
	v_cmp_ne_u32_e32 vcc_lo, 0, v17
	v_cndmask_b32_e64 v51, 0, 1, s5
	v_cmp_ne_u32_e64 s5, 0, v38
	s_delay_alu instid0(VALU_DEP_4)
	v_cmp_ne_u32_e64 s6, 0, v39
	s_bcnt1_i32_b32 s8, vcc_lo
	v_cmp_ne_u32_e64 s7, 0, v51
	s_bcnt1_i32_b32 s5, s5
	s_wait_alu 0xfffe
	v_add_co_u32 v7, vcc_lo, v7, s8
	s_bcnt1_i32_b32 s6, s6
	s_wait_alu 0xfffd
	v_add_co_ci_u32_e64 v8, null, 0, v8, vcc_lo
	v_add_co_u32 v9, vcc_lo, v9, s5
	s_wait_alu 0xfffd
	v_add_co_ci_u32_e64 v10, null, 0, v10, vcc_lo
	s_wait_alu 0xfffe
	v_add_co_u32 v11, vcc_lo, v11, s6
	s_bcnt1_i32_b32 s5, s7
	s_wait_alu 0xfffd
	v_add_co_ci_u32_e64 v12, null, 0, v12, vcc_lo
	s_wait_alu 0xfffe
	v_add_co_u32 v13, vcc_lo, v13, s5
	s_wait_alu 0xfffd
	v_add_co_ci_u32_e64 v14, null, 0, v14, vcc_lo
	v_add_co_u32 v34, vcc_lo, v34, s10
	v_mov_b32_e32 v39, v37
	s_wait_alu 0xfffd
	v_add_co_ci_u32_e64 v35, null, s11, v35, vcc_lo
	v_mov_b32_e32 v38, v36
	s_and_not1_b32 exec_lo, exec_lo, s12
	s_cbranch_execz .LBB28_56
.LBB28_54:                              ;   Parent Loop BB28_7 Depth=1
                                        ; =>  This Inner Loop Header: Depth=2
	v_add_co_u32 v3, vcc_lo, v3, s60
	v_mov_b32_e32 v36, 0
	s_wait_alu 0xfffd
	v_add_co_ci_u32_e64 v4, null, 0, v4, vcc_lo
	v_mov_b32_e32 v37, 0
	s_mov_b32 s6, exec_lo
	s_delay_alu instid0(VALU_DEP_2)
	v_cmp_le_i64_e32 vcc_lo, s[36:37], v[3:4]
	v_cmpx_gt_i64_e64 s[36:37], v[3:4]
	s_cbranch_execz .LBB28_53
; %bb.55:                               ;   in Loop: Header=BB28_54 Depth=2
	global_load_b64 v[36:37], v[34:35], off
	s_branch .LBB28_53
.LBB28_56:                              ;   in Loop: Header=BB28_7 Depth=1
	s_or_b32 exec_lo, exec_lo, s12
.LBB28_57:                              ;   in Loop: Header=BB28_7 Depth=1
	s_wait_alu 0xfffe
	s_or_b32 exec_lo, exec_lo, s9
	s_branch .LBB28_36
.LBB28_58:                              ;   in Loop: Header=BB28_7 Depth=1
	global_load_u16 v3, v18, s[38:39]
	s_mov_b32 s70, exec_lo
	v_mov_b32_e32 v7, 0
	v_dual_mov_b32 v8, 0 :: v_dual_mov_b32 v9, 0
	v_dual_mov_b32 v10, 0 :: v_dual_mov_b32 v11, 0
	v_dual_mov_b32 v12, 0 :: v_dual_mov_b32 v13, 0
	v_mov_b32_e32 v14, 0
	s_wait_loadcnt 0x0
	v_readfirstlane_b32 s5, v3
	v_and_b32_e32 v36, 0xffff, v3
	s_and_b32 s59, 0xffff, s5
	s_wait_alu 0xfffe
	s_lshl_b32 s69, s59, 2
	s_wait_alu 0xfffe
	s_cvt_f32_u32 s5, s69
	s_sub_co_i32 s6, 0, s69
	s_wait_alu 0xfffe
	s_delay_alu instid0(SALU_CYCLE_1) | instskip(NEXT) | instid1(TRANS32_DEP_1)
	v_rcp_iflag_f32_e32 v4, s5
	v_readfirstlane_b32 s5, v4
	s_mul_f32 s5, s5, 0x4f7ffffe
	s_wait_alu 0xfffe
	s_delay_alu instid0(SALU_CYCLE_2) | instskip(SKIP_1) | instid1(SALU_CYCLE_2)
	s_cvt_u32_f32 s5, s5
	s_wait_alu 0xfffe
	s_mul_i32 s6, s6, s5
	s_wait_alu 0xfffe
	s_mul_hi_u32 s6, s5, s6
	s_wait_alu 0xfffe
	s_add_co_i32 s5, s5, s6
	s_wait_alu 0xfffe
	s_mul_hi_u32 s5, s58, s5
	s_wait_alu 0xfffe
	s_mul_i32 s6, s5, s69
	s_add_co_i32 s7, s5, 1
	s_wait_alu 0xfffe
	s_sub_co_i32 s6, s58, s6
	s_wait_alu 0xfffe
	s_sub_co_i32 s8, s6, s69
	s_cmp_ge_u32 s6, s69
	s_cselect_b32 s5, s7, s5
	s_wait_alu 0xfffe
	s_cselect_b32 s6, s8, s6
	s_add_co_i32 s7, s5, 1
	s_wait_alu 0xfffe
	s_cmp_ge_u32 s6, s69
	s_cselect_b32 s68, s7, s5
	s_wait_alu 0xfffe
	v_mul_hi_u32 v4, s68, v36
	v_mul_lo_u32 v3, s68, v36
	s_delay_alu instid0(VALU_DEP_1) | instskip(NEXT) | instid1(VALU_DEP_1)
	v_lshlrev_b64_e32 v[3:4], 2, v[3:4]
	v_cmpx_gt_u64_e64 v[3:4], v[19:20]
	s_cbranch_execz .LBB28_62
; %bb.59:                               ;   in Loop: Header=BB28_7 Depth=1
	v_mov_b32_e32 v35, v20
	v_dual_mov_b32 v37, v44 :: v_dual_mov_b32 v34, v19
	s_lshl_b32 s71, s59, 5
	s_mov_b64 s[60:61], 0
	s_mov_b32 s72, 0
	s_mov_b64 s[62:63], 0
	s_mov_b64 s[64:65], 0
	;; [unrolled: 1-line block ×3, first 2 shown]
.LBB28_60:                              ;   Parent Loop BB28_7 Depth=1
                                        ; =>  This Inner Loop Header: Depth=2
	ds_load_b128 v[7:10], v37
	ds_load_b128 v[11:14], v37 offset:16
	v_dual_mov_b32 v39, v18 :: v_dual_mov_b32 v52, v18
	s_wait_alu 0xfffe
	v_dual_mov_b32 v54, v18 :: v_dual_add_nc_u32 v37, s71, v37
	v_add_co_u32 v34, vcc_lo, v34, s69
	s_wait_alu 0xfffd
	v_add_co_ci_u32_e64 v35, null, 0, v35, vcc_lo
	s_delay_alu instid0(VALU_DEP_1)
	v_cmp_ge_u64_e32 vcc_lo, v[34:35], v[3:4]
	s_wait_dscnt 0x1
	v_xor_b32_e32 v8, 0x80000000, v8
	v_xor_b32_e32 v10, 0x80000000, v10
	s_wait_dscnt 0x0
	v_xor_b32_e32 v12, 0x80000000, v12
	v_and_b32_e32 v55, v7, v30
	v_xor_b32_e32 v14, 0x80000000, v14
	v_and_b32_e32 v56, v8, v31
	v_lshrrev_b64 v[7:8], s87, v[7:8]
	v_and_b32_e32 v57, v9, v30
	v_lshrrev_b64 v[8:9], s87, v[9:10]
	;; [unrolled: 2-line block ×4, first 2 shown]
	v_and_b32_e32 v17, 3, v7
	v_and_b32_e32 v38, 3, v8
	;; [unrolled: 1-line block ×4, first 2 shown]
	v_cmp_eq_u64_e64 s5, v[55:56], v[28:29]
	v_cmp_eq_u64_e64 s9, 0, v[17:18]
	v_and_b32_e32 v61, v13, v30
	v_and_b32_e32 v62, v14, v31
	;; [unrolled: 1-line block ×3, first 2 shown]
	v_cmp_eq_u64_e64 s6, v[57:58], v[28:29]
	v_cmp_eq_u64_e64 s10, 0, v[38:39]
	;; [unrolled: 1-line block ×6, first 2 shown]
	s_and_b32 s9, s5, s9
	v_cmp_eq_u64_e64 s13, 1, v[17:18]
	s_wait_alu 0xfffe
	v_cndmask_b32_e64 v7, 0, 1, s9
	s_and_b32 s9, s6, s10
	v_cmp_eq_u64_e64 s14, 1, v[38:39]
	s_wait_alu 0xfffe
	v_cndmask_b32_e64 v8, 0, 1, s9
	;; [unrolled: 4-line block ×4, first 2 shown]
	s_and_b32 s9, s5, s13
	v_cmp_eq_u64_e64 s17, 2, v[17:18]
	v_cmp_eq_u64_e64 s21, 3, v[17:18]
	s_wait_alu 0xfffe
	v_cndmask_b32_e64 v11, 0, 1, s9
	s_and_b32 s9, s6, s14
	v_cmp_eq_u64_e64 s22, 3, v[38:39]
	s_wait_alu 0xfffe
	v_cndmask_b32_e64 v12, 0, 1, s9
	s_and_b32 s9, s7, s15
	v_cmp_eq_u64_e64 s18, 2, v[38:39]
	v_cmp_eq_u64_e64 s23, 3, v[51:52]
	s_wait_alu 0xfffe
	v_cndmask_b32_e64 v13, 0, 1, s9
	s_and_b32 s9, s8, s16
	v_cmp_eq_u64_e64 s19, 2, v[51:52]
	v_cmp_eq_u64_e64 s24, 3, v[53:54]
	s_wait_alu 0xfffe
	v_cndmask_b32_e64 v14, 0, 1, s9
	s_and_b32 s9, s5, s17
	s_and_b32 s5, s5, s21
	v_cmp_eq_u64_e64 s20, 2, v[53:54]
	s_wait_alu 0xfffe
	v_cndmask_b32_e64 v52, 0, 1, s5
	s_and_b32 s5, s6, s22
	v_cndmask_b32_e64 v17, 0, 1, s9
	s_and_b32 s9, s6, s18
	s_wait_alu 0xfffe
	v_cndmask_b32_e64 v53, 0, 1, s5
	s_and_b32 s5, s7, s23
	v_cndmask_b32_e64 v38, 0, 1, s9
	s_and_b32 s9, s7, s19
	;; [unrolled: 5-line block ×3, first 2 shown]
	s_wait_alu 0xfffe
	v_cndmask_b32_e64 v55, 0, 1, s5
	v_cmp_ne_u32_e64 s5, 0, v7
	v_cmp_ne_u32_e64 s6, 0, v8
	v_cndmask_b32_e64 v51, 0, 1, s9
	v_cmp_ne_u32_e64 s7, 0, v9
	v_cmp_ne_u32_e64 s9, 0, v11
	;; [unrolled: 1-line block ×7, first 2 shown]
	s_bcnt1_i32_b32 s5, s5
	s_bcnt1_i32_b32 s6, s6
	v_cmp_ne_u32_e64 s12, 0, v14
	v_cmp_ne_u32_e64 s15, 0, v39
	;; [unrolled: 1-line block ×4, first 2 shown]
	s_bcnt1_i32_b32 s7, s7
	s_bcnt1_i32_b32 s9, s9
	;; [unrolled: 1-line block ×3, first 2 shown]
	s_wait_alu 0xfffe
	s_add_co_i32 s5, s6, s5
	v_cmp_ne_u32_e64 s16, 0, v51
	v_cmp_ne_u32_e64 s19, 0, v54
	s_bcnt1_i32_b32 s8, s8
	s_bcnt1_i32_b32 s11, s11
	;; [unrolled: 1-line block ×4, first 2 shown]
	s_add_co_i32 s6, s10, s9
	s_wait_alu 0xfffe
	s_add_co_i32 s5, s5, s7
	v_cmp_ne_u32_e64 s20, 0, v55
	s_bcnt1_i32_b32 s12, s12
	s_bcnt1_i32_b32 s15, s15
	s_bcnt1_i32_b32 s17, s17
	s_bcnt1_i32_b32 s18, s18
	s_add_co_i32 s9, s14, s13
	s_add_co_i32 s6, s6, s11
	s_wait_alu 0xfffe
	s_add_co_i32 s24, s5, s8
	s_bcnt1_i32_b32 s16, s16
	s_bcnt1_i32_b32 s19, s19
	s_add_co_i32 s10, s18, s17
	s_add_co_i32 s7, s9, s15
	s_wait_alu 0xfffe
	s_add_nc_u64 s[66:67], s[66:67], s[24:25]
	s_add_co_i32 s24, s6, s12
	s_bcnt1_i32_b32 s20, s20
	s_add_co_i32 s9, s10, s19
	s_wait_alu 0xfffe
	s_add_nc_u64 s[64:65], s[64:65], s[24:25]
	s_add_co_i32 s24, s7, s16
	v_mov_b32_e32 v7, s66
	s_wait_alu 0xfffe
	s_add_nc_u64 s[62:63], s[62:63], s[24:25]
	s_add_co_i32 s24, s9, s20
	v_mov_b32_e32 v9, s64
	s_wait_alu 0xfffe
	s_add_nc_u64 s[60:61], s[60:61], s[24:25]
	v_mov_b32_e32 v11, s62
	s_wait_alu 0xfffe
	v_dual_mov_b32 v13, s60 :: v_dual_mov_b32 v8, s67
	v_mov_b32_e32 v10, s65
	v_mov_b32_e32 v12, s63
	;; [unrolled: 1-line block ×3, first 2 shown]
	s_or_b32 s72, vcc_lo, s72
	s_wait_alu 0xfffe
	s_and_not1_b32 exec_lo, exec_lo, s72
	s_cbranch_execnz .LBB28_60
; %bb.61:                               ;   in Loop: Header=BB28_7 Depth=1
	s_or_b32 exec_lo, exec_lo, s72
.LBB28_62:                              ;   in Loop: Header=BB28_7 Depth=1
	s_delay_alu instid0(SALU_CYCLE_1)
	s_or_b32 exec_lo, exec_lo, s70
	v_add_co_u32 v3, vcc_lo, v3, v0
	s_wait_alu 0xfffd
	v_add_co_ci_u32_e64 v4, null, 0, v4, vcc_lo
	s_and_b32 s24, s58, 0x7fffffff
	s_mov_b32 s10, exec_lo
	s_wait_alu 0xfffe
	v_cmpx_gt_u64_e64 s[24:25], v[3:4]
	s_cbranch_execz .LBB28_66
; %bb.63:                               ;   in Loop: Header=BB28_7 Depth=1
	s_mul_i32 s68, s68, s59
	s_lshl_b32 s12, s59, 3
	s_wait_alu 0xfffe
	v_lshl_add_u32 v34, s68, 5, v41
	s_mov_b32 s11, 0
.LBB28_64:                              ;   Parent Loop BB28_7 Depth=1
                                        ; =>  This Inner Loop Header: Depth=2
	ds_load_b64 v[37:38], v34
	v_add_co_u32 v3, vcc_lo, v3, v36
	s_wait_alu 0xfffd
	v_add_co_ci_u32_e64 v4, null, 0, v4, vcc_lo
	v_add_nc_u32_e32 v34, s12, v34
	s_delay_alu instid0(VALU_DEP_2) | instskip(SKIP_3) | instid1(VALU_DEP_2)
	v_cmp_le_u64_e32 vcc_lo, s[24:25], v[3:4]
	s_wait_dscnt 0x0
	v_xor_b32_e32 v38, 0x80000000, v38
	v_and_b32_e32 v51, v37, v30
	v_and_b32_e32 v52, v38, v31
	v_lshrrev_b64 v[37:38], s87, v[37:38]
	s_delay_alu instid0(VALU_DEP_2) | instskip(NEXT) | instid1(VALU_DEP_2)
	v_cmp_eq_u64_e64 s5, v[51:52], v[28:29]
	v_and_b32_e32 v17, 3, v37
	s_delay_alu instid0(VALU_DEP_1)
	v_cmp_eq_u64_e64 s6, 0, v[17:18]
	v_cmp_eq_u64_e64 s7, 1, v[17:18]
	;; [unrolled: 1-line block ×4, first 2 shown]
	s_and_b32 s6, s5, s6
	s_wait_alu 0xfffe
	v_cndmask_b32_e64 v17, 0, 1, s6
	s_and_b32 s6, s5, s7
	s_wait_alu 0xfffe
	v_cndmask_b32_e64 v35, 0, 1, s6
	s_and_b32 s6, s5, s8
	s_and_b32 s5, s5, s9
	s_wait_alu 0xfffe
	v_cndmask_b32_e64 v37, 0, 1, s6
	v_cndmask_b32_e64 v38, 0, 1, s5
	v_cmp_ne_u32_e64 s5, 0, v17
	v_cmp_ne_u32_e64 s6, 0, v35
	s_delay_alu instid0(VALU_DEP_4) | instskip(NEXT) | instid1(VALU_DEP_4)
	v_cmp_ne_u32_e64 s7, 0, v37
	v_cmp_ne_u32_e64 s8, 0, v38
	s_bcnt1_i32_b32 s5, s5
	s_bcnt1_i32_b32 s6, s6
	s_wait_alu 0xfffe
	v_add_co_u32 v7, s5, v7, s5
	s_bcnt1_i32_b32 s7, s7
	v_add_co_ci_u32_e64 v8, null, 0, v8, s5
	v_add_co_u32 v9, s5, v9, s6
	s_bcnt1_i32_b32 s8, s8
	v_add_co_ci_u32_e64 v10, null, 0, v10, s5
	s_wait_alu 0xfffe
	v_add_co_u32 v11, s5, v11, s7
	s_wait_alu 0xf1ff
	v_add_co_ci_u32_e64 v12, null, 0, v12, s5
	v_add_co_u32 v13, s5, v13, s8
	s_wait_alu 0xf1ff
	v_add_co_ci_u32_e64 v14, null, 0, v14, s5
	s_or_b32 s11, vcc_lo, s11
	s_wait_alu 0xfffe
	s_and_not1_b32 exec_lo, exec_lo, s11
	s_cbranch_execnz .LBB28_64
; %bb.65:                               ;   in Loop: Header=BB28_7 Depth=1
	s_or_b32 exec_lo, exec_lo, s11
.LBB28_66:                              ;   in Loop: Header=BB28_7 Depth=1
	s_wait_alu 0xfffe
	s_or_b32 exec_lo, exec_lo, s10
	s_lshl_b32 s5, s89, 7
	s_and_saveexec_b32 s6, s1
	s_cbranch_execnz .LBB28_37
	s_branch .LBB28_38
.LBB28_67:                              ;   in Loop: Header=BB28_7 Depth=1
                                        ; implicit-def: $sgpr64_sgpr65
	s_branch .LBB28_46
.LBB28_68:                              ;   in Loop: Header=BB28_7 Depth=1
	s_wait_alu 0xfffe
	s_or_b32 exec_lo, exec_lo, s8
	s_wait_loadcnt_dscnt 0x0
	s_barrier_signal -1
	s_barrier_wait -1
	global_inv scope:SCOPE_SE
	s_and_saveexec_b32 s5, s2
	s_cbranch_execz .LBB28_70
; %bb.69:                               ;   in Loop: Header=BB28_7 Depth=1
	ds_load_b32 v3, v18 offset:5136
	s_wait_dscnt 0x0
	v_ashrrev_i32_e32 v4, 31, v3
	ds_store_b64 v18, v[3:4] offset:5120
.LBB28_70:                              ;   in Loop: Header=BB28_7 Depth=1
	s_wait_alu 0xfffe
	s_or_b32 exec_lo, exec_lo, s5
	s_wait_loadcnt_dscnt 0x0
	s_barrier_signal -1
	s_mov_b32 s5, -1
	s_barrier_wait -1
	s_and_b32 vcc_lo, exec_lo, s7
	s_wait_alu 0xfffe
	s_cbranch_vccnz .LBB28_23
	s_branch .LBB28_32
.LBB28_71:                              ;   in Loop: Header=BB28_7 Depth=1
	s_mov_b32 s7, 0
	s_and_not1_b32 vcc_lo, exec_lo, s85
	s_wait_alu 0xfffe
	s_cbranch_vccnz .LBB28_74
.LBB28_72:                              ;   in Loop: Header=BB28_7 Depth=1
	s_lshl_b32 s8, s89, 10
	s_lshl_b32 s7, s7, 5
	s_wait_alu 0xfffe
	v_add3_u32 v7, s8, s7, v49
	s_mov_b32 s7, s82
.LBB28_73:                              ;   Parent Loop BB28_7 Depth=1
                                        ; =>  This Inner Loop Header: Depth=2
	ds_load_b64 v[8:9], v7
	v_add_nc_u32_e32 v7, 32, v7
	s_wait_alu 0xfffe
	s_add_co_i32 s7, s7, -1
	s_wait_alu 0xfffe
	s_cmp_lg_u32 s7, 0
	s_wait_dscnt 0x0
	v_add_co_u32 v3, vcc_lo, v8, v3
	s_wait_alu 0xfffd
	v_add_co_ci_u32_e64 v4, null, v9, v4, vcc_lo
	s_cbranch_scc1 .LBB28_73
.LBB28_74:                              ;   in Loop: Header=BB28_7 Depth=1
	v_add_lshl_u32 v7, s5, v40, 3
	ds_store_b64 v7, v[3:4] offset:3072
.LBB28_75:                              ;   in Loop: Header=BB28_7 Depth=1
	s_wait_alu 0xfffe
	s_or_b32 exec_lo, exec_lo, s6
	s_lshl_b32 s5, s5, 3
	s_wait_loadcnt_dscnt 0x0
	s_wait_alu 0xfffe
	v_mov_b32_e32 v3, s5
	s_barrier_signal -1
	s_barrier_wait -1
	global_inv scope:SCOPE_SE
	v_cmp_eq_u64_e32 vcc_lo, 1, v[32:33]
	ds_load_b128 v[7:10], v3 offset:3072
	ds_load_b128 v[11:14], v3 offset:3088
	s_lshl_b64 s[8:9], 3, s87
	s_mov_b32 s21, -1
	s_wait_alu 0xfffe
	s_not_b64 s[12:13], s[8:9]
                                        ; implicit-def: $sgpr19
                                        ; implicit-def: $sgpr18
	s_wait_dscnt 0x1
	v_cmp_eq_u64_e64 s5, 1, v[7:8]
	s_wait_dscnt 0x0
	v_readfirstlane_b32 s10, v11
	v_readfirstlane_b32 s11, v12
	;; [unrolled: 1-line block ×4, first 2 shown]
	s_and_b32 s22, s5, vcc_lo
	s_mov_b32 s5, -1
	s_wait_alu 0xfffe
	s_and_saveexec_b32 s20, s22
	s_cbranch_execz .LBB28_107
; %bb.76:                               ;   in Loop: Header=BB28_7 Depth=1
	ds_load_b64 v[3:4], v18 offset:5120
	s_wait_loadcnt_dscnt 0x0
	s_barrier_signal -1
	s_barrier_wait -1
	global_inv scope:SCOPE_SE
	v_readfirstlane_b32 s14, v3
	v_readfirstlane_b32 s15, v4
	s_and_saveexec_b32 s5, s3
; %bb.77:                               ;   in Loop: Header=BB28_7 Depth=1
	v_mov_b32_e32 v17, v18
	ds_store_b64 v42, v[17:18]
; %bb.78:                               ;   in Loop: Header=BB28_7 Depth=1
	s_wait_alu 0xfffe
	s_or_b32 exec_lo, exec_lo, s5
	v_cmp_lt_i64_e64 s5, s[14:15], 1
	v_and_b32_e32 v29, s13, v29
	v_and_b32_e32 v28, s12, v28
	v_or_b32_e32 v31, s9, v31
	v_or_b32_e32 v30, s8, v30
	s_mov_b32 s18, -1
	s_mov_b32 s19, 0
	s_and_b32 vcc_lo, exec_lo, s5
	s_mov_b32 s5, 0
	s_mov_b32 s23, -1
	s_wait_loadcnt_dscnt 0x0
	s_barrier_signal -1
	s_barrier_wait -1
	global_inv scope:SCOPE_SE
                                        ; implicit-def: $vgpr5_vgpr6
	s_wait_alu 0xfffe
	s_cbranch_vccz .LBB28_92
; %bb.79:                               ;   in Loop: Header=BB28_7 Depth=1
	s_mov_b32 s16, s25
	s_mov_b32 s17, s53
	s_wait_alu 0xfffe
	s_cmp_lg_u64 s[16:17], 0
	s_cbranch_scc0 .LBB28_133
; %bb.80:                               ;   in Loop: Header=BB28_7 Depth=1
	s_add_nc_u64 s[16:17], s[44:45], 0
	s_wait_alu 0xfffe
	s_xor_b64 s[16:17], s[16:17], 0
	s_wait_alu 0xfffe
	s_cvt_f32_u32 s5, s16
	s_cvt_f32_u32 s23, s17
	s_sub_nc_u64 s[60:61], 0, s[16:17]
	s_wait_alu 0xfffe
	s_delay_alu instid0(SALU_CYCLE_1) | instskip(SKIP_1) | instid1(SALU_CYCLE_2)
	s_fmamk_f32 s5, s23, 0x4f800000, s5
	s_wait_alu 0xfffe
	v_s_rcp_f32 s5, s5
	s_delay_alu instid0(TRANS32_DEP_1) | instskip(SKIP_1) | instid1(SALU_CYCLE_2)
	s_mul_f32 s5, s5, 0x5f7ffffc
	s_wait_alu 0xfffe
	s_mul_f32 s23, s5, 0x2f800000
	s_wait_alu 0xfffe
	s_delay_alu instid0(SALU_CYCLE_2) | instskip(SKIP_1) | instid1(SALU_CYCLE_2)
	s_trunc_f32 s23, s23
	s_wait_alu 0xfffe
	s_fmamk_f32 s5, s23, 0xcf800000, s5
	s_cvt_u32_f32 s59, s23
	s_wait_alu 0xfffe
	s_delay_alu instid0(SALU_CYCLE_1) | instskip(SKIP_1) | instid1(SALU_CYCLE_2)
	s_cvt_u32_f32 s58, s5
	s_wait_alu 0xfffe
	s_mul_u64 s[62:63], s[60:61], s[58:59]
	s_wait_alu 0xfffe
	s_mul_hi_u32 s65, s58, s63
	s_mul_i32 s64, s58, s63
	s_mul_hi_u32 s24, s58, s62
	s_mul_i32 s23, s59, s62
	s_wait_alu 0xfffe
	s_add_nc_u64 s[64:65], s[24:25], s[64:65]
	s_mul_hi_u32 s5, s59, s62
	s_mul_hi_u32 s66, s59, s63
	s_wait_alu 0xfffe
	s_add_co_u32 s23, s64, s23
	s_add_co_ci_u32 s24, s65, s5
	s_mul_i32 s62, s59, s63
	s_add_co_ci_u32 s63, s66, 0
	s_wait_alu 0xfffe
	s_add_nc_u64 s[62:63], s[24:25], s[62:63]
	s_wait_alu 0xfffe
	s_add_co_u32 s58, s58, s62
	s_cselect_b32 s5, -1, 0
	s_wait_alu 0xfffe
	s_cmp_lg_u32 s5, 0
	s_add_co_ci_u32 s59, s59, s63
	s_wait_alu 0xfffe
	s_mul_u64 s[60:61], s[60:61], s[58:59]
	s_wait_alu 0xfffe
	s_mul_hi_u32 s63, s58, s61
	s_mul_i32 s62, s58, s61
	s_mul_hi_u32 s24, s58, s60
	s_mul_i32 s23, s59, s60
	s_wait_alu 0xfffe
	s_add_nc_u64 s[62:63], s[24:25], s[62:63]
	s_mul_hi_u32 s5, s59, s60
	s_mul_hi_u32 s64, s59, s61
	s_wait_alu 0xfffe
	s_add_co_u32 s23, s62, s23
	s_add_co_ci_u32 s24, s63, s5
	s_mul_i32 s60, s59, s61
	s_add_co_ci_u32 s61, s64, 0
	s_wait_alu 0xfffe
	s_add_nc_u64 s[60:61], s[24:25], s[60:61]
	s_wait_alu 0xfffe
	s_add_co_u32 s5, s58, s60
	s_cselect_b32 s23, -1, 0
	s_wait_alu 0xfffe
	s_cmp_lg_u32 s23, 0
	s_add_co_ci_u32 s23, s59, s61
	s_ashr_i32 s58, s53, 31
	s_wait_alu 0xfffe
	s_mov_b32 s59, s58
	s_wait_alu 0xfffe
	s_add_nc_u64 s[60:61], s[52:53], s[58:59]
	s_wait_alu 0xfffe
	s_xor_b64 s[60:61], s[60:61], s[58:59]
	s_wait_alu 0xfffe
	s_mul_hi_u32 s63, s60, s23
	s_mul_i32 s62, s60, s23
	s_mul_hi_u32 s24, s60, s5
	s_mul_hi_u32 s66, s61, s5
	s_mul_i32 s5, s61, s5
	s_wait_alu 0xfffe
	s_add_nc_u64 s[62:63], s[24:25], s[62:63]
	s_mul_hi_u32 s65, s61, s23
	s_wait_alu 0xfffe
	s_add_co_u32 s5, s62, s5
	s_add_co_ci_u32 s24, s63, s66
	s_mul_i32 s64, s61, s23
	s_add_co_ci_u32 s65, s65, 0
	s_wait_alu 0xfffe
	s_add_nc_u64 s[62:63], s[24:25], s[64:65]
	s_wait_alu 0xfffe
	s_mul_u64 s[62:63], s[16:17], s[62:63]
	s_wait_alu 0xfffe
	s_sub_co_u32 s5, s60, s62
	s_cselect_b32 s23, -1, 0
	s_sub_co_i32 s24, s61, s63
	s_wait_alu 0xfffe
	s_cmp_lg_u32 s23, 0
	s_sub_co_ci_u32 s24, s24, s17
	s_sub_co_u32 s60, s5, s16
	s_cselect_b32 s62, -1, 0
	s_wait_alu 0xfffe
	s_cmp_lg_u32 s62, 0
	s_sub_co_ci_u32 s64, s24, 0
	s_wait_alu 0xfffe
	s_cmp_ge_u32 s64, s17
	s_cselect_b32 s65, -1, 0
	s_cmp_ge_u32 s60, s16
	s_cselect_b32 s66, -1, 0
	s_cmp_eq_u32 s64, s17
	s_wait_alu 0xfffe
	s_cselect_b32 s65, s66, s65
	s_cmp_lg_u32 s62, 0
	s_sub_co_ci_u32 s24, s24, s17
	s_sub_co_u32 s62, s60, s16
	s_cselect_b32 s66, -1, 0
	s_wait_alu 0xfffe
	s_cmp_lg_u32 s66, 0
	s_sub_co_ci_u32 s24, s24, 0
	s_cmp_lg_u32 s65, 0
	s_cselect_b32 s60, s62, s60
	s_wait_alu 0xfffe
	s_cselect_b32 s24, s24, s64
	s_cmp_lg_u32 s23, 0
	s_sub_co_ci_u32 s23, s61, s63
	s_wait_alu 0xfffe
	s_cmp_ge_u32 s23, s17
	s_cselect_b32 s61, -1, 0
	s_cmp_ge_u32 s5, s16
	s_cselect_b32 s16, -1, 0
	s_cmp_eq_u32 s23, s17
	s_wait_alu 0xfffe
	s_cselect_b32 s16, s16, s61
	s_wait_alu 0xfffe
	s_cmp_lg_u32 s16, 0
	s_cselect_b32 s17, s24, s23
	s_cselect_b32 s16, s60, s5
	s_wait_alu 0xfffe
	s_xor_b64 s[16:17], s[16:17], s[58:59]
	s_wait_alu 0xfffe
	s_sub_nc_u64 s[16:17], s[16:17], s[58:59]
	s_cbranch_execnz .LBB28_82
.LBB28_81:                              ;   in Loop: Header=BB28_7 Depth=1
	v_cvt_f32_u32_e32 v3, s44
	s_sub_co_i32 s16, 0, s44
	s_delay_alu instid0(VALU_DEP_1) | instskip(NEXT) | instid1(TRANS32_DEP_1)
	v_rcp_iflag_f32_e32 v3, v3
	v_mul_f32_e32 v3, 0x4f7ffffe, v3
	s_delay_alu instid0(VALU_DEP_1) | instskip(NEXT) | instid1(VALU_DEP_1)
	v_cvt_u32_f32_e32 v3, v3
	v_readfirstlane_b32 s5, v3
	s_wait_alu 0xfffe
	s_mul_i32 s16, s16, s5
	s_wait_alu 0xfffe
	s_mul_hi_u32 s16, s5, s16
	s_wait_alu 0xfffe
	s_add_co_i32 s5, s5, s16
	s_wait_alu 0xfffe
	s_mul_hi_u32 s5, s52, s5
	s_wait_alu 0xfffe
	s_mul_i32 s5, s5, s44
	s_wait_alu 0xfffe
	s_sub_co_i32 s5, s52, s5
	s_wait_alu 0xfffe
	s_sub_co_i32 s16, s5, s44
	s_cmp_ge_u32 s5, s44
	s_wait_alu 0xfffe
	s_cselect_b32 s5, s16, s5
	s_wait_alu 0xfffe
	s_sub_co_i32 s16, s5, s44
	s_cmp_ge_u32 s5, s44
	s_wait_alu 0xfffe
	s_cselect_b32 s24, s16, s5
	s_wait_alu 0xfffe
	s_mov_b64 s[16:17], s[24:25]
.LBB28_82:                              ;   in Loop: Header=BB28_7 Depth=1
	s_wait_alu 0xfffe
	s_sub_nc_u64 s[16:17], s[52:53], s[16:17]
	s_mov_b32 s23, 0
	s_mov_b32 s5, 0
	s_mov_b32 s24, exec_lo
                                        ; implicit-def: $vgpr5_vgpr6
	s_wait_alu 0xfffe
	v_cmpx_gt_i64_e64 s[16:17], v[0:1]
	s_cbranch_execz .LBB28_91
; %bb.83:                               ;   in Loop: Header=BB28_7 Depth=1
	v_dual_mov_b32 v11, v15 :: v_dual_mov_b32 v12, v16
	v_dual_mov_b32 v14, v1 :: v_dual_mov_b32 v13, v0
	s_mov_b32 s58, 0
                                        ; implicit-def: $sgpr59
	s_branch .LBB28_86
.LBB28_84:                              ;   in Loop: Header=BB28_86 Depth=2
	s_wait_alu 0xfffe
	s_or_b32 exec_lo, exec_lo, s5
	s_wait_loadcnt_dscnt 0x0
	s_barrier_signal -1
	s_barrier_wait -1
	global_inv scope:SCOPE_SE
	ds_load_b128 v[3:6], v18 offset:3072
	s_mov_b32 s5, -1
	s_mov_b32 s60, -1
	s_wait_loadcnt_dscnt 0x0
	s_barrier_signal -1
	s_barrier_wait -1
	global_inv scope:SCOPE_SE
	v_cmp_ne_u64_e32 vcc_lo, 0, v[3:4]
	s_cbranch_vccz .LBB28_89
.LBB28_85:                              ;   in Loop: Header=BB28_86 Depth=2
	s_wait_alu 0xfffe
	s_and_b32 s5, exec_lo, s5
	s_wait_alu 0xfffe
	s_or_b32 s58, s5, s58
	s_and_not1_b32 s5, s59, exec_lo
	s_and_b32 s59, s60, exec_lo
	s_wait_alu 0xfffe
	s_or_b32 s59, s5, s59
	s_and_not1_b32 exec_lo, exec_lo, s58
	s_cbranch_execz .LBB28_90
.LBB28_86:                              ;   Parent Loop BB28_7 Depth=1
                                        ; =>  This Inner Loop Header: Depth=2
	s_mov_b32 s5, exec_lo
	s_delay_alu instid0(VALU_DEP_1)
	v_cmpx_gt_i64_e64 s[36:37], v[13:14]
	s_cbranch_execz .LBB28_84
; %bb.87:                               ;   in Loop: Header=BB28_86 Depth=2
	global_load_b64 v[4:5], v[11:12], off
	s_wait_loadcnt 0x0
	v_xor_b32_e32 v3, 0x80000000, v5
	v_and_b32_e32 v34, v4, v30
	s_delay_alu instid0(VALU_DEP_2) | instskip(NEXT) | instid1(VALU_DEP_1)
	v_and_b32_e32 v35, v3, v31
	v_cmp_eq_u64_e32 vcc_lo, v[34:35], v[28:29]
	s_and_b32 exec_lo, exec_lo, vcc_lo
	s_cbranch_execz .LBB28_84
; %bb.88:                               ;   in Loop: Header=BB28_86 Depth=2
	v_mov_b32_e32 v3, v18
	ds_store_b128 v18, v[2:5] offset:3072
	s_branch .LBB28_84
.LBB28_89:                              ;   in Loop: Header=BB28_86 Depth=2
	v_add_co_u32 v13, vcc_lo, v13, s44
	s_wait_alu 0xfffd
	v_add_co_ci_u32_e64 v14, null, 0, v14, vcc_lo
	v_add_co_u32 v11, s5, v11, s46
	s_wait_alu 0xf1fe
	v_add_co_ci_u32_e64 v12, null, s47, v12, s5
	s_delay_alu instid0(VALU_DEP_3)
	v_cmp_le_i64_e32 vcc_lo, s[16:17], v[13:14]
	s_mov_b32 s60, 0
	s_or_not1_b32 s5, vcc_lo, exec_lo
	s_branch .LBB28_85
.LBB28_90:                              ;   in Loop: Header=BB28_7 Depth=1
	s_or_b32 exec_lo, exec_lo, s58
	s_wait_alu 0xfffe
	s_and_b32 s5, s59, exec_lo
.LBB28_91:                              ;   in Loop: Header=BB28_7 Depth=1
	s_wait_alu 0xfffe
	s_or_b32 exec_lo, exec_lo, s24
.LBB28_92:                              ;   in Loop: Header=BB28_7 Depth=1
	s_delay_alu instid0(SALU_CYCLE_1)
	s_and_b32 vcc_lo, exec_lo, s23
	s_wait_alu 0xfffe
	s_cbranch_vccz .LBB28_106
; %bb.93:                               ;   in Loop: Header=BB28_7 Depth=1
	s_add_nc_u64 s[16:17], s[14:15], s[50:51]
	s_mov_b32 s18, s25
	s_wait_alu 0xfffe
	s_mov_b32 s19, s17
	s_delay_alu instid0(SALU_CYCLE_1)
	s_cmp_lg_u64 s[18:19], 0
	s_cbranch_scc0 .LBB28_134
; %bb.94:                               ;   in Loop: Header=BB28_7 Depth=1
	s_add_nc_u64 s[18:19], s[44:45], 0
	s_delay_alu instid0(SALU_CYCLE_1) | instskip(NEXT) | instid1(SALU_CYCLE_1)
	s_xor_b64 s[18:19], s[18:19], 0
	s_cvt_f32_u32 s23, s18
	s_cvt_f32_u32 s24, s19
	s_sub_nc_u64 s[60:61], 0, s[18:19]
	s_wait_alu 0xfffe
	s_delay_alu instid0(SALU_CYCLE_1) | instskip(SKIP_1) | instid1(SALU_CYCLE_2)
	s_fmamk_f32 s23, s24, 0x4f800000, s23
	s_wait_alu 0xfffe
	v_s_rcp_f32 s23, s23
	s_delay_alu instid0(TRANS32_DEP_1) | instskip(SKIP_1) | instid1(SALU_CYCLE_2)
	s_mul_f32 s23, s23, 0x5f7ffffc
	s_wait_alu 0xfffe
	s_mul_f32 s24, s23, 0x2f800000
	s_wait_alu 0xfffe
	s_delay_alu instid0(SALU_CYCLE_2) | instskip(SKIP_1) | instid1(SALU_CYCLE_2)
	s_trunc_f32 s24, s24
	s_wait_alu 0xfffe
	s_fmamk_f32 s23, s24, 0xcf800000, s23
	s_cvt_u32_f32 s59, s24
	s_wait_alu 0xfffe
	s_delay_alu instid0(SALU_CYCLE_1) | instskip(SKIP_1) | instid1(SALU_CYCLE_2)
	s_cvt_u32_f32 s58, s23
	s_wait_alu 0xfffe
	s_mul_u64 s[62:63], s[60:61], s[58:59]
	s_wait_alu 0xfffe
	s_mul_hi_u32 s65, s58, s63
	s_mul_i32 s64, s58, s63
	s_mul_hi_u32 s24, s58, s62
	s_mul_i32 s66, s59, s62
	s_wait_alu 0xfffe
	s_add_nc_u64 s[64:65], s[24:25], s[64:65]
	s_mul_hi_u32 s23, s59, s62
	s_mul_hi_u32 s67, s59, s63
	s_wait_alu 0xfffe
	s_add_co_u32 s24, s64, s66
	s_add_co_ci_u32 s24, s65, s23
	s_mul_i32 s62, s59, s63
	s_add_co_ci_u32 s63, s67, 0
	s_wait_alu 0xfffe
	s_add_nc_u64 s[62:63], s[24:25], s[62:63]
	s_wait_alu 0xfffe
	s_add_co_u32 s58, s58, s62
	s_cselect_b32 s23, -1, 0
	s_wait_alu 0xfffe
	s_cmp_lg_u32 s23, 0
	s_add_co_ci_u32 s59, s59, s63
	s_wait_alu 0xfffe
	s_mul_u64 s[60:61], s[60:61], s[58:59]
	s_wait_alu 0xfffe
	s_mul_hi_u32 s63, s58, s61
	s_mul_i32 s62, s58, s61
	s_mul_hi_u32 s24, s58, s60
	s_mul_i32 s64, s59, s60
	s_wait_alu 0xfffe
	s_add_nc_u64 s[62:63], s[24:25], s[62:63]
	s_mul_hi_u32 s23, s59, s60
	s_mul_hi_u32 s65, s59, s61
	s_wait_alu 0xfffe
	s_add_co_u32 s24, s62, s64
	s_add_co_ci_u32 s24, s63, s23
	s_mul_i32 s60, s59, s61
	s_add_co_ci_u32 s61, s65, 0
	s_wait_alu 0xfffe
	s_add_nc_u64 s[60:61], s[24:25], s[60:61]
	s_wait_alu 0xfffe
	s_add_co_u32 s23, s58, s60
	s_cselect_b32 s24, -1, 0
	s_wait_alu 0xfffe
	s_cmp_lg_u32 s24, 0
	s_add_co_ci_u32 s64, s59, s61
	s_ashr_i32 s58, s17, 31
	s_wait_alu 0xfffe
	s_mov_b32 s59, s58
	s_wait_alu 0xfffe
	s_add_nc_u64 s[60:61], s[16:17], s[58:59]
	s_wait_alu 0xfffe
	s_xor_b64 s[60:61], s[60:61], s[58:59]
	s_wait_alu 0xfffe
	s_mul_hi_u32 s63, s60, s64
	s_mul_i32 s62, s60, s64
	s_mul_hi_u32 s24, s60, s23
	s_mul_hi_u32 s66, s61, s23
	s_mul_i32 s23, s61, s23
	s_wait_alu 0xfffe
	s_add_nc_u64 s[62:63], s[24:25], s[62:63]
	s_mul_hi_u32 s65, s61, s64
	s_wait_alu 0xfffe
	s_add_co_u32 s23, s62, s23
	s_add_co_ci_u32 s24, s63, s66
	s_mul_i32 s64, s61, s64
	s_add_co_ci_u32 s65, s65, 0
	s_wait_alu 0xfffe
	s_add_nc_u64 s[62:63], s[24:25], s[64:65]
	s_wait_alu 0xfffe
	s_mul_u64 s[62:63], s[18:19], s[62:63]
	s_wait_alu 0xfffe
	s_sub_co_u32 s23, s60, s62
	s_cselect_b32 s24, -1, 0
	s_sub_co_i32 s60, s61, s63
	s_wait_alu 0xfffe
	s_cmp_lg_u32 s24, 0
	s_sub_co_ci_u32 s60, s60, s19
	s_sub_co_u32 s62, s23, s18
	s_cselect_b32 s64, -1, 0
	s_wait_alu 0xfffe
	s_cmp_lg_u32 s64, 0
	s_sub_co_ci_u32 s65, s60, 0
	s_wait_alu 0xfffe
	s_cmp_ge_u32 s65, s19
	s_cselect_b32 s66, -1, 0
	s_cmp_ge_u32 s62, s18
	s_cselect_b32 s67, -1, 0
	s_cmp_eq_u32 s65, s19
	s_wait_alu 0xfffe
	s_cselect_b32 s66, s67, s66
	s_cmp_lg_u32 s64, 0
	s_sub_co_ci_u32 s60, s60, s19
	s_sub_co_u32 s64, s62, s18
	s_cselect_b32 s67, -1, 0
	s_wait_alu 0xfffe
	s_cmp_lg_u32 s67, 0
	s_sub_co_ci_u32 s60, s60, 0
	s_cmp_lg_u32 s66, 0
	s_cselect_b32 s62, s64, s62
	s_wait_alu 0xfffe
	s_cselect_b32 s60, s60, s65
	s_cmp_lg_u32 s24, 0
	s_sub_co_ci_u32 s24, s61, s63
	s_wait_alu 0xfffe
	s_cmp_ge_u32 s24, s19
	s_cselect_b32 s61, -1, 0
	s_cmp_ge_u32 s23, s18
	s_cselect_b32 s18, -1, 0
	s_cmp_eq_u32 s24, s19
	s_wait_alu 0xfffe
	s_cselect_b32 s18, s18, s61
	s_delay_alu instid0(SALU_CYCLE_1) | instskip(SKIP_2) | instid1(SALU_CYCLE_1)
	s_cmp_lg_u32 s18, 0
	s_cselect_b32 s19, s60, s24
	s_cselect_b32 s18, s62, s23
	s_xor_b64 s[18:19], s[18:19], s[58:59]
	s_delay_alu instid0(SALU_CYCLE_1)
	s_sub_nc_u64 s[18:19], s[18:19], s[58:59]
	s_cbranch_execnz .LBB28_96
.LBB28_95:                              ;   in Loop: Header=BB28_7 Depth=1
	v_cvt_f32_u32_e32 v3, s44
	s_sub_co_i32 s19, 0, s44
	s_delay_alu instid0(VALU_DEP_1) | instskip(NEXT) | instid1(TRANS32_DEP_1)
	v_rcp_iflag_f32_e32 v3, v3
	v_mul_f32_e32 v3, 0x4f7ffffe, v3
	s_delay_alu instid0(VALU_DEP_1) | instskip(NEXT) | instid1(VALU_DEP_1)
	v_cvt_u32_f32_e32 v3, v3
	v_readfirstlane_b32 s18, v3
	s_mul_i32 s19, s19, s18
	s_delay_alu instid0(SALU_CYCLE_1) | instskip(NEXT) | instid1(SALU_CYCLE_1)
	s_mul_hi_u32 s19, s18, s19
	s_add_co_i32 s18, s18, s19
	s_delay_alu instid0(SALU_CYCLE_1) | instskip(NEXT) | instid1(SALU_CYCLE_1)
	s_mul_hi_u32 s18, s16, s18
	s_mul_i32 s18, s18, s44
	s_delay_alu instid0(SALU_CYCLE_1) | instskip(NEXT) | instid1(SALU_CYCLE_1)
	s_sub_co_i32 s18, s16, s18
	s_sub_co_i32 s19, s18, s44
	s_cmp_ge_u32 s18, s44
	s_cselect_b32 s18, s19, s18
	s_delay_alu instid0(SALU_CYCLE_1)
	s_sub_co_i32 s19, s18, s44
	s_cmp_ge_u32 s18, s44
	s_cselect_b32 s24, s19, s18
	s_wait_alu 0xfffe
	s_mov_b64 s[18:19], s[24:25]
.LBB28_96:                              ;   in Loop: Header=BB28_7 Depth=1
	s_delay_alu instid0(SALU_CYCLE_1)
	s_sub_nc_u64 s[16:17], s[16:17], s[18:19]
	s_mov_b32 s18, exec_lo
                                        ; implicit-def: $vgpr5_vgpr6
	s_wait_alu 0xfffe
	v_cmpx_gt_i64_e64 s[16:17], v[0:1]
	s_cbranch_execz .LBB28_105
; %bb.97:                               ;   in Loop: Header=BB28_7 Depth=1
	v_dual_mov_b32 v13, v41 :: v_dual_mov_b32 v12, v1
	v_mov_b32_e32 v11, v0
	s_mov_b32 s23, 0
                                        ; implicit-def: $sgpr19
	s_branch .LBB28_100
.LBB28_98:                              ;   in Loop: Header=BB28_100 Depth=2
	s_wait_alu 0xfffe
	s_or_b32 exec_lo, exec_lo, s24
	s_wait_loadcnt_dscnt 0x0
	s_barrier_signal -1
	s_barrier_wait -1
	global_inv scope:SCOPE_SE
	ds_load_b128 v[3:6], v18 offset:3072
	s_mov_b32 s24, -1
	s_mov_b32 s58, -1
	s_wait_loadcnt_dscnt 0x0
	s_barrier_signal -1
	s_barrier_wait -1
	global_inv scope:SCOPE_SE
	v_cmp_ne_u64_e32 vcc_lo, 0, v[3:4]
	s_cbranch_vccz .LBB28_103
.LBB28_99:                              ;   in Loop: Header=BB28_100 Depth=2
	s_wait_alu 0xfffe
	s_and_b32 s24, exec_lo, s24
	s_wait_alu 0xfffe
	s_or_b32 s23, s24, s23
	s_and_not1_b32 s19, s19, exec_lo
	s_and_b32 s24, s58, exec_lo
	s_wait_alu 0xfffe
	s_or_b32 s19, s19, s24
	s_and_not1_b32 exec_lo, exec_lo, s23
	s_cbranch_execz .LBB28_104
.LBB28_100:                             ;   Parent Loop BB28_7 Depth=1
                                        ; =>  This Inner Loop Header: Depth=2
	s_mov_b32 s24, exec_lo
	s_delay_alu instid0(VALU_DEP_1)
	v_cmpx_gt_u64_e64 s[14:15], v[11:12]
	s_cbranch_execz .LBB28_98
; %bb.101:                              ;   in Loop: Header=BB28_100 Depth=2
	ds_load_b64 v[4:5], v13
	s_wait_dscnt 0x0
	v_xor_b32_e32 v3, 0x80000000, v5
	v_and_b32_e32 v34, v4, v30
	s_delay_alu instid0(VALU_DEP_2) | instskip(NEXT) | instid1(VALU_DEP_1)
	v_and_b32_e32 v35, v3, v31
	v_cmp_eq_u64_e32 vcc_lo, v[34:35], v[28:29]
	s_and_b32 exec_lo, exec_lo, vcc_lo
	s_cbranch_execz .LBB28_98
; %bb.102:                              ;   in Loop: Header=BB28_100 Depth=2
	v_mov_b32_e32 v3, v18
	ds_store_b128 v18, v[2:5] offset:3072
	s_branch .LBB28_98
.LBB28_103:                             ;   in Loop: Header=BB28_100 Depth=2
	v_add_co_u32 v11, vcc_lo, v11, s44
	s_wait_alu 0xfffd
	v_add_co_ci_u32_e64 v12, null, 0, v12, vcc_lo
	v_add_nc_u32_e32 v13, s86, v13
	s_mov_b32 s58, 0
	s_delay_alu instid0(VALU_DEP_2)
	v_cmp_le_i64_e32 vcc_lo, s[16:17], v[11:12]
	s_or_not1_b32 s24, vcc_lo, exec_lo
	s_branch .LBB28_99
.LBB28_104:                             ;   in Loop: Header=BB28_7 Depth=1
	s_or_b32 exec_lo, exec_lo, s23
	s_delay_alu instid0(SALU_CYCLE_1)
	s_and_not1_b32 s5, s5, exec_lo
	s_and_b32 s14, s19, exec_lo
	s_wait_alu 0xfffe
	s_or_b32 s5, s5, s14
.LBB28_105:                             ;   in Loop: Header=BB28_7 Depth=1
	s_or_b32 exec_lo, exec_lo, s18
	s_mov_b32 s18, 0
	s_mov_b32 s19, -1
.LBB28_106:                             ;   in Loop: Header=BB28_7 Depth=1
	s_wait_alu 0xfffe
	s_or_not1_b32 s5, s5, exec_lo
.LBB28_107:                             ;   in Loop: Header=BB28_7 Depth=1
	s_or_b32 exec_lo, exec_lo, s20
	s_delay_alu instid0(SALU_CYCLE_1)
	s_and_not1_b32 s14, s94, exec_lo
	s_and_b32 s15, s19, exec_lo
	s_and_not1_b32 s16, s92, exec_lo
	s_and_b32 s17, s18, exec_lo
	s_and_not1_b32 s91, s91, exec_lo
	s_wait_alu 0xfffe
	s_or_b32 s94, s14, s15
	s_or_b32 s92, s16, s17
                                        ; implicit-def: $vgpr11_vgpr12
	s_and_saveexec_b32 s20, s5
	s_cbranch_execz .LBB28_6
; %bb.108:                              ;   in Loop: Header=BB28_7 Depth=1
	v_dual_mov_b32 v11, 1 :: v_dual_mov_b32 v34, 1
	v_mov_b32_e32 v12, 0
	s_xor_b32 s15, s22, -1
	s_mov_b32 s14, 0
	s_wait_alu 0xfffe
	s_and_saveexec_b32 s5, s15
	s_cbranch_execz .LBB28_117
; %bb.109:                              ;   in Loop: Header=BB28_7 Depth=1
	s_mov_b32 s14, exec_lo
	v_cmpx_le_i64_e64 v[32:33], v[7:8]
	s_wait_alu 0xfffe
	s_xor_b32 s14, exec_lo, s14
	s_cbranch_execz .LBB28_114
; %bb.110:                              ;   in Loop: Header=BB28_7 Depth=1
	ds_load_b64 v[3:4], v18 offset:5120
	v_and_b32_e32 v29, s13, v29
	v_and_b32_e32 v28, s12, v28
	v_or_b32_e32 v31, s9, v31
	v_or_b32_e32 v30, s8, v30
	s_wait_dscnt 0x0
	v_cmp_ne_u64_e32 vcc_lo, 0, v[3:4]
	s_cbranch_vccnz .LBB28_114
; %bb.111:                              ;   in Loop: Header=BB28_7 Depth=1
	s_and_saveexec_b32 s15, s2
; %bb.112:                              ;   in Loop: Header=BB28_7 Depth=1
	ds_store_b64 v18, v[7:8] offset:5128
; %bb.113:                              ;   in Loop: Header=BB28_7 Depth=1
	s_wait_alu 0xfffe
	s_or_b32 exec_lo, exec_lo, s15
	s_wait_loadcnt_dscnt 0x0
	s_barrier_signal -1
	s_barrier_wait -1
	global_inv scope:SCOPE_SE
.LBB28_114:                             ;   in Loop: Header=BB28_7 Depth=1
	s_wait_alu 0xfffe
	s_or_saveexec_b32 s14, s14
	v_mov_b32_e32 v34, 8
	s_mov_b32 s15, 0
	s_wait_alu 0xfffe
	s_xor_b32 exec_lo, exec_lo, s14
; %bb.115:                              ;   in Loop: Header=BB28_7 Depth=1
	v_sub_co_u32 v32, vcc_lo, v32, v7
	s_wait_alu 0xfffd
	v_sub_co_ci_u32_e64 v33, null, v33, v8, vcc_lo
	v_mov_b32_e32 v34, 0
	s_mov_b32 s15, exec_lo
; %bb.116:                              ;   in Loop: Header=BB28_7 Depth=1
	s_or_b32 exec_lo, exec_lo, s14
	s_delay_alu instid0(VALU_DEP_2)
	v_dual_mov_b32 v11, v32 :: v_dual_mov_b32 v12, v33
	s_wait_alu 0xfffe
	s_and_b32 s14, s15, exec_lo
.LBB28_117:                             ;   in Loop: Header=BB28_7 Depth=1
	s_wait_alu 0xfffe
	s_or_b32 exec_lo, exec_lo, s5
	s_mov_b32 s21, -1
	s_mov_b32 s5, -1
                                        ; implicit-def: $sgpr23
                                        ; implicit-def: $sgpr58
	s_and_saveexec_b32 s15, s14
	s_wait_alu 0xfffe
	s_xor_b32 s22, exec_lo, s15
	s_cbranch_execz .LBB28_259
; %bb.118:                              ;   in Loop: Header=BB28_7 Depth=1
	v_cmp_eq_u64_e32 vcc_lo, 1, v[9:10]
	v_cmp_eq_u64_e64 s5, 1, v[11:12]
                                        ; implicit-def: $sgpr58
                                        ; implicit-def: $sgpr23
	s_and_b32 s60, vcc_lo, s5
	s_mov_b32 s5, -1
	s_wait_alu 0xfffe
	s_and_saveexec_b32 s59, s60
	s_cbranch_execz .LBB28_152
; %bb.119:                              ;   in Loop: Header=BB28_7 Depth=1
	ds_load_b64 v[3:4], v18 offset:5120
	s_wait_loadcnt_dscnt 0x0
	s_barrier_signal -1
	s_barrier_wait -1
	global_inv scope:SCOPE_SE
	v_readfirstlane_b32 s14, v3
	v_readfirstlane_b32 s15, v4
	s_and_saveexec_b32 s5, s3
; %bb.120:                              ;   in Loop: Header=BB28_7 Depth=1
	v_mov_b32_e32 v17, v18
	ds_store_b64 v42, v[17:18]
; %bb.121:                              ;   in Loop: Header=BB28_7 Depth=1
	s_wait_alu 0xfffe
	s_or_b32 exec_lo, exec_lo, s5
	v_and_b32_e32 v3, s13, v29
	v_and_b32_e32 v4, s12, v28
	v_cmp_gt_i64_e64 s5, s[14:15], 0
	s_lshl_b64 s[16:17], 1, s87
	v_or_b32_e32 v31, s9, v31
	s_wait_alu 0xfffe
	v_or_b32_e32 v29, s17, v3
	v_or_b32_e32 v28, s16, v4
	;; [unrolled: 1-line block ×3, first 2 shown]
	s_mov_b32 s23, -1
	s_mov_b32 s58, 0
	s_and_b32 vcc_lo, exec_lo, s5
	s_mov_b32 s5, 0
	s_mov_b32 s18, -1
	s_wait_loadcnt_dscnt 0x0
	s_barrier_signal -1
	s_barrier_wait -1
	global_inv scope:SCOPE_SE
                                        ; implicit-def: $vgpr5_vgpr6
	s_wait_alu 0xfffe
	s_cbranch_vccnz .LBB28_137
; %bb.122:                              ;   in Loop: Header=BB28_7 Depth=1
	s_mov_b32 s16, s25
	s_mov_b32 s17, s53
	s_wait_alu 0xfffe
	s_cmp_lg_u64 s[16:17], 0
	s_cbranch_scc0 .LBB28_179
; %bb.123:                              ;   in Loop: Header=BB28_7 Depth=1
	s_add_nc_u64 s[16:17], s[44:45], 0
	s_wait_alu 0xfffe
	s_xor_b64 s[16:17], s[16:17], 0
	s_wait_alu 0xfffe
	s_cvt_f32_u32 s5, s16
	s_cvt_f32_u32 s18, s17
	s_sub_nc_u64 s[62:63], 0, s[16:17]
	s_wait_alu 0xfffe
	s_delay_alu instid0(SALU_CYCLE_1) | instskip(SKIP_1) | instid1(SALU_CYCLE_2)
	s_fmamk_f32 s5, s18, 0x4f800000, s5
	s_wait_alu 0xfffe
	v_s_rcp_f32 s5, s5
	s_delay_alu instid0(TRANS32_DEP_1) | instskip(SKIP_1) | instid1(SALU_CYCLE_2)
	s_mul_f32 s5, s5, 0x5f7ffffc
	s_wait_alu 0xfffe
	s_mul_f32 s18, s5, 0x2f800000
	s_delay_alu instid0(SALU_CYCLE_3) | instskip(NEXT) | instid1(SALU_CYCLE_3)
	s_trunc_f32 s18, s18
	s_fmamk_f32 s5, s18, 0xcf800000, s5
	s_cvt_u32_f32 s19, s18
	s_wait_alu 0xfffe
	s_delay_alu instid0(SALU_CYCLE_1) | instskip(NEXT) | instid1(SALU_CYCLE_3)
	s_cvt_u32_f32 s18, s5
	s_mul_u64 s[64:65], s[62:63], s[18:19]
	s_wait_alu 0xfffe
	s_mul_hi_u32 s67, s18, s65
	s_mul_i32 s66, s18, s65
	s_mul_hi_u32 s24, s18, s64
	s_mul_i32 s61, s19, s64
	s_wait_alu 0xfffe
	s_add_nc_u64 s[66:67], s[24:25], s[66:67]
	s_mul_hi_u32 s5, s19, s64
	s_mul_hi_u32 s68, s19, s65
	s_wait_alu 0xfffe
	s_add_co_u32 s24, s66, s61
	s_add_co_ci_u32 s24, s67, s5
	s_mul_i32 s64, s19, s65
	s_add_co_ci_u32 s65, s68, 0
	s_wait_alu 0xfffe
	s_add_nc_u64 s[64:65], s[24:25], s[64:65]
	s_wait_alu 0xfffe
	s_add_co_u32 s18, s18, s64
	s_cselect_b32 s5, -1, 0
	s_wait_alu 0xfffe
	s_cmp_lg_u32 s5, 0
	s_add_co_ci_u32 s19, s19, s65
	s_delay_alu instid0(SALU_CYCLE_1)
	s_mul_u64 s[62:63], s[62:63], s[18:19]
	s_wait_alu 0xfffe
	s_mul_hi_u32 s65, s18, s63
	s_mul_i32 s64, s18, s63
	s_mul_hi_u32 s24, s18, s62
	s_mul_i32 s61, s19, s62
	s_wait_alu 0xfffe
	s_add_nc_u64 s[64:65], s[24:25], s[64:65]
	s_mul_hi_u32 s5, s19, s62
	s_mul_hi_u32 s66, s19, s63
	s_wait_alu 0xfffe
	s_add_co_u32 s24, s64, s61
	s_add_co_ci_u32 s24, s65, s5
	s_mul_i32 s62, s19, s63
	s_add_co_ci_u32 s63, s66, 0
	s_wait_alu 0xfffe
	s_add_nc_u64 s[62:63], s[24:25], s[62:63]
	s_wait_alu 0xfffe
	s_add_co_u32 s5, s18, s62
	s_cselect_b32 s18, -1, 0
	s_delay_alu instid0(SALU_CYCLE_1) | instskip(SKIP_2) | instid1(SALU_CYCLE_1)
	s_cmp_lg_u32 s18, 0
	s_add_co_ci_u32 s61, s19, s63
	s_ashr_i32 s18, s53, 31
	s_mov_b32 s19, s18
	s_delay_alu instid0(SALU_CYCLE_1)
	s_add_nc_u64 s[62:63], s[52:53], s[18:19]
	s_wait_alu 0xfffe
	s_xor_b64 s[62:63], s[62:63], s[18:19]
	s_wait_alu 0xfffe
	s_mul_hi_u32 s65, s62, s61
	s_mul_i32 s64, s62, s61
	s_mul_hi_u32 s24, s62, s5
	s_mul_hi_u32 s68, s63, s5
	s_mul_i32 s5, s63, s5
	s_wait_alu 0xfffe
	s_add_nc_u64 s[64:65], s[24:25], s[64:65]
	s_mul_hi_u32 s67, s63, s61
	s_wait_alu 0xfffe
	s_add_co_u32 s5, s64, s5
	s_add_co_ci_u32 s24, s65, s68
	s_mul_i32 s66, s63, s61
	s_add_co_ci_u32 s67, s67, 0
	s_wait_alu 0xfffe
	s_add_nc_u64 s[64:65], s[24:25], s[66:67]
	s_wait_alu 0xfffe
	s_mul_u64 s[64:65], s[16:17], s[64:65]
	s_wait_alu 0xfffe
	s_sub_co_u32 s5, s62, s64
	s_cselect_b32 s24, -1, 0
	s_sub_co_i32 s61, s63, s65
	s_wait_alu 0xfffe
	s_cmp_lg_u32 s24, 0
	s_sub_co_ci_u32 s61, s61, s17
	s_sub_co_u32 s62, s5, s16
	s_cselect_b32 s64, -1, 0
	s_wait_alu 0xfffe
	s_cmp_lg_u32 s64, 0
	s_sub_co_ci_u32 s66, s61, 0
	s_wait_alu 0xfffe
	s_cmp_ge_u32 s66, s17
	s_cselect_b32 s67, -1, 0
	s_cmp_ge_u32 s62, s16
	s_cselect_b32 s68, -1, 0
	s_cmp_eq_u32 s66, s17
	s_wait_alu 0xfffe
	s_cselect_b32 s67, s68, s67
	s_cmp_lg_u32 s64, 0
	s_sub_co_ci_u32 s61, s61, s17
	s_sub_co_u32 s64, s62, s16
	s_cselect_b32 s68, -1, 0
	s_wait_alu 0xfffe
	s_cmp_lg_u32 s68, 0
	s_sub_co_ci_u32 s61, s61, 0
	s_cmp_lg_u32 s67, 0
	s_cselect_b32 s62, s64, s62
	s_wait_alu 0xfffe
	s_cselect_b32 s61, s61, s66
	s_cmp_lg_u32 s24, 0
	s_sub_co_ci_u32 s24, s63, s65
	s_wait_alu 0xfffe
	s_cmp_ge_u32 s24, s17
	s_cselect_b32 s63, -1, 0
	s_cmp_ge_u32 s5, s16
	s_cselect_b32 s16, -1, 0
	s_cmp_eq_u32 s24, s17
	s_wait_alu 0xfffe
	s_cselect_b32 s16, s16, s63
	s_wait_alu 0xfffe
	s_cmp_lg_u32 s16, 0
	s_cselect_b32 s17, s61, s24
	s_cselect_b32 s16, s62, s5
	s_wait_alu 0xfffe
	s_xor_b64 s[16:17], s[16:17], s[18:19]
	s_wait_alu 0xfffe
	s_sub_nc_u64 s[16:17], s[16:17], s[18:19]
	s_cbranch_execnz .LBB28_125
.LBB28_124:                             ;   in Loop: Header=BB28_7 Depth=1
	v_cvt_f32_u32_e32 v3, s44
	s_sub_co_i32 s16, 0, s44
	s_delay_alu instid0(VALU_DEP_1) | instskip(NEXT) | instid1(TRANS32_DEP_1)
	v_rcp_iflag_f32_e32 v3, v3
	v_mul_f32_e32 v3, 0x4f7ffffe, v3
	s_delay_alu instid0(VALU_DEP_1) | instskip(NEXT) | instid1(VALU_DEP_1)
	v_cvt_u32_f32_e32 v3, v3
	v_readfirstlane_b32 s5, v3
	s_wait_alu 0xfffe
	s_mul_i32 s16, s16, s5
	s_wait_alu 0xfffe
	s_mul_hi_u32 s16, s5, s16
	s_wait_alu 0xfffe
	s_add_co_i32 s5, s5, s16
	s_wait_alu 0xfffe
	s_mul_hi_u32 s5, s52, s5
	s_wait_alu 0xfffe
	s_mul_i32 s5, s5, s44
	s_wait_alu 0xfffe
	s_sub_co_i32 s5, s52, s5
	s_wait_alu 0xfffe
	s_sub_co_i32 s16, s5, s44
	s_cmp_ge_u32 s5, s44
	s_wait_alu 0xfffe
	s_cselect_b32 s5, s16, s5
	s_wait_alu 0xfffe
	s_sub_co_i32 s16, s5, s44
	s_cmp_ge_u32 s5, s44
	s_wait_alu 0xfffe
	s_cselect_b32 s24, s16, s5
	s_wait_alu 0xfffe
	s_mov_b64 s[16:17], s[24:25]
.LBB28_125:                             ;   in Loop: Header=BB28_7 Depth=1
	s_wait_alu 0xfffe
	s_sub_nc_u64 s[16:17], s[52:53], s[16:17]
	s_mov_b32 s18, 0
	s_mov_b32 s5, 0
	s_mov_b32 s19, exec_lo
                                        ; implicit-def: $vgpr5_vgpr6
	s_wait_alu 0xfffe
	v_cmpx_gt_i64_e64 s[16:17], v[0:1]
	s_cbranch_execz .LBB28_136
; %bb.126:                              ;   in Loop: Header=BB28_7 Depth=1
	v_dual_mov_b32 v7, v15 :: v_dual_mov_b32 v8, v16
	v_dual_mov_b32 v14, v1 :: v_dual_mov_b32 v13, v0
	s_mov_b32 s24, 0
                                        ; implicit-def: $sgpr61
	s_branch .LBB28_129
.LBB28_127:                             ;   in Loop: Header=BB28_129 Depth=2
	s_wait_alu 0xfffe
	s_or_b32 exec_lo, exec_lo, s5
	s_wait_loadcnt_dscnt 0x0
	s_barrier_signal -1
	s_barrier_wait -1
	global_inv scope:SCOPE_SE
	ds_load_b128 v[3:6], v18 offset:3072
	s_mov_b32 s5, -1
	s_mov_b32 s62, -1
	s_wait_loadcnt_dscnt 0x0
	s_barrier_signal -1
	s_barrier_wait -1
	global_inv scope:SCOPE_SE
	v_cmp_ne_u64_e32 vcc_lo, 0, v[3:4]
	s_cbranch_vccz .LBB28_132
.LBB28_128:                             ;   in Loop: Header=BB28_129 Depth=2
	s_wait_alu 0xfffe
	s_and_b32 s5, exec_lo, s5
	s_wait_alu 0xfffe
	s_or_b32 s24, s5, s24
	s_and_not1_b32 s5, s61, exec_lo
	s_and_b32 s61, s62, exec_lo
	s_wait_alu 0xfffe
	s_or_b32 s61, s5, s61
	s_and_not1_b32 exec_lo, exec_lo, s24
	s_cbranch_execz .LBB28_135
.LBB28_129:                             ;   Parent Loop BB28_7 Depth=1
                                        ; =>  This Inner Loop Header: Depth=2
	s_mov_b32 s5, exec_lo
	s_delay_alu instid0(VALU_DEP_1)
	v_cmpx_gt_i64_e64 s[36:37], v[13:14]
	s_cbranch_execz .LBB28_127
; %bb.130:                              ;   in Loop: Header=BB28_129 Depth=2
	global_load_b64 v[4:5], v[7:8], off
	s_wait_loadcnt 0x0
	v_xor_b32_e32 v3, 0x80000000, v5
	v_and_b32_e32 v32, v4, v30
	s_delay_alu instid0(VALU_DEP_2) | instskip(NEXT) | instid1(VALU_DEP_1)
	v_and_b32_e32 v33, v3, v31
	v_cmp_eq_u64_e32 vcc_lo, v[32:33], v[28:29]
	s_and_b32 exec_lo, exec_lo, vcc_lo
	s_cbranch_execz .LBB28_127
; %bb.131:                              ;   in Loop: Header=BB28_129 Depth=2
	v_mov_b32_e32 v3, v18
	ds_store_b128 v18, v[2:5] offset:3072
	s_branch .LBB28_127
.LBB28_132:                             ;   in Loop: Header=BB28_129 Depth=2
	v_add_co_u32 v13, vcc_lo, v13, s44
	s_wait_alu 0xfffd
	v_add_co_ci_u32_e64 v14, null, 0, v14, vcc_lo
	v_add_co_u32 v7, s5, v7, s46
	s_wait_alu 0xf1fe
	v_add_co_ci_u32_e64 v8, null, s47, v8, s5
	s_delay_alu instid0(VALU_DEP_3)
	v_cmp_le_i64_e32 vcc_lo, s[16:17], v[13:14]
	s_mov_b32 s62, 0
	s_or_not1_b32 s5, vcc_lo, exec_lo
	s_branch .LBB28_128
.LBB28_133:                             ;   in Loop: Header=BB28_7 Depth=1
                                        ; implicit-def: $sgpr16_sgpr17
	s_branch .LBB28_81
.LBB28_134:                             ;   in Loop: Header=BB28_7 Depth=1
                                        ; implicit-def: $sgpr18_sgpr19
	s_branch .LBB28_95
.LBB28_135:                             ;   in Loop: Header=BB28_7 Depth=1
	s_or_b32 exec_lo, exec_lo, s24
	s_wait_alu 0xfffe
	s_and_b32 s5, s61, exec_lo
.LBB28_136:                             ;   in Loop: Header=BB28_7 Depth=1
	s_or_b32 exec_lo, exec_lo, s19
.LBB28_137:                             ;   in Loop: Header=BB28_7 Depth=1
	s_delay_alu instid0(SALU_CYCLE_1)
	s_and_b32 vcc_lo, exec_lo, s18
	s_wait_alu 0xfffe
	s_cbranch_vccz .LBB28_151
; %bb.138:                              ;   in Loop: Header=BB28_7 Depth=1
	s_add_nc_u64 s[16:17], s[14:15], s[50:51]
	s_mov_b32 s18, s25
	s_wait_alu 0xfffe
	s_mov_b32 s19, s17
	s_delay_alu instid0(SALU_CYCLE_1)
	s_cmp_lg_u64 s[18:19], 0
	s_cbranch_scc0 .LBB28_180
; %bb.139:                              ;   in Loop: Header=BB28_7 Depth=1
	s_add_nc_u64 s[18:19], s[44:45], 0
	s_delay_alu instid0(SALU_CYCLE_1) | instskip(NEXT) | instid1(SALU_CYCLE_1)
	s_xor_b64 s[18:19], s[18:19], 0
	s_cvt_f32_u32 s23, s18
	s_cvt_f32_u32 s24, s19
	s_sub_nc_u64 s[64:65], 0, s[18:19]
	s_wait_alu 0xfffe
	s_delay_alu instid0(SALU_CYCLE_1) | instskip(SKIP_1) | instid1(SALU_CYCLE_2)
	s_fmamk_f32 s23, s24, 0x4f800000, s23
	s_wait_alu 0xfffe
	v_s_rcp_f32 s23, s23
	s_delay_alu instid0(TRANS32_DEP_1) | instskip(SKIP_1) | instid1(SALU_CYCLE_2)
	s_mul_f32 s23, s23, 0x5f7ffffc
	s_wait_alu 0xfffe
	s_mul_f32 s24, s23, 0x2f800000
	s_wait_alu 0xfffe
	s_delay_alu instid0(SALU_CYCLE_2) | instskip(SKIP_1) | instid1(SALU_CYCLE_2)
	s_trunc_f32 s24, s24
	s_wait_alu 0xfffe
	s_fmamk_f32 s23, s24, 0xcf800000, s23
	s_cvt_u32_f32 s63, s24
	s_wait_alu 0xfffe
	s_delay_alu instid0(SALU_CYCLE_1) | instskip(SKIP_1) | instid1(SALU_CYCLE_2)
	s_cvt_u32_f32 s62, s23
	s_wait_alu 0xfffe
	s_mul_u64 s[66:67], s[64:65], s[62:63]
	s_wait_alu 0xfffe
	s_mul_hi_u32 s69, s62, s67
	s_mul_i32 s68, s62, s67
	s_mul_hi_u32 s24, s62, s66
	s_mul_i32 s58, s63, s66
	s_wait_alu 0xfffe
	s_add_nc_u64 s[68:69], s[24:25], s[68:69]
	s_mul_hi_u32 s23, s63, s66
	s_mul_hi_u32 s61, s63, s67
	s_wait_alu 0xfffe
	s_add_co_u32 s24, s68, s58
	s_add_co_ci_u32 s24, s69, s23
	s_mul_i32 s66, s63, s67
	s_add_co_ci_u32 s67, s61, 0
	s_wait_alu 0xfffe
	s_add_nc_u64 s[66:67], s[24:25], s[66:67]
	s_wait_alu 0xfffe
	s_add_co_u32 s62, s62, s66
	s_cselect_b32 s23, -1, 0
	s_wait_alu 0xfffe
	s_cmp_lg_u32 s23, 0
	s_add_co_ci_u32 s63, s63, s67
	s_wait_alu 0xfffe
	s_mul_u64 s[64:65], s[64:65], s[62:63]
	s_wait_alu 0xfffe
	s_mul_hi_u32 s67, s62, s65
	s_mul_i32 s66, s62, s65
	s_mul_hi_u32 s24, s62, s64
	s_mul_i32 s58, s63, s64
	s_wait_alu 0xfffe
	s_add_nc_u64 s[66:67], s[24:25], s[66:67]
	s_mul_hi_u32 s23, s63, s64
	s_mul_hi_u32 s61, s63, s65
	s_wait_alu 0xfffe
	s_add_co_u32 s24, s66, s58
	s_add_co_ci_u32 s24, s67, s23
	s_mul_i32 s64, s63, s65
	s_add_co_ci_u32 s65, s61, 0
	s_wait_alu 0xfffe
	s_add_nc_u64 s[64:65], s[24:25], s[64:65]
	s_wait_alu 0xfffe
	s_add_co_u32 s23, s62, s64
	s_cselect_b32 s24, -1, 0
	s_wait_alu 0xfffe
	s_cmp_lg_u32 s24, 0
	s_add_co_ci_u32 s58, s63, s65
	s_ashr_i32 s62, s17, 31
	s_wait_alu 0xfffe
	s_mov_b32 s63, s62
	s_wait_alu 0xfffe
	s_add_nc_u64 s[64:65], s[16:17], s[62:63]
	s_wait_alu 0xfffe
	s_xor_b64 s[64:65], s[64:65], s[62:63]
	s_wait_alu 0xfffe
	s_mul_hi_u32 s67, s64, s58
	s_mul_i32 s66, s64, s58
	s_mul_hi_u32 s24, s64, s23
	s_mul_hi_u32 s69, s65, s23
	s_mul_i32 s23, s65, s23
	s_wait_alu 0xfffe
	s_add_nc_u64 s[66:67], s[24:25], s[66:67]
	s_mul_hi_u32 s61, s65, s58
	s_wait_alu 0xfffe
	s_add_co_u32 s23, s66, s23
	s_add_co_ci_u32 s24, s67, s69
	s_mul_i32 s68, s65, s58
	s_add_co_ci_u32 s69, s61, 0
	s_wait_alu 0xfffe
	s_add_nc_u64 s[66:67], s[24:25], s[68:69]
	s_wait_alu 0xfffe
	s_mul_u64 s[66:67], s[18:19], s[66:67]
	s_wait_alu 0xfffe
	s_sub_co_u32 s23, s64, s66
	s_cselect_b32 s24, -1, 0
	s_sub_co_i32 s58, s65, s67
	s_wait_alu 0xfffe
	s_cmp_lg_u32 s24, 0
	s_sub_co_ci_u32 s58, s58, s19
	s_sub_co_u32 s61, s23, s18
	s_cselect_b32 s64, -1, 0
	s_wait_alu 0xfffe
	s_cmp_lg_u32 s64, 0
	s_sub_co_ci_u32 s66, s58, 0
	s_wait_alu 0xfffe
	s_cmp_ge_u32 s66, s19
	s_cselect_b32 s68, -1, 0
	s_cmp_ge_u32 s61, s18
	s_cselect_b32 s69, -1, 0
	s_cmp_eq_u32 s66, s19
	s_wait_alu 0xfffe
	s_cselect_b32 s68, s69, s68
	s_cmp_lg_u32 s64, 0
	s_sub_co_ci_u32 s58, s58, s19
	s_sub_co_u32 s64, s61, s18
	s_cselect_b32 s69, -1, 0
	s_wait_alu 0xfffe
	s_cmp_lg_u32 s69, 0
	s_sub_co_ci_u32 s58, s58, 0
	s_cmp_lg_u32 s68, 0
	s_cselect_b32 s61, s64, s61
	s_wait_alu 0xfffe
	s_cselect_b32 s58, s58, s66
	s_cmp_lg_u32 s24, 0
	s_sub_co_ci_u32 s24, s65, s67
	s_wait_alu 0xfffe
	s_cmp_ge_u32 s24, s19
	s_cselect_b32 s64, -1, 0
	s_cmp_ge_u32 s23, s18
	s_cselect_b32 s18, -1, 0
	s_cmp_eq_u32 s24, s19
	s_wait_alu 0xfffe
	s_cselect_b32 s18, s18, s64
	s_delay_alu instid0(SALU_CYCLE_1) | instskip(SKIP_2) | instid1(SALU_CYCLE_1)
	s_cmp_lg_u32 s18, 0
	s_cselect_b32 s19, s58, s24
	s_cselect_b32 s18, s61, s23
	s_xor_b64 s[18:19], s[18:19], s[62:63]
	s_delay_alu instid0(SALU_CYCLE_1)
	s_sub_nc_u64 s[18:19], s[18:19], s[62:63]
	s_cbranch_execnz .LBB28_141
.LBB28_140:                             ;   in Loop: Header=BB28_7 Depth=1
	v_cvt_f32_u32_e32 v3, s44
	s_sub_co_i32 s19, 0, s44
	s_delay_alu instid0(VALU_DEP_1) | instskip(NEXT) | instid1(TRANS32_DEP_1)
	v_rcp_iflag_f32_e32 v3, v3
	v_mul_f32_e32 v3, 0x4f7ffffe, v3
	s_delay_alu instid0(VALU_DEP_1) | instskip(NEXT) | instid1(VALU_DEP_1)
	v_cvt_u32_f32_e32 v3, v3
	v_readfirstlane_b32 s18, v3
	s_mul_i32 s19, s19, s18
	s_delay_alu instid0(SALU_CYCLE_1) | instskip(NEXT) | instid1(SALU_CYCLE_1)
	s_mul_hi_u32 s19, s18, s19
	s_add_co_i32 s18, s18, s19
	s_delay_alu instid0(SALU_CYCLE_1) | instskip(NEXT) | instid1(SALU_CYCLE_1)
	s_mul_hi_u32 s18, s16, s18
	s_mul_i32 s18, s18, s44
	s_delay_alu instid0(SALU_CYCLE_1) | instskip(NEXT) | instid1(SALU_CYCLE_1)
	s_sub_co_i32 s18, s16, s18
	s_sub_co_i32 s19, s18, s44
	s_cmp_ge_u32 s18, s44
	s_cselect_b32 s18, s19, s18
	s_delay_alu instid0(SALU_CYCLE_1)
	s_sub_co_i32 s19, s18, s44
	s_cmp_ge_u32 s18, s44
	s_cselect_b32 s24, s19, s18
	s_wait_alu 0xfffe
	s_mov_b64 s[18:19], s[24:25]
.LBB28_141:                             ;   in Loop: Header=BB28_7 Depth=1
	s_delay_alu instid0(SALU_CYCLE_1)
	s_sub_nc_u64 s[16:17], s[16:17], s[18:19]
	s_mov_b32 s18, exec_lo
                                        ; implicit-def: $vgpr5_vgpr6
	s_wait_alu 0xfffe
	v_cmpx_gt_i64_e64 s[16:17], v[0:1]
	s_cbranch_execz .LBB28_150
; %bb.142:                              ;   in Loop: Header=BB28_7 Depth=1
	v_dual_mov_b32 v13, v41 :: v_dual_mov_b32 v8, v1
	v_mov_b32_e32 v7, v0
	s_mov_b32 s19, 0
                                        ; implicit-def: $sgpr23
	s_branch .LBB28_145
.LBB28_143:                             ;   in Loop: Header=BB28_145 Depth=2
	s_wait_alu 0xfffe
	s_or_b32 exec_lo, exec_lo, s24
	s_wait_loadcnt_dscnt 0x0
	s_barrier_signal -1
	s_barrier_wait -1
	global_inv scope:SCOPE_SE
	ds_load_b128 v[3:6], v18 offset:3072
	s_mov_b32 s24, -1
	s_mov_b32 s58, -1
	s_wait_loadcnt_dscnt 0x0
	s_barrier_signal -1
	s_barrier_wait -1
	global_inv scope:SCOPE_SE
	v_cmp_eq_u64_e32 vcc_lo, 0, v[3:4]
	s_cbranch_vccnz .LBB28_148
.LBB28_144:                             ;   in Loop: Header=BB28_145 Depth=2
	s_wait_alu 0xfffe
	s_and_b32 s24, exec_lo, s24
	s_wait_alu 0xfffe
	s_or_b32 s19, s24, s19
	s_and_not1_b32 s23, s23, exec_lo
	s_and_b32 s24, s58, exec_lo
	s_wait_alu 0xfffe
	s_or_b32 s23, s23, s24
	s_and_not1_b32 exec_lo, exec_lo, s19
	s_cbranch_execz .LBB28_149
.LBB28_145:                             ;   Parent Loop BB28_7 Depth=1
                                        ; =>  This Inner Loop Header: Depth=2
	s_mov_b32 s24, exec_lo
	s_delay_alu instid0(VALU_DEP_1)
	v_cmpx_gt_u64_e64 s[14:15], v[7:8]
	s_cbranch_execz .LBB28_143
; %bb.146:                              ;   in Loop: Header=BB28_145 Depth=2
	ds_load_b64 v[4:5], v13
	s_wait_dscnt 0x0
	v_xor_b32_e32 v3, 0x80000000, v5
	v_and_b32_e32 v32, v4, v30
	s_delay_alu instid0(VALU_DEP_2) | instskip(NEXT) | instid1(VALU_DEP_1)
	v_and_b32_e32 v33, v3, v31
	v_cmp_eq_u64_e32 vcc_lo, v[32:33], v[28:29]
	s_and_b32 exec_lo, exec_lo, vcc_lo
	s_cbranch_execz .LBB28_143
; %bb.147:                              ;   in Loop: Header=BB28_145 Depth=2
	v_mov_b32_e32 v3, v18
	ds_store_b128 v18, v[2:5] offset:3072
	s_branch .LBB28_143
.LBB28_148:                             ;   in Loop: Header=BB28_145 Depth=2
	v_add_co_u32 v7, vcc_lo, v7, s44
	s_wait_alu 0xfffd
	v_add_co_ci_u32_e64 v8, null, 0, v8, vcc_lo
	v_add_nc_u32_e32 v13, s86, v13
	s_mov_b32 s58, 0
	s_delay_alu instid0(VALU_DEP_2)
	v_cmp_le_i64_e32 vcc_lo, s[16:17], v[7:8]
	s_or_not1_b32 s24, vcc_lo, exec_lo
	s_branch .LBB28_144
.LBB28_149:                             ;   in Loop: Header=BB28_7 Depth=1
	s_or_b32 exec_lo, exec_lo, s19
	s_delay_alu instid0(SALU_CYCLE_1)
	s_and_not1_b32 s5, s5, exec_lo
	s_wait_alu 0xfffe
	s_and_b32 s14, s23, exec_lo
	s_wait_alu 0xfffe
	s_or_b32 s5, s5, s14
.LBB28_150:                             ;   in Loop: Header=BB28_7 Depth=1
	s_or_b32 exec_lo, exec_lo, s18
	s_mov_b32 s23, 0
	s_mov_b32 s58, -1
.LBB28_151:                             ;   in Loop: Header=BB28_7 Depth=1
	s_wait_alu 0xfffe
	s_or_not1_b32 s5, s5, exec_lo
.LBB28_152:                             ;   in Loop: Header=BB28_7 Depth=1
	s_wait_alu 0xfffe
	s_or_b32 exec_lo, exec_lo, s59
	s_mov_b32 s14, 0
	s_and_saveexec_b32 s59, s5
	s_cbranch_execz .LBB28_258
; %bb.153:                              ;   in Loop: Header=BB28_7 Depth=1
	v_dual_mov_b32 v7, 1 :: v_dual_mov_b32 v34, 1
	v_mov_b32_e32 v8, 0
	s_xor_b32 s15, s60, -1
	s_wait_alu 0xfffe
	s_and_saveexec_b32 s5, s15
	s_cbranch_execz .LBB28_163
; %bb.154:                              ;   in Loop: Header=BB28_7 Depth=1
	s_mov_b32 s14, exec_lo
	v_cmpx_le_i64_e64 v[11:12], v[9:10]
	s_wait_alu 0xfffe
	s_xor_b32 s14, exec_lo, s14
	s_cbranch_execz .LBB28_160
; %bb.155:                              ;   in Loop: Header=BB28_7 Depth=1
	ds_load_b64 v[3:4], v18 offset:5120
	v_and_b32_e32 v7, s13, v29
	v_and_b32_e32 v8, s12, v28
	s_lshl_b64 s[16:17], 1, s87
	v_or_b32_e32 v31, s9, v31
	v_or_b32_e32 v30, s8, v30
	s_wait_alu 0xfffe
	v_or_b32_e32 v29, s17, v7
	v_or_b32_e32 v28, s16, v8
	s_wait_dscnt 0x0
	v_cmp_ne_u64_e32 vcc_lo, 0, v[3:4]
	s_cbranch_vccnz .LBB28_159
; %bb.156:                              ;   in Loop: Header=BB28_7 Depth=1
	s_and_saveexec_b32 s15, s2
; %bb.157:                              ;   in Loop: Header=BB28_7 Depth=1
	ds_store_b64 v18, v[9:10] offset:5128
; %bb.158:                              ;   in Loop: Header=BB28_7 Depth=1
	s_wait_alu 0xfffe
	s_or_b32 exec_lo, exec_lo, s15
	s_wait_loadcnt_dscnt 0x0
	s_barrier_signal -1
	s_barrier_wait -1
	global_inv scope:SCOPE_SE
.LBB28_159:                             ;   in Loop: Header=BB28_7 Depth=1
                                        ; implicit-def: $vgpr7_vgpr8_vgpr9_vgpr10
.LBB28_160:                             ;   in Loop: Header=BB28_7 Depth=1
	s_wait_alu 0xfffe
	s_or_saveexec_b32 s14, s14
	v_mov_b32_e32 v34, 8
	s_mov_b32 s15, 0
	s_wait_alu 0xfffe
	s_xor_b32 exec_lo, exec_lo, s14
; %bb.161:                              ;   in Loop: Header=BB28_7 Depth=1
	v_sub_co_u32 v11, vcc_lo, v11, v9
	s_wait_alu 0xfffd
	v_sub_co_ci_u32_e64 v12, null, v12, v10, vcc_lo
	v_mov_b32_e32 v34, 0
	s_mov_b32 s15, exec_lo
; %bb.162:                              ;   in Loop: Header=BB28_7 Depth=1
	s_or_b32 exec_lo, exec_lo, s14
	s_delay_alu instid0(VALU_DEP_2)
	v_dual_mov_b32 v7, v11 :: v_dual_mov_b32 v8, v12
	s_wait_alu 0xfffe
	s_and_b32 s14, s15, exec_lo
.LBB28_163:                             ;   in Loop: Header=BB28_7 Depth=1
	s_wait_alu 0xfffe
	s_or_b32 exec_lo, exec_lo, s5
	s_mov_b32 s5, -1
                                        ; implicit-def: $sgpr18
                                        ; implicit-def: $sgpr19
	s_and_saveexec_b32 s60, s14
	s_cbranch_execz .LBB28_257
; %bb.164:                              ;   in Loop: Header=BB28_7 Depth=1
	v_cmp_eq_u64_e32 vcc_lo, 1, v[7:8]
	s_cmp_eq_u64 s[10:11], 1
                                        ; implicit-def: $sgpr19
                                        ; implicit-def: $sgpr18
	s_cselect_b32 s5, -1, 0
	s_wait_alu 0xfffe
	s_and_b32 s61, s5, vcc_lo
	s_mov_b32 s5, -1
	s_wait_alu 0xfffe
	s_and_saveexec_b32 s62, s61
	s_cbranch_execz .LBB28_198
; %bb.165:                              ;   in Loop: Header=BB28_7 Depth=1
	ds_load_b64 v[3:4], v18 offset:5120
	s_wait_loadcnt_dscnt 0x0
	s_barrier_signal -1
	s_barrier_wait -1
	global_inv scope:SCOPE_SE
	v_readfirstlane_b32 s14, v3
	v_readfirstlane_b32 s15, v4
	s_and_saveexec_b32 s5, s3
; %bb.166:                              ;   in Loop: Header=BB28_7 Depth=1
	v_mov_b32_e32 v17, v18
	ds_store_b64 v42, v[17:18]
; %bb.167:                              ;   in Loop: Header=BB28_7 Depth=1
	s_wait_alu 0xfffe
	s_or_b32 exec_lo, exec_lo, s5
	v_and_b32_e32 v3, s13, v29
	v_and_b32_e32 v4, s12, v28
	v_cmp_gt_i64_e64 s5, s[14:15], 0
	s_lshl_b64 s[16:17], 2, s87
	v_or_b32_e32 v31, s9, v31
	s_wait_alu 0xfffe
	v_or_b32_e32 v29, s17, v3
	v_or_b32_e32 v28, s16, v4
	;; [unrolled: 1-line block ×3, first 2 shown]
	s_mov_b32 s18, -1
	s_mov_b32 s19, 0
	s_and_b32 vcc_lo, exec_lo, s5
	s_mov_b32 s5, 0
	s_mov_b32 s24, -1
	s_wait_loadcnt_dscnt 0x0
	s_barrier_signal -1
	s_barrier_wait -1
	global_inv scope:SCOPE_SE
                                        ; implicit-def: $vgpr5_vgpr6
	s_wait_alu 0xfffe
	s_cbranch_vccnz .LBB28_183
; %bb.168:                              ;   in Loop: Header=BB28_7 Depth=1
	s_mov_b32 s16, s25
	s_mov_b32 s17, s53
	s_wait_alu 0xfffe
	s_cmp_lg_u64 s[16:17], 0
	s_cbranch_scc0 .LBB28_224
; %bb.169:                              ;   in Loop: Header=BB28_7 Depth=1
	s_add_nc_u64 s[16:17], s[44:45], 0
	s_wait_alu 0xfffe
	s_xor_b64 s[16:17], s[16:17], 0
	s_wait_alu 0xfffe
	s_cvt_f32_u32 s5, s16
	s_cvt_f32_u32 s24, s17
	s_sub_nc_u64 s[66:67], 0, s[16:17]
	s_wait_alu 0xfffe
	s_delay_alu instid0(SALU_CYCLE_1) | instskip(SKIP_1) | instid1(SALU_CYCLE_2)
	s_fmamk_f32 s5, s24, 0x4f800000, s5
	s_wait_alu 0xfffe
	v_s_rcp_f32 s5, s5
	s_delay_alu instid0(TRANS32_DEP_1) | instskip(SKIP_1) | instid1(SALU_CYCLE_2)
	s_mul_f32 s5, s5, 0x5f7ffffc
	s_wait_alu 0xfffe
	s_mul_f32 s24, s5, 0x2f800000
	s_wait_alu 0xfffe
	s_delay_alu instid0(SALU_CYCLE_2) | instskip(SKIP_1) | instid1(SALU_CYCLE_2)
	s_trunc_f32 s24, s24
	s_wait_alu 0xfffe
	s_fmamk_f32 s5, s24, 0xcf800000, s5
	s_cvt_u32_f32 s65, s24
	s_wait_alu 0xfffe
	s_delay_alu instid0(SALU_CYCLE_1) | instskip(SKIP_1) | instid1(SALU_CYCLE_2)
	s_cvt_u32_f32 s64, s5
	s_wait_alu 0xfffe
	s_mul_u64 s[68:69], s[66:67], s[64:65]
	s_wait_alu 0xfffe
	s_mul_hi_u32 s71, s64, s69
	s_mul_i32 s70, s64, s69
	s_mul_hi_u32 s24, s64, s68
	s_mul_i32 s63, s65, s68
	s_wait_alu 0xfffe
	s_add_nc_u64 s[70:71], s[24:25], s[70:71]
	s_mul_hi_u32 s5, s65, s68
	s_mul_hi_u32 s72, s65, s69
	s_wait_alu 0xfffe
	s_add_co_u32 s24, s70, s63
	s_add_co_ci_u32 s24, s71, s5
	s_mul_i32 s68, s65, s69
	s_add_co_ci_u32 s69, s72, 0
	s_wait_alu 0xfffe
	s_add_nc_u64 s[68:69], s[24:25], s[68:69]
	s_wait_alu 0xfffe
	s_add_co_u32 s64, s64, s68
	s_cselect_b32 s5, -1, 0
	s_wait_alu 0xfffe
	s_cmp_lg_u32 s5, 0
	s_add_co_ci_u32 s65, s65, s69
	s_wait_alu 0xfffe
	s_mul_u64 s[66:67], s[66:67], s[64:65]
	s_wait_alu 0xfffe
	s_mul_hi_u32 s69, s64, s67
	s_mul_i32 s68, s64, s67
	s_mul_hi_u32 s24, s64, s66
	s_mul_i32 s63, s65, s66
	s_wait_alu 0xfffe
	s_add_nc_u64 s[68:69], s[24:25], s[68:69]
	s_mul_hi_u32 s5, s65, s66
	s_mul_hi_u32 s70, s65, s67
	s_wait_alu 0xfffe
	s_add_co_u32 s24, s68, s63
	s_add_co_ci_u32 s24, s69, s5
	s_mul_i32 s66, s65, s67
	s_add_co_ci_u32 s67, s70, 0
	s_wait_alu 0xfffe
	s_add_nc_u64 s[66:67], s[24:25], s[66:67]
	s_wait_alu 0xfffe
	s_add_co_u32 s5, s64, s66
	s_cselect_b32 s24, -1, 0
	s_wait_alu 0xfffe
	s_cmp_lg_u32 s24, 0
	s_add_co_ci_u32 s63, s65, s67
	s_ashr_i32 s64, s53, 31
	s_wait_alu 0xfffe
	s_mov_b32 s65, s64
	s_wait_alu 0xfffe
	s_add_nc_u64 s[66:67], s[52:53], s[64:65]
	s_wait_alu 0xfffe
	s_xor_b64 s[66:67], s[66:67], s[64:65]
	s_wait_alu 0xfffe
	s_mul_hi_u32 s69, s66, s63
	s_mul_i32 s68, s66, s63
	s_mul_hi_u32 s24, s66, s5
	s_mul_hi_u32 s72, s67, s5
	s_mul_i32 s5, s67, s5
	s_wait_alu 0xfffe
	s_add_nc_u64 s[68:69], s[24:25], s[68:69]
	s_mul_hi_u32 s71, s67, s63
	s_wait_alu 0xfffe
	s_add_co_u32 s5, s68, s5
	s_add_co_ci_u32 s24, s69, s72
	s_mul_i32 s70, s67, s63
	s_add_co_ci_u32 s71, s71, 0
	s_wait_alu 0xfffe
	s_add_nc_u64 s[68:69], s[24:25], s[70:71]
	s_wait_alu 0xfffe
	s_mul_u64 s[68:69], s[16:17], s[68:69]
	s_wait_alu 0xfffe
	s_sub_co_u32 s5, s66, s68
	s_cselect_b32 s24, -1, 0
	s_sub_co_i32 s63, s67, s69
	s_wait_alu 0xfffe
	s_cmp_lg_u32 s24, 0
	s_sub_co_ci_u32 s63, s63, s17
	s_sub_co_u32 s66, s5, s16
	s_cselect_b32 s68, -1, 0
	s_wait_alu 0xfffe
	s_cmp_lg_u32 s68, 0
	s_sub_co_ci_u32 s70, s63, 0
	s_wait_alu 0xfffe
	s_cmp_ge_u32 s70, s17
	s_cselect_b32 s71, -1, 0
	s_cmp_ge_u32 s66, s16
	s_cselect_b32 s72, -1, 0
	s_cmp_eq_u32 s70, s17
	s_wait_alu 0xfffe
	s_cselect_b32 s71, s72, s71
	s_cmp_lg_u32 s68, 0
	s_sub_co_ci_u32 s63, s63, s17
	s_sub_co_u32 s68, s66, s16
	s_cselect_b32 s72, -1, 0
	s_wait_alu 0xfffe
	s_cmp_lg_u32 s72, 0
	s_sub_co_ci_u32 s63, s63, 0
	s_cmp_lg_u32 s71, 0
	s_cselect_b32 s66, s68, s66
	s_wait_alu 0xfffe
	s_cselect_b32 s63, s63, s70
	s_cmp_lg_u32 s24, 0
	s_sub_co_ci_u32 s24, s67, s69
	s_wait_alu 0xfffe
	s_cmp_ge_u32 s24, s17
	s_cselect_b32 s67, -1, 0
	s_cmp_ge_u32 s5, s16
	s_cselect_b32 s16, -1, 0
	s_cmp_eq_u32 s24, s17
	s_wait_alu 0xfffe
	s_cselect_b32 s16, s16, s67
	s_wait_alu 0xfffe
	s_cmp_lg_u32 s16, 0
	s_cselect_b32 s17, s63, s24
	s_cselect_b32 s16, s66, s5
	s_wait_alu 0xfffe
	s_xor_b64 s[16:17], s[16:17], s[64:65]
	s_wait_alu 0xfffe
	s_sub_nc_u64 s[16:17], s[16:17], s[64:65]
	s_cbranch_execnz .LBB28_171
.LBB28_170:                             ;   in Loop: Header=BB28_7 Depth=1
	v_cvt_f32_u32_e32 v3, s44
	s_sub_co_i32 s16, 0, s44
	s_delay_alu instid0(VALU_DEP_1) | instskip(NEXT) | instid1(TRANS32_DEP_1)
	v_rcp_iflag_f32_e32 v3, v3
	v_mul_f32_e32 v3, 0x4f7ffffe, v3
	s_delay_alu instid0(VALU_DEP_1) | instskip(NEXT) | instid1(VALU_DEP_1)
	v_cvt_u32_f32_e32 v3, v3
	v_readfirstlane_b32 s5, v3
	s_wait_alu 0xfffe
	s_mul_i32 s16, s16, s5
	s_wait_alu 0xfffe
	s_mul_hi_u32 s16, s5, s16
	s_wait_alu 0xfffe
	s_add_co_i32 s5, s5, s16
	s_wait_alu 0xfffe
	s_mul_hi_u32 s5, s52, s5
	s_wait_alu 0xfffe
	s_mul_i32 s5, s5, s44
	s_wait_alu 0xfffe
	s_sub_co_i32 s5, s52, s5
	s_wait_alu 0xfffe
	s_sub_co_i32 s16, s5, s44
	s_cmp_ge_u32 s5, s44
	s_wait_alu 0xfffe
	s_cselect_b32 s5, s16, s5
	s_wait_alu 0xfffe
	s_sub_co_i32 s16, s5, s44
	s_cmp_ge_u32 s5, s44
	s_wait_alu 0xfffe
	s_cselect_b32 s24, s16, s5
	s_wait_alu 0xfffe
	s_mov_b64 s[16:17], s[24:25]
.LBB28_171:                             ;   in Loop: Header=BB28_7 Depth=1
	s_wait_alu 0xfffe
	s_sub_nc_u64 s[16:17], s[52:53], s[16:17]
	s_mov_b32 s24, 0
	s_mov_b32 s5, 0
	s_mov_b32 s63, exec_lo
                                        ; implicit-def: $vgpr5_vgpr6
	s_wait_alu 0xfffe
	v_cmpx_gt_i64_e64 s[16:17], v[0:1]
	s_cbranch_execz .LBB28_182
; %bb.172:                              ;   in Loop: Header=BB28_7 Depth=1
	v_dual_mov_b32 v9, v15 :: v_dual_mov_b32 v10, v16
	v_dual_mov_b32 v12, v1 :: v_dual_mov_b32 v11, v0
	s_mov_b32 s64, 0
                                        ; implicit-def: $sgpr65
	s_branch .LBB28_175
.LBB28_173:                             ;   in Loop: Header=BB28_175 Depth=2
	s_wait_alu 0xfffe
	s_or_b32 exec_lo, exec_lo, s5
	s_wait_loadcnt_dscnt 0x0
	s_barrier_signal -1
	s_barrier_wait -1
	global_inv scope:SCOPE_SE
	ds_load_b128 v[3:6], v18 offset:3072
	s_mov_b32 s5, -1
	s_mov_b32 s66, -1
	s_wait_loadcnt_dscnt 0x0
	s_barrier_signal -1
	s_barrier_wait -1
	global_inv scope:SCOPE_SE
	v_cmp_ne_u64_e32 vcc_lo, 0, v[3:4]
	s_cbranch_vccz .LBB28_178
.LBB28_174:                             ;   in Loop: Header=BB28_175 Depth=2
	s_wait_alu 0xfffe
	s_and_b32 s5, exec_lo, s5
	s_wait_alu 0xfffe
	s_or_b32 s64, s5, s64
	s_and_not1_b32 s5, s65, exec_lo
	s_and_b32 s65, s66, exec_lo
	s_wait_alu 0xfffe
	s_or_b32 s65, s5, s65
	s_and_not1_b32 exec_lo, exec_lo, s64
	s_cbranch_execz .LBB28_181
.LBB28_175:                             ;   Parent Loop BB28_7 Depth=1
                                        ; =>  This Inner Loop Header: Depth=2
	s_mov_b32 s5, exec_lo
	s_delay_alu instid0(VALU_DEP_1)
	v_cmpx_gt_i64_e64 s[36:37], v[11:12]
	s_cbranch_execz .LBB28_173
; %bb.176:                              ;   in Loop: Header=BB28_175 Depth=2
	global_load_b64 v[4:5], v[9:10], off
	s_wait_loadcnt 0x0
	v_xor_b32_e32 v3, 0x80000000, v5
	v_and_b32_e32 v13, v4, v30
	s_delay_alu instid0(VALU_DEP_2) | instskip(NEXT) | instid1(VALU_DEP_1)
	v_and_b32_e32 v14, v3, v31
	v_cmp_eq_u64_e32 vcc_lo, v[13:14], v[28:29]
	s_and_b32 exec_lo, exec_lo, vcc_lo
	s_cbranch_execz .LBB28_173
; %bb.177:                              ;   in Loop: Header=BB28_175 Depth=2
	v_mov_b32_e32 v3, v18
	ds_store_b128 v18, v[2:5] offset:3072
	s_branch .LBB28_173
.LBB28_178:                             ;   in Loop: Header=BB28_175 Depth=2
	v_add_co_u32 v11, vcc_lo, v11, s44
	s_wait_alu 0xfffd
	v_add_co_ci_u32_e64 v12, null, 0, v12, vcc_lo
	v_add_co_u32 v9, s5, v9, s46
	s_wait_alu 0xf1fe
	v_add_co_ci_u32_e64 v10, null, s47, v10, s5
	s_delay_alu instid0(VALU_DEP_3)
	v_cmp_le_i64_e32 vcc_lo, s[16:17], v[11:12]
	s_mov_b32 s66, 0
	s_or_not1_b32 s5, vcc_lo, exec_lo
	s_branch .LBB28_174
.LBB28_179:                             ;   in Loop: Header=BB28_7 Depth=1
                                        ; implicit-def: $sgpr16_sgpr17
	s_branch .LBB28_124
.LBB28_180:                             ;   in Loop: Header=BB28_7 Depth=1
                                        ; implicit-def: $sgpr18_sgpr19
	s_branch .LBB28_140
.LBB28_181:                             ;   in Loop: Header=BB28_7 Depth=1
	s_or_b32 exec_lo, exec_lo, s64
	s_wait_alu 0xfffe
	s_and_b32 s5, s65, exec_lo
.LBB28_182:                             ;   in Loop: Header=BB28_7 Depth=1
	s_or_b32 exec_lo, exec_lo, s63
.LBB28_183:                             ;   in Loop: Header=BB28_7 Depth=1
	s_delay_alu instid0(SALU_CYCLE_1)
	s_and_b32 vcc_lo, exec_lo, s24
	s_wait_alu 0xfffe
	s_cbranch_vccz .LBB28_197
; %bb.184:                              ;   in Loop: Header=BB28_7 Depth=1
	s_add_nc_u64 s[16:17], s[14:15], s[50:51]
	s_mov_b32 s18, s25
	s_wait_alu 0xfffe
	s_mov_b32 s19, s17
	s_delay_alu instid0(SALU_CYCLE_1)
	s_cmp_lg_u64 s[18:19], 0
	s_cbranch_scc0 .LBB28_225
; %bb.185:                              ;   in Loop: Header=BB28_7 Depth=1
	s_add_nc_u64 s[18:19], s[44:45], 0
	s_delay_alu instid0(SALU_CYCLE_1) | instskip(NEXT) | instid1(SALU_CYCLE_1)
	s_xor_b64 s[18:19], s[18:19], 0
	s_cvt_f32_u32 s24, s18
	s_cvt_f32_u32 s63, s19
	s_sub_nc_u64 s[66:67], 0, s[18:19]
	s_wait_alu 0xfffe
	s_delay_alu instid0(SALU_CYCLE_1) | instskip(SKIP_1) | instid1(SALU_CYCLE_2)
	s_fmamk_f32 s24, s63, 0x4f800000, s24
	s_wait_alu 0xfffe
	v_s_rcp_f32 s24, s24
	s_delay_alu instid0(TRANS32_DEP_1) | instskip(SKIP_1) | instid1(SALU_CYCLE_2)
	s_mul_f32 s24, s24, 0x5f7ffffc
	s_wait_alu 0xfffe
	s_mul_f32 s63, s24, 0x2f800000
	s_wait_alu 0xfffe
	s_delay_alu instid0(SALU_CYCLE_2) | instskip(SKIP_1) | instid1(SALU_CYCLE_2)
	s_trunc_f32 s63, s63
	s_wait_alu 0xfffe
	s_fmamk_f32 s24, s63, 0xcf800000, s24
	s_cvt_u32_f32 s65, s63
	s_wait_alu 0xfffe
	s_delay_alu instid0(SALU_CYCLE_1) | instskip(SKIP_1) | instid1(SALU_CYCLE_2)
	s_cvt_u32_f32 s64, s24
	s_wait_alu 0xfffe
	s_mul_u64 s[68:69], s[66:67], s[64:65]
	s_wait_alu 0xfffe
	s_mul_hi_u32 s71, s64, s69
	s_mul_i32 s70, s64, s69
	s_mul_hi_u32 s24, s64, s68
	s_mul_i32 s72, s65, s68
	s_wait_alu 0xfffe
	s_add_nc_u64 s[70:71], s[24:25], s[70:71]
	s_mul_hi_u32 s63, s65, s68
	s_mul_hi_u32 s73, s65, s69
	s_wait_alu 0xfffe
	s_add_co_u32 s24, s70, s72
	s_add_co_ci_u32 s24, s71, s63
	s_mul_i32 s68, s65, s69
	s_add_co_ci_u32 s69, s73, 0
	s_wait_alu 0xfffe
	s_add_nc_u64 s[68:69], s[24:25], s[68:69]
	s_wait_alu 0xfffe
	s_add_co_u32 s64, s64, s68
	s_cselect_b32 s24, -1, 0
	s_wait_alu 0xfffe
	s_cmp_lg_u32 s24, 0
	s_add_co_ci_u32 s65, s65, s69
	s_wait_alu 0xfffe
	s_mul_u64 s[66:67], s[66:67], s[64:65]
	s_wait_alu 0xfffe
	s_mul_hi_u32 s69, s64, s67
	s_mul_i32 s68, s64, s67
	s_mul_hi_u32 s24, s64, s66
	s_mul_i32 s70, s65, s66
	s_wait_alu 0xfffe
	s_add_nc_u64 s[68:69], s[24:25], s[68:69]
	s_mul_hi_u32 s63, s65, s66
	s_mul_hi_u32 s71, s65, s67
	s_wait_alu 0xfffe
	s_add_co_u32 s24, s68, s70
	s_add_co_ci_u32 s24, s69, s63
	s_mul_i32 s66, s65, s67
	s_add_co_ci_u32 s67, s71, 0
	s_wait_alu 0xfffe
	s_add_nc_u64 s[66:67], s[24:25], s[66:67]
	s_wait_alu 0xfffe
	s_add_co_u32 s63, s64, s66
	s_cselect_b32 s24, -1, 0
	s_wait_alu 0xfffe
	s_cmp_lg_u32 s24, 0
	s_add_co_ci_u32 s70, s65, s67
	s_ashr_i32 s64, s17, 31
	s_wait_alu 0xfffe
	s_mov_b32 s65, s64
	s_wait_alu 0xfffe
	s_add_nc_u64 s[66:67], s[16:17], s[64:65]
	s_wait_alu 0xfffe
	s_xor_b64 s[66:67], s[66:67], s[64:65]
	s_wait_alu 0xfffe
	s_mul_hi_u32 s69, s66, s70
	s_mul_i32 s68, s66, s70
	s_mul_hi_u32 s24, s66, s63
	s_mul_hi_u32 s72, s67, s63
	s_mul_i32 s63, s67, s63
	s_wait_alu 0xfffe
	s_add_nc_u64 s[68:69], s[24:25], s[68:69]
	s_mul_hi_u32 s71, s67, s70
	s_wait_alu 0xfffe
	s_add_co_u32 s24, s68, s63
	s_add_co_ci_u32 s24, s69, s72
	s_mul_i32 s70, s67, s70
	s_add_co_ci_u32 s71, s71, 0
	s_wait_alu 0xfffe
	s_add_nc_u64 s[68:69], s[24:25], s[70:71]
	s_wait_alu 0xfffe
	s_mul_u64 s[68:69], s[18:19], s[68:69]
	s_wait_alu 0xfffe
	s_sub_co_u32 s24, s66, s68
	s_cselect_b32 s63, -1, 0
	s_sub_co_i32 s66, s67, s69
	s_wait_alu 0xfffe
	s_cmp_lg_u32 s63, 0
	s_sub_co_ci_u32 s66, s66, s19
	s_sub_co_u32 s68, s24, s18
	s_cselect_b32 s70, -1, 0
	s_wait_alu 0xfffe
	s_cmp_lg_u32 s70, 0
	s_sub_co_ci_u32 s71, s66, 0
	s_wait_alu 0xfffe
	s_cmp_ge_u32 s71, s19
	s_cselect_b32 s72, -1, 0
	s_cmp_ge_u32 s68, s18
	s_cselect_b32 s73, -1, 0
	s_cmp_eq_u32 s71, s19
	s_wait_alu 0xfffe
	s_cselect_b32 s72, s73, s72
	s_cmp_lg_u32 s70, 0
	s_sub_co_ci_u32 s66, s66, s19
	s_sub_co_u32 s70, s68, s18
	s_cselect_b32 s73, -1, 0
	s_wait_alu 0xfffe
	s_cmp_lg_u32 s73, 0
	s_sub_co_ci_u32 s66, s66, 0
	s_cmp_lg_u32 s72, 0
	s_cselect_b32 s68, s70, s68
	s_wait_alu 0xfffe
	s_cselect_b32 s66, s66, s71
	s_cmp_lg_u32 s63, 0
	s_sub_co_ci_u32 s63, s67, s69
	s_wait_alu 0xfffe
	s_cmp_ge_u32 s63, s19
	s_cselect_b32 s67, -1, 0
	s_cmp_ge_u32 s24, s18
	s_cselect_b32 s18, -1, 0
	s_cmp_eq_u32 s63, s19
	s_wait_alu 0xfffe
	s_cselect_b32 s18, s18, s67
	s_delay_alu instid0(SALU_CYCLE_1) | instskip(SKIP_2) | instid1(SALU_CYCLE_1)
	s_cmp_lg_u32 s18, 0
	s_cselect_b32 s19, s66, s63
	s_cselect_b32 s18, s68, s24
	s_xor_b64 s[18:19], s[18:19], s[64:65]
	s_delay_alu instid0(SALU_CYCLE_1)
	s_sub_nc_u64 s[18:19], s[18:19], s[64:65]
	s_cbranch_execnz .LBB28_187
.LBB28_186:                             ;   in Loop: Header=BB28_7 Depth=1
	v_cvt_f32_u32_e32 v3, s44
	s_sub_co_i32 s19, 0, s44
	s_delay_alu instid0(VALU_DEP_1) | instskip(NEXT) | instid1(TRANS32_DEP_1)
	v_rcp_iflag_f32_e32 v3, v3
	v_mul_f32_e32 v3, 0x4f7ffffe, v3
	s_delay_alu instid0(VALU_DEP_1) | instskip(NEXT) | instid1(VALU_DEP_1)
	v_cvt_u32_f32_e32 v3, v3
	v_readfirstlane_b32 s18, v3
	s_mul_i32 s19, s19, s18
	s_delay_alu instid0(SALU_CYCLE_1) | instskip(NEXT) | instid1(SALU_CYCLE_1)
	s_mul_hi_u32 s19, s18, s19
	s_add_co_i32 s18, s18, s19
	s_delay_alu instid0(SALU_CYCLE_1) | instskip(NEXT) | instid1(SALU_CYCLE_1)
	s_mul_hi_u32 s18, s16, s18
	s_mul_i32 s18, s18, s44
	s_delay_alu instid0(SALU_CYCLE_1) | instskip(NEXT) | instid1(SALU_CYCLE_1)
	s_sub_co_i32 s18, s16, s18
	s_sub_co_i32 s19, s18, s44
	s_cmp_ge_u32 s18, s44
	s_cselect_b32 s18, s19, s18
	s_delay_alu instid0(SALU_CYCLE_1)
	s_sub_co_i32 s19, s18, s44
	s_cmp_ge_u32 s18, s44
	s_cselect_b32 s24, s19, s18
	s_wait_alu 0xfffe
	s_mov_b64 s[18:19], s[24:25]
.LBB28_187:                             ;   in Loop: Header=BB28_7 Depth=1
	s_delay_alu instid0(SALU_CYCLE_1)
	s_sub_nc_u64 s[16:17], s[16:17], s[18:19]
	s_mov_b32 s18, exec_lo
                                        ; implicit-def: $vgpr5_vgpr6
	s_wait_alu 0xfffe
	v_cmpx_gt_i64_e64 s[16:17], v[0:1]
	s_cbranch_execz .LBB28_196
; %bb.188:                              ;   in Loop: Header=BB28_7 Depth=1
	v_dual_mov_b32 v11, v41 :: v_dual_mov_b32 v10, v1
	v_mov_b32_e32 v9, v0
	s_mov_b32 s19, 0
                                        ; implicit-def: $sgpr24
	s_branch .LBB28_191
.LBB28_189:                             ;   in Loop: Header=BB28_191 Depth=2
	s_wait_alu 0xfffe
	s_or_b32 exec_lo, exec_lo, s63
	s_wait_loadcnt_dscnt 0x0
	s_barrier_signal -1
	s_barrier_wait -1
	global_inv scope:SCOPE_SE
	ds_load_b128 v[3:6], v18 offset:3072
	s_mov_b32 s63, -1
	s_mov_b32 s64, -1
	s_wait_loadcnt_dscnt 0x0
	s_barrier_signal -1
	s_barrier_wait -1
	global_inv scope:SCOPE_SE
	v_cmp_eq_u64_e32 vcc_lo, 0, v[3:4]
	s_cbranch_vccnz .LBB28_194
.LBB28_190:                             ;   in Loop: Header=BB28_191 Depth=2
	s_wait_alu 0xfffe
	s_and_b32 s63, exec_lo, s63
	s_wait_alu 0xfffe
	s_or_b32 s19, s63, s19
	s_and_not1_b32 s24, s24, exec_lo
	s_and_b32 s63, s64, exec_lo
	s_wait_alu 0xfffe
	s_or_b32 s24, s24, s63
	s_and_not1_b32 exec_lo, exec_lo, s19
	s_cbranch_execz .LBB28_195
.LBB28_191:                             ;   Parent Loop BB28_7 Depth=1
                                        ; =>  This Inner Loop Header: Depth=2
	s_mov_b32 s63, exec_lo
	s_delay_alu instid0(VALU_DEP_1)
	v_cmpx_gt_u64_e64 s[14:15], v[9:10]
	s_cbranch_execz .LBB28_189
; %bb.192:                              ;   in Loop: Header=BB28_191 Depth=2
	ds_load_b64 v[4:5], v11
	s_wait_dscnt 0x0
	v_xor_b32_e32 v3, 0x80000000, v5
	v_and_b32_e32 v12, v4, v30
	s_delay_alu instid0(VALU_DEP_2) | instskip(NEXT) | instid1(VALU_DEP_1)
	v_and_b32_e32 v13, v3, v31
	v_cmp_eq_u64_e32 vcc_lo, v[12:13], v[28:29]
	s_and_b32 exec_lo, exec_lo, vcc_lo
	s_cbranch_execz .LBB28_189
; %bb.193:                              ;   in Loop: Header=BB28_191 Depth=2
	v_mov_b32_e32 v3, v18
	ds_store_b128 v18, v[2:5] offset:3072
	s_branch .LBB28_189
.LBB28_194:                             ;   in Loop: Header=BB28_191 Depth=2
	v_add_co_u32 v9, vcc_lo, v9, s44
	s_wait_alu 0xfffd
	v_add_co_ci_u32_e64 v10, null, 0, v10, vcc_lo
	v_add_nc_u32_e32 v11, s86, v11
	s_mov_b32 s64, 0
	s_delay_alu instid0(VALU_DEP_2)
	v_cmp_le_i64_e32 vcc_lo, s[16:17], v[9:10]
	s_or_not1_b32 s63, vcc_lo, exec_lo
	s_branch .LBB28_190
.LBB28_195:                             ;   in Loop: Header=BB28_7 Depth=1
	s_or_b32 exec_lo, exec_lo, s19
	s_delay_alu instid0(SALU_CYCLE_1)
	s_and_not1_b32 s5, s5, exec_lo
	s_wait_alu 0xfffe
	s_and_b32 s14, s24, exec_lo
	s_wait_alu 0xfffe
	s_or_b32 s5, s5, s14
.LBB28_196:                             ;   in Loop: Header=BB28_7 Depth=1
	s_or_b32 exec_lo, exec_lo, s18
	s_mov_b32 s18, 0
	s_mov_b32 s19, -1
.LBB28_197:                             ;   in Loop: Header=BB28_7 Depth=1
	s_wait_alu 0xfffe
	s_or_not1_b32 s5, s5, exec_lo
.LBB28_198:                             ;   in Loop: Header=BB28_7 Depth=1
	s_wait_alu 0xfffe
	s_or_b32 exec_lo, exec_lo, s62
	s_mov_b32 s14, 0
	s_and_saveexec_b32 s16, s5
	s_cbranch_execz .LBB28_256
; %bb.199:                              ;   in Loop: Header=BB28_7 Depth=1
	v_dual_mov_b32 v9, 1 :: v_dual_mov_b32 v34, 1
	v_mov_b32_e32 v10, 0
	s_xor_b32 s14, s61, -1
	s_mov_b32 s24, 0
	s_wait_alu 0xfffe
	s_and_saveexec_b32 s5, s14
	s_cbranch_execz .LBB28_208
; %bb.200:                              ;   in Loop: Header=BB28_7 Depth=1
	s_mov_b32 s14, exec_lo
	v_cmpx_ge_i64_e64 s[10:11], v[7:8]
	s_wait_alu 0xfffe
	s_xor_b32 s14, exec_lo, s14
	s_cbranch_execz .LBB28_205
; %bb.201:                              ;   in Loop: Header=BB28_7 Depth=1
	ds_load_b64 v[3:4], v18 offset:5120
	v_and_b32_e32 v9, s13, v29
	v_and_b32_e32 v10, s12, v28
	s_lshl_b64 s[12:13], 2, s87
	v_or_b32_e32 v31, s9, v31
	v_or_b32_e32 v30, s8, v30
	s_wait_alu 0xfffe
	v_or_b32_e32 v29, s13, v9
	v_or_b32_e32 v28, s12, v10
	s_wait_dscnt 0x0
	v_cmp_ne_u64_e32 vcc_lo, 0, v[3:4]
	s_cbranch_vccnz .LBB28_205
; %bb.202:                              ;   in Loop: Header=BB28_7 Depth=1
	s_and_saveexec_b32 s12, s2
; %bb.203:                              ;   in Loop: Header=BB28_7 Depth=1
	v_dual_mov_b32 v3, s10 :: v_dual_mov_b32 v4, s11
	ds_store_b64 v18, v[3:4] offset:5128
; %bb.204:                              ;   in Loop: Header=BB28_7 Depth=1
	s_wait_alu 0xfffe
	s_or_b32 exec_lo, exec_lo, s12
	s_wait_loadcnt_dscnt 0x0
	s_barrier_signal -1
	s_barrier_wait -1
	global_inv scope:SCOPE_SE
.LBB28_205:                             ;   in Loop: Header=BB28_7 Depth=1
	s_wait_alu 0xfffe
	s_or_saveexec_b32 s12, s14
	v_mov_b32_e32 v34, 8
	s_mov_b32 s13, 0
	s_wait_alu 0xfffe
	s_xor_b32 exec_lo, exec_lo, s12
; %bb.206:                              ;   in Loop: Header=BB28_7 Depth=1
	v_sub_co_u32 v7, vcc_lo, v7, s10
	s_wait_alu 0xfffd
	v_subrev_co_ci_u32_e64 v8, null, s11, v8, vcc_lo
	v_mov_b32_e32 v34, 0
	s_mov_b32 s13, exec_lo
; %bb.207:                              ;   in Loop: Header=BB28_7 Depth=1
	s_or_b32 exec_lo, exec_lo, s12
	s_delay_alu instid0(VALU_DEP_2)
	v_dual_mov_b32 v10, v8 :: v_dual_mov_b32 v9, v7
	s_wait_alu 0xfffe
	s_and_b32 s24, s13, exec_lo
.LBB28_208:                             ;   in Loop: Header=BB28_7 Depth=1
	s_wait_alu 0xfffe
	s_or_b32 exec_lo, exec_lo, s5
	s_mov_b32 s5, -1
                                        ; implicit-def: $sgpr15
                                        ; implicit-def: $sgpr14
	s_and_saveexec_b32 s17, s24
	s_cbranch_execz .LBB28_255
; %bb.209:                              ;   in Loop: Header=BB28_7 Depth=1
	v_cmp_eq_u64_e32 vcc_lo, 1, v[9:10]
	s_cmp_eq_u64 s[6:7], 1
	s_mov_b32 s10, -1
	s_cselect_b32 s5, -1, 0
                                        ; implicit-def: $sgpr15
                                        ; implicit-def: $sgpr14
	s_wait_alu 0xfffe
	s_and_b32 s61, s5, vcc_lo
	s_wait_alu 0xfffe
	s_and_saveexec_b32 s62, s61
	s_cbranch_execz .LBB28_243
; %bb.210:                              ;   in Loop: Header=BB28_7 Depth=1
	ds_load_b64 v[3:4], v18 offset:5120
	s_wait_loadcnt_dscnt 0x0
	s_barrier_signal -1
	s_barrier_wait -1
	global_inv scope:SCOPE_SE
	v_readfirstlane_b32 s10, v3
	v_readfirstlane_b32 s11, v4
	s_and_saveexec_b32 s5, s3
; %bb.211:                              ;   in Loop: Header=BB28_7 Depth=1
	v_mov_b32_e32 v17, v18
	ds_store_b64 v42, v[17:18]
; %bb.212:                              ;   in Loop: Header=BB28_7 Depth=1
	s_wait_alu 0xfffe
	s_or_b32 exec_lo, exec_lo, s5
	v_cmp_gt_i64_e64 s5, s[10:11], 0
	v_or_b32_e32 v29, s9, v29
	v_or_b32_e32 v28, s8, v28
	;; [unrolled: 1-line block ×4, first 2 shown]
	s_mov_b32 s14, -1
	s_mov_b32 s15, 0
	s_and_b32 vcc_lo, exec_lo, s5
	s_mov_b32 s5, 0
	s_mov_b32 s24, -1
	s_wait_loadcnt_dscnt 0x0
	s_barrier_signal -1
	s_barrier_wait -1
	global_inv scope:SCOPE_SE
                                        ; implicit-def: $vgpr5_vgpr6
	s_wait_alu 0xfffe
	s_cbranch_vccnz .LBB28_228
; %bb.213:                              ;   in Loop: Header=BB28_7 Depth=1
	s_mov_b32 s12, s25
	s_mov_b32 s13, s53
	s_wait_alu 0xfffe
	s_cmp_lg_u64 s[12:13], 0
	s_cbranch_scc0 .LBB28_262
; %bb.214:                              ;   in Loop: Header=BB28_7 Depth=1
	s_add_nc_u64 s[12:13], s[44:45], 0
	s_wait_alu 0xfffe
	s_xor_b64 s[12:13], s[12:13], 0
	s_wait_alu 0xfffe
	s_cvt_f32_u32 s5, s12
	s_cvt_f32_u32 s24, s13
	s_sub_nc_u64 s[66:67], 0, s[12:13]
	s_wait_alu 0xfffe
	s_delay_alu instid0(SALU_CYCLE_1) | instskip(SKIP_1) | instid1(SALU_CYCLE_2)
	s_fmamk_f32 s5, s24, 0x4f800000, s5
	s_wait_alu 0xfffe
	v_s_rcp_f32 s5, s5
	s_delay_alu instid0(TRANS32_DEP_1) | instskip(SKIP_1) | instid1(SALU_CYCLE_2)
	s_mul_f32 s5, s5, 0x5f7ffffc
	s_wait_alu 0xfffe
	s_mul_f32 s24, s5, 0x2f800000
	s_wait_alu 0xfffe
	s_delay_alu instid0(SALU_CYCLE_2) | instskip(SKIP_1) | instid1(SALU_CYCLE_2)
	s_trunc_f32 s24, s24
	s_wait_alu 0xfffe
	s_fmamk_f32 s5, s24, 0xcf800000, s5
	s_cvt_u32_f32 s65, s24
	s_wait_alu 0xfffe
	s_delay_alu instid0(SALU_CYCLE_1) | instskip(SKIP_1) | instid1(SALU_CYCLE_2)
	s_cvt_u32_f32 s64, s5
	s_wait_alu 0xfffe
	s_mul_u64 s[68:69], s[66:67], s[64:65]
	s_wait_alu 0xfffe
	s_mul_hi_u32 s71, s64, s69
	s_mul_i32 s70, s64, s69
	s_mul_hi_u32 s24, s64, s68
	s_mul_i32 s63, s65, s68
	s_wait_alu 0xfffe
	s_add_nc_u64 s[70:71], s[24:25], s[70:71]
	s_mul_hi_u32 s5, s65, s68
	s_mul_hi_u32 s72, s65, s69
	s_wait_alu 0xfffe
	s_add_co_u32 s24, s70, s63
	s_add_co_ci_u32 s24, s71, s5
	s_mul_i32 s68, s65, s69
	s_add_co_ci_u32 s69, s72, 0
	s_wait_alu 0xfffe
	s_add_nc_u64 s[68:69], s[24:25], s[68:69]
	s_wait_alu 0xfffe
	s_add_co_u32 s64, s64, s68
	s_cselect_b32 s5, -1, 0
	s_wait_alu 0xfffe
	s_cmp_lg_u32 s5, 0
	s_add_co_ci_u32 s65, s65, s69
	s_wait_alu 0xfffe
	s_mul_u64 s[66:67], s[66:67], s[64:65]
	s_wait_alu 0xfffe
	s_mul_hi_u32 s69, s64, s67
	s_mul_i32 s68, s64, s67
	s_mul_hi_u32 s24, s64, s66
	s_mul_i32 s63, s65, s66
	s_wait_alu 0xfffe
	s_add_nc_u64 s[68:69], s[24:25], s[68:69]
	s_mul_hi_u32 s5, s65, s66
	s_mul_hi_u32 s70, s65, s67
	s_wait_alu 0xfffe
	s_add_co_u32 s24, s68, s63
	s_add_co_ci_u32 s24, s69, s5
	s_mul_i32 s66, s65, s67
	s_add_co_ci_u32 s67, s70, 0
	s_wait_alu 0xfffe
	s_add_nc_u64 s[66:67], s[24:25], s[66:67]
	s_wait_alu 0xfffe
	s_add_co_u32 s5, s64, s66
	s_cselect_b32 s24, -1, 0
	s_wait_alu 0xfffe
	s_cmp_lg_u32 s24, 0
	s_add_co_ci_u32 s63, s65, s67
	s_ashr_i32 s64, s53, 31
	s_wait_alu 0xfffe
	s_mov_b32 s65, s64
	s_wait_alu 0xfffe
	s_add_nc_u64 s[66:67], s[52:53], s[64:65]
	s_wait_alu 0xfffe
	s_xor_b64 s[66:67], s[66:67], s[64:65]
	s_wait_alu 0xfffe
	s_mul_hi_u32 s69, s66, s63
	s_mul_i32 s68, s66, s63
	s_mul_hi_u32 s24, s66, s5
	s_mul_hi_u32 s72, s67, s5
	s_mul_i32 s5, s67, s5
	s_wait_alu 0xfffe
	s_add_nc_u64 s[68:69], s[24:25], s[68:69]
	s_mul_hi_u32 s71, s67, s63
	s_wait_alu 0xfffe
	s_add_co_u32 s5, s68, s5
	s_add_co_ci_u32 s24, s69, s72
	s_mul_i32 s70, s67, s63
	s_add_co_ci_u32 s71, s71, 0
	s_wait_alu 0xfffe
	s_add_nc_u64 s[68:69], s[24:25], s[70:71]
	s_wait_alu 0xfffe
	s_mul_u64 s[68:69], s[12:13], s[68:69]
	s_wait_alu 0xfffe
	s_sub_co_u32 s5, s66, s68
	s_cselect_b32 s24, -1, 0
	s_sub_co_i32 s63, s67, s69
	s_wait_alu 0xfffe
	s_cmp_lg_u32 s24, 0
	s_sub_co_ci_u32 s63, s63, s13
	s_sub_co_u32 s66, s5, s12
	s_cselect_b32 s68, -1, 0
	s_wait_alu 0xfffe
	s_cmp_lg_u32 s68, 0
	s_sub_co_ci_u32 s70, s63, 0
	s_wait_alu 0xfffe
	s_cmp_ge_u32 s70, s13
	s_cselect_b32 s71, -1, 0
	s_cmp_ge_u32 s66, s12
	s_cselect_b32 s72, -1, 0
	s_cmp_eq_u32 s70, s13
	s_wait_alu 0xfffe
	s_cselect_b32 s71, s72, s71
	s_cmp_lg_u32 s68, 0
	s_sub_co_ci_u32 s63, s63, s13
	s_sub_co_u32 s68, s66, s12
	s_cselect_b32 s72, -1, 0
	s_wait_alu 0xfffe
	s_cmp_lg_u32 s72, 0
	s_sub_co_ci_u32 s63, s63, 0
	s_cmp_lg_u32 s71, 0
	s_cselect_b32 s66, s68, s66
	s_wait_alu 0xfffe
	s_cselect_b32 s63, s63, s70
	s_cmp_lg_u32 s24, 0
	s_sub_co_ci_u32 s24, s67, s69
	s_wait_alu 0xfffe
	s_cmp_ge_u32 s24, s13
	s_cselect_b32 s67, -1, 0
	s_cmp_ge_u32 s5, s12
	s_cselect_b32 s12, -1, 0
	s_cmp_eq_u32 s24, s13
	s_wait_alu 0xfffe
	s_cselect_b32 s12, s12, s67
	s_wait_alu 0xfffe
	s_cmp_lg_u32 s12, 0
	s_cselect_b32 s13, s63, s24
	s_cselect_b32 s12, s66, s5
	s_wait_alu 0xfffe
	s_xor_b64 s[12:13], s[12:13], s[64:65]
	s_wait_alu 0xfffe
	s_sub_nc_u64 s[12:13], s[12:13], s[64:65]
	s_cbranch_execnz .LBB28_216
.LBB28_215:                             ;   in Loop: Header=BB28_7 Depth=1
	v_cvt_f32_u32_e32 v3, s44
	s_sub_co_i32 s12, 0, s44
	s_delay_alu instid0(VALU_DEP_1) | instskip(NEXT) | instid1(TRANS32_DEP_1)
	v_rcp_iflag_f32_e32 v3, v3
	v_mul_f32_e32 v3, 0x4f7ffffe, v3
	s_delay_alu instid0(VALU_DEP_1) | instskip(NEXT) | instid1(VALU_DEP_1)
	v_cvt_u32_f32_e32 v3, v3
	v_readfirstlane_b32 s5, v3
	s_wait_alu 0xfffe
	s_mul_i32 s12, s12, s5
	s_wait_alu 0xfffe
	s_mul_hi_u32 s12, s5, s12
	s_wait_alu 0xfffe
	s_add_co_i32 s5, s5, s12
	s_wait_alu 0xfffe
	s_mul_hi_u32 s5, s52, s5
	s_wait_alu 0xfffe
	s_mul_i32 s5, s5, s44
	s_wait_alu 0xfffe
	s_sub_co_i32 s5, s52, s5
	s_wait_alu 0xfffe
	s_sub_co_i32 s12, s5, s44
	s_cmp_ge_u32 s5, s44
	s_wait_alu 0xfffe
	s_cselect_b32 s5, s12, s5
	s_wait_alu 0xfffe
	s_sub_co_i32 s12, s5, s44
	s_cmp_ge_u32 s5, s44
	s_wait_alu 0xfffe
	s_cselect_b32 s24, s12, s5
	s_wait_alu 0xfffe
	s_mov_b64 s[12:13], s[24:25]
.LBB28_216:                             ;   in Loop: Header=BB28_7 Depth=1
	s_wait_alu 0xfffe
	s_sub_nc_u64 s[12:13], s[52:53], s[12:13]
	s_mov_b32 s24, 0
	s_mov_b32 s5, 0
	s_mov_b32 s63, exec_lo
                                        ; implicit-def: $vgpr5_vgpr6
	s_wait_alu 0xfffe
	v_cmpx_gt_i64_e64 s[12:13], v[0:1]
	s_cbranch_execz .LBB28_227
; %bb.217:                              ;   in Loop: Header=BB28_7 Depth=1
	v_dual_mov_b32 v7, v15 :: v_dual_mov_b32 v8, v16
	v_dual_mov_b32 v12, v1 :: v_dual_mov_b32 v11, v0
	s_mov_b32 s64, 0
                                        ; implicit-def: $sgpr65
	s_branch .LBB28_220
.LBB28_218:                             ;   in Loop: Header=BB28_220 Depth=2
	s_wait_alu 0xfffe
	s_or_b32 exec_lo, exec_lo, s5
	s_wait_loadcnt_dscnt 0x0
	s_barrier_signal -1
	s_barrier_wait -1
	global_inv scope:SCOPE_SE
	ds_load_b128 v[3:6], v18 offset:3072
	s_mov_b32 s5, -1
	s_mov_b32 s66, -1
	s_wait_loadcnt_dscnt 0x0
	s_barrier_signal -1
	s_barrier_wait -1
	global_inv scope:SCOPE_SE
	v_cmp_ne_u64_e32 vcc_lo, 0, v[3:4]
	s_cbranch_vccz .LBB28_223
.LBB28_219:                             ;   in Loop: Header=BB28_220 Depth=2
	s_wait_alu 0xfffe
	s_and_b32 s5, exec_lo, s5
	s_wait_alu 0xfffe
	s_or_b32 s64, s5, s64
	s_and_not1_b32 s5, s65, exec_lo
	s_and_b32 s65, s66, exec_lo
	s_wait_alu 0xfffe
	s_or_b32 s65, s5, s65
	s_and_not1_b32 exec_lo, exec_lo, s64
	s_cbranch_execz .LBB28_226
.LBB28_220:                             ;   Parent Loop BB28_7 Depth=1
                                        ; =>  This Inner Loop Header: Depth=2
	s_mov_b32 s5, exec_lo
	s_delay_alu instid0(VALU_DEP_1)
	v_cmpx_gt_i64_e64 s[36:37], v[11:12]
	s_cbranch_execz .LBB28_218
; %bb.221:                              ;   in Loop: Header=BB28_220 Depth=2
	global_load_b64 v[4:5], v[7:8], off
	s_wait_loadcnt 0x0
	v_xor_b32_e32 v3, 0x80000000, v5
	v_and_b32_e32 v13, v4, v30
	s_delay_alu instid0(VALU_DEP_2) | instskip(NEXT) | instid1(VALU_DEP_1)
	v_and_b32_e32 v14, v3, v31
	v_cmp_eq_u64_e32 vcc_lo, v[13:14], v[28:29]
	s_and_b32 exec_lo, exec_lo, vcc_lo
	s_cbranch_execz .LBB28_218
; %bb.222:                              ;   in Loop: Header=BB28_220 Depth=2
	v_mov_b32_e32 v3, v18
	ds_store_b128 v18, v[2:5] offset:3072
	s_branch .LBB28_218
.LBB28_223:                             ;   in Loop: Header=BB28_220 Depth=2
	v_add_co_u32 v11, vcc_lo, v11, s44
	s_wait_alu 0xfffd
	v_add_co_ci_u32_e64 v12, null, 0, v12, vcc_lo
	v_add_co_u32 v7, s5, v7, s46
	s_wait_alu 0xf1fe
	v_add_co_ci_u32_e64 v8, null, s47, v8, s5
	s_delay_alu instid0(VALU_DEP_3)
	v_cmp_le_i64_e32 vcc_lo, s[12:13], v[11:12]
	s_mov_b32 s66, 0
	s_or_not1_b32 s5, vcc_lo, exec_lo
	s_branch .LBB28_219
.LBB28_224:                             ;   in Loop: Header=BB28_7 Depth=1
                                        ; implicit-def: $sgpr16_sgpr17
	s_branch .LBB28_170
.LBB28_225:                             ;   in Loop: Header=BB28_7 Depth=1
                                        ; implicit-def: $sgpr18_sgpr19
	s_branch .LBB28_186
.LBB28_226:                             ;   in Loop: Header=BB28_7 Depth=1
	s_or_b32 exec_lo, exec_lo, s64
	s_wait_alu 0xfffe
	s_and_b32 s5, s65, exec_lo
.LBB28_227:                             ;   in Loop: Header=BB28_7 Depth=1
	s_or_b32 exec_lo, exec_lo, s63
.LBB28_228:                             ;   in Loop: Header=BB28_7 Depth=1
	s_delay_alu instid0(SALU_CYCLE_1)
	s_and_b32 vcc_lo, exec_lo, s24
	s_wait_alu 0xfffe
	s_cbranch_vccz .LBB28_242
; %bb.229:                              ;   in Loop: Header=BB28_7 Depth=1
	s_add_nc_u64 s[12:13], s[10:11], s[50:51]
	s_mov_b32 s14, s25
	s_wait_alu 0xfffe
	s_mov_b32 s15, s13
	s_wait_alu 0xfffe
	s_cmp_lg_u64 s[14:15], 0
	s_cbranch_scc0 .LBB28_263
; %bb.230:                              ;   in Loop: Header=BB28_7 Depth=1
	s_add_nc_u64 s[14:15], s[44:45], 0
	s_wait_alu 0xfffe
	s_xor_b64 s[14:15], s[14:15], 0
	s_wait_alu 0xfffe
	s_cvt_f32_u32 s24, s14
	s_cvt_f32_u32 s63, s15
	s_sub_nc_u64 s[66:67], 0, s[14:15]
	s_wait_alu 0xfffe
	s_delay_alu instid0(SALU_CYCLE_1) | instskip(SKIP_1) | instid1(SALU_CYCLE_2)
	s_fmamk_f32 s24, s63, 0x4f800000, s24
	s_wait_alu 0xfffe
	v_s_rcp_f32 s24, s24
	s_delay_alu instid0(TRANS32_DEP_1) | instskip(SKIP_1) | instid1(SALU_CYCLE_2)
	s_mul_f32 s24, s24, 0x5f7ffffc
	s_wait_alu 0xfffe
	s_mul_f32 s63, s24, 0x2f800000
	s_wait_alu 0xfffe
	s_delay_alu instid0(SALU_CYCLE_2) | instskip(SKIP_1) | instid1(SALU_CYCLE_2)
	s_trunc_f32 s63, s63
	s_wait_alu 0xfffe
	s_fmamk_f32 s24, s63, 0xcf800000, s24
	s_cvt_u32_f32 s65, s63
	s_wait_alu 0xfffe
	s_delay_alu instid0(SALU_CYCLE_1) | instskip(SKIP_1) | instid1(SALU_CYCLE_2)
	s_cvt_u32_f32 s64, s24
	s_wait_alu 0xfffe
	s_mul_u64 s[68:69], s[66:67], s[64:65]
	s_wait_alu 0xfffe
	s_mul_hi_u32 s71, s64, s69
	s_mul_i32 s70, s64, s69
	s_mul_hi_u32 s24, s64, s68
	s_mul_i32 s72, s65, s68
	s_wait_alu 0xfffe
	s_add_nc_u64 s[70:71], s[24:25], s[70:71]
	s_mul_hi_u32 s63, s65, s68
	s_mul_hi_u32 s73, s65, s69
	s_wait_alu 0xfffe
	s_add_co_u32 s24, s70, s72
	s_add_co_ci_u32 s24, s71, s63
	s_mul_i32 s68, s65, s69
	s_add_co_ci_u32 s69, s73, 0
	s_wait_alu 0xfffe
	s_add_nc_u64 s[68:69], s[24:25], s[68:69]
	s_wait_alu 0xfffe
	s_add_co_u32 s64, s64, s68
	s_cselect_b32 s24, -1, 0
	s_wait_alu 0xfffe
	s_cmp_lg_u32 s24, 0
	s_add_co_ci_u32 s65, s65, s69
	s_wait_alu 0xfffe
	s_mul_u64 s[66:67], s[66:67], s[64:65]
	s_wait_alu 0xfffe
	s_mul_hi_u32 s69, s64, s67
	s_mul_i32 s68, s64, s67
	s_mul_hi_u32 s24, s64, s66
	s_mul_i32 s70, s65, s66
	s_wait_alu 0xfffe
	s_add_nc_u64 s[68:69], s[24:25], s[68:69]
	s_mul_hi_u32 s63, s65, s66
	s_mul_hi_u32 s71, s65, s67
	s_wait_alu 0xfffe
	s_add_co_u32 s24, s68, s70
	s_add_co_ci_u32 s24, s69, s63
	s_mul_i32 s66, s65, s67
	s_add_co_ci_u32 s67, s71, 0
	s_wait_alu 0xfffe
	s_add_nc_u64 s[66:67], s[24:25], s[66:67]
	s_wait_alu 0xfffe
	s_add_co_u32 s63, s64, s66
	s_cselect_b32 s24, -1, 0
	s_wait_alu 0xfffe
	s_cmp_lg_u32 s24, 0
	s_add_co_ci_u32 s70, s65, s67
	s_ashr_i32 s64, s13, 31
	s_wait_alu 0xfffe
	s_mov_b32 s65, s64
	s_wait_alu 0xfffe
	s_add_nc_u64 s[66:67], s[12:13], s[64:65]
	s_wait_alu 0xfffe
	s_xor_b64 s[66:67], s[66:67], s[64:65]
	s_wait_alu 0xfffe
	s_mul_hi_u32 s69, s66, s70
	s_mul_i32 s68, s66, s70
	s_mul_hi_u32 s24, s66, s63
	s_mul_hi_u32 s72, s67, s63
	s_mul_i32 s63, s67, s63
	s_wait_alu 0xfffe
	s_add_nc_u64 s[68:69], s[24:25], s[68:69]
	s_mul_hi_u32 s71, s67, s70
	s_wait_alu 0xfffe
	s_add_co_u32 s24, s68, s63
	s_add_co_ci_u32 s24, s69, s72
	s_mul_i32 s70, s67, s70
	s_add_co_ci_u32 s71, s71, 0
	s_wait_alu 0xfffe
	s_add_nc_u64 s[68:69], s[24:25], s[70:71]
	s_wait_alu 0xfffe
	s_mul_u64 s[68:69], s[14:15], s[68:69]
	s_wait_alu 0xfffe
	s_sub_co_u32 s24, s66, s68
	s_cselect_b32 s63, -1, 0
	s_sub_co_i32 s66, s67, s69
	s_wait_alu 0xfffe
	s_cmp_lg_u32 s63, 0
	s_sub_co_ci_u32 s66, s66, s15
	s_sub_co_u32 s68, s24, s14
	s_cselect_b32 s70, -1, 0
	s_wait_alu 0xfffe
	s_cmp_lg_u32 s70, 0
	s_sub_co_ci_u32 s71, s66, 0
	s_wait_alu 0xfffe
	s_cmp_ge_u32 s71, s15
	s_cselect_b32 s72, -1, 0
	s_cmp_ge_u32 s68, s14
	s_cselect_b32 s73, -1, 0
	s_cmp_eq_u32 s71, s15
	s_wait_alu 0xfffe
	s_cselect_b32 s72, s73, s72
	s_cmp_lg_u32 s70, 0
	s_sub_co_ci_u32 s66, s66, s15
	s_sub_co_u32 s70, s68, s14
	s_cselect_b32 s73, -1, 0
	s_wait_alu 0xfffe
	s_cmp_lg_u32 s73, 0
	s_sub_co_ci_u32 s66, s66, 0
	s_cmp_lg_u32 s72, 0
	s_cselect_b32 s68, s70, s68
	s_wait_alu 0xfffe
	s_cselect_b32 s66, s66, s71
	s_cmp_lg_u32 s63, 0
	s_sub_co_ci_u32 s63, s67, s69
	s_wait_alu 0xfffe
	s_cmp_ge_u32 s63, s15
	s_cselect_b32 s67, -1, 0
	s_cmp_ge_u32 s24, s14
	s_cselect_b32 s14, -1, 0
	s_cmp_eq_u32 s63, s15
	s_wait_alu 0xfffe
	s_cselect_b32 s14, s14, s67
	s_wait_alu 0xfffe
	s_cmp_lg_u32 s14, 0
	s_cselect_b32 s15, s66, s63
	s_cselect_b32 s14, s68, s24
	s_wait_alu 0xfffe
	s_xor_b64 s[14:15], s[14:15], s[64:65]
	s_wait_alu 0xfffe
	s_sub_nc_u64 s[14:15], s[14:15], s[64:65]
	s_cbranch_execnz .LBB28_232
.LBB28_231:                             ;   in Loop: Header=BB28_7 Depth=1
	v_cvt_f32_u32_e32 v3, s44
	s_sub_co_i32 s15, 0, s44
	s_delay_alu instid0(VALU_DEP_1) | instskip(NEXT) | instid1(TRANS32_DEP_1)
	v_rcp_iflag_f32_e32 v3, v3
	v_mul_f32_e32 v3, 0x4f7ffffe, v3
	s_delay_alu instid0(VALU_DEP_1) | instskip(NEXT) | instid1(VALU_DEP_1)
	v_cvt_u32_f32_e32 v3, v3
	v_readfirstlane_b32 s14, v3
	s_wait_alu 0xfffe
	s_mul_i32 s15, s15, s14
	s_wait_alu 0xfffe
	s_mul_hi_u32 s15, s14, s15
	s_wait_alu 0xfffe
	s_add_co_i32 s14, s14, s15
	s_wait_alu 0xfffe
	s_mul_hi_u32 s14, s12, s14
	s_wait_alu 0xfffe
	s_mul_i32 s14, s14, s44
	s_wait_alu 0xfffe
	s_sub_co_i32 s14, s12, s14
	s_wait_alu 0xfffe
	s_sub_co_i32 s15, s14, s44
	s_cmp_ge_u32 s14, s44
	s_wait_alu 0xfffe
	s_cselect_b32 s14, s15, s14
	s_wait_alu 0xfffe
	s_sub_co_i32 s15, s14, s44
	s_cmp_ge_u32 s14, s44
	s_wait_alu 0xfffe
	s_cselect_b32 s24, s15, s14
	s_wait_alu 0xfffe
	s_mov_b64 s[14:15], s[24:25]
.LBB28_232:                             ;   in Loop: Header=BB28_7 Depth=1
	s_wait_alu 0xfffe
	s_sub_nc_u64 s[12:13], s[12:13], s[14:15]
	s_mov_b32 s14, exec_lo
                                        ; implicit-def: $vgpr5_vgpr6
	s_wait_alu 0xfffe
	v_cmpx_gt_i64_e64 s[12:13], v[0:1]
	s_cbranch_execz .LBB28_241
; %bb.233:                              ;   in Loop: Header=BB28_7 Depth=1
	v_dual_mov_b32 v11, v41 :: v_dual_mov_b32 v8, v1
	v_mov_b32_e32 v7, v0
	s_mov_b32 s15, 0
                                        ; implicit-def: $sgpr24
	s_branch .LBB28_236
.LBB28_234:                             ;   in Loop: Header=BB28_236 Depth=2
	s_wait_alu 0xfffe
	s_or_b32 exec_lo, exec_lo, s63
	s_wait_loadcnt_dscnt 0x0
	s_barrier_signal -1
	s_barrier_wait -1
	global_inv scope:SCOPE_SE
	ds_load_b128 v[3:6], v18 offset:3072
	s_mov_b32 s63, -1
	s_mov_b32 s64, -1
	s_wait_loadcnt_dscnt 0x0
	s_barrier_signal -1
	s_barrier_wait -1
	global_inv scope:SCOPE_SE
	v_cmp_eq_u64_e32 vcc_lo, 0, v[3:4]
	s_cbranch_vccnz .LBB28_239
.LBB28_235:                             ;   in Loop: Header=BB28_236 Depth=2
	s_wait_alu 0xfffe
	s_and_b32 s63, exec_lo, s63
	s_wait_alu 0xfffe
	s_or_b32 s15, s63, s15
	s_and_not1_b32 s24, s24, exec_lo
	s_and_b32 s63, s64, exec_lo
	s_wait_alu 0xfffe
	s_or_b32 s24, s24, s63
	s_and_not1_b32 exec_lo, exec_lo, s15
	s_cbranch_execz .LBB28_240
.LBB28_236:                             ;   Parent Loop BB28_7 Depth=1
                                        ; =>  This Inner Loop Header: Depth=2
	s_mov_b32 s63, exec_lo
	s_delay_alu instid0(VALU_DEP_1)
	v_cmpx_gt_u64_e64 s[10:11], v[7:8]
	s_cbranch_execz .LBB28_234
; %bb.237:                              ;   in Loop: Header=BB28_236 Depth=2
	ds_load_b64 v[4:5], v11
	s_wait_dscnt 0x0
	v_xor_b32_e32 v3, 0x80000000, v5
	v_and_b32_e32 v12, v4, v30
	s_delay_alu instid0(VALU_DEP_2) | instskip(NEXT) | instid1(VALU_DEP_1)
	v_and_b32_e32 v13, v3, v31
	v_cmp_eq_u64_e32 vcc_lo, v[12:13], v[28:29]
	s_and_b32 exec_lo, exec_lo, vcc_lo
	s_cbranch_execz .LBB28_234
; %bb.238:                              ;   in Loop: Header=BB28_236 Depth=2
	v_mov_b32_e32 v3, v18
	ds_store_b128 v18, v[2:5] offset:3072
	s_branch .LBB28_234
.LBB28_239:                             ;   in Loop: Header=BB28_236 Depth=2
	v_add_co_u32 v7, vcc_lo, v7, s44
	s_wait_alu 0xfffd
	v_add_co_ci_u32_e64 v8, null, 0, v8, vcc_lo
	v_add_nc_u32_e32 v11, s86, v11
	s_mov_b32 s64, 0
	s_delay_alu instid0(VALU_DEP_2)
	v_cmp_le_i64_e32 vcc_lo, s[12:13], v[7:8]
	s_or_not1_b32 s63, vcc_lo, exec_lo
	s_branch .LBB28_235
.LBB28_240:                             ;   in Loop: Header=BB28_7 Depth=1
	s_or_b32 exec_lo, exec_lo, s15
	s_delay_alu instid0(SALU_CYCLE_1)
	s_and_not1_b32 s5, s5, exec_lo
	s_wait_alu 0xfffe
	s_and_b32 s10, s24, exec_lo
	s_wait_alu 0xfffe
	s_or_b32 s5, s5, s10
.LBB28_241:                             ;   in Loop: Header=BB28_7 Depth=1
	s_or_b32 exec_lo, exec_lo, s14
	s_mov_b32 s14, 0
	s_mov_b32 s15, -1
.LBB28_242:                             ;   in Loop: Header=BB28_7 Depth=1
	s_wait_alu 0xfffe
	s_or_not1_b32 s10, s5, exec_lo
.LBB28_243:                             ;   in Loop: Header=BB28_7 Depth=1
	s_wait_alu 0xfffe
	s_or_b32 exec_lo, exec_lo, s62
	s_mov_b32 s11, 0
	s_and_saveexec_b32 s5, s10
	s_cbranch_execz .LBB28_254
; %bb.244:                              ;   in Loop: Header=BB28_7 Depth=1
	v_dual_mov_b32 v3, 1 :: v_dual_mov_b32 v34, 1
	v_mov_b32_e32 v4, 0
	s_xor_b32 s11, s61, -1
	s_wait_alu 0xfffe
	s_and_saveexec_b32 s10, s11
	s_cbranch_execz .LBB28_253
; %bb.245:                              ;   in Loop: Header=BB28_7 Depth=1
	s_mov_b32 s11, exec_lo
	v_cmpx_ge_i64_e64 s[6:7], v[9:10]
	s_wait_alu 0xfffe
	s_xor_b32 s11, exec_lo, s11
	s_cbranch_execz .LBB28_250
; %bb.246:                              ;   in Loop: Header=BB28_7 Depth=1
	ds_load_b64 v[3:4], v18 offset:5120
	v_or_b32_e32 v29, s9, v29
	v_or_b32_e32 v28, s8, v28
	;; [unrolled: 1-line block ×4, first 2 shown]
	s_wait_dscnt 0x0
	v_cmp_ne_u64_e32 vcc_lo, 0, v[3:4]
	s_cbranch_vccnz .LBB28_250
; %bb.247:                              ;   in Loop: Header=BB28_7 Depth=1
	s_and_saveexec_b32 s8, s2
; %bb.248:                              ;   in Loop: Header=BB28_7 Depth=1
	v_dual_mov_b32 v3, s6 :: v_dual_mov_b32 v4, s7
	ds_store_b64 v18, v[3:4] offset:5128
; %bb.249:                              ;   in Loop: Header=BB28_7 Depth=1
	s_wait_alu 0xfffe
	s_or_b32 exec_lo, exec_lo, s8
	s_wait_loadcnt_dscnt 0x0
	s_barrier_signal -1
	s_barrier_wait -1
	global_inv scope:SCOPE_SE
.LBB28_250:                             ;   in Loop: Header=BB28_7 Depth=1
	s_wait_alu 0xfffe
	s_and_not1_saveexec_b32 s8, s11
; %bb.251:                              ;   in Loop: Header=BB28_7 Depth=1
	v_sub_co_u32 v9, vcc_lo, v9, s6
	s_wait_alu 0xfffd
	v_subrev_co_ci_u32_e64 v10, null, s7, v10, vcc_lo
; %bb.252:                              ;   in Loop: Header=BB28_7 Depth=1
	s_wait_alu 0xfffe
	s_or_b32 exec_lo, exec_lo, s8
	v_dual_mov_b32 v34, 8 :: v_dual_mov_b32 v3, v9
	s_delay_alu instid0(VALU_DEP_2)
	v_mov_b32_e32 v4, v10
.LBB28_253:                             ;   in Loop: Header=BB28_7 Depth=1
	s_wait_alu 0xfffe
	s_or_b32 exec_lo, exec_lo, s10
	s_delay_alu instid0(VALU_DEP_1)
	v_dual_mov_b32 v10, v4 :: v_dual_mov_b32 v9, v3
	s_mov_b32 s11, exec_lo
.LBB28_254:                             ;   in Loop: Header=BB28_7 Depth=1
	s_wait_alu 0xfffe
	s_or_b32 exec_lo, exec_lo, s5
	s_delay_alu instid0(SALU_CYCLE_1)
	s_or_not1_b32 s5, s11, exec_lo
.LBB28_255:                             ;   in Loop: Header=BB28_7 Depth=1
	s_wait_alu 0xfffe
	s_or_b32 exec_lo, exec_lo, s17
	v_dual_mov_b32 v7, v9 :: v_dual_mov_b32 v8, v10
	s_and_not1_b32 s6, s19, exec_lo
	s_and_b32 s7, s15, exec_lo
	s_and_not1_b32 s8, s18, exec_lo
	s_and_b32 s9, s14, exec_lo
	s_wait_alu 0xfffe
	s_or_b32 s19, s6, s7
	s_or_b32 s18, s8, s9
	s_and_b32 s14, s5, exec_lo
.LBB28_256:                             ;   in Loop: Header=BB28_7 Depth=1
	s_wait_alu 0xfffe
	s_or_b32 exec_lo, exec_lo, s16
	s_delay_alu instid0(SALU_CYCLE_1)
	s_or_not1_b32 s5, s14, exec_lo
.LBB28_257:                             ;   in Loop: Header=BB28_7 Depth=1
	s_wait_alu 0xfffe
	s_or_b32 exec_lo, exec_lo, s60
	v_dual_mov_b32 v12, v8 :: v_dual_mov_b32 v11, v7
	s_and_not1_b32 s6, s58, exec_lo
	s_and_b32 s7, s19, exec_lo
	s_and_not1_b32 s8, s23, exec_lo
	s_and_b32 s9, s18, exec_lo
	s_wait_alu 0xfffe
	s_or_b32 s58, s6, s7
	s_or_b32 s23, s8, s9
	s_and_b32 s14, s5, exec_lo
.LBB28_258:                             ;   in Loop: Header=BB28_7 Depth=1
	s_wait_alu 0xfffe
	s_or_b32 exec_lo, exec_lo, s59
	s_delay_alu instid0(SALU_CYCLE_1)
	s_or_not1_b32 s5, s14, exec_lo
.LBB28_259:                             ;   in Loop: Header=BB28_7 Depth=1
	s_wait_alu 0xfffe
	s_or_b32 exec_lo, exec_lo, s22
	s_mov_b32 s6, 0
	s_and_saveexec_b32 s7, s5
	s_wait_alu 0xfffe
	s_xor_b32 s5, exec_lo, s7
	s_cbranch_execz .LBB28_5
; %bb.260:                              ;   in Loop: Header=BB28_7 Depth=1
	v_and_b32_e32 v3, 7, v34
	s_mov_b32 s7, -1
	s_mov_b32 s6, -1
	s_mov_b32 s8, exec_lo
	s_delay_alu instid0(VALU_DEP_1)
	v_cmpx_eq_u32_e32 0, v3
	s_cbranch_execz .LBB28_4
; %bb.261:                              ;   in Loop: Header=BB28_7 Depth=1
	s_xor_b32 s89, s89, 1
	s_add_co_i32 s9, s87, -2
	s_cmp_eq_u32 s87, 0
	s_wait_alu 0xfffe
	s_mov_b32 s87, s9
	s_cselect_b32 s7, -1, 0
	s_xor_b32 s6, exec_lo, -1
	s_wait_alu 0xfffe
	s_or_not1_b32 s7, s7, exec_lo
	s_branch .LBB28_4
.LBB28_262:                             ;   in Loop: Header=BB28_7 Depth=1
                                        ; implicit-def: $sgpr12_sgpr13
	s_branch .LBB28_215
.LBB28_263:                             ;   in Loop: Header=BB28_7 Depth=1
                                        ; implicit-def: $sgpr14_sgpr15
	s_branch .LBB28_231
.LBB28_264:
	s_or_b32 exec_lo, exec_lo, s88
	s_xor_b32 s5, s95, -1
	s_xor_b32 s1, s93, -1
	;; [unrolled: 1-line block ×3, first 2 shown]
	s_mov_b32 s3, 0
	s_and_saveexec_b32 s6, s1
	s_wait_alu 0xfffe
	s_xor_b32 s1, exec_lo, s6
	s_cbranch_execnz .LBB28_269
; %bb.265:
	s_and_not1_saveexec_b32 s0, s1
	s_cbranch_execnz .LBB28_291
.LBB28_266:
	s_wait_alu 0xfffe
	s_or_b32 exec_lo, exec_lo, s0
	s_and_saveexec_b32 s0, s3
.LBB28_267:
	; divergent unreachable
.LBB28_268:
	s_endpgm
.LBB28_269:
	s_and_saveexec_b32 s3, s5
	s_delay_alu instid0(SALU_CYCLE_1)
	s_xor_b32 s3, exec_lo, s3
	s_cbranch_execz .LBB28_289
; %bb.270:
	s_and_saveexec_b32 s5, s4
	s_wait_alu 0xfffe
	s_xor_b32 s4, exec_lo, s5
; %bb.271:
	v_xor_b32_e32 v29, 0x80000000, v29
	s_delay_alu instid0(VALU_DEP_1)
	v_dual_mov_b32 v5, v28 :: v_dual_mov_b32 v6, v29
; %bb.272:
	s_wait_alu 0xfffe
	s_or_b32 exec_lo, exec_lo, s4
	s_and_saveexec_b32 s4, s2
; %bb.273:
	v_dual_mov_b32 v2, 0 :: v_dual_mov_b32 v3, s36
	ds_store_b32 v2, v3 offset:5140
; %bb.274:
	s_wait_alu 0xfffe
	s_or_b32 exec_lo, exec_lo, s4
	s_wait_loadcnt_dscnt 0x0
	s_barrier_signal -1
	s_barrier_wait -1
	global_inv scope:SCOPE_SE
	s_and_saveexec_b32 s4, s0
	s_cbranch_execz .LBB28_286
; %bb.275:
	v_mov_b32_e32 v2, 0
	s_mov_b32 s5, 0
                                        ; implicit-def: $sgpr6
                                        ; implicit-def: $sgpr7
                                        ; implicit-def: $sgpr8
	ds_load_b32 v7, v2 offset:5140
	s_wait_dscnt 0x0
	v_ashrrev_i32_e32 v8, 31, v7
	s_branch .LBB28_278
.LBB28_276:                             ;   in Loop: Header=BB28_278 Depth=1
	s_wait_alu 0xfffe
	s_or_b32 exec_lo, exec_lo, s11
	s_delay_alu instid0(SALU_CYCLE_1)
	s_and_not1_b32 s8, s8, exec_lo
	s_and_b32 s10, s10, exec_lo
	s_and_not1_b32 s7, s7, exec_lo
	s_and_b32 s0, s0, exec_lo
	s_wait_alu 0xfffe
	s_or_b32 s8, s8, s10
	s_or_b32 s7, s7, s0
.LBB28_277:                             ;   in Loop: Header=BB28_278 Depth=1
	s_wait_alu 0xfffe
	s_or_b32 exec_lo, exec_lo, s9
	s_delay_alu instid0(SALU_CYCLE_1)
	s_and_b32 s0, exec_lo, s7
	s_wait_alu 0xfffe
	s_or_b32 s5, s0, s5
	s_and_not1_b32 s0, s6, exec_lo
	s_and_b32 s6, s8, exec_lo
	s_wait_alu 0xfffe
	s_or_b32 s6, s0, s6
	s_and_not1_b32 exec_lo, exec_lo, s5
	s_cbranch_execz .LBB28_281
.LBB28_278:                             ; =>This Inner Loop Header: Depth=1
	v_dual_mov_b32 v3, v1 :: v_dual_mov_b32 v2, v0
	s_or_b32 s8, s8, exec_lo
	s_or_b32 s7, s7, exec_lo
	s_mov_b32 s9, exec_lo
                                        ; implicit-def: $vgpr0_vgpr1
	s_delay_alu instid0(VALU_DEP_1)
	v_cmpx_lt_i64_e64 v[2:3], v[7:8]
	s_cbranch_execz .LBB28_277
; %bb.279:                              ;   in Loop: Header=BB28_278 Depth=1
	global_load_b64 v[0:1], v[15:16], off
	s_mov_b32 s0, -1
	s_mov_b32 s10, 0
	s_wait_loadcnt 0x0
	v_cmp_ne_u64_e32 vcc_lo, v[0:1], v[5:6]
                                        ; implicit-def: $vgpr0_vgpr1
	s_and_saveexec_b32 s11, vcc_lo
	s_cbranch_execz .LBB28_276
; %bb.280:                              ;   in Loop: Header=BB28_278 Depth=1
	v_add_co_u32 v0, vcc_lo, v2, s44
	s_wait_alu 0xfffd
	v_add_co_ci_u32_e64 v1, null, 0, v3, vcc_lo
	v_add_co_u32 v15, s0, v15, s46
	s_wait_alu 0xf1fe
	v_add_co_ci_u32_e64 v16, null, s47, v16, s0
	s_delay_alu instid0(VALU_DEP_3)
	v_cmp_le_i64_e32 vcc_lo, s[36:37], v[0:1]
	s_mov_b32 s10, exec_lo
	s_or_not1_b32 s0, vcc_lo, exec_lo
	s_branch .LBB28_276
.LBB28_281:
	s_or_b32 exec_lo, exec_lo, s5
	s_wait_alu 0xfffe
	s_xor_b32 s0, s6, -1
	s_wait_alu 0xfffe
	s_and_saveexec_b32 s5, s0
	s_wait_alu 0xfffe
	s_xor_b32 s5, exec_lo, s5
	s_cbranch_execz .LBB28_286
; %bb.282:
	s_mov_b32 s5, exec_lo
	s_brev_b32 s0, -2
.LBB28_283:                             ; =>This Inner Loop Header: Depth=1
	s_wait_alu 0xfffe
	s_ctz_i32_b32 s6, s5
	s_wait_alu 0xfffe
	v_readlane_b32 s7, v2, s6
	s_lshl_b32 s6, 1, s6
	s_wait_alu 0xfffe
	s_and_not1_b32 s5, s5, s6
	s_min_i32 s0, s0, s7
	s_wait_alu 0xfffe
	s_cmp_lg_u32 s5, 0
	s_cbranch_scc1 .LBB28_283
; %bb.284:
	v_mbcnt_lo_u32_b32 v0, exec_lo, 0
	s_mov_b32 s5, exec_lo
	s_delay_alu instid0(VALU_DEP_1)
	v_cmpx_eq_u32_e32 0, v0
	s_wait_alu 0xfffe
	s_xor_b32 s5, exec_lo, s5
; %bb.285:
	v_dual_mov_b32 v0, 0 :: v_dual_mov_b32 v1, s0
	ds_min_i32 v0, v1 offset:5140
.LBB28_286:
	s_wait_alu 0xfffe
	s_or_b32 exec_lo, exec_lo, s4
	s_wait_loadcnt_dscnt 0x0
	s_barrier_signal -1
	s_barrier_wait -1
	global_inv scope:SCOPE_SE
	s_and_saveexec_b32 s0, s2
	s_cbranch_execz .LBB28_288
; %bb.287:
	v_mov_b32_e32 v2, 0
	s_mul_u64 s[6:7], s[34:35], s[26:27]
	s_mul_u64 s[4:5], s[40:41], s[26:27]
	s_wait_alu 0xfffe
	s_lshl_b64 s[6:7], s[6:7], 3
	s_lshl_b64 s[4:5], s[4:5], 3
	ds_load_b32 v0, v2 offset:5140
	s_wait_alu 0xfffe
	s_add_nc_u64 s[6:7], s[28:29], s[6:7]
	s_add_nc_u64 s[4:5], s[30:31], s[4:5]
	s_wait_dscnt 0x0
	v_ashrrev_i32_e32 v1, 31, v0
	s_clause 0x1
	global_store_b64 v2, v[0:1], s[6:7]
	global_store_b64 v2, v[5:6], s[4:5]
.LBB28_288:
	s_wait_alu 0xfffe
	s_or_b32 exec_lo, exec_lo, s0
.LBB28_289:
	s_or_saveexec_b32 s0, s3
	s_mov_b32 s2, 0
	s_wait_alu 0xfffe
	s_xor_b32 exec_lo, exec_lo, s0
	s_cbranch_execnz .LBB28_292
.LBB28_290:
	s_or_b32 exec_lo, exec_lo, s0
	s_delay_alu instid0(SALU_CYCLE_1)
	s_and_b32 s3, s2, exec_lo
	s_and_not1_saveexec_b32 s0, s1
	s_cbranch_execz .LBB28_266
.LBB28_291:
	s_or_b32 s3, s3, exec_lo
	s_trap 2
	s_wait_alu 0xfffe
	s_or_b32 exec_lo, exec_lo, s0
	s_and_saveexec_b32 s0, s3
	s_cbranch_execnz .LBB28_267
	s_branch .LBB28_268
.LBB28_292:
	s_mov_b32 s2, exec_lo
	s_trap 2
	s_branch .LBB28_290
	.section	.rodata,"a",@progbits
	.p2align	6, 0x0
	.amdhsa_kernel _ZN2at6native12_GLOBAL__N_114gatherKthValueIllLi1EEEvNS_4cuda6detail10TensorInfoIKT_T0_EES8_S8_S8_S8_NS5_IS6_S8_EENS5_IlS8_EE
		.amdhsa_group_segment_fixed_size 5144
		.amdhsa_private_segment_fixed_size 0
		.amdhsa_kernarg_size 1536
		.amdhsa_user_sgpr_count 2
		.amdhsa_user_sgpr_dispatch_ptr 0
		.amdhsa_user_sgpr_queue_ptr 0
		.amdhsa_user_sgpr_kernarg_segment_ptr 1
		.amdhsa_user_sgpr_dispatch_id 0
		.amdhsa_user_sgpr_private_segment_size 0
		.amdhsa_wavefront_size32 1
		.amdhsa_uses_dynamic_stack 0
		.amdhsa_enable_private_segment 0
		.amdhsa_system_sgpr_workgroup_id_x 1
		.amdhsa_system_sgpr_workgroup_id_y 1
		.amdhsa_system_sgpr_workgroup_id_z 1
		.amdhsa_system_sgpr_workgroup_info 0
		.amdhsa_system_vgpr_workitem_id 0
		.amdhsa_next_free_vgpr 63
		.amdhsa_next_free_sgpr 96
		.amdhsa_reserve_vcc 1
		.amdhsa_float_round_mode_32 0
		.amdhsa_float_round_mode_16_64 0
		.amdhsa_float_denorm_mode_32 3
		.amdhsa_float_denorm_mode_16_64 3
		.amdhsa_fp16_overflow 0
		.amdhsa_workgroup_processor_mode 1
		.amdhsa_memory_ordered 1
		.amdhsa_forward_progress 1
		.amdhsa_inst_pref_size 146
		.amdhsa_round_robin_scheduling 0
		.amdhsa_exception_fp_ieee_invalid_op 0
		.amdhsa_exception_fp_denorm_src 0
		.amdhsa_exception_fp_ieee_div_zero 0
		.amdhsa_exception_fp_ieee_overflow 0
		.amdhsa_exception_fp_ieee_underflow 0
		.amdhsa_exception_fp_ieee_inexact 0
		.amdhsa_exception_int_div_zero 0
	.end_amdhsa_kernel
	.section	.text._ZN2at6native12_GLOBAL__N_114gatherKthValueIllLi1EEEvNS_4cuda6detail10TensorInfoIKT_T0_EES8_S8_S8_S8_NS5_IS6_S8_EENS5_IlS8_EE,"axG",@progbits,_ZN2at6native12_GLOBAL__N_114gatherKthValueIllLi1EEEvNS_4cuda6detail10TensorInfoIKT_T0_EES8_S8_S8_S8_NS5_IS6_S8_EENS5_IlS8_EE,comdat
.Lfunc_end28:
	.size	_ZN2at6native12_GLOBAL__N_114gatherKthValueIllLi1EEEvNS_4cuda6detail10TensorInfoIKT_T0_EES8_S8_S8_S8_NS5_IS6_S8_EENS5_IlS8_EE, .Lfunc_end28-_ZN2at6native12_GLOBAL__N_114gatherKthValueIllLi1EEEvNS_4cuda6detail10TensorInfoIKT_T0_EES8_S8_S8_S8_NS5_IS6_S8_EENS5_IlS8_EE
                                        ; -- End function
	.set _ZN2at6native12_GLOBAL__N_114gatherKthValueIllLi1EEEvNS_4cuda6detail10TensorInfoIKT_T0_EES8_S8_S8_S8_NS5_IS6_S8_EENS5_IlS8_EE.num_vgpr, 63
	.set _ZN2at6native12_GLOBAL__N_114gatherKthValueIllLi1EEEvNS_4cuda6detail10TensorInfoIKT_T0_EES8_S8_S8_S8_NS5_IS6_S8_EENS5_IlS8_EE.num_agpr, 0
	.set _ZN2at6native12_GLOBAL__N_114gatherKthValueIllLi1EEEvNS_4cuda6detail10TensorInfoIKT_T0_EES8_S8_S8_S8_NS5_IS6_S8_EENS5_IlS8_EE.numbered_sgpr, 96
	.set _ZN2at6native12_GLOBAL__N_114gatherKthValueIllLi1EEEvNS_4cuda6detail10TensorInfoIKT_T0_EES8_S8_S8_S8_NS5_IS6_S8_EENS5_IlS8_EE.num_named_barrier, 0
	.set _ZN2at6native12_GLOBAL__N_114gatherKthValueIllLi1EEEvNS_4cuda6detail10TensorInfoIKT_T0_EES8_S8_S8_S8_NS5_IS6_S8_EENS5_IlS8_EE.private_seg_size, 0
	.set _ZN2at6native12_GLOBAL__N_114gatherKthValueIllLi1EEEvNS_4cuda6detail10TensorInfoIKT_T0_EES8_S8_S8_S8_NS5_IS6_S8_EENS5_IlS8_EE.uses_vcc, 1
	.set _ZN2at6native12_GLOBAL__N_114gatherKthValueIllLi1EEEvNS_4cuda6detail10TensorInfoIKT_T0_EES8_S8_S8_S8_NS5_IS6_S8_EENS5_IlS8_EE.uses_flat_scratch, 0
	.set _ZN2at6native12_GLOBAL__N_114gatherKthValueIllLi1EEEvNS_4cuda6detail10TensorInfoIKT_T0_EES8_S8_S8_S8_NS5_IS6_S8_EENS5_IlS8_EE.has_dyn_sized_stack, 0
	.set _ZN2at6native12_GLOBAL__N_114gatherKthValueIllLi1EEEvNS_4cuda6detail10TensorInfoIKT_T0_EES8_S8_S8_S8_NS5_IS6_S8_EENS5_IlS8_EE.has_recursion, 0
	.set _ZN2at6native12_GLOBAL__N_114gatherKthValueIllLi1EEEvNS_4cuda6detail10TensorInfoIKT_T0_EES8_S8_S8_S8_NS5_IS6_S8_EENS5_IlS8_EE.has_indirect_call, 0
	.section	.AMDGPU.csdata,"",@progbits
; Kernel info:
; codeLenInByte = 18588
; TotalNumSgprs: 98
; NumVgprs: 63
; ScratchSize: 0
; MemoryBound: 0
; FloatMode: 240
; IeeeMode: 1
; LDSByteSize: 5144 bytes/workgroup (compile time only)
; SGPRBlocks: 0
; VGPRBlocks: 7
; NumSGPRsForWavesPerEU: 98
; NumVGPRsForWavesPerEU: 63
; Occupancy: 16
; WaveLimiterHint : 1
; COMPUTE_PGM_RSRC2:SCRATCH_EN: 0
; COMPUTE_PGM_RSRC2:USER_SGPR: 2
; COMPUTE_PGM_RSRC2:TRAP_HANDLER: 0
; COMPUTE_PGM_RSRC2:TGID_X_EN: 1
; COMPUTE_PGM_RSRC2:TGID_Y_EN: 1
; COMPUTE_PGM_RSRC2:TGID_Z_EN: 1
; COMPUTE_PGM_RSRC2:TIDIG_COMP_CNT: 0
	.section	.text._ZN2at6native12_GLOBAL__N_114gatherKthValueIllLi2EEEvNS_4cuda6detail10TensorInfoIKT_T0_EES8_S8_S8_S8_NS5_IS6_S8_EENS5_IlS8_EE,"axG",@progbits,_ZN2at6native12_GLOBAL__N_114gatherKthValueIllLi2EEEvNS_4cuda6detail10TensorInfoIKT_T0_EES8_S8_S8_S8_NS5_IS6_S8_EENS5_IlS8_EE,comdat
	.globl	_ZN2at6native12_GLOBAL__N_114gatherKthValueIllLi2EEEvNS_4cuda6detail10TensorInfoIKT_T0_EES8_S8_S8_S8_NS5_IS6_S8_EENS5_IlS8_EE ; -- Begin function _ZN2at6native12_GLOBAL__N_114gatherKthValueIllLi2EEEvNS_4cuda6detail10TensorInfoIKT_T0_EES8_S8_S8_S8_NS5_IS6_S8_EENS5_IlS8_EE
	.p2align	8
	.type	_ZN2at6native12_GLOBAL__N_114gatherKthValueIllLi2EEEvNS_4cuda6detail10TensorInfoIKT_T0_EES8_S8_S8_S8_NS5_IS6_S8_EENS5_IlS8_EE,@function
_ZN2at6native12_GLOBAL__N_114gatherKthValueIllLi2EEEvNS_4cuda6detail10TensorInfoIKT_T0_EES8_S8_S8_S8_NS5_IS6_S8_EENS5_IlS8_EE: ; @_ZN2at6native12_GLOBAL__N_114gatherKthValueIllLi2EEEvNS_4cuda6detail10TensorInfoIKT_T0_EES8_S8_S8_S8_NS5_IS6_S8_EENS5_IlS8_EE
; %bb.0:
	s_clause 0x1
	s_load_b64 s[8:9], s[0:1], 0x500
	s_load_b256 s[36:43], s[0:1], 0x1a0
	s_lshr_b32 s2, ttmp7, 16
	s_and_b32 s3, ttmp7, 0xffff
	s_mov_b32 s27, 0
	s_wait_kmcnt 0x0
	s_mul_i32 s2, s9, s2
	s_delay_alu instid0(SALU_CYCLE_1) | instskip(NEXT) | instid1(SALU_CYCLE_1)
	s_add_co_i32 s2, s2, s3
	s_mul_i32 s2, s2, s8
	s_delay_alu instid0(SALU_CYCLE_1) | instskip(NEXT) | instid1(SALU_CYCLE_1)
	s_add_co_i32 s26, s2, ttmp9
	v_cmp_le_i64_e64 s2, s[40:41], s[26:27]
	s_and_b32 vcc_lo, exec_lo, s2
	s_cbranch_vccnz .LBB29_277
; %bb.1:
	s_clause 0x1
	s_load_b64 s[10:11], s[0:1], 0x10
	s_load_b64 s[34:35], s[0:1], 0x1d0
	s_mov_b32 s2, s27
	s_wait_kmcnt 0x0
	s_mov_b32 s3, s11
	s_delay_alu instid0(SALU_CYCLE_1)
	s_cmp_lg_u64 s[2:3], 0
	s_add_nc_u64 s[2:3], s[26:27], 0
	s_cbranch_scc0 .LBB29_290
; %bb.2:
	s_ashr_i32 s4, s11, 31
	s_mov_b32 s15, 0
	s_mov_b32 s5, s4
	s_delay_alu instid0(SALU_CYCLE_1) | instskip(NEXT) | instid1(SALU_CYCLE_1)
	s_add_nc_u64 s[6:7], s[10:11], s[4:5]
	s_xor_b64 s[6:7], s[6:7], s[4:5]
	s_delay_alu instid0(SALU_CYCLE_1) | instskip(SKIP_2) | instid1(SALU_CYCLE_2)
	s_cvt_f32_u32 s9, s6
	s_cvt_f32_u32 s12, s7
	s_sub_nc_u64 s[16:17], 0, s[6:7]
	s_fmamk_f32 s9, s12, 0x4f800000, s9
	s_delay_alu instid0(SALU_CYCLE_3) | instskip(NEXT) | instid1(TRANS32_DEP_1)
	v_s_rcp_f32 s9, s9
	s_mul_f32 s9, s9, 0x5f7ffffc
	s_wait_alu 0xfffe
	s_delay_alu instid0(SALU_CYCLE_2) | instskip(NEXT) | instid1(SALU_CYCLE_3)
	s_mul_f32 s12, s9, 0x2f800000
	s_trunc_f32 s12, s12
	s_delay_alu instid0(SALU_CYCLE_3) | instskip(SKIP_2) | instid1(SALU_CYCLE_1)
	s_fmamk_f32 s9, s12, 0xcf800000, s9
	s_cvt_u32_f32 s13, s12
	s_wait_alu 0xfffe
	s_cvt_u32_f32 s12, s9
	s_delay_alu instid0(SALU_CYCLE_3) | instskip(NEXT) | instid1(SALU_CYCLE_1)
	s_mul_u64 s[18:19], s[16:17], s[12:13]
	s_mul_hi_u32 s21, s12, s19
	s_mul_i32 s20, s12, s19
	s_mul_hi_u32 s14, s12, s18
	s_mul_i32 s22, s13, s18
	s_add_nc_u64 s[20:21], s[14:15], s[20:21]
	s_mul_hi_u32 s9, s13, s18
	s_mul_hi_u32 s23, s13, s19
	s_add_co_u32 s14, s20, s22
	s_wait_alu 0xfffe
	s_add_co_ci_u32 s14, s21, s9
	s_mul_i32 s18, s13, s19
	s_add_co_ci_u32 s19, s23, 0
	s_delay_alu instid0(SALU_CYCLE_1) | instskip(NEXT) | instid1(SALU_CYCLE_1)
	s_add_nc_u64 s[18:19], s[14:15], s[18:19]
	s_add_co_u32 s12, s12, s18
	s_cselect_b32 s9, -1, 0
	s_wait_alu 0xfffe
	s_cmp_lg_u32 s9, 0
	s_add_co_ci_u32 s13, s13, s19
	s_delay_alu instid0(SALU_CYCLE_1) | instskip(NEXT) | instid1(SALU_CYCLE_1)
	s_mul_u64 s[16:17], s[16:17], s[12:13]
	s_mul_hi_u32 s19, s12, s17
	s_mul_i32 s18, s12, s17
	s_mul_hi_u32 s14, s12, s16
	s_mul_i32 s20, s13, s16
	s_add_nc_u64 s[18:19], s[14:15], s[18:19]
	s_mul_hi_u32 s9, s13, s16
	s_mul_hi_u32 s21, s13, s17
	s_add_co_u32 s14, s18, s20
	s_wait_alu 0xfffe
	s_add_co_ci_u32 s14, s19, s9
	s_mul_i32 s16, s13, s17
	s_add_co_ci_u32 s17, s21, 0
	s_delay_alu instid0(SALU_CYCLE_1) | instskip(NEXT) | instid1(SALU_CYCLE_1)
	s_add_nc_u64 s[16:17], s[14:15], s[16:17]
	s_add_co_u32 s9, s12, s16
	s_cselect_b32 s12, -1, 0
	s_delay_alu instid0(SALU_CYCLE_1) | instskip(SKIP_2) | instid1(SALU_CYCLE_1)
	s_cmp_lg_u32 s12, 0
	s_add_co_ci_u32 s18, s13, s17
	s_xor_b64 s[12:13], s[2:3], 0
	s_mul_hi_u32 s17, s12, s18
	s_mul_i32 s16, s12, s18
	s_wait_alu 0xfffe
	s_mul_hi_u32 s14, s12, s9
	s_mul_hi_u32 s20, s13, s9
	s_mul_i32 s9, s13, s9
	s_add_nc_u64 s[16:17], s[14:15], s[16:17]
	s_mul_hi_u32 s19, s13, s18
	s_wait_alu 0xfffe
	s_add_co_u32 s9, s16, s9
	s_add_co_ci_u32 s14, s17, s20
	s_mul_i32 s18, s13, s18
	s_add_co_ci_u32 s19, s19, 0
	s_delay_alu instid0(SALU_CYCLE_1) | instskip(NEXT) | instid1(SALU_CYCLE_1)
	s_add_nc_u64 s[16:17], s[14:15], s[18:19]
	s_mul_u64 s[18:19], s[6:7], s[16:17]
	s_delay_alu instid0(SALU_CYCLE_1)
	s_sub_co_u32 s9, s12, s18
	s_cselect_b32 s12, -1, 0
	s_sub_co_i32 s14, s13, s19
	s_cmp_lg_u32 s12, 0
	s_sub_co_ci_u32 s14, s14, s7
	s_wait_alu 0xfffe
	s_sub_co_u32 s18, s9, s6
	s_cselect_b32 s20, -1, 0
	s_delay_alu instid0(SALU_CYCLE_1) | instskip(SKIP_2) | instid1(SALU_CYCLE_1)
	s_cmp_lg_u32 s20, 0
	s_add_nc_u64 s[20:21], s[16:17], 1
	s_sub_co_ci_u32 s14, s14, 0
	s_cmp_ge_u32 s14, s7
	s_cselect_b32 s22, -1, 0
	s_cmp_ge_u32 s18, s6
	s_cselect_b32 s18, -1, 0
	s_cmp_eq_u32 s14, s7
	s_cselect_b32 s14, s18, s22
	s_add_nc_u64 s[22:23], s[16:17], 2
	s_cmp_lg_u32 s14, 0
	s_cselect_b32 s14, s22, s20
	s_cselect_b32 s18, s23, s21
	s_cmp_lg_u32 s12, 0
	s_sub_co_ci_u32 s12, s13, s19
	s_delay_alu instid0(SALU_CYCLE_1)
	s_cmp_ge_u32 s12, s7
	s_cselect_b32 s13, -1, 0
	s_cmp_ge_u32 s9, s6
	s_cselect_b32 s6, -1, 0
	s_cmp_eq_u32 s12, s7
	s_cselect_b32 s6, s6, s13
	s_delay_alu instid0(SALU_CYCLE_1) | instskip(SKIP_3) | instid1(SALU_CYCLE_1)
	s_cmp_lg_u32 s6, 0
	s_cselect_b32 s7, s18, s17
	s_cselect_b32 s6, s14, s16
	s_xor_b64 s[4:5], 0, s[4:5]
	s_xor_b64 s[6:7], s[6:7], s[4:5]
	s_delay_alu instid0(SALU_CYCLE_1)
	s_sub_nc_u64 s[12:13], s[6:7], s[4:5]
	s_cbranch_execnz .LBB29_4
.LBB29_3:
	v_cvt_f32_u32_e32 v1, s10
	s_sub_co_i32 s5, 0, s10
	s_mov_b32 s13, 0
	s_delay_alu instid0(VALU_DEP_1) | instskip(NEXT) | instid1(TRANS32_DEP_1)
	v_rcp_iflag_f32_e32 v1, v1
	v_mul_f32_e32 v1, 0x4f7ffffe, v1
	s_delay_alu instid0(VALU_DEP_1) | instskip(NEXT) | instid1(VALU_DEP_1)
	v_cvt_u32_f32_e32 v1, v1
	v_readfirstlane_b32 s4, v1
	s_mul_i32 s5, s5, s4
	s_delay_alu instid0(SALU_CYCLE_1) | instskip(NEXT) | instid1(SALU_CYCLE_1)
	s_mul_hi_u32 s5, s4, s5
	s_add_co_i32 s4, s4, s5
	s_delay_alu instid0(SALU_CYCLE_1) | instskip(NEXT) | instid1(SALU_CYCLE_1)
	s_mul_hi_u32 s4, s26, s4
	s_mul_i32 s5, s4, s10
	s_add_co_i32 s6, s4, 1
	s_sub_co_i32 s5, s26, s5
	s_delay_alu instid0(SALU_CYCLE_1)
	s_sub_co_i32 s7, s5, s10
	s_cmp_ge_u32 s5, s10
	s_cselect_b32 s4, s6, s4
	s_cselect_b32 s5, s7, s5
	s_add_co_i32 s6, s4, 1
	s_cmp_ge_u32 s5, s10
	s_cselect_b32 s12, s6, s4
.LBB29_4:
	s_load_b64 s[40:41], s[0:1], 0x370
	s_mov_b32 s4, 0
	s_mov_b32 s5, s35
	s_delay_alu instid0(SALU_CYCLE_1)
	s_cmp_lg_u64 s[4:5], 0
	s_cbranch_scc0 .LBB29_291
; %bb.5:
	s_ashr_i32 s6, s35, 31
	s_mov_b32 s21, s4
	s_mov_b32 s7, s6
	;; [unrolled: 1-line block ×3, first 2 shown]
	s_add_nc_u64 s[14:15], s[34:35], s[6:7]
	s_delay_alu instid0(SALU_CYCLE_1) | instskip(NEXT) | instid1(SALU_CYCLE_1)
	s_xor_b64 s[14:15], s[14:15], s[6:7]
	s_cvt_f32_u32 s5, s14
	s_cvt_f32_u32 s9, s15
	s_sub_nc_u64 s[18:19], 0, s[14:15]
	s_wait_alu 0xfffe
	s_delay_alu instid0(SALU_CYCLE_1) | instskip(NEXT) | instid1(SALU_CYCLE_3)
	s_fmamk_f32 s5, s9, 0x4f800000, s5
	v_s_rcp_f32 s5, s5
	s_delay_alu instid0(TRANS32_DEP_1) | instskip(SKIP_1) | instid1(SALU_CYCLE_2)
	s_mul_f32 s5, s5, 0x5f7ffffc
	s_wait_alu 0xfffe
	s_mul_f32 s9, s5, 0x2f800000
	s_wait_alu 0xfffe
	s_delay_alu instid0(SALU_CYCLE_2) | instskip(SKIP_1) | instid1(SALU_CYCLE_2)
	s_trunc_f32 s9, s9
	s_wait_alu 0xfffe
	s_fmamk_f32 s5, s9, 0xcf800000, s5
	s_cvt_u32_f32 s17, s9
	s_wait_alu 0xfffe
	s_delay_alu instid0(SALU_CYCLE_1) | instskip(NEXT) | instid1(SALU_CYCLE_3)
	s_cvt_u32_f32 s16, s5
	s_mul_u64 s[22:23], s[18:19], s[16:17]
	s_delay_alu instid0(SALU_CYCLE_1)
	s_mul_hi_u32 s29, s16, s23
	s_mul_i32 s28, s16, s23
	s_mul_hi_u32 s20, s16, s22
	s_mul_i32 s9, s17, s22
	s_add_nc_u64 s[20:21], s[20:21], s[28:29]
	s_mul_hi_u32 s5, s17, s22
	s_mul_hi_u32 s30, s17, s23
	s_wait_alu 0xfffe
	s_add_co_u32 s9, s20, s9
	s_add_co_ci_u32 s24, s21, s5
	s_mul_i32 s22, s17, s23
	s_add_co_ci_u32 s23, s30, 0
	s_delay_alu instid0(SALU_CYCLE_1)
	s_add_nc_u64 s[20:21], s[24:25], s[22:23]
	s_mov_b32 s23, s4
	s_add_co_u32 s16, s16, s20
	s_cselect_b32 s5, -1, 0
	s_wait_alu 0xfffe
	s_cmp_lg_u32 s5, 0
	s_add_co_ci_u32 s17, s17, s21
	s_mov_b32 s21, s4
	s_mul_u64 s[18:19], s[18:19], s[16:17]
	s_delay_alu instid0(SALU_CYCLE_1)
	s_mul_hi_u32 s25, s16, s19
	s_mul_i32 s24, s16, s19
	s_mul_hi_u32 s20, s16, s18
	s_mul_i32 s9, s17, s18
	s_add_nc_u64 s[20:21], s[20:21], s[24:25]
	s_mul_hi_u32 s5, s17, s18
	s_mul_hi_u32 s28, s17, s19
	s_wait_alu 0xfffe
	s_add_co_u32 s9, s20, s9
	s_add_co_ci_u32 s22, s21, s5
	s_mul_i32 s18, s17, s19
	s_add_co_ci_u32 s19, s28, 0
	s_mov_b32 s21, s4
	s_add_nc_u64 s[18:19], s[22:23], s[18:19]
	s_delay_alu instid0(SALU_CYCLE_1)
	s_add_co_u32 s5, s16, s18
	s_cselect_b32 s9, -1, 0
	s_wait_alu 0xfffe
	s_cmp_lg_u32 s9, 0
	s_add_co_ci_u32 s9, s17, s19
	s_xor_b64 s[16:17], s[2:3], 0
	s_mov_b32 s19, s4
	s_wait_alu 0xfffe
	s_mul_hi_u32 s23, s16, s9
	s_mul_i32 s22, s16, s9
	s_mul_hi_u32 s20, s16, s5
	s_mul_hi_u32 s18, s17, s5
	s_mul_i32 s5, s17, s5
	s_add_nc_u64 s[20:21], s[20:21], s[22:23]
	s_mul_hi_u32 s24, s17, s9
	s_wait_alu 0xfffe
	s_add_co_u32 s5, s20, s5
	s_add_co_ci_u32 s18, s21, s18
	s_mul_i32 s22, s17, s9
	s_add_co_ci_u32 s23, s24, 0
	s_delay_alu instid0(SALU_CYCLE_1) | instskip(NEXT) | instid1(SALU_CYCLE_1)
	s_add_nc_u64 s[18:19], s[18:19], s[22:23]
	s_mul_u64 s[20:21], s[14:15], s[18:19]
	s_delay_alu instid0(SALU_CYCLE_1)
	s_sub_co_u32 s5, s16, s20
	s_cselect_b32 s9, -1, 0
	s_sub_co_i32 s16, s17, s21
	s_wait_alu 0xfffe
	s_cmp_lg_u32 s9, 0
	s_sub_co_ci_u32 s16, s16, s15
	s_sub_co_u32 s20, s5, s14
	s_cselect_b32 s22, -1, 0
	s_delay_alu instid0(SALU_CYCLE_1) | instskip(SKIP_2) | instid1(SALU_CYCLE_1)
	s_cmp_lg_u32 s22, 0
	s_add_nc_u64 s[22:23], s[18:19], 1
	s_sub_co_ci_u32 s16, s16, 0
	s_cmp_ge_u32 s16, s15
	s_cselect_b32 s24, -1, 0
	s_cmp_ge_u32 s20, s14
	s_cselect_b32 s20, -1, 0
	s_cmp_eq_u32 s16, s15
	s_cselect_b32 s16, s20, s24
	s_add_nc_u64 s[24:25], s[18:19], 2
	s_cmp_lg_u32 s16, 0
	s_cselect_b32 s16, s24, s22
	s_cselect_b32 s20, s25, s23
	s_cmp_lg_u32 s9, 0
	s_sub_co_ci_u32 s9, s17, s21
	s_wait_alu 0xfffe
	s_cmp_ge_u32 s9, s15
	s_cselect_b32 s17, -1, 0
	s_cmp_ge_u32 s5, s14
	s_cselect_b32 s5, -1, 0
	s_cmp_eq_u32 s9, s15
	s_wait_alu 0xfffe
	s_cselect_b32 s5, s5, s17
	s_wait_alu 0xfffe
	s_cmp_lg_u32 s5, 0
	s_cselect_b32 s15, s20, s19
	s_cselect_b32 s14, s16, s18
	s_xor_b64 s[6:7], 0, s[6:7]
	s_delay_alu instid0(SALU_CYCLE_1) | instskip(NEXT) | instid1(SALU_CYCLE_1)
	s_xor_b64 s[14:15], s[14:15], s[6:7]
	s_sub_nc_u64 s[48:49], s[14:15], s[6:7]
	s_and_not1_b32 vcc_lo, exec_lo, s4
	s_cbranch_vccnz .LBB29_7
.LBB29_6:
	v_cvt_f32_u32_e32 v1, s34
	s_sub_co_i32 s5, 0, s34
	s_mov_b32 s49, 0
	s_delay_alu instid0(VALU_DEP_1) | instskip(NEXT) | instid1(TRANS32_DEP_1)
	v_rcp_iflag_f32_e32 v1, v1
	v_mul_f32_e32 v1, 0x4f7ffffe, v1
	s_delay_alu instid0(VALU_DEP_1) | instskip(NEXT) | instid1(VALU_DEP_1)
	v_cvt_u32_f32_e32 v1, v1
	v_readfirstlane_b32 s4, v1
	s_wait_alu 0xfffe
	s_mul_i32 s5, s5, s4
	s_wait_alu 0xfffe
	s_mul_hi_u32 s5, s4, s5
	s_wait_alu 0xfffe
	s_add_co_i32 s4, s4, s5
	s_wait_alu 0xfffe
	s_mul_hi_u32 s4, s26, s4
	s_wait_alu 0xfffe
	s_mul_i32 s5, s4, s34
	s_add_co_i32 s6, s4, 1
	s_wait_alu 0xfffe
	s_sub_co_i32 s5, s26, s5
	s_wait_alu 0xfffe
	s_sub_co_i32 s7, s5, s34
	s_cmp_ge_u32 s5, s34
	s_cselect_b32 s4, s6, s4
	s_cselect_b32 s5, s7, s5
	s_wait_alu 0xfffe
	s_add_co_i32 s6, s4, 1
	s_cmp_ge_u32 s5, s34
	s_cselect_b32 s48, s6, s4
.LBB29_7:
	s_mov_b32 s4, 0
	s_wait_kmcnt 0x0
	s_mov_b32 s5, s41
	s_wait_alu 0xfffe
	s_cmp_lg_u64 s[4:5], 0
	s_cbranch_scc0 .LBB29_292
; %bb.8:
	s_ashr_i32 s6, s41, 31
	s_mov_b32 s21, s4
	s_mov_b32 s7, s6
	;; [unrolled: 1-line block ×3, first 2 shown]
	s_add_nc_u64 s[14:15], s[40:41], s[6:7]
	s_delay_alu instid0(SALU_CYCLE_1) | instskip(NEXT) | instid1(SALU_CYCLE_1)
	s_xor_b64 s[14:15], s[14:15], s[6:7]
	s_cvt_f32_u32 s5, s14
	s_cvt_f32_u32 s9, s15
	s_sub_nc_u64 s[18:19], 0, s[14:15]
	s_wait_alu 0xfffe
	s_delay_alu instid0(SALU_CYCLE_1) | instskip(SKIP_1) | instid1(SALU_CYCLE_2)
	s_fmamk_f32 s5, s9, 0x4f800000, s5
	s_wait_alu 0xfffe
	v_s_rcp_f32 s5, s5
	s_delay_alu instid0(TRANS32_DEP_1) | instskip(SKIP_1) | instid1(SALU_CYCLE_2)
	s_mul_f32 s5, s5, 0x5f7ffffc
	s_wait_alu 0xfffe
	s_mul_f32 s9, s5, 0x2f800000
	s_wait_alu 0xfffe
	s_delay_alu instid0(SALU_CYCLE_2) | instskip(SKIP_1) | instid1(SALU_CYCLE_2)
	s_trunc_f32 s9, s9
	s_wait_alu 0xfffe
	s_fmamk_f32 s5, s9, 0xcf800000, s5
	s_cvt_u32_f32 s17, s9
	s_wait_alu 0xfffe
	s_delay_alu instid0(SALU_CYCLE_1) | instskip(NEXT) | instid1(SALU_CYCLE_3)
	s_cvt_u32_f32 s16, s5
	s_mul_u64 s[22:23], s[18:19], s[16:17]
	s_delay_alu instid0(SALU_CYCLE_1)
	s_mul_hi_u32 s29, s16, s23
	s_mul_i32 s28, s16, s23
	s_mul_hi_u32 s20, s16, s22
	s_mul_i32 s9, s17, s22
	s_add_nc_u64 s[20:21], s[20:21], s[28:29]
	s_mul_hi_u32 s5, s17, s22
	s_mul_hi_u32 s30, s17, s23
	s_wait_alu 0xfffe
	s_add_co_u32 s9, s20, s9
	s_add_co_ci_u32 s24, s21, s5
	s_mul_i32 s22, s17, s23
	s_add_co_ci_u32 s23, s30, 0
	s_delay_alu instid0(SALU_CYCLE_1)
	s_add_nc_u64 s[20:21], s[24:25], s[22:23]
	s_mov_b32 s23, s4
	s_add_co_u32 s16, s16, s20
	s_cselect_b32 s5, -1, 0
	s_wait_alu 0xfffe
	s_cmp_lg_u32 s5, 0
	s_add_co_ci_u32 s17, s17, s21
	s_mov_b32 s21, s4
	s_mul_u64 s[18:19], s[18:19], s[16:17]
	s_delay_alu instid0(SALU_CYCLE_1)
	s_mul_hi_u32 s25, s16, s19
	s_mul_i32 s24, s16, s19
	s_mul_hi_u32 s20, s16, s18
	s_mul_i32 s9, s17, s18
	s_add_nc_u64 s[20:21], s[20:21], s[24:25]
	s_mul_hi_u32 s5, s17, s18
	s_mul_hi_u32 s28, s17, s19
	s_wait_alu 0xfffe
	s_add_co_u32 s9, s20, s9
	s_add_co_ci_u32 s22, s21, s5
	s_mul_i32 s18, s17, s19
	s_add_co_ci_u32 s19, s28, 0
	s_mov_b32 s21, s4
	s_add_nc_u64 s[18:19], s[22:23], s[18:19]
	s_delay_alu instid0(SALU_CYCLE_1)
	s_add_co_u32 s5, s16, s18
	s_cselect_b32 s9, -1, 0
	s_wait_alu 0xfffe
	s_cmp_lg_u32 s9, 0
	s_add_co_ci_u32 s9, s17, s19
	s_xor_b64 s[2:3], s[2:3], 0
	s_mov_b32 s17, s4
	s_wait_alu 0xfffe
	s_mul_hi_u32 s19, s2, s9
	s_mul_i32 s18, s2, s9
	s_mul_hi_u32 s20, s2, s5
	s_mul_hi_u32 s16, s3, s5
	s_mul_i32 s5, s3, s5
	s_add_nc_u64 s[18:19], s[20:21], s[18:19]
	s_mul_hi_u32 s22, s3, s9
	s_wait_alu 0xfffe
	s_add_co_u32 s5, s18, s5
	s_add_co_ci_u32 s16, s19, s16
	s_mul_i32 s20, s3, s9
	s_add_co_ci_u32 s21, s22, 0
	s_delay_alu instid0(SALU_CYCLE_1) | instskip(NEXT) | instid1(SALU_CYCLE_1)
	s_add_nc_u64 s[16:17], s[16:17], s[20:21]
	s_mul_u64 s[18:19], s[14:15], s[16:17]
	s_delay_alu instid0(SALU_CYCLE_1)
	s_sub_co_u32 s2, s2, s18
	s_cselect_b32 s5, -1, 0
	s_sub_co_i32 s9, s3, s19
	s_wait_alu 0xfffe
	s_cmp_lg_u32 s5, 0
	s_sub_co_ci_u32 s9, s9, s15
	s_sub_co_u32 s18, s2, s14
	s_cselect_b32 s20, -1, 0
	s_delay_alu instid0(SALU_CYCLE_1)
	s_cmp_lg_u32 s20, 0
	s_add_nc_u64 s[20:21], s[16:17], 1
	s_wait_alu 0xfffe
	s_sub_co_ci_u32 s9, s9, 0
	s_wait_alu 0xfffe
	s_cmp_ge_u32 s9, s15
	s_cselect_b32 s22, -1, 0
	s_cmp_ge_u32 s18, s14
	s_cselect_b32 s18, -1, 0
	s_cmp_eq_u32 s9, s15
	s_cselect_b32 s9, s18, s22
	s_add_nc_u64 s[22:23], s[16:17], 2
	s_wait_alu 0xfffe
	s_cmp_lg_u32 s9, 0
	s_cselect_b32 s9, s22, s20
	s_cselect_b32 s18, s23, s21
	s_cmp_lg_u32 s5, 0
	s_sub_co_ci_u32 s3, s3, s19
	s_delay_alu instid0(SALU_CYCLE_1)
	s_cmp_ge_u32 s3, s15
	s_cselect_b32 s5, -1, 0
	s_cmp_ge_u32 s2, s14
	s_cselect_b32 s2, -1, 0
	s_cmp_eq_u32 s3, s15
	s_wait_alu 0xfffe
	s_cselect_b32 s2, s2, s5
	s_delay_alu instid0(SALU_CYCLE_1) | instskip(SKIP_3) | instid1(SALU_CYCLE_1)
	s_cmp_lg_u32 s2, 0
	s_cselect_b32 s3, s18, s17
	s_cselect_b32 s2, s9, s16
	s_xor_b64 s[6:7], 0, s[6:7]
	s_xor_b64 s[2:3], s[2:3], s[6:7]
	s_delay_alu instid0(SALU_CYCLE_1)
	s_sub_nc_u64 s[50:51], s[2:3], s[6:7]
	s_and_not1_b32 vcc_lo, exec_lo, s4
	s_cbranch_vccnz .LBB29_10
.LBB29_9:
	v_cvt_f32_u32_e32 v1, s40
	s_sub_co_i32 s3, 0, s40
	s_mov_b32 s51, 0
	s_delay_alu instid0(VALU_DEP_1) | instskip(NEXT) | instid1(TRANS32_DEP_1)
	v_rcp_iflag_f32_e32 v1, v1
	v_mul_f32_e32 v1, 0x4f7ffffe, v1
	s_delay_alu instid0(VALU_DEP_1) | instskip(NEXT) | instid1(VALU_DEP_1)
	v_cvt_u32_f32_e32 v1, v1
	v_readfirstlane_b32 s2, v1
	s_mul_i32 s3, s3, s2
	s_delay_alu instid0(SALU_CYCLE_1) | instskip(NEXT) | instid1(SALU_CYCLE_1)
	s_mul_hi_u32 s3, s2, s3
	s_add_co_i32 s2, s2, s3
	s_delay_alu instid0(SALU_CYCLE_1) | instskip(NEXT) | instid1(SALU_CYCLE_1)
	s_mul_hi_u32 s2, s26, s2
	s_mul_i32 s3, s2, s40
	s_add_co_i32 s4, s2, 1
	s_sub_co_i32 s3, s26, s3
	s_delay_alu instid0(SALU_CYCLE_1)
	s_sub_co_i32 s5, s3, s40
	s_cmp_ge_u32 s3, s40
	s_wait_alu 0xfffe
	s_cselect_b32 s2, s4, s2
	s_cselect_b32 s3, s5, s3
	s_add_co_i32 s4, s2, 1
	s_cmp_ge_u32 s3, s40
	s_wait_alu 0xfffe
	s_cselect_b32 s50, s4, s2
.LBB29_10:
	s_clause 0x1
	s_load_b128 s[4:7], s[0:1], 0xd0
	s_load_b64 s[16:17], s[0:1], 0x0
	v_cmp_eq_u32_e64 s2, 0, v0
	s_add_nc_u64 s[14:15], s[0:1], 0x500
	s_mov_b32 s25, 0
	s_and_saveexec_b32 s3, s2
	s_cbranch_execz .LBB29_12
; %bb.11:
	v_dual_mov_b32 v1, 0 :: v_dual_mov_b32 v4, s37
	s_delay_alu instid0(VALU_DEP_1)
	v_dual_mov_b32 v3, s36 :: v_dual_mov_b32 v2, v1
	ds_store_b32 v1, v1 offset:5136
	ds_store_b128 v1, v[1:4] offset:5120
.LBB29_12:
	s_or_b32 exec_lo, exec_lo, s3
	v_lshlrev_b32_e32 v46, 5, v0
	s_mul_u64 s[10:11], s[12:13], s[10:11]
	s_wait_kmcnt 0x0
	s_mul_u64 s[4:5], s[12:13], s[4:5]
	s_wait_alu 0xfffe
	s_sub_nc_u64 s[18:19], s[26:27], s[10:11]
	s_lshl_b64 s[10:11], s[4:5], 3
	v_or_b32_e32 v11, 16, v46
	s_mul_u64 s[4:5], s[18:19], s[6:7]
	s_clause 0x1
	s_load_b128 s[28:31], s[0:1], 0x430
	s_load_b64 s[52:53], s[0:1], 0x360
	s_lshl_b64 s[6:7], s[4:5], 3
	s_clause 0x1
	s_load_b128 s[44:47], s[0:1], 0x290
	s_load_b64 s[54:55], s[0:1], 0x1c0
	v_mad_co_u64_u32 v[25:26], null, s42, v11, 0
	s_wait_dscnt 0x0
	s_barrier_signal -1
	v_mbcnt_lo_u32_b32 v42, -1, 0
	s_barrier_wait -1
	global_inv scope:SCOPE_SE
	s_load_b32 s5, s[14:15], 0xc
	v_mad_co_u64_u32 v[2:3], null, s42, v0, 0
	v_lshlrev_b64_e64 v[6:7], v42, -1
	v_mov_b32_e32 v7, v26
	v_or_b32_e32 v9, 24, v46
	v_or_b32_e32 v12, 8, v46
	v_mov_b32_e32 v18, 0
	v_cmp_gt_u32_e32 vcc_lo, 32, v0
	v_mov_b32_e32 v1, v3
	v_mad_co_u64_u32 v[23:24], null, s42, v9, 0
	v_mad_co_u64_u32 v[27:28], null, s42, v12, 0
	s_delay_alu instid0(VALU_DEP_3)
	v_mad_co_u64_u32 v[3:4], null, s43, v0, v[1:2]
	v_cmp_gt_i32_e64 s0, 4, v42
	v_lshlrev_b32_e32 v21, 2, v0
	v_not_b32_e32 v45, v6
	v_mov_b32_e32 v6, v24
	v_mov_b32_e32 v8, v28
	s_wait_kmcnt 0x0
	s_and_b32 s56, s5, 0xffff
	s_and_b32 s33, vcc_lo, s0
	s_bfe_u32 s5, s5, 0xb0005
	v_lshlrev_b64_e32 v[4:5], 3, v[2:3]
	s_cmp_gt_u32 s56, 31
	s_add_nc_u64 s[12:13], s[16:17], s[10:11]
	s_cselect_b32 s89, -1, 0
	s_cmp_lt_u32 ttmp9, s8
	v_mad_co_u64_u32 v[9:10], null, s43, v9, v[6:7]
	v_mad_co_u64_u32 v[6:7], null, s43, v11, v[7:8]
	s_add_nc_u64 s[60:61], s[12:13], s[6:7]
	s_cselect_b32 s24, 12, 18
	s_wait_alu 0xfffe
	s_add_co_i32 s9, s5, -1
	s_add_nc_u64 s[6:7], s[10:11], s[6:7]
	v_add_co_u32 v19, vcc_lo, s60, v4
	s_wait_alu 0xfffe
	s_and_b32 s9, s9, 0xffff
	s_add_nc_u64 s[66:67], s[16:17], s[6:7]
	s_bfe_u32 s90, s56, 0x30005
	v_add_co_ci_u32_e64 v20, null, s61, v5, vcc_lo
	s_wait_alu 0xfffe
	s_cmp_gt_u32 s9, 6
	v_add_co_u32 v15, vcc_lo, s66, v4
	s_cselect_b32 s91, -1, 0
	s_and_b32 s92, s5, 0x7f8
	v_mov_b32_e32 v26, v6
	s_wait_alu 0xfffd
	v_add_co_ci_u32_e64 v16, null, s67, v5, vcc_lo
	v_mov_b32_e32 v5, 0
	v_mad_co_u64_u32 v[7:8], null, s43, v12, v[8:9]
	s_cmp_lg_u32 s90, 0
	v_dual_mov_b32 v22, v18 :: v_dual_lshlrev_b32 v43, 3, v0
	v_mov_b32_e32 v1, v18
	s_cselect_b32 s93, -1, 0
	s_lshl_b64 s[68:69], s[42:43], 3
	s_lshl_b64 s[70:71], s[42:43], 5
	v_mul_lo_u32 v52, 0, s68
	v_mul_lo_u32 v53, 0, s70
	s_movk_i32 s8, 0x3e0
	v_add_co_u32 v49, s5, s36, v0
	v_add_nc_u32_e32 v44, 0xc00, v43
	v_cmp_lt_i64_e64 s88, 0x180, s[36:37]
	v_cmp_gt_u64_e64 s4, s[36:37], v[0:1]
	v_cmp_gt_i64_e64 s0, s[36:37], v[0:1]
	s_mov_b32 s57, s25
	v_lshlrev_b64_e32 v[28:29], 5, v[2:3]
	v_mov_b32_e32 v34, s38
	v_mov_b32_e32 v30, 0
	;; [unrolled: 1-line block ×3, first 2 shown]
	v_cmp_eq_u32_e64 s1, 0, v42
	v_cmp_gt_u32_e64 s3, 2, v0
	s_wait_alu 0xfffe
	v_and_or_b32 v47, v0, s8, 0xc00
	v_dual_mov_b32 v24, v9 :: v_dual_mov_b32 v35, s39
	v_dual_mov_b32 v48, v7 :: v_dual_mov_b32 v33, 0
	s_wait_alu 0xf1ff
	v_add_co_ci_u32_e64 v50, null, s37, 0, s5
	v_lshl_or_b32 v51, v42, 3, 0xc00
	v_dual_mov_b32 v6, 0 :: v_dual_mov_b32 v31, 0
	v_mov_b32_e32 v2, 1
	s_add_nc_u64 s[62:63], s[56:57], -1
	s_mul_u64 s[6:7], s[42:43], s[56:57]
	s_add_nc_u64 s[64:65], s[62:63], s[36:37]
	s_lshl_b64 s[58:59], s[6:7], 3
	s_lshl_b32 s94, s56, 3
	s_mov_b32 s95, 62
	s_add_nc_u64 s[38:39], s[14:15], s[24:25]
	s_mov_b32 s96, 0
	s_mov_b32 s97, 0
                                        ; implicit-def: $sgpr101
                                        ; implicit-def: $sgpr103
                                        ; implicit-def: $sgpr98
                                        ; implicit-def: $sgpr100
                                        ; implicit-def: $sgpr102
                                        ; implicit-def: $sgpr99
	s_branch .LBB29_16
.LBB29_13:                              ;   in Loop: Header=BB29_16 Depth=1
	s_wait_alu 0xfffe
	s_or_b32 exec_lo, exec_lo, s8
	s_delay_alu instid0(SALU_CYCLE_1)
	s_and_b32 s6, s6, exec_lo
	s_and_not1_b32 s72, s72, exec_lo
	s_and_not1_b32 s23, s23, exec_lo
	s_or_not1_b32 s21, s7, exec_lo
.LBB29_14:                              ;   in Loop: Header=BB29_16 Depth=1
	s_wait_alu 0xfffe
	s_or_b32 exec_lo, exec_lo, s5
	s_delay_alu instid0(SALU_CYCLE_1)
	s_and_not1_b32 s5, s99, exec_lo
	s_and_b32 s6, s6, exec_lo
	s_and_not1_b32 s7, s100, exec_lo
	s_wait_alu 0xfffe
	s_or_b32 s99, s5, s6
	s_and_not1_b32 s5, s102, exec_lo
	s_and_b32 s6, s72, exec_lo
	s_and_b32 s8, s23, exec_lo
	s_wait_alu 0xfffe
	s_or_b32 s102, s5, s6
	s_or_b32 s100, s7, s8
	s_or_not1_b32 s21, s21, exec_lo
.LBB29_15:                              ;   in Loop: Header=BB29_16 Depth=1
	s_or_b32 exec_lo, exec_lo, s20
	s_delay_alu instid0(SALU_CYCLE_1)
	s_and_b32 s5, exec_lo, s21
	v_dual_mov_b32 v35, v12 :: v_dual_mov_b32 v34, v11
	s_wait_alu 0xfffe
	s_or_b32 s96, s5, s96
	s_and_not1_b32 s5, s98, exec_lo
	s_and_b32 s6, s99, exec_lo
	s_and_not1_b32 s7, s103, exec_lo
	s_wait_alu 0xfffe
	s_or_b32 s98, s5, s6
	s_and_b32 s5, s102, exec_lo
	s_and_not1_b32 s6, s101, exec_lo
	s_and_b32 s8, s100, exec_lo
	s_wait_alu 0xfffe
	s_or_b32 s103, s7, s5
	s_or_b32 s101, s6, s8
	s_and_not1_b32 exec_lo, exec_lo, s96
	s_cbranch_execz .LBB29_273
.LBB29_16:                              ; =>This Loop Header: Depth=1
                                        ;     Child Loop BB29_22 Depth 2
                                        ;     Child Loop BB29_35 Depth 2
                                        ;     Child Loop BB29_69 Depth 2
                                        ;     Child Loop BB29_73 Depth 2
                                        ;     Child Loop BB29_58 Depth 2
                                        ;     Child Loop BB29_63 Depth 2
                                        ;     Child Loop BB29_51 Depth 2
                                        ;     Child Loop BB29_82 Depth 2
                                        ;     Child Loop BB29_95 Depth 2
                                        ;     Child Loop BB29_109 Depth 2
                                        ;     Child Loop BB29_138 Depth 2
                                        ;     Child Loop BB29_154 Depth 2
                                        ;     Child Loop BB29_184 Depth 2
                                        ;     Child Loop BB29_200 Depth 2
                                        ;     Child Loop BB29_229 Depth 2
                                        ;     Child Loop BB29_245 Depth 2
	ds_load_b128 v[7:10], v18 offset:5120
	s_wait_dscnt 0x0
	v_readfirstlane_b32 s73, v8
	v_readfirstlane_b32 s72, v7
	s_wait_alu 0xf1ff
	s_delay_alu instid0(VALU_DEP_1)
	v_cmp_gt_i64_e64 s5, s[72:73], 0
	s_and_b32 vcc_lo, exec_lo, s5
	s_wait_alu 0xfffe
	s_cbranch_vccnz .LBB29_43
; %bb.17:                               ;   in Loop: Header=BB29_16 Depth=1
	s_and_b32 vcc_lo, exec_lo, s88
	s_wait_alu 0xfffe
	s_cbranch_vccz .LBB29_30
; %bb.18:                               ;   in Loop: Header=BB29_16 Depth=1
	v_cmp_gt_i64_e32 vcc_lo, 0x181, v[9:10]
	s_mov_b32 s7, 0
	s_mov_b32 s5, 0
	s_cbranch_vccz .LBB29_31
; %bb.19:                               ;   in Loop: Header=BB29_16 Depth=1
	s_and_saveexec_b32 s8, s4
	s_cbranch_execz .LBB29_77
; %bb.20:                               ;   in Loop: Header=BB29_16 Depth=1
	global_load_u16 v3, v18, s[38:39]
	global_load_b64 v[7:8], v[19:20], off
	s_mov_b32 s9, 0
	s_wait_loadcnt 0x1
	v_and_b32_e32 v13, 0xffff, v3
	s_delay_alu instid0(VALU_DEP_1) | instskip(SKIP_2) | instid1(VALU_DEP_3)
	v_add_nc_u32_e32 v9, v0, v13
	v_mul_lo_u32 v11, v13, s69
	v_mul_hi_u32 v12, v13, s68
	v_mad_co_u64_u32 v[3:4], null, s68, v9, s[66:67]
	s_delay_alu instid0(VALU_DEP_1) | instskip(NEXT) | instid1(VALU_DEP_4)
	v_mad_co_u64_u32 v[9:10], null, s69, v9, v[4:5]
	v_add_nc_u32_e32 v4, v11, v52
	s_delay_alu instid0(VALU_DEP_1)
	v_dual_mov_b32 v4, v9 :: v_dual_add_nc_u32 v17, v4, v12
	v_mul_lo_u32 v14, v13, s68
	v_dual_mov_b32 v10, v1 :: v_dual_mov_b32 v9, v0
	s_branch .LBB29_22
.LBB29_21:                              ;   in Loop: Header=BB29_22 Depth=2
	s_wait_alu 0xfffe
	s_or_b32 exec_lo, exec_lo, s6
	v_add_co_u32 v3, vcc_lo, v3, v14
	s_wait_alu 0xfffd
	v_add_co_ci_u32_e64 v4, null, v4, v17, vcc_lo
	v_dual_mov_b32 v7, v11 :: v_dual_mov_b32 v8, v12
	s_and_not1_b32 exec_lo, exec_lo, s9
	s_cbranch_execz .LBB29_77
.LBB29_22:                              ;   Parent Loop BB29_16 Depth=1
                                        ; =>  This Inner Loop Header: Depth=2
	s_delay_alu instid0(VALU_DEP_1)
	v_add_co_u32 v9, vcc_lo, v9, v13
	v_mov_b32_e32 v11, 0
	s_wait_alu 0xfffd
	v_add_co_ci_u32_e64 v10, null, 0, v10, vcc_lo
	v_mov_b32_e32 v12, 0
	s_mov_b32 s6, exec_lo
	s_delay_alu instid0(VALU_DEP_2)
	v_cmp_le_i64_e32 vcc_lo, s[36:37], v[9:10]
	v_cmpx_gt_i64_e64 s[36:37], v[9:10]
	s_cbranch_execz .LBB29_24
; %bb.23:                               ;   in Loop: Header=BB29_22 Depth=2
	global_load_b64 v[11:12], v[3:4], off
.LBB29_24:                              ;   in Loop: Header=BB29_22 Depth=2
	s_wait_alu 0xfffe
	s_or_b32 exec_lo, exec_lo, s6
	s_wait_loadcnt_dscnt 0x0
	v_xor_b32_e32 v36, 0x80000000, v8
	s_delay_alu instid0(VALU_DEP_1) | instskip(SKIP_1) | instid1(VALU_DEP_1)
	v_and_b32_e32 v37, v36, v33
	v_and_b32_e32 v36, v7, v32
	v_cmp_eq_u64_e64 s5, v[36:37], v[30:31]
	v_mov_b32_e32 v36, 0
	s_cmp_lg_u32 s5, 0
	s_cselect_b32 s6, -1, 0
	s_wait_alu 0xfffe
	s_and_b32 s6, s1, s6
	s_wait_alu 0xfffe
	s_and_saveexec_b32 s10, s6
	s_cbranch_execz .LBB29_28
; %bb.25:                               ;   in Loop: Header=BB29_22 Depth=2
	s_mov_b32 s13, exec_lo
	s_bcnt1_i32_b32 s11, s5
	s_wait_alu 0xfffe
	v_mbcnt_lo_u32_b32 v36, s13, 0
	s_mov_b32 s12, exec_lo
                                        ; implicit-def: $vgpr37
	s_delay_alu instid0(VALU_DEP_1)
	v_cmpx_eq_u32_e32 0, v36
; %bb.26:                               ;   in Loop: Header=BB29_22 Depth=2
	s_bcnt1_i32_b32 s6, s13
	s_wait_alu 0xfffe
	s_mul_i32 s6, s11, s6
	s_wait_alu 0xfffe
	v_mov_b32_e32 v37, s6
	ds_add_rtn_u32 v37, v18, v37 offset:5136
; %bb.27:                               ;   in Loop: Header=BB29_22 Depth=2
	s_or_b32 exec_lo, exec_lo, s12
	s_wait_dscnt 0x0
	v_readfirstlane_b32 s6, v37
	s_wait_alu 0xf1ff
	s_delay_alu instid0(VALU_DEP_1)
	v_mad_u32_u24 v36, s11, v36, s6
.LBB29_28:                              ;   in Loop: Header=BB29_22 Depth=2
	s_wait_alu 0xfffe
	s_or_b32 exec_lo, exec_lo, s10
	ds_bpermute_b32 v36, v18, v36
	s_and_b32 s6, exec_lo, vcc_lo
	s_wait_alu 0xfffe
	s_or_b32 s9, s6, s9
	s_and_saveexec_b32 s6, s5
	s_cbranch_execz .LBB29_21
; %bb.29:                               ;   in Loop: Header=BB29_22 Depth=2
	v_and_b32_e32 v37, s5, v45
	s_delay_alu instid0(VALU_DEP_1) | instskip(NEXT) | instid1(VALU_DEP_1)
	v_bcnt_u32_b32 v37, v37, 0
	v_lshlrev_b32_e32 v37, 3, v37
	s_wait_dscnt 0x0
	s_delay_alu instid0(VALU_DEP_1)
	v_lshl_add_u32 v36, v36, 3, v37
	ds_store_b64 v36, v[7:8]
	s_branch .LBB29_21
.LBB29_30:                              ;   in Loop: Header=BB29_16 Depth=1
	s_mov_b32 s7, -1
	s_mov_b32 s5, 0
.LBB29_31:                              ;   in Loop: Header=BB29_16 Depth=1
	s_wait_alu 0xfffe
	s_and_b32 vcc_lo, exec_lo, s7
	s_wait_alu 0xfffe
	s_cbranch_vccz .LBB29_41
.LBB29_32:                              ;   in Loop: Header=BB29_16 Depth=1
	s_and_saveexec_b32 s6, s0
	s_cbranch_execz .LBB29_38
; %bb.33:                               ;   in Loop: Header=BB29_16 Depth=1
	global_load_u16 v7, v18, s[38:39]
	global_load_b64 v[3:4], v[19:20], off
	s_mov_b32 s7, exec_lo
	s_wait_loadcnt 0x1
	v_dual_mov_b32 v7, v0 :: v_dual_and_b32 v36, 0xffff, v7
	s_delay_alu instid0(VALU_DEP_1) | instskip(NEXT) | instid1(VALU_DEP_1)
	v_add_nc_u32_e32 v17, v36, v0
	v_cmpx_gt_i64_e64 s[36:37], v[17:18]
	s_cbranch_execz .LBB29_37
; %bb.34:                               ;   in Loop: Header=BB29_16 Depth=1
	v_mul_lo_u32 v10, v36, s69
	v_mad_co_u64_u32 v[7:8], null, s68, v17, s[66:67]
	v_mul_hi_u32 v11, v36, s68
	v_mul_lo_u32 v37, v36, s68
	v_dual_mov_b32 v14, v1 :: v_dual_mov_b32 v13, v0
	s_mov_b32 s8, 0
	v_add_nc_u32_e32 v12, v10, v52
	v_mad_co_u64_u32 v[8:9], null, s69, v17, v[8:9]
	v_dual_mov_b32 v9, v17 :: v_dual_mov_b32 v10, v18
	s_delay_alu instid0(VALU_DEP_3)
	v_add_nc_u32_e32 v17, v12, v11
.LBB29_35:                              ;   Parent Loop BB29_16 Depth=1
                                        ; =>  This Inner Loop Header: Depth=2
	global_load_b64 v[11:12], v[7:8], off
	v_dual_mov_b32 v39, v10 :: v_dual_mov_b32 v38, v9
	v_lshlrev_b32_e32 v13, 3, v13
	s_delay_alu instid0(VALU_DEP_2) | instskip(SKIP_1) | instid1(VALU_DEP_3)
	v_add_co_u32 v9, vcc_lo, v38, v36
	s_wait_alu 0xfffd
	v_add_co_ci_u32_e64 v10, null, 0, v39, vcc_lo
	v_add_co_u32 v7, vcc_lo, v7, v37
	s_wait_loadcnt 0x1
	ds_store_b64 v13, v[3:4]
	v_cmp_le_i64_e64 s5, s[36:37], v[9:10]
	s_wait_alu 0xfffd
	v_add_co_ci_u32_e64 v8, null, v8, v17, vcc_lo
	v_dual_mov_b32 v13, v38 :: v_dual_mov_b32 v14, v39
	s_wait_alu 0xfffe
	s_delay_alu instid0(VALU_DEP_3)
	s_or_b32 s8, s5, s8
	s_wait_loadcnt 0x0
	v_dual_mov_b32 v3, v11 :: v_dual_mov_b32 v4, v12
	s_wait_alu 0xfffe
	s_and_not1_b32 exec_lo, exec_lo, s8
	s_cbranch_execnz .LBB29_35
; %bb.36:                               ;   in Loop: Header=BB29_16 Depth=1
	s_or_b32 exec_lo, exec_lo, s8
	v_sub_nc_u32_e32 v7, v9, v36
	v_dual_mov_b32 v3, v11 :: v_dual_mov_b32 v4, v12
.LBB29_37:                              ;   in Loop: Header=BB29_16 Depth=1
	s_wait_alu 0xfffe
	s_or_b32 exec_lo, exec_lo, s7
	s_delay_alu instid0(VALU_DEP_2)
	v_lshlrev_b32_e32 v7, 3, v7
	s_wait_loadcnt 0x0
	ds_store_b64 v7, v[3:4]
.LBB29_38:                              ;   in Loop: Header=BB29_16 Depth=1
	s_wait_alu 0xfffe
	s_or_b32 exec_lo, exec_lo, s6
	s_wait_loadcnt_dscnt 0x0
	s_barrier_signal -1
	s_barrier_wait -1
	global_inv scope:SCOPE_SE
	s_and_saveexec_b32 s5, s2
; %bb.39:                               ;   in Loop: Header=BB29_16 Depth=1
	v_dual_mov_b32 v3, s36 :: v_dual_mov_b32 v4, s37
	ds_store_b64 v18, v[3:4] offset:5120
; %bb.40:                               ;   in Loop: Header=BB29_16 Depth=1
	s_wait_alu 0xfffe
	s_or_b32 exec_lo, exec_lo, s5
	s_mov_b32 s5, -1
	s_wait_loadcnt_dscnt 0x0
	s_barrier_signal -1
	s_barrier_wait -1
.LBB29_41:                              ;   in Loop: Header=BB29_16 Depth=1
	s_wait_alu 0xfffe
	s_and_b32 vcc_lo, exec_lo, s5
	s_wait_alu 0xfffe
	s_cbranch_vccz .LBB29_43
; %bb.42:                               ;   in Loop: Header=BB29_16 Depth=1
	s_wait_loadcnt 0x0
	global_inv scope:SCOPE_SE
	ds_load_b64 v[3:4], v18 offset:5120
	s_wait_dscnt 0x0
	v_readfirstlane_b32 s72, v3
.LBB29_43:                              ;   in Loop: Header=BB29_16 Depth=1
	s_delay_alu instid0(VALU_DEP_1)
	s_cmp_lt_i32 s72, 1
	s_mov_b32 s5, -1
                                        ; implicit-def: $vgpr13_vgpr14
                                        ; implicit-def: $vgpr9_vgpr10
	s_cbranch_scc1 .LBB29_53
; %bb.44:                               ;   in Loop: Header=BB29_16 Depth=1
	s_wait_alu 0xfffe
	s_and_b32 vcc_lo, exec_lo, s5
	s_wait_alu 0xfffe
	s_cbranch_vccnz .LBB29_67
.LBB29_45:                              ;   in Loop: Header=BB29_16 Depth=1
	s_lshl_b32 s5, s97, 7
	s_and_saveexec_b32 s6, s1
	s_cbranch_execz .LBB29_47
.LBB29_46:                              ;   in Loop: Header=BB29_16 Depth=1
	s_wait_alu 0xfffe
	v_lshl_add_u32 v3, s5, 3, v47
	ds_store_b128 v3, v[7:10]
	ds_store_b128 v3, v[11:14] offset:16
.LBB29_47:                              ;   in Loop: Header=BB29_16 Depth=1
	s_wait_alu 0xfffe
	s_or_b32 exec_lo, exec_lo, s6
	s_wait_loadcnt_dscnt 0x0
	s_barrier_signal -1
	s_barrier_wait -1
	global_inv scope:SCOPE_SE
	s_and_saveexec_b32 s6, s33
	s_cbranch_execz .LBB29_84
; %bb.48:                               ;   in Loop: Header=BB29_16 Depth=1
	v_mov_b32_e32 v3, 0
	v_mov_b32_e32 v4, 0
	s_and_not1_b32 vcc_lo, exec_lo, s89
	s_wait_alu 0xfffe
	s_cbranch_vccnz .LBB29_83
; %bb.49:                               ;   in Loop: Header=BB29_16 Depth=1
	v_mov_b32_e32 v3, 0
	v_mov_b32_e32 v4, 0
	s_and_not1_b32 vcc_lo, exec_lo, s91
	s_wait_alu 0xfffe
	s_cbranch_vccnz .LBB29_80
; %bb.50:                               ;   in Loop: Header=BB29_16 Depth=1
	v_lshl_add_u32 v7, s97, 10, v51
	s_mov_b32 s7, 0
.LBB29_51:                              ;   Parent Loop BB29_16 Depth=1
                                        ; =>  This Inner Loop Header: Depth=2
	ds_load_2addr_b64 v[8:11], v7 offset1:4
	ds_load_2addr_b64 v[36:39], v7 offset0:8 offset1:12
	ds_load_2addr_b64 v[54:57], v7 offset0:16 offset1:20
	s_wait_alu 0xfffe
	s_add_co_i32 s7, s7, 8
	s_wait_alu 0xfffe
	s_cmp_eq_u32 s92, s7
	s_wait_dscnt 0x2
	v_add_co_u32 v3, vcc_lo, v8, v3
	s_wait_alu 0xfffd
	v_add_co_ci_u32_e64 v4, null, v9, v4, vcc_lo
	s_delay_alu instid0(VALU_DEP_2) | instskip(SKIP_1) | instid1(VALU_DEP_2)
	v_add_co_u32 v3, vcc_lo, v10, v3
	s_wait_alu 0xfffd
	v_add_co_ci_u32_e64 v4, null, v11, v4, vcc_lo
	ds_load_2addr_b64 v[8:11], v7 offset0:24 offset1:28
	s_wait_dscnt 0x2
	v_add_co_u32 v3, vcc_lo, v36, v3
	s_wait_alu 0xfffd
	v_add_co_ci_u32_e64 v4, null, v37, v4, vcc_lo
	v_add_nc_u32_e32 v7, 0x100, v7
	s_delay_alu instid0(VALU_DEP_3) | instskip(SKIP_1) | instid1(VALU_DEP_3)
	v_add_co_u32 v3, vcc_lo, v38, v3
	s_wait_alu 0xfffd
	v_add_co_ci_u32_e64 v4, null, v39, v4, vcc_lo
	s_wait_dscnt 0x1
	s_delay_alu instid0(VALU_DEP_2) | instskip(SKIP_1) | instid1(VALU_DEP_2)
	v_add_co_u32 v3, vcc_lo, v54, v3
	s_wait_alu 0xfffd
	v_add_co_ci_u32_e64 v4, null, v55, v4, vcc_lo
	s_delay_alu instid0(VALU_DEP_2) | instskip(SKIP_1) | instid1(VALU_DEP_2)
	v_add_co_u32 v3, vcc_lo, v56, v3
	s_wait_alu 0xfffd
	v_add_co_ci_u32_e64 v4, null, v57, v4, vcc_lo
	s_wait_dscnt 0x0
	s_delay_alu instid0(VALU_DEP_2) | instskip(SKIP_1) | instid1(VALU_DEP_2)
	v_add_co_u32 v3, vcc_lo, v8, v3
	s_wait_alu 0xfffd
	v_add_co_ci_u32_e64 v4, null, v9, v4, vcc_lo
	s_delay_alu instid0(VALU_DEP_2) | instskip(SKIP_1) | instid1(VALU_DEP_2)
	v_add_co_u32 v3, vcc_lo, v10, v3
	s_wait_alu 0xfffd
	v_add_co_ci_u32_e64 v4, null, v11, v4, vcc_lo
	s_cbranch_scc0 .LBB29_51
; %bb.52:                               ;   in Loop: Header=BB29_16 Depth=1
	s_mov_b32 s7, s92
	s_and_not1_b32 vcc_lo, exec_lo, s93
	s_wait_alu 0xfffe
	s_cbranch_vccz .LBB29_81
	s_branch .LBB29_83
.LBB29_53:                              ;   in Loop: Header=BB29_16 Depth=1
	global_load_u16 v3, v18, s[38:39]
	s_mov_b32 s6, s25
	s_mov_b32 s7, s37
	s_wait_loadcnt 0x0
	v_readfirstlane_b32 s5, v3
	s_wait_alu 0xfffe
	s_and_b32 s5, 0xffff, s5
	s_wait_alu 0xfffe
	s_lshl_b32 s74, s5, 2
	s_cmp_lg_u64 s[6:7], 0
	s_cbranch_scc0 .LBB29_76
; %bb.54:                               ;   in Loop: Header=BB29_16 Depth=1
	s_mov_b32 s75, s25
	s_wait_alu 0xfffe
	s_add_nc_u64 s[6:7], s[74:75], 0
	s_wait_alu 0xfffe
	s_xor_b64 s[6:7], s[6:7], 0
	s_wait_alu 0xfffe
	s_cvt_f32_u32 s5, s6
	s_cvt_f32_u32 s8, s7
	s_sub_nc_u64 s[10:11], 0, s[6:7]
	s_wait_alu 0xfffe
	s_delay_alu instid0(SALU_CYCLE_1) | instskip(SKIP_1) | instid1(SALU_CYCLE_2)
	s_fmamk_f32 s5, s8, 0x4f800000, s5
	s_wait_alu 0xfffe
	v_s_rcp_f32 s5, s5
	s_delay_alu instid0(TRANS32_DEP_1) | instskip(SKIP_1) | instid1(SALU_CYCLE_2)
	s_mul_f32 s5, s5, 0x5f7ffffc
	s_wait_alu 0xfffe
	s_mul_f32 s8, s5, 0x2f800000
	s_wait_alu 0xfffe
	s_delay_alu instid0(SALU_CYCLE_2) | instskip(SKIP_1) | instid1(SALU_CYCLE_2)
	s_trunc_f32 s8, s8
	s_wait_alu 0xfffe
	s_fmamk_f32 s5, s8, 0xcf800000, s5
	s_cvt_u32_f32 s9, s8
	s_wait_alu 0xfffe
	s_delay_alu instid0(SALU_CYCLE_1) | instskip(SKIP_1) | instid1(SALU_CYCLE_2)
	s_cvt_u32_f32 s8, s5
	s_wait_alu 0xfffe
	s_mul_u64 s[12:13], s[10:11], s[8:9]
	s_wait_alu 0xfffe
	s_mul_hi_u32 s15, s8, s13
	s_mul_i32 s14, s8, s13
	s_mul_hi_u32 s24, s8, s12
	s_mul_i32 s16, s9, s12
	s_wait_alu 0xfffe
	s_add_nc_u64 s[14:15], s[24:25], s[14:15]
	s_mul_hi_u32 s5, s9, s12
	s_mul_hi_u32 s17, s9, s13
	s_mul_i32 s12, s9, s13
	s_wait_alu 0xfffe
	s_add_co_u32 s13, s14, s16
	s_add_co_ci_u32 s24, s15, s5
	s_add_co_ci_u32 s13, s17, 0
	s_wait_alu 0xfffe
	s_add_nc_u64 s[12:13], s[24:25], s[12:13]
	s_wait_alu 0xfffe
	s_add_co_u32 s8, s8, s12
	s_cselect_b32 s5, -1, 0
	s_wait_alu 0xfffe
	s_cmp_lg_u32 s5, 0
	s_add_co_ci_u32 s9, s9, s13
	s_wait_alu 0xfffe
	s_mul_u64 s[10:11], s[10:11], s[8:9]
	s_wait_alu 0xfffe
	s_mul_hi_u32 s13, s8, s11
	s_mul_i32 s12, s8, s11
	s_mul_hi_u32 s24, s8, s10
	s_mul_i32 s14, s9, s10
	s_wait_alu 0xfffe
	s_add_nc_u64 s[12:13], s[24:25], s[12:13]
	s_mul_hi_u32 s5, s9, s10
	s_mul_hi_u32 s15, s9, s11
	s_mul_i32 s10, s9, s11
	s_wait_alu 0xfffe
	s_add_co_u32 s11, s12, s14
	s_add_co_ci_u32 s24, s13, s5
	s_add_co_ci_u32 s11, s15, 0
	s_wait_alu 0xfffe
	s_add_nc_u64 s[10:11], s[24:25], s[10:11]
	s_wait_alu 0xfffe
	s_add_co_u32 s5, s8, s10
	s_cselect_b32 s8, -1, 0
	s_wait_alu 0xfffe
	s_cmp_lg_u32 s8, 0
	s_add_co_ci_u32 s14, s9, s11
	s_ashr_i32 s8, s37, 31
	s_wait_alu 0xfffe
	s_mov_b32 s9, s8
	s_wait_alu 0xfffe
	s_add_nc_u64 s[10:11], s[36:37], s[8:9]
	s_wait_alu 0xfffe
	s_xor_b64 s[10:11], s[10:11], s[8:9]
	s_wait_alu 0xfffe
	s_mul_hi_u32 s13, s10, s14
	s_mul_i32 s12, s10, s14
	s_mul_hi_u32 s24, s10, s5
	s_mul_hi_u32 s16, s11, s5
	s_mul_i32 s5, s11, s5
	s_wait_alu 0xfffe
	s_add_nc_u64 s[12:13], s[24:25], s[12:13]
	s_mul_hi_u32 s15, s11, s14
	s_wait_alu 0xfffe
	s_add_co_u32 s5, s12, s5
	s_add_co_ci_u32 s24, s13, s16
	s_mul_i32 s14, s11, s14
	s_add_co_ci_u32 s15, s15, 0
	s_wait_alu 0xfffe
	s_add_nc_u64 s[12:13], s[24:25], s[14:15]
	s_wait_alu 0xfffe
	s_mul_u64 s[12:13], s[6:7], s[12:13]
	s_wait_alu 0xfffe
	s_sub_co_u32 s5, s10, s12
	s_cselect_b32 s10, -1, 0
	s_sub_co_i32 s12, s11, s13
	s_wait_alu 0xfffe
	s_cmp_lg_u32 s10, 0
	s_sub_co_ci_u32 s12, s12, s7
	s_sub_co_u32 s14, s5, s6
	s_cselect_b32 s15, -1, 0
	s_wait_alu 0xfffe
	s_cmp_lg_u32 s15, 0
	s_sub_co_ci_u32 s16, s12, 0
	s_wait_alu 0xfffe
	s_cmp_ge_u32 s16, s7
	s_cselect_b32 s17, -1, 0
	s_cmp_ge_u32 s14, s6
	s_cselect_b32 s18, -1, 0
	s_cmp_eq_u32 s16, s7
	s_wait_alu 0xfffe
	s_cselect_b32 s17, s18, s17
	s_cmp_lg_u32 s15, 0
	s_sub_co_ci_u32 s12, s12, s7
	s_sub_co_u32 s15, s14, s6
	s_cselect_b32 s18, -1, 0
	s_delay_alu instid0(SALU_CYCLE_1)
	s_cmp_lg_u32 s18, 0
	s_wait_alu 0xfffe
	s_sub_co_ci_u32 s12, s12, 0
	s_cmp_lg_u32 s17, 0
	s_cselect_b32 s14, s15, s14
	s_wait_alu 0xfffe
	s_cselect_b32 s12, s12, s16
	s_cmp_lg_u32 s10, 0
	s_sub_co_ci_u32 s10, s11, s13
	s_wait_alu 0xfffe
	s_cmp_ge_u32 s10, s7
	s_cselect_b32 s11, -1, 0
	s_cmp_ge_u32 s5, s6
	s_cselect_b32 s6, -1, 0
	s_cmp_eq_u32 s10, s7
	s_wait_alu 0xfffe
	s_cselect_b32 s6, s6, s11
	s_wait_alu 0xfffe
	s_cmp_lg_u32 s6, 0
	s_cselect_b32 s7, s12, s10
	s_cselect_b32 s6, s14, s5
	s_wait_alu 0xfffe
	s_xor_b64 s[6:7], s[6:7], s[8:9]
	s_wait_alu 0xfffe
	s_sub_nc_u64 s[76:77], s[6:7], s[8:9]
	s_cbranch_execnz .LBB29_56
.LBB29_55:                              ;   in Loop: Header=BB29_16 Depth=1
	s_wait_alu 0xfffe
	v_cvt_f32_u32_e32 v4, s74
	s_sub_co_i32 s6, 0, s74
	s_delay_alu instid0(VALU_DEP_1) | instskip(NEXT) | instid1(TRANS32_DEP_1)
	v_rcp_iflag_f32_e32 v4, v4
	v_mul_f32_e32 v4, 0x4f7ffffe, v4
	s_delay_alu instid0(VALU_DEP_1) | instskip(NEXT) | instid1(VALU_DEP_1)
	v_cvt_u32_f32_e32 v4, v4
	v_readfirstlane_b32 s5, v4
	s_wait_alu 0xfffe
	s_mul_i32 s6, s6, s5
	s_wait_alu 0xfffe
	s_mul_hi_u32 s6, s5, s6
	s_wait_alu 0xfffe
	s_add_co_i32 s5, s5, s6
	s_wait_alu 0xfffe
	s_mul_hi_u32 s5, s36, s5
	s_wait_alu 0xfffe
	s_mul_i32 s5, s5, s74
	s_wait_alu 0xfffe
	s_sub_co_i32 s5, s36, s5
	s_wait_alu 0xfffe
	s_sub_co_i32 s6, s5, s74
	s_cmp_ge_u32 s5, s74
	s_wait_alu 0xfffe
	s_cselect_b32 s5, s6, s5
	s_wait_alu 0xfffe
	s_sub_co_i32 s6, s5, s74
	s_cmp_ge_u32 s5, s74
	s_wait_alu 0xfffe
	s_cselect_b32 s24, s6, s5
	s_wait_alu 0xfffe
	s_mov_b64 s[76:77], s[24:25]
.LBB29_56:                              ;   in Loop: Header=BB29_16 Depth=1
	v_mov_b32_e32 v7, 0
	v_dual_mov_b32 v11, 0 :: v_dual_mov_b32 v8, 0
	v_dual_mov_b32 v9, 0 :: v_dual_mov_b32 v12, 0
	;; [unrolled: 1-line block ×3, first 2 shown]
	v_mov_b32_e32 v14, 0
	v_and_b32_e32 v54, 0xffff, v3
	s_wait_alu 0xfffe
	s_sub_nc_u64 s[78:79], s[36:37], s[76:77]
	s_mov_b32 s73, exec_lo
	s_wait_alu 0xfffe
	v_cmpx_gt_i64_e64 s[78:79], v[21:22]
	s_cbranch_execz .LBB29_60
; %bb.57:                               ;   in Loop: Header=BB29_16 Depth=1
	v_mul_lo_u32 v3, v54, s71
	v_mul_hi_u32 v7, v54, s70
	v_mul_lo_u32 v38, v54, s70
	v_dual_mov_b32 v37, v22 :: v_dual_mov_b32 v36, v21
	s_mov_b64 s[80:81], 0
	s_mov_b32 s75, 0
	s_mov_b64 s[82:83], 0
	s_delay_alu instid0(VALU_DEP_4) | instskip(SKIP_3) | instid1(VALU_DEP_2)
	v_dual_mov_b32 v3, s60 :: v_dual_add_nc_u32 v8, v3, v53
	v_mov_b32_e32 v4, s61
	s_mov_b64 s[84:85], 0
	s_mov_b64 s[86:87], 0
	v_add_nc_u32_e32 v39, v8, v7
.LBB29_58:                              ;   Parent Loop BB29_16 Depth=1
                                        ; =>  This Inner Loop Header: Depth=2
	v_add_co_u32 v7, vcc_lo, v3, v28
	s_wait_alu 0xfffd
	v_add_co_ci_u32_e64 v8, null, v4, v29, vcc_lo
	v_add_co_u32 v9, vcc_lo, v3, v27
	s_wait_alu 0xfffd
	v_add_co_ci_u32_e64 v10, null, v4, v48, vcc_lo
	;; [unrolled: 3-line block ×4, first 2 shown]
	s_clause 0x3
	global_load_b64 v[7:8], v[7:8], off
	global_load_b64 v[9:10], v[9:10], off
	;; [unrolled: 1-line block ×4, first 2 shown]
	v_dual_mov_b32 v58, v18 :: v_dual_mov_b32 v41, v18
	v_mov_b32_e32 v56, v18
	v_add_co_u32 v36, vcc_lo, v36, s74
	s_wait_alu 0xfffd
	v_add_co_ci_u32_e64 v37, null, 0, v37, vcc_lo
	v_add_co_u32 v3, vcc_lo, v3, v38
	s_wait_alu 0xfffd
	v_add_co_ci_u32_e64 v4, null, v4, v39, vcc_lo
	s_delay_alu instid0(VALU_DEP_3)
	v_cmp_le_i64_e32 vcc_lo, s[78:79], v[36:37]
	s_wait_loadcnt 0x3
	v_xor_b32_e32 v8, 0x80000000, v8
	s_wait_loadcnt 0x2
	v_xor_b32_e32 v10, 0x80000000, v10
	;; [unrolled: 2-line block ×3, first 2 shown]
	v_and_b32_e32 v59, v7, v32
	s_wait_loadcnt 0x0
	v_xor_b32_e32 v14, 0x80000000, v14
	v_and_b32_e32 v60, v8, v33
	v_lshrrev_b64 v[7:8], s95, v[7:8]
	v_and_b32_e32 v61, v9, v32
	v_lshrrev_b64 v[8:9], s95, v[9:10]
	;; [unrolled: 2-line block ×4, first 2 shown]
	v_and_b32_e32 v17, 3, v7
	v_and_b32_e32 v40, 3, v8
	;; [unrolled: 1-line block ×4, first 2 shown]
	v_cmp_eq_u64_e64 s5, v[59:60], v[30:31]
	v_cmp_eq_u64_e64 s9, 0, v[17:18]
	v_and_b32_e32 v65, v13, v32
	v_and_b32_e32 v66, v14, v33
	;; [unrolled: 1-line block ×3, first 2 shown]
	v_cmp_eq_u64_e64 s6, v[61:62], v[30:31]
	v_cmp_eq_u64_e64 s10, 0, v[40:41]
	;; [unrolled: 1-line block ×6, first 2 shown]
	s_and_b32 s9, s5, s9
	v_cmp_eq_u64_e64 s13, 1, v[17:18]
	s_wait_alu 0xfffe
	v_cndmask_b32_e64 v7, 0, 1, s9
	s_and_b32 s9, s6, s10
	v_cmp_eq_u64_e64 s14, 1, v[40:41]
	s_wait_alu 0xfffe
	v_cndmask_b32_e64 v8, 0, 1, s9
	;; [unrolled: 4-line block ×4, first 2 shown]
	s_and_b32 s9, s5, s13
	v_cmp_eq_u64_e64 s17, 2, v[17:18]
	v_cmp_eq_u64_e64 s21, 3, v[17:18]
	s_wait_alu 0xfffe
	v_cndmask_b32_e64 v11, 0, 1, s9
	s_and_b32 s9, s6, s14
	v_cmp_eq_u64_e64 s22, 3, v[40:41]
	s_wait_alu 0xfffe
	v_cndmask_b32_e64 v12, 0, 1, s9
	s_and_b32 s9, s7, s15
	v_cmp_eq_u64_e64 s18, 2, v[40:41]
	v_cmp_eq_u64_e64 s23, 3, v[55:56]
	s_wait_alu 0xfffe
	v_cndmask_b32_e64 v13, 0, 1, s9
	s_and_b32 s9, s8, s16
	v_cmp_eq_u64_e64 s19, 2, v[55:56]
	v_cmp_eq_u64_e64 s24, 3, v[57:58]
	s_wait_alu 0xfffe
	v_cndmask_b32_e64 v14, 0, 1, s9
	s_and_b32 s9, s5, s17
	s_and_b32 s5, s5, s21
	v_cmp_eq_u64_e64 s20, 2, v[57:58]
	s_wait_alu 0xfffe
	v_cndmask_b32_e64 v56, 0, 1, s5
	s_and_b32 s5, s6, s22
	v_cndmask_b32_e64 v17, 0, 1, s9
	s_and_b32 s9, s6, s18
	s_wait_alu 0xfffe
	v_cndmask_b32_e64 v57, 0, 1, s5
	s_and_b32 s5, s7, s23
	v_cndmask_b32_e64 v40, 0, 1, s9
	s_and_b32 s9, s7, s19
	;; [unrolled: 5-line block ×3, first 2 shown]
	s_wait_alu 0xfffe
	v_cndmask_b32_e64 v59, 0, 1, s5
	v_cmp_ne_u32_e64 s5, 0, v7
	v_cmp_ne_u32_e64 s6, 0, v8
	v_cndmask_b32_e64 v55, 0, 1, s9
	v_cmp_ne_u32_e64 s7, 0, v9
	v_cmp_ne_u32_e64 s9, 0, v11
	;; [unrolled: 1-line block ×7, first 2 shown]
	s_bcnt1_i32_b32 s5, s5
	s_bcnt1_i32_b32 s6, s6
	v_cmp_ne_u32_e64 s12, 0, v14
	v_cmp_ne_u32_e64 s15, 0, v41
	;; [unrolled: 1-line block ×4, first 2 shown]
	s_bcnt1_i32_b32 s7, s7
	s_bcnt1_i32_b32 s9, s9
	;; [unrolled: 1-line block ×3, first 2 shown]
	s_wait_alu 0xfffe
	s_add_co_i32 s5, s6, s5
	v_cmp_ne_u32_e64 s16, 0, v55
	v_cmp_ne_u32_e64 s19, 0, v58
	s_bcnt1_i32_b32 s8, s8
	s_bcnt1_i32_b32 s11, s11
	s_bcnt1_i32_b32 s13, s13
	s_bcnt1_i32_b32 s14, s14
	s_add_co_i32 s6, s10, s9
	s_wait_alu 0xfffe
	s_add_co_i32 s5, s5, s7
	v_cmp_ne_u32_e64 s20, 0, v59
	s_bcnt1_i32_b32 s12, s12
	s_bcnt1_i32_b32 s15, s15
	;; [unrolled: 1-line block ×4, first 2 shown]
	s_add_co_i32 s9, s14, s13
	s_add_co_i32 s6, s6, s11
	s_wait_alu 0xfffe
	s_add_co_i32 s24, s5, s8
	s_bcnt1_i32_b32 s16, s16
	s_bcnt1_i32_b32 s19, s19
	s_add_co_i32 s10, s18, s17
	s_add_co_i32 s7, s9, s15
	s_wait_alu 0xfffe
	s_add_nc_u64 s[86:87], s[86:87], s[24:25]
	s_add_co_i32 s24, s6, s12
	s_bcnt1_i32_b32 s20, s20
	s_add_co_i32 s9, s10, s19
	s_wait_alu 0xfffe
	s_add_nc_u64 s[84:85], s[84:85], s[24:25]
	s_add_co_i32 s24, s7, s16
	v_mov_b32_e32 v7, s86
	s_wait_alu 0xfffe
	s_add_nc_u64 s[82:83], s[82:83], s[24:25]
	s_add_co_i32 s24, s9, s20
	v_mov_b32_e32 v9, s84
	s_wait_alu 0xfffe
	s_add_nc_u64 s[80:81], s[80:81], s[24:25]
	v_mov_b32_e32 v11, s82
	s_wait_alu 0xfffe
	v_dual_mov_b32 v13, s80 :: v_dual_mov_b32 v8, s87
	v_mov_b32_e32 v10, s85
	v_mov_b32_e32 v12, s83
	;; [unrolled: 1-line block ×3, first 2 shown]
	s_or_b32 s75, vcc_lo, s75
	s_wait_alu 0xfffe
	s_and_not1_b32 exec_lo, exec_lo, s75
	s_cbranch_execnz .LBB29_58
; %bb.59:                               ;   in Loop: Header=BB29_16 Depth=1
	s_or_b32 exec_lo, exec_lo, s75
.LBB29_60:                              ;   in Loop: Header=BB29_16 Depth=1
	s_wait_alu 0xfffe
	s_or_b32 exec_lo, exec_lo, s73
	v_add_co_u32 v3, s5, s78, v0
	s_wait_alu 0xf1ff
	v_add_co_ci_u32_e64 v4, null, s79, 0, s5
	s_mov_b32 s9, exec_lo
	v_cmpx_gt_i64_e64 s[36:37], v[3:4]
	s_cbranch_execz .LBB29_66
; %bb.61:                               ;   in Loop: Header=BB29_16 Depth=1
	v_mul_lo_u32 v17, v4, s42
	v_mul_lo_u32 v38, v3, s43
	v_mad_co_u64_u32 v[36:37], null, v3, s42, 0
	v_mul_lo_u32 v55, v54, s68
	s_mov_b32 s10, 0
	s_delay_alu instid0(VALU_DEP_2) | instskip(SKIP_1) | instid1(VALU_DEP_2)
	v_add3_u32 v37, v37, v38, v17
	v_mul_lo_u32 v38, v54, s69
	v_lshlrev_b64_e32 v[36:37], 3, v[36:37]
	s_delay_alu instid0(VALU_DEP_2) | instskip(NEXT) | instid1(VALU_DEP_2)
	v_add_nc_u32_e32 v38, v38, v52
	v_add_co_u32 v36, vcc_lo, s60, v36
	s_wait_alu 0xfffd
	s_delay_alu instid0(VALU_DEP_3)
	v_add_co_ci_u32_e64 v37, null, s61, v37, vcc_lo
	v_add_co_u32 v17, vcc_lo, v49, v54
	global_load_b64 v[40:41], v[36:37], off
	s_wait_alu 0xfffd
	v_add_co_ci_u32_e64 v36, null, 0, v50, vcc_lo
	v_sub_co_u32 v17, vcc_lo, v17, s76
	s_wait_alu 0xfffd
	s_delay_alu instid0(VALU_DEP_2) | instskip(NEXT) | instid1(VALU_DEP_2)
	v_subrev_co_ci_u32_e64 v36, null, s77, v36, vcc_lo
	v_mul_lo_u32 v56, s69, v17
	s_delay_alu instid0(VALU_DEP_2) | instskip(SKIP_2) | instid1(VALU_DEP_2)
	v_mul_lo_u32 v39, s68, v36
	v_mad_co_u64_u32 v[36:37], null, s68, v17, s[66:67]
	v_mul_hi_u32 v17, v54, s68
	v_add3_u32 v37, v56, v37, v39
	s_delay_alu instid0(VALU_DEP_2)
	v_add_nc_u32_e32 v56, v38, v17
	s_branch .LBB29_63
.LBB29_62:                              ;   in Loop: Header=BB29_63 Depth=2
	s_wait_alu 0xfffe
	s_or_b32 exec_lo, exec_lo, s6
	s_wait_loadcnt 0x0
	v_xor_b32_e32 v41, 0x80000000, v41
	s_and_b32 s7, exec_lo, vcc_lo
	s_wait_alu 0xfffe
	s_or_b32 s10, s7, s10
	s_delay_alu instid0(VALU_DEP_1) | instskip(SKIP_2) | instid1(VALU_DEP_3)
	v_lshrrev_b64 v[57:58], s95, v[40:41]
	v_and_b32_e32 v40, v40, v32
	v_and_b32_e32 v41, v41, v33
	;; [unrolled: 1-line block ×3, first 2 shown]
	s_delay_alu instid0(VALU_DEP_2) | instskip(NEXT) | instid1(VALU_DEP_2)
	v_cmp_eq_u64_e64 s5, v[40:41], v[30:31]
	v_cmp_eq_u64_e64 s6, 0, v[17:18]
	v_cmp_eq_u64_e32 vcc_lo, 1, v[17:18]
	v_cmp_eq_u64_e64 s7, 2, v[17:18]
	v_cmp_eq_u64_e64 s8, 3, v[17:18]
	s_and_b32 s6, s5, s6
	s_wait_alu 0xfffe
	v_cndmask_b32_e64 v17, 0, 1, s6
	s_and_b32 s6, s5, vcc_lo
	s_wait_alu 0xfffe
	v_cndmask_b32_e64 v40, 0, 1, s6
	s_and_b32 s6, s5, s7
	s_and_b32 s5, s5, s8
	s_wait_alu 0xfffe
	v_cndmask_b32_e64 v41, 0, 1, s6
	v_cmp_ne_u32_e32 vcc_lo, 0, v17
	v_cndmask_b32_e64 v57, 0, 1, s5
	v_cmp_ne_u32_e64 s5, 0, v40
	s_delay_alu instid0(VALU_DEP_4)
	v_cmp_ne_u32_e64 s6, 0, v41
	s_bcnt1_i32_b32 s8, vcc_lo
	v_cmp_ne_u32_e64 s7, 0, v57
	s_bcnt1_i32_b32 s5, s5
	s_wait_alu 0xfffe
	v_add_co_u32 v7, vcc_lo, v7, s8
	s_bcnt1_i32_b32 s6, s6
	s_wait_alu 0xfffd
	v_add_co_ci_u32_e64 v8, null, 0, v8, vcc_lo
	v_add_co_u32 v9, vcc_lo, v9, s5
	s_wait_alu 0xfffd
	v_add_co_ci_u32_e64 v10, null, 0, v10, vcc_lo
	s_wait_alu 0xfffe
	v_add_co_u32 v11, vcc_lo, v11, s6
	s_bcnt1_i32_b32 s5, s7
	s_wait_alu 0xfffd
	v_add_co_ci_u32_e64 v12, null, 0, v12, vcc_lo
	s_wait_alu 0xfffe
	v_add_co_u32 v13, vcc_lo, v13, s5
	s_wait_alu 0xfffd
	v_add_co_ci_u32_e64 v14, null, 0, v14, vcc_lo
	v_add_co_u32 v36, vcc_lo, v36, v55
	v_mov_b32_e32 v41, v39
	s_wait_alu 0xfffd
	v_add_co_ci_u32_e64 v37, null, v37, v56, vcc_lo
	v_mov_b32_e32 v40, v38
	s_and_not1_b32 exec_lo, exec_lo, s10
	s_cbranch_execz .LBB29_65
.LBB29_63:                              ;   Parent Loop BB29_16 Depth=1
                                        ; =>  This Inner Loop Header: Depth=2
	v_add_co_u32 v3, vcc_lo, v3, v54
	v_mov_b32_e32 v38, 0
	s_wait_alu 0xfffd
	v_add_co_ci_u32_e64 v4, null, 0, v4, vcc_lo
	v_mov_b32_e32 v39, 0
	s_mov_b32 s6, exec_lo
	s_delay_alu instid0(VALU_DEP_2)
	v_cmp_le_i64_e32 vcc_lo, s[36:37], v[3:4]
	v_cmpx_gt_i64_e64 s[36:37], v[3:4]
	s_cbranch_execz .LBB29_62
; %bb.64:                               ;   in Loop: Header=BB29_63 Depth=2
	global_load_b64 v[38:39], v[36:37], off
	s_branch .LBB29_62
.LBB29_65:                              ;   in Loop: Header=BB29_16 Depth=1
	s_or_b32 exec_lo, exec_lo, s10
.LBB29_66:                              ;   in Loop: Header=BB29_16 Depth=1
	s_wait_alu 0xfffe
	s_or_b32 exec_lo, exec_lo, s9
	s_branch .LBB29_45
.LBB29_67:                              ;   in Loop: Header=BB29_16 Depth=1
	global_load_u16 v3, v18, s[38:39]
	s_mov_b32 s84, exec_lo
	v_mov_b32_e32 v7, 0
	v_dual_mov_b32 v8, 0 :: v_dual_mov_b32 v9, 0
	v_dual_mov_b32 v10, 0 :: v_dual_mov_b32 v11, 0
	;; [unrolled: 1-line block ×3, first 2 shown]
	v_mov_b32_e32 v14, 0
	s_wait_loadcnt 0x0
	v_readfirstlane_b32 s5, v3
	v_and_b32_e32 v38, 0xffff, v3
	s_and_b32 s73, 0xffff, s5
	s_wait_alu 0xfffe
	s_lshl_b32 s83, s73, 2
	s_wait_alu 0xfffe
	s_cvt_f32_u32 s5, s83
	s_sub_co_i32 s6, 0, s83
	s_wait_alu 0xfffe
	s_delay_alu instid0(SALU_CYCLE_1) | instskip(NEXT) | instid1(TRANS32_DEP_1)
	v_rcp_iflag_f32_e32 v4, s5
	v_readfirstlane_b32 s5, v4
	s_mul_f32 s5, s5, 0x4f7ffffe
	s_wait_alu 0xfffe
	s_delay_alu instid0(SALU_CYCLE_2) | instskip(SKIP_1) | instid1(SALU_CYCLE_2)
	s_cvt_u32_f32 s5, s5
	s_wait_alu 0xfffe
	s_mul_i32 s6, s6, s5
	s_wait_alu 0xfffe
	s_mul_hi_u32 s6, s5, s6
	s_wait_alu 0xfffe
	s_add_co_i32 s5, s5, s6
	s_wait_alu 0xfffe
	s_mul_hi_u32 s5, s72, s5
	s_wait_alu 0xfffe
	s_mul_i32 s6, s5, s83
	s_add_co_i32 s7, s5, 1
	s_wait_alu 0xfffe
	s_sub_co_i32 s6, s72, s6
	s_wait_alu 0xfffe
	s_sub_co_i32 s8, s6, s83
	s_cmp_ge_u32 s6, s83
	s_cselect_b32 s5, s7, s5
	s_wait_alu 0xfffe
	s_cselect_b32 s6, s8, s6
	s_add_co_i32 s7, s5, 1
	s_wait_alu 0xfffe
	s_cmp_ge_u32 s6, s83
	s_cselect_b32 s82, s7, s5
	s_wait_alu 0xfffe
	v_mul_hi_u32 v4, s82, v38
	v_mul_lo_u32 v3, s82, v38
	s_delay_alu instid0(VALU_DEP_1) | instskip(NEXT) | instid1(VALU_DEP_1)
	v_lshlrev_b64_e32 v[3:4], 2, v[3:4]
	v_cmpx_gt_u64_e64 v[3:4], v[21:22]
	s_cbranch_execz .LBB29_71
; %bb.68:                               ;   in Loop: Header=BB29_16 Depth=1
	v_mov_b32_e32 v37, v22
	v_dual_mov_b32 v39, v46 :: v_dual_mov_b32 v36, v21
	s_lshl_b32 s85, s73, 5
	s_mov_b64 s[74:75], 0
	s_mov_b32 s86, 0
	s_mov_b64 s[76:77], 0
	s_mov_b64 s[78:79], 0
	;; [unrolled: 1-line block ×3, first 2 shown]
.LBB29_69:                              ;   Parent Loop BB29_16 Depth=1
                                        ; =>  This Inner Loop Header: Depth=2
	ds_load_b128 v[7:10], v39
	ds_load_b128 v[11:14], v39 offset:16
	v_mov_b32_e32 v41, v18
	v_mov_b32_e32 v55, v18
	;; [unrolled: 1-line block ×3, first 2 shown]
	v_add_co_u32 v36, vcc_lo, v36, s83
	s_wait_alu 0xfffd
	v_add_co_ci_u32_e64 v37, null, 0, v37, vcc_lo
	s_delay_alu instid0(VALU_DEP_1)
	v_cmp_ge_u64_e32 vcc_lo, v[36:37], v[3:4]
	s_wait_dscnt 0x1
	v_xor_b32_e32 v8, 0x80000000, v8
	v_xor_b32_e32 v10, 0x80000000, v10
	s_wait_dscnt 0x0
	v_xor_b32_e32 v12, 0x80000000, v12
	v_and_b32_e32 v58, v7, v32
	v_xor_b32_e32 v14, 0x80000000, v14
	v_and_b32_e32 v59, v8, v33
	v_lshrrev_b64 v[7:8], s95, v[7:8]
	v_and_b32_e32 v60, v9, v32
	v_lshrrev_b64 v[8:9], s95, v[9:10]
	;; [unrolled: 2-line block ×4, first 2 shown]
	v_and_b32_e32 v17, 3, v7
	v_and_b32_e32 v40, 3, v8
	;; [unrolled: 1-line block ×4, first 2 shown]
	v_cmp_eq_u64_e64 s5, v[58:59], v[30:31]
	v_cmp_eq_u64_e64 s9, 0, v[17:18]
	v_and_b32_e32 v64, v13, v32
	v_and_b32_e32 v65, v14, v33
	;; [unrolled: 1-line block ×3, first 2 shown]
	v_cmp_eq_u64_e64 s6, v[60:61], v[30:31]
	v_cmp_eq_u64_e64 s10, 0, v[40:41]
	;; [unrolled: 1-line block ×6, first 2 shown]
	s_and_b32 s9, s5, s9
	v_cmp_eq_u64_e64 s13, 1, v[17:18]
	s_wait_alu 0xfffe
	v_cndmask_b32_e64 v7, 0, 1, s9
	s_and_b32 s9, s6, s10
	v_cmp_eq_u64_e64 s14, 1, v[40:41]
	s_wait_alu 0xfffe
	v_cndmask_b32_e64 v8, 0, 1, s9
	;; [unrolled: 4-line block ×4, first 2 shown]
	s_and_b32 s9, s5, s13
	v_cmp_eq_u64_e64 s17, 2, v[17:18]
	v_cmp_eq_u64_e64 s21, 3, v[17:18]
	s_wait_alu 0xfffe
	v_cndmask_b32_e64 v11, 0, 1, s9
	s_and_b32 s9, s6, s14
	v_cmp_eq_u64_e64 s22, 3, v[40:41]
	s_wait_alu 0xfffe
	v_cndmask_b32_e64 v12, 0, 1, s9
	s_and_b32 s9, s7, s15
	v_cmp_eq_u64_e64 s18, 2, v[40:41]
	v_cmp_eq_u64_e64 s23, 3, v[54:55]
	s_wait_alu 0xfffe
	v_cndmask_b32_e64 v13, 0, 1, s9
	s_and_b32 s9, s8, s16
	v_cmp_eq_u64_e64 s19, 2, v[54:55]
	v_cmp_eq_u64_e64 s24, 3, v[56:57]
	s_wait_alu 0xfffe
	v_cndmask_b32_e64 v14, 0, 1, s9
	s_and_b32 s9, s5, s17
	s_and_b32 s5, s5, s21
	v_cmp_eq_u64_e64 s20, 2, v[56:57]
	s_wait_alu 0xfffe
	v_cndmask_b32_e64 v55, 0, 1, s5
	s_and_b32 s5, s6, s22
	v_cndmask_b32_e64 v17, 0, 1, s9
	s_and_b32 s9, s6, s18
	s_wait_alu 0xfffe
	v_cndmask_b32_e64 v56, 0, 1, s5
	s_and_b32 s5, s7, s23
	v_cndmask_b32_e64 v40, 0, 1, s9
	s_and_b32 s9, s7, s19
	;; [unrolled: 5-line block ×3, first 2 shown]
	s_wait_alu 0xfffe
	v_cndmask_b32_e64 v58, 0, 1, s5
	v_cmp_ne_u32_e64 s5, 0, v7
	v_cmp_ne_u32_e64 s6, 0, v8
	v_cndmask_b32_e64 v54, 0, 1, s9
	v_cmp_ne_u32_e64 s7, 0, v9
	v_cmp_ne_u32_e64 s9, 0, v11
	;; [unrolled: 1-line block ×7, first 2 shown]
	s_bcnt1_i32_b32 s5, s5
	s_bcnt1_i32_b32 s6, s6
	v_cmp_ne_u32_e64 s12, 0, v14
	v_cmp_ne_u32_e64 s15, 0, v41
	;; [unrolled: 1-line block ×4, first 2 shown]
	s_bcnt1_i32_b32 s7, s7
	s_bcnt1_i32_b32 s9, s9
	;; [unrolled: 1-line block ×3, first 2 shown]
	s_wait_alu 0xfffe
	s_add_co_i32 s5, s6, s5
	v_cmp_ne_u32_e64 s16, 0, v54
	v_cmp_ne_u32_e64 s19, 0, v57
	s_bcnt1_i32_b32 s8, s8
	s_bcnt1_i32_b32 s11, s11
	;; [unrolled: 1-line block ×4, first 2 shown]
	s_add_co_i32 s6, s10, s9
	s_wait_alu 0xfffe
	s_add_co_i32 s5, s5, s7
	v_cmp_ne_u32_e64 s20, 0, v58
	s_bcnt1_i32_b32 s12, s12
	s_bcnt1_i32_b32 s15, s15
	s_bcnt1_i32_b32 s17, s17
	s_bcnt1_i32_b32 s18, s18
	s_add_co_i32 s9, s14, s13
	s_add_co_i32 s6, s6, s11
	s_wait_alu 0xfffe
	s_add_co_i32 s24, s5, s8
	s_bcnt1_i32_b32 s16, s16
	s_bcnt1_i32_b32 s19, s19
	s_add_co_i32 s10, s18, s17
	s_add_co_i32 s7, s9, s15
	s_wait_alu 0xfffe
	s_add_nc_u64 s[80:81], s[80:81], s[24:25]
	s_add_co_i32 s24, s6, s12
	s_bcnt1_i32_b32 s20, s20
	s_add_co_i32 s9, s10, s19
	s_wait_alu 0xfffe
	s_add_nc_u64 s[78:79], s[78:79], s[24:25]
	s_add_co_i32 s24, s7, s16
	v_mov_b32_e32 v7, s80
	s_wait_alu 0xfffe
	s_add_nc_u64 s[76:77], s[76:77], s[24:25]
	s_add_co_i32 s24, s9, s20
	v_mov_b32_e32 v9, s78
	s_wait_alu 0xfffe
	s_add_nc_u64 s[74:75], s[74:75], s[24:25]
	v_mov_b32_e32 v11, s76
	s_wait_alu 0xfffe
	v_mov_b32_e32 v13, s74
	v_dual_mov_b32 v8, s81 :: v_dual_add_nc_u32 v39, s85, v39
	v_mov_b32_e32 v10, s79
	v_mov_b32_e32 v12, s77
	v_mov_b32_e32 v14, s75
	s_or_b32 s86, vcc_lo, s86
	s_wait_alu 0xfffe
	s_and_not1_b32 exec_lo, exec_lo, s86
	s_cbranch_execnz .LBB29_69
; %bb.70:                               ;   in Loop: Header=BB29_16 Depth=1
	s_or_b32 exec_lo, exec_lo, s86
.LBB29_71:                              ;   in Loop: Header=BB29_16 Depth=1
	s_delay_alu instid0(SALU_CYCLE_1)
	s_or_b32 exec_lo, exec_lo, s84
	v_add_co_u32 v3, vcc_lo, v3, v0
	s_wait_alu 0xfffd
	v_add_co_ci_u32_e64 v4, null, 0, v4, vcc_lo
	s_and_b32 s24, s72, 0x7fffffff
	s_mov_b32 s10, exec_lo
	s_wait_alu 0xfffe
	v_cmpx_gt_u64_e64 s[24:25], v[3:4]
	s_cbranch_execz .LBB29_75
; %bb.72:                               ;   in Loop: Header=BB29_16 Depth=1
	s_mul_i32 s82, s82, s73
	s_lshl_b32 s12, s73, 3
	s_wait_alu 0xfffe
	v_lshl_add_u32 v36, s82, 5, v43
	s_mov_b32 s11, 0
.LBB29_73:                              ;   Parent Loop BB29_16 Depth=1
                                        ; =>  This Inner Loop Header: Depth=2
	ds_load_b64 v[39:40], v36
	v_add_co_u32 v3, vcc_lo, v3, v38
	s_wait_alu 0xfffd
	v_add_co_ci_u32_e64 v4, null, 0, v4, vcc_lo
	v_add_nc_u32_e32 v36, s12, v36
	s_delay_alu instid0(VALU_DEP_2) | instskip(SKIP_3) | instid1(VALU_DEP_2)
	v_cmp_le_u64_e32 vcc_lo, s[24:25], v[3:4]
	s_wait_dscnt 0x0
	v_xor_b32_e32 v40, 0x80000000, v40
	v_and_b32_e32 v54, v39, v32
	v_and_b32_e32 v55, v40, v33
	v_lshrrev_b64 v[39:40], s95, v[39:40]
	s_delay_alu instid0(VALU_DEP_2) | instskip(NEXT) | instid1(VALU_DEP_2)
	v_cmp_eq_u64_e64 s5, v[54:55], v[30:31]
	v_and_b32_e32 v17, 3, v39
	s_delay_alu instid0(VALU_DEP_1)
	v_cmp_eq_u64_e64 s6, 0, v[17:18]
	v_cmp_eq_u64_e64 s7, 1, v[17:18]
	;; [unrolled: 1-line block ×4, first 2 shown]
	s_and_b32 s6, s5, s6
	s_wait_alu 0xfffe
	v_cndmask_b32_e64 v17, 0, 1, s6
	s_and_b32 s6, s5, s7
	s_wait_alu 0xfffe
	v_cndmask_b32_e64 v37, 0, 1, s6
	s_and_b32 s6, s5, s8
	s_and_b32 s5, s5, s9
	s_wait_alu 0xfffe
	v_cndmask_b32_e64 v39, 0, 1, s6
	v_cndmask_b32_e64 v40, 0, 1, s5
	v_cmp_ne_u32_e64 s5, 0, v17
	v_cmp_ne_u32_e64 s6, 0, v37
	s_delay_alu instid0(VALU_DEP_4) | instskip(NEXT) | instid1(VALU_DEP_4)
	v_cmp_ne_u32_e64 s7, 0, v39
	v_cmp_ne_u32_e64 s8, 0, v40
	s_bcnt1_i32_b32 s5, s5
	s_bcnt1_i32_b32 s6, s6
	s_wait_alu 0xfffe
	v_add_co_u32 v7, s5, v7, s5
	s_bcnt1_i32_b32 s7, s7
	v_add_co_ci_u32_e64 v8, null, 0, v8, s5
	v_add_co_u32 v9, s5, v9, s6
	s_bcnt1_i32_b32 s8, s8
	v_add_co_ci_u32_e64 v10, null, 0, v10, s5
	s_wait_alu 0xfffe
	v_add_co_u32 v11, s5, v11, s7
	s_wait_alu 0xf1ff
	v_add_co_ci_u32_e64 v12, null, 0, v12, s5
	v_add_co_u32 v13, s5, v13, s8
	s_wait_alu 0xf1ff
	v_add_co_ci_u32_e64 v14, null, 0, v14, s5
	s_or_b32 s11, vcc_lo, s11
	s_wait_alu 0xfffe
	s_and_not1_b32 exec_lo, exec_lo, s11
	s_cbranch_execnz .LBB29_73
; %bb.74:                               ;   in Loop: Header=BB29_16 Depth=1
	s_or_b32 exec_lo, exec_lo, s11
.LBB29_75:                              ;   in Loop: Header=BB29_16 Depth=1
	s_wait_alu 0xfffe
	s_or_b32 exec_lo, exec_lo, s10
	s_lshl_b32 s5, s97, 7
	s_and_saveexec_b32 s6, s1
	s_cbranch_execnz .LBB29_46
	s_branch .LBB29_47
.LBB29_76:                              ;   in Loop: Header=BB29_16 Depth=1
                                        ; implicit-def: $sgpr76_sgpr77
	s_branch .LBB29_55
.LBB29_77:                              ;   in Loop: Header=BB29_16 Depth=1
	s_wait_alu 0xfffe
	s_or_b32 exec_lo, exec_lo, s8
	s_wait_loadcnt_dscnt 0x0
	s_barrier_signal -1
	s_barrier_wait -1
	global_inv scope:SCOPE_SE
	s_and_saveexec_b32 s5, s2
	s_cbranch_execz .LBB29_79
; %bb.78:                               ;   in Loop: Header=BB29_16 Depth=1
	ds_load_b32 v3, v18 offset:5136
	s_wait_dscnt 0x0
	v_ashrrev_i32_e32 v4, 31, v3
	ds_store_b64 v18, v[3:4] offset:5120
.LBB29_79:                              ;   in Loop: Header=BB29_16 Depth=1
	s_wait_alu 0xfffe
	s_or_b32 exec_lo, exec_lo, s5
	s_wait_loadcnt_dscnt 0x0
	s_barrier_signal -1
	s_mov_b32 s5, -1
	s_barrier_wait -1
	s_and_b32 vcc_lo, exec_lo, s7
	s_wait_alu 0xfffe
	s_cbranch_vccnz .LBB29_32
	s_branch .LBB29_41
.LBB29_80:                              ;   in Loop: Header=BB29_16 Depth=1
	s_mov_b32 s7, 0
	s_and_not1_b32 vcc_lo, exec_lo, s93
	s_wait_alu 0xfffe
	s_cbranch_vccnz .LBB29_83
.LBB29_81:                              ;   in Loop: Header=BB29_16 Depth=1
	s_lshl_b32 s8, s97, 10
	s_lshl_b32 s7, s7, 5
	s_wait_alu 0xfffe
	v_add3_u32 v7, s8, s7, v51
	s_mov_b32 s7, s90
.LBB29_82:                              ;   Parent Loop BB29_16 Depth=1
                                        ; =>  This Inner Loop Header: Depth=2
	ds_load_b64 v[8:9], v7
	v_add_nc_u32_e32 v7, 32, v7
	s_wait_alu 0xfffe
	s_add_co_i32 s7, s7, -1
	s_wait_alu 0xfffe
	s_cmp_lg_u32 s7, 0
	s_wait_dscnt 0x0
	v_add_co_u32 v3, vcc_lo, v8, v3
	s_wait_alu 0xfffd
	v_add_co_ci_u32_e64 v4, null, v9, v4, vcc_lo
	s_cbranch_scc1 .LBB29_82
.LBB29_83:                              ;   in Loop: Header=BB29_16 Depth=1
	v_add_lshl_u32 v7, s5, v42, 3
	ds_store_b64 v7, v[3:4] offset:3072
.LBB29_84:                              ;   in Loop: Header=BB29_16 Depth=1
	s_wait_alu 0xfffe
	s_or_b32 exec_lo, exec_lo, s6
	s_lshl_b32 s5, s5, 3
	s_wait_loadcnt_dscnt 0x0
	s_wait_alu 0xfffe
	v_mov_b32_e32 v3, s5
	s_barrier_signal -1
	s_barrier_wait -1
	global_inv scope:SCOPE_SE
	v_cmp_eq_u64_e32 vcc_lo, 1, v[34:35]
	ds_load_b128 v[7:10], v3 offset:3072
	ds_load_b128 v[11:14], v3 offset:3088
	s_lshl_b64 s[8:9], 3, s95
	s_mov_b32 s21, -1
	s_wait_alu 0xfffe
	s_not_b64 s[12:13], s[8:9]
                                        ; implicit-def: $sgpr19
                                        ; implicit-def: $sgpr18
	s_wait_dscnt 0x1
	v_cmp_eq_u64_e64 s5, 1, v[7:8]
	s_wait_dscnt 0x0
	v_readfirstlane_b32 s10, v11
	v_readfirstlane_b32 s11, v12
	;; [unrolled: 1-line block ×4, first 2 shown]
	s_and_b32 s22, s5, vcc_lo
	s_mov_b32 s5, -1
	s_wait_alu 0xfffe
	s_and_saveexec_b32 s20, s22
	s_cbranch_execz .LBB29_116
; %bb.85:                               ;   in Loop: Header=BB29_16 Depth=1
	ds_load_b64 v[3:4], v18 offset:5120
	s_wait_loadcnt_dscnt 0x0
	s_barrier_signal -1
	s_barrier_wait -1
	global_inv scope:SCOPE_SE
	v_readfirstlane_b32 s14, v3
	v_readfirstlane_b32 s15, v4
	s_and_saveexec_b32 s5, s3
; %bb.86:                               ;   in Loop: Header=BB29_16 Depth=1
	v_mov_b32_e32 v17, v18
	ds_store_b64 v44, v[17:18]
; %bb.87:                               ;   in Loop: Header=BB29_16 Depth=1
	s_wait_alu 0xfffe
	s_or_b32 exec_lo, exec_lo, s5
	v_cmp_lt_i64_e64 s5, s[14:15], 1
	v_and_b32_e32 v31, s13, v31
	v_and_b32_e32 v30, s12, v30
	v_or_b32_e32 v33, s9, v33
	v_or_b32_e32 v32, s8, v32
	s_mov_b32 s18, -1
	s_mov_b32 s19, 0
	s_and_b32 vcc_lo, exec_lo, s5
	s_mov_b32 s5, 0
	s_mov_b32 s23, -1
	s_wait_loadcnt_dscnt 0x0
	s_barrier_signal -1
	s_barrier_wait -1
	global_inv scope:SCOPE_SE
                                        ; implicit-def: $vgpr5_vgpr6
	s_wait_alu 0xfffe
	s_cbranch_vccz .LBB29_101
; %bb.88:                               ;   in Loop: Header=BB29_16 Depth=1
	s_mov_b32 s16, s25
	s_mov_b32 s17, s65
	s_wait_alu 0xfffe
	s_cmp_lg_u64 s[16:17], 0
	s_cbranch_scc0 .LBB29_142
; %bb.89:                               ;   in Loop: Header=BB29_16 Depth=1
	s_add_nc_u64 s[16:17], s[56:57], 0
	s_wait_alu 0xfffe
	s_xor_b64 s[16:17], s[16:17], 0
	s_wait_alu 0xfffe
	s_cvt_f32_u32 s5, s16
	s_cvt_f32_u32 s23, s17
	s_sub_nc_u64 s[74:75], 0, s[16:17]
	s_wait_alu 0xfffe
	s_delay_alu instid0(SALU_CYCLE_1) | instskip(SKIP_1) | instid1(SALU_CYCLE_2)
	s_fmamk_f32 s5, s23, 0x4f800000, s5
	s_wait_alu 0xfffe
	v_s_rcp_f32 s5, s5
	s_delay_alu instid0(TRANS32_DEP_1) | instskip(SKIP_1) | instid1(SALU_CYCLE_2)
	s_mul_f32 s5, s5, 0x5f7ffffc
	s_wait_alu 0xfffe
	s_mul_f32 s23, s5, 0x2f800000
	s_wait_alu 0xfffe
	s_delay_alu instid0(SALU_CYCLE_2) | instskip(SKIP_1) | instid1(SALU_CYCLE_2)
	s_trunc_f32 s23, s23
	s_wait_alu 0xfffe
	s_fmamk_f32 s5, s23, 0xcf800000, s5
	s_cvt_u32_f32 s73, s23
	s_wait_alu 0xfffe
	s_delay_alu instid0(SALU_CYCLE_1) | instskip(SKIP_1) | instid1(SALU_CYCLE_2)
	s_cvt_u32_f32 s72, s5
	s_wait_alu 0xfffe
	s_mul_u64 s[76:77], s[74:75], s[72:73]
	s_wait_alu 0xfffe
	s_mul_hi_u32 s79, s72, s77
	s_mul_i32 s78, s72, s77
	s_mul_hi_u32 s24, s72, s76
	s_mul_i32 s23, s73, s76
	s_wait_alu 0xfffe
	s_add_nc_u64 s[78:79], s[24:25], s[78:79]
	s_mul_hi_u32 s5, s73, s76
	s_mul_hi_u32 s80, s73, s77
	s_wait_alu 0xfffe
	s_add_co_u32 s23, s78, s23
	s_add_co_ci_u32 s24, s79, s5
	s_mul_i32 s76, s73, s77
	s_add_co_ci_u32 s77, s80, 0
	s_wait_alu 0xfffe
	s_add_nc_u64 s[76:77], s[24:25], s[76:77]
	s_wait_alu 0xfffe
	s_add_co_u32 s72, s72, s76
	s_cselect_b32 s5, -1, 0
	s_wait_alu 0xfffe
	s_cmp_lg_u32 s5, 0
	s_add_co_ci_u32 s73, s73, s77
	s_wait_alu 0xfffe
	s_mul_u64 s[74:75], s[74:75], s[72:73]
	s_wait_alu 0xfffe
	s_mul_hi_u32 s77, s72, s75
	s_mul_i32 s76, s72, s75
	s_mul_hi_u32 s24, s72, s74
	s_mul_i32 s23, s73, s74
	s_wait_alu 0xfffe
	s_add_nc_u64 s[76:77], s[24:25], s[76:77]
	s_mul_hi_u32 s5, s73, s74
	s_mul_hi_u32 s78, s73, s75
	s_wait_alu 0xfffe
	s_add_co_u32 s23, s76, s23
	s_add_co_ci_u32 s24, s77, s5
	s_mul_i32 s74, s73, s75
	s_add_co_ci_u32 s75, s78, 0
	s_wait_alu 0xfffe
	s_add_nc_u64 s[74:75], s[24:25], s[74:75]
	s_wait_alu 0xfffe
	s_add_co_u32 s5, s72, s74
	s_cselect_b32 s23, -1, 0
	s_wait_alu 0xfffe
	s_cmp_lg_u32 s23, 0
	s_add_co_ci_u32 s23, s73, s75
	s_ashr_i32 s72, s65, 31
	s_wait_alu 0xfffe
	s_mov_b32 s73, s72
	s_wait_alu 0xfffe
	s_add_nc_u64 s[74:75], s[64:65], s[72:73]
	s_wait_alu 0xfffe
	s_xor_b64 s[74:75], s[74:75], s[72:73]
	s_wait_alu 0xfffe
	s_mul_hi_u32 s77, s74, s23
	s_mul_i32 s76, s74, s23
	s_mul_hi_u32 s24, s74, s5
	s_mul_hi_u32 s80, s75, s5
	s_mul_i32 s5, s75, s5
	s_wait_alu 0xfffe
	s_add_nc_u64 s[76:77], s[24:25], s[76:77]
	s_mul_hi_u32 s79, s75, s23
	s_wait_alu 0xfffe
	s_add_co_u32 s5, s76, s5
	s_add_co_ci_u32 s24, s77, s80
	s_mul_i32 s78, s75, s23
	s_add_co_ci_u32 s79, s79, 0
	s_wait_alu 0xfffe
	s_add_nc_u64 s[76:77], s[24:25], s[78:79]
	s_wait_alu 0xfffe
	s_mul_u64 s[76:77], s[16:17], s[76:77]
	s_wait_alu 0xfffe
	s_sub_co_u32 s5, s74, s76
	s_cselect_b32 s23, -1, 0
	s_sub_co_i32 s24, s75, s77
	s_wait_alu 0xfffe
	s_cmp_lg_u32 s23, 0
	s_sub_co_ci_u32 s24, s24, s17
	s_sub_co_u32 s74, s5, s16
	s_cselect_b32 s76, -1, 0
	s_wait_alu 0xfffe
	s_cmp_lg_u32 s76, 0
	s_sub_co_ci_u32 s78, s24, 0
	s_wait_alu 0xfffe
	s_cmp_ge_u32 s78, s17
	s_cselect_b32 s79, -1, 0
	s_cmp_ge_u32 s74, s16
	s_cselect_b32 s80, -1, 0
	s_cmp_eq_u32 s78, s17
	s_wait_alu 0xfffe
	s_cselect_b32 s79, s80, s79
	s_cmp_lg_u32 s76, 0
	s_sub_co_ci_u32 s24, s24, s17
	s_sub_co_u32 s76, s74, s16
	s_cselect_b32 s80, -1, 0
	s_wait_alu 0xfffe
	s_cmp_lg_u32 s80, 0
	s_sub_co_ci_u32 s24, s24, 0
	s_cmp_lg_u32 s79, 0
	s_cselect_b32 s74, s76, s74
	s_wait_alu 0xfffe
	s_cselect_b32 s24, s24, s78
	s_cmp_lg_u32 s23, 0
	s_sub_co_ci_u32 s23, s75, s77
	s_wait_alu 0xfffe
	s_cmp_ge_u32 s23, s17
	s_cselect_b32 s75, -1, 0
	s_cmp_ge_u32 s5, s16
	s_cselect_b32 s16, -1, 0
	s_cmp_eq_u32 s23, s17
	s_wait_alu 0xfffe
	s_cselect_b32 s16, s16, s75
	s_wait_alu 0xfffe
	s_cmp_lg_u32 s16, 0
	s_cselect_b32 s17, s24, s23
	s_cselect_b32 s16, s74, s5
	s_wait_alu 0xfffe
	s_xor_b64 s[16:17], s[16:17], s[72:73]
	s_wait_alu 0xfffe
	s_sub_nc_u64 s[16:17], s[16:17], s[72:73]
	s_cbranch_execnz .LBB29_91
.LBB29_90:                              ;   in Loop: Header=BB29_16 Depth=1
	v_cvt_f32_u32_e32 v3, s56
	s_sub_co_i32 s16, 0, s56
	s_delay_alu instid0(VALU_DEP_1) | instskip(NEXT) | instid1(TRANS32_DEP_1)
	v_rcp_iflag_f32_e32 v3, v3
	v_mul_f32_e32 v3, 0x4f7ffffe, v3
	s_delay_alu instid0(VALU_DEP_1) | instskip(NEXT) | instid1(VALU_DEP_1)
	v_cvt_u32_f32_e32 v3, v3
	v_readfirstlane_b32 s5, v3
	s_wait_alu 0xfffe
	s_mul_i32 s16, s16, s5
	s_wait_alu 0xfffe
	s_mul_hi_u32 s16, s5, s16
	s_wait_alu 0xfffe
	s_add_co_i32 s5, s5, s16
	s_wait_alu 0xfffe
	s_mul_hi_u32 s5, s64, s5
	s_wait_alu 0xfffe
	s_mul_i32 s5, s5, s56
	s_wait_alu 0xfffe
	s_sub_co_i32 s5, s64, s5
	s_wait_alu 0xfffe
	s_sub_co_i32 s16, s5, s56
	s_cmp_ge_u32 s5, s56
	s_wait_alu 0xfffe
	s_cselect_b32 s5, s16, s5
	s_wait_alu 0xfffe
	s_sub_co_i32 s16, s5, s56
	s_cmp_ge_u32 s5, s56
	s_wait_alu 0xfffe
	s_cselect_b32 s24, s16, s5
	s_wait_alu 0xfffe
	s_mov_b64 s[16:17], s[24:25]
.LBB29_91:                              ;   in Loop: Header=BB29_16 Depth=1
	s_wait_alu 0xfffe
	s_sub_nc_u64 s[16:17], s[64:65], s[16:17]
	s_mov_b32 s23, 0
	s_mov_b32 s5, 0
	s_mov_b32 s24, exec_lo
                                        ; implicit-def: $vgpr5_vgpr6
	s_wait_alu 0xfffe
	v_cmpx_gt_i64_e64 s[16:17], v[0:1]
	s_cbranch_execz .LBB29_100
; %bb.92:                               ;   in Loop: Header=BB29_16 Depth=1
	v_dual_mov_b32 v11, v15 :: v_dual_mov_b32 v12, v16
	v_dual_mov_b32 v14, v1 :: v_dual_mov_b32 v13, v0
	s_mov_b32 s72, 0
                                        ; implicit-def: $sgpr73
	s_branch .LBB29_95
.LBB29_93:                              ;   in Loop: Header=BB29_95 Depth=2
	s_wait_alu 0xfffe
	s_or_b32 exec_lo, exec_lo, s5
	s_wait_loadcnt_dscnt 0x0
	s_barrier_signal -1
	s_barrier_wait -1
	global_inv scope:SCOPE_SE
	ds_load_b128 v[3:6], v18 offset:3072
	s_mov_b32 s5, -1
	s_mov_b32 s74, -1
	s_wait_loadcnt_dscnt 0x0
	s_barrier_signal -1
	s_barrier_wait -1
	global_inv scope:SCOPE_SE
	v_cmp_ne_u64_e32 vcc_lo, 0, v[3:4]
	s_cbranch_vccz .LBB29_98
.LBB29_94:                              ;   in Loop: Header=BB29_95 Depth=2
	s_wait_alu 0xfffe
	s_and_b32 s5, exec_lo, s5
	s_wait_alu 0xfffe
	s_or_b32 s72, s5, s72
	s_and_not1_b32 s5, s73, exec_lo
	s_and_b32 s73, s74, exec_lo
	s_wait_alu 0xfffe
	s_or_b32 s73, s5, s73
	s_and_not1_b32 exec_lo, exec_lo, s72
	s_cbranch_execz .LBB29_99
.LBB29_95:                              ;   Parent Loop BB29_16 Depth=1
                                        ; =>  This Inner Loop Header: Depth=2
	s_mov_b32 s5, exec_lo
	s_delay_alu instid0(VALU_DEP_1)
	v_cmpx_gt_i64_e64 s[36:37], v[13:14]
	s_cbranch_execz .LBB29_93
; %bb.96:                               ;   in Loop: Header=BB29_95 Depth=2
	global_load_b64 v[4:5], v[11:12], off
	s_wait_loadcnt 0x0
	v_xor_b32_e32 v3, 0x80000000, v5
	v_and_b32_e32 v36, v4, v32
	s_delay_alu instid0(VALU_DEP_2) | instskip(NEXT) | instid1(VALU_DEP_1)
	v_and_b32_e32 v37, v3, v33
	v_cmp_eq_u64_e32 vcc_lo, v[36:37], v[30:31]
	s_and_b32 exec_lo, exec_lo, vcc_lo
	s_cbranch_execz .LBB29_93
; %bb.97:                               ;   in Loop: Header=BB29_95 Depth=2
	v_mov_b32_e32 v3, v18
	ds_store_b128 v18, v[2:5] offset:3072
	s_branch .LBB29_93
.LBB29_98:                              ;   in Loop: Header=BB29_95 Depth=2
	v_add_co_u32 v13, vcc_lo, v13, s56
	s_wait_alu 0xfffd
	v_add_co_ci_u32_e64 v14, null, 0, v14, vcc_lo
	v_add_co_u32 v11, s5, v11, s58
	s_wait_alu 0xf1fe
	v_add_co_ci_u32_e64 v12, null, s59, v12, s5
	s_delay_alu instid0(VALU_DEP_3)
	v_cmp_le_i64_e32 vcc_lo, s[16:17], v[13:14]
	s_mov_b32 s74, 0
	s_or_not1_b32 s5, vcc_lo, exec_lo
	s_branch .LBB29_94
.LBB29_99:                              ;   in Loop: Header=BB29_16 Depth=1
	s_or_b32 exec_lo, exec_lo, s72
	s_wait_alu 0xfffe
	s_and_b32 s5, s73, exec_lo
.LBB29_100:                             ;   in Loop: Header=BB29_16 Depth=1
	s_wait_alu 0xfffe
	s_or_b32 exec_lo, exec_lo, s24
.LBB29_101:                             ;   in Loop: Header=BB29_16 Depth=1
	s_delay_alu instid0(SALU_CYCLE_1)
	s_and_b32 vcc_lo, exec_lo, s23
	s_wait_alu 0xfffe
	s_cbranch_vccz .LBB29_115
; %bb.102:                              ;   in Loop: Header=BB29_16 Depth=1
	s_add_nc_u64 s[16:17], s[14:15], s[62:63]
	s_mov_b32 s18, s25
	s_wait_alu 0xfffe
	s_mov_b32 s19, s17
	s_delay_alu instid0(SALU_CYCLE_1)
	s_cmp_lg_u64 s[18:19], 0
	s_cbranch_scc0 .LBB29_143
; %bb.103:                              ;   in Loop: Header=BB29_16 Depth=1
	s_add_nc_u64 s[18:19], s[56:57], 0
	s_delay_alu instid0(SALU_CYCLE_1) | instskip(NEXT) | instid1(SALU_CYCLE_1)
	s_xor_b64 s[18:19], s[18:19], 0
	s_cvt_f32_u32 s23, s18
	s_cvt_f32_u32 s24, s19
	s_sub_nc_u64 s[74:75], 0, s[18:19]
	s_wait_alu 0xfffe
	s_delay_alu instid0(SALU_CYCLE_1) | instskip(SKIP_1) | instid1(SALU_CYCLE_2)
	s_fmamk_f32 s23, s24, 0x4f800000, s23
	s_wait_alu 0xfffe
	v_s_rcp_f32 s23, s23
	s_delay_alu instid0(TRANS32_DEP_1) | instskip(SKIP_1) | instid1(SALU_CYCLE_2)
	s_mul_f32 s23, s23, 0x5f7ffffc
	s_wait_alu 0xfffe
	s_mul_f32 s24, s23, 0x2f800000
	s_wait_alu 0xfffe
	s_delay_alu instid0(SALU_CYCLE_2) | instskip(SKIP_1) | instid1(SALU_CYCLE_2)
	s_trunc_f32 s24, s24
	s_wait_alu 0xfffe
	s_fmamk_f32 s23, s24, 0xcf800000, s23
	s_cvt_u32_f32 s73, s24
	s_wait_alu 0xfffe
	s_delay_alu instid0(SALU_CYCLE_1) | instskip(SKIP_1) | instid1(SALU_CYCLE_2)
	s_cvt_u32_f32 s72, s23
	s_wait_alu 0xfffe
	s_mul_u64 s[76:77], s[74:75], s[72:73]
	s_wait_alu 0xfffe
	s_mul_hi_u32 s79, s72, s77
	s_mul_i32 s78, s72, s77
	s_mul_hi_u32 s24, s72, s76
	s_mul_i32 s80, s73, s76
	s_wait_alu 0xfffe
	s_add_nc_u64 s[78:79], s[24:25], s[78:79]
	s_mul_hi_u32 s23, s73, s76
	s_mul_hi_u32 s81, s73, s77
	s_wait_alu 0xfffe
	s_add_co_u32 s24, s78, s80
	s_add_co_ci_u32 s24, s79, s23
	s_mul_i32 s76, s73, s77
	s_add_co_ci_u32 s77, s81, 0
	s_wait_alu 0xfffe
	s_add_nc_u64 s[76:77], s[24:25], s[76:77]
	s_wait_alu 0xfffe
	s_add_co_u32 s72, s72, s76
	s_cselect_b32 s23, -1, 0
	s_wait_alu 0xfffe
	s_cmp_lg_u32 s23, 0
	s_add_co_ci_u32 s73, s73, s77
	s_wait_alu 0xfffe
	s_mul_u64 s[74:75], s[74:75], s[72:73]
	s_wait_alu 0xfffe
	s_mul_hi_u32 s77, s72, s75
	s_mul_i32 s76, s72, s75
	s_mul_hi_u32 s24, s72, s74
	s_mul_i32 s78, s73, s74
	s_wait_alu 0xfffe
	s_add_nc_u64 s[76:77], s[24:25], s[76:77]
	s_mul_hi_u32 s23, s73, s74
	s_mul_hi_u32 s79, s73, s75
	s_wait_alu 0xfffe
	s_add_co_u32 s24, s76, s78
	s_add_co_ci_u32 s24, s77, s23
	s_mul_i32 s74, s73, s75
	s_add_co_ci_u32 s75, s79, 0
	s_wait_alu 0xfffe
	s_add_nc_u64 s[74:75], s[24:25], s[74:75]
	s_wait_alu 0xfffe
	s_add_co_u32 s23, s72, s74
	s_cselect_b32 s24, -1, 0
	s_wait_alu 0xfffe
	s_cmp_lg_u32 s24, 0
	s_add_co_ci_u32 s78, s73, s75
	s_ashr_i32 s72, s17, 31
	s_wait_alu 0xfffe
	s_mov_b32 s73, s72
	s_wait_alu 0xfffe
	s_add_nc_u64 s[74:75], s[16:17], s[72:73]
	s_wait_alu 0xfffe
	s_xor_b64 s[74:75], s[74:75], s[72:73]
	s_wait_alu 0xfffe
	s_mul_hi_u32 s77, s74, s78
	s_mul_i32 s76, s74, s78
	s_mul_hi_u32 s24, s74, s23
	s_mul_hi_u32 s80, s75, s23
	s_mul_i32 s23, s75, s23
	s_wait_alu 0xfffe
	s_add_nc_u64 s[76:77], s[24:25], s[76:77]
	s_mul_hi_u32 s79, s75, s78
	s_wait_alu 0xfffe
	s_add_co_u32 s23, s76, s23
	s_add_co_ci_u32 s24, s77, s80
	s_mul_i32 s78, s75, s78
	s_add_co_ci_u32 s79, s79, 0
	s_wait_alu 0xfffe
	s_add_nc_u64 s[76:77], s[24:25], s[78:79]
	s_wait_alu 0xfffe
	s_mul_u64 s[76:77], s[18:19], s[76:77]
	s_wait_alu 0xfffe
	s_sub_co_u32 s23, s74, s76
	s_cselect_b32 s24, -1, 0
	s_sub_co_i32 s74, s75, s77
	s_wait_alu 0xfffe
	s_cmp_lg_u32 s24, 0
	s_sub_co_ci_u32 s74, s74, s19
	s_sub_co_u32 s76, s23, s18
	s_cselect_b32 s78, -1, 0
	s_wait_alu 0xfffe
	s_cmp_lg_u32 s78, 0
	s_sub_co_ci_u32 s79, s74, 0
	s_wait_alu 0xfffe
	s_cmp_ge_u32 s79, s19
	s_cselect_b32 s80, -1, 0
	s_cmp_ge_u32 s76, s18
	s_cselect_b32 s81, -1, 0
	s_cmp_eq_u32 s79, s19
	s_wait_alu 0xfffe
	s_cselect_b32 s80, s81, s80
	s_cmp_lg_u32 s78, 0
	s_sub_co_ci_u32 s74, s74, s19
	s_sub_co_u32 s78, s76, s18
	s_cselect_b32 s81, -1, 0
	s_wait_alu 0xfffe
	s_cmp_lg_u32 s81, 0
	s_sub_co_ci_u32 s74, s74, 0
	s_cmp_lg_u32 s80, 0
	s_cselect_b32 s76, s78, s76
	s_wait_alu 0xfffe
	s_cselect_b32 s74, s74, s79
	s_cmp_lg_u32 s24, 0
	s_sub_co_ci_u32 s24, s75, s77
	s_wait_alu 0xfffe
	s_cmp_ge_u32 s24, s19
	s_cselect_b32 s75, -1, 0
	s_cmp_ge_u32 s23, s18
	s_cselect_b32 s18, -1, 0
	s_cmp_eq_u32 s24, s19
	s_wait_alu 0xfffe
	s_cselect_b32 s18, s18, s75
	s_delay_alu instid0(SALU_CYCLE_1) | instskip(SKIP_2) | instid1(SALU_CYCLE_1)
	s_cmp_lg_u32 s18, 0
	s_cselect_b32 s19, s74, s24
	s_cselect_b32 s18, s76, s23
	s_xor_b64 s[18:19], s[18:19], s[72:73]
	s_delay_alu instid0(SALU_CYCLE_1)
	s_sub_nc_u64 s[18:19], s[18:19], s[72:73]
	s_cbranch_execnz .LBB29_105
.LBB29_104:                             ;   in Loop: Header=BB29_16 Depth=1
	v_cvt_f32_u32_e32 v3, s56
	s_sub_co_i32 s19, 0, s56
	s_delay_alu instid0(VALU_DEP_1) | instskip(NEXT) | instid1(TRANS32_DEP_1)
	v_rcp_iflag_f32_e32 v3, v3
	v_mul_f32_e32 v3, 0x4f7ffffe, v3
	s_delay_alu instid0(VALU_DEP_1) | instskip(NEXT) | instid1(VALU_DEP_1)
	v_cvt_u32_f32_e32 v3, v3
	v_readfirstlane_b32 s18, v3
	s_mul_i32 s19, s19, s18
	s_delay_alu instid0(SALU_CYCLE_1) | instskip(NEXT) | instid1(SALU_CYCLE_1)
	s_mul_hi_u32 s19, s18, s19
	s_add_co_i32 s18, s18, s19
	s_delay_alu instid0(SALU_CYCLE_1) | instskip(NEXT) | instid1(SALU_CYCLE_1)
	s_mul_hi_u32 s18, s16, s18
	s_mul_i32 s18, s18, s56
	s_delay_alu instid0(SALU_CYCLE_1) | instskip(NEXT) | instid1(SALU_CYCLE_1)
	s_sub_co_i32 s18, s16, s18
	s_sub_co_i32 s19, s18, s56
	s_cmp_ge_u32 s18, s56
	s_cselect_b32 s18, s19, s18
	s_delay_alu instid0(SALU_CYCLE_1)
	s_sub_co_i32 s19, s18, s56
	s_cmp_ge_u32 s18, s56
	s_cselect_b32 s24, s19, s18
	s_wait_alu 0xfffe
	s_mov_b64 s[18:19], s[24:25]
.LBB29_105:                             ;   in Loop: Header=BB29_16 Depth=1
	s_delay_alu instid0(SALU_CYCLE_1)
	s_sub_nc_u64 s[16:17], s[16:17], s[18:19]
	s_mov_b32 s18, exec_lo
                                        ; implicit-def: $vgpr5_vgpr6
	s_wait_alu 0xfffe
	v_cmpx_gt_i64_e64 s[16:17], v[0:1]
	s_cbranch_execz .LBB29_114
; %bb.106:                              ;   in Loop: Header=BB29_16 Depth=1
	v_dual_mov_b32 v13, v43 :: v_dual_mov_b32 v12, v1
	v_mov_b32_e32 v11, v0
	s_mov_b32 s23, 0
                                        ; implicit-def: $sgpr19
	s_branch .LBB29_109
.LBB29_107:                             ;   in Loop: Header=BB29_109 Depth=2
	s_wait_alu 0xfffe
	s_or_b32 exec_lo, exec_lo, s24
	s_wait_loadcnt_dscnt 0x0
	s_barrier_signal -1
	s_barrier_wait -1
	global_inv scope:SCOPE_SE
	ds_load_b128 v[3:6], v18 offset:3072
	s_mov_b32 s24, -1
	s_mov_b32 s72, -1
	s_wait_loadcnt_dscnt 0x0
	s_barrier_signal -1
	s_barrier_wait -1
	global_inv scope:SCOPE_SE
	v_cmp_ne_u64_e32 vcc_lo, 0, v[3:4]
	s_cbranch_vccz .LBB29_112
.LBB29_108:                             ;   in Loop: Header=BB29_109 Depth=2
	s_wait_alu 0xfffe
	s_and_b32 s24, exec_lo, s24
	s_wait_alu 0xfffe
	s_or_b32 s23, s24, s23
	s_and_not1_b32 s19, s19, exec_lo
	s_and_b32 s24, s72, exec_lo
	s_wait_alu 0xfffe
	s_or_b32 s19, s19, s24
	s_and_not1_b32 exec_lo, exec_lo, s23
	s_cbranch_execz .LBB29_113
.LBB29_109:                             ;   Parent Loop BB29_16 Depth=1
                                        ; =>  This Inner Loop Header: Depth=2
	s_mov_b32 s24, exec_lo
	s_delay_alu instid0(VALU_DEP_1)
	v_cmpx_gt_u64_e64 s[14:15], v[11:12]
	s_cbranch_execz .LBB29_107
; %bb.110:                              ;   in Loop: Header=BB29_109 Depth=2
	ds_load_b64 v[4:5], v13
	s_wait_dscnt 0x0
	v_xor_b32_e32 v3, 0x80000000, v5
	v_and_b32_e32 v36, v4, v32
	s_delay_alu instid0(VALU_DEP_2) | instskip(NEXT) | instid1(VALU_DEP_1)
	v_and_b32_e32 v37, v3, v33
	v_cmp_eq_u64_e32 vcc_lo, v[36:37], v[30:31]
	s_and_b32 exec_lo, exec_lo, vcc_lo
	s_cbranch_execz .LBB29_107
; %bb.111:                              ;   in Loop: Header=BB29_109 Depth=2
	v_mov_b32_e32 v3, v18
	ds_store_b128 v18, v[2:5] offset:3072
	s_branch .LBB29_107
.LBB29_112:                             ;   in Loop: Header=BB29_109 Depth=2
	v_add_co_u32 v11, vcc_lo, v11, s56
	s_wait_alu 0xfffd
	v_add_co_ci_u32_e64 v12, null, 0, v12, vcc_lo
	v_add_nc_u32_e32 v13, s94, v13
	s_mov_b32 s72, 0
	s_delay_alu instid0(VALU_DEP_2)
	v_cmp_le_i64_e32 vcc_lo, s[16:17], v[11:12]
	s_or_not1_b32 s24, vcc_lo, exec_lo
	s_branch .LBB29_108
.LBB29_113:                             ;   in Loop: Header=BB29_16 Depth=1
	s_or_b32 exec_lo, exec_lo, s23
	s_delay_alu instid0(SALU_CYCLE_1)
	s_and_not1_b32 s5, s5, exec_lo
	s_and_b32 s14, s19, exec_lo
	s_wait_alu 0xfffe
	s_or_b32 s5, s5, s14
.LBB29_114:                             ;   in Loop: Header=BB29_16 Depth=1
	s_or_b32 exec_lo, exec_lo, s18
	s_mov_b32 s18, 0
	s_mov_b32 s19, -1
.LBB29_115:                             ;   in Loop: Header=BB29_16 Depth=1
	s_wait_alu 0xfffe
	s_or_not1_b32 s5, s5, exec_lo
.LBB29_116:                             ;   in Loop: Header=BB29_16 Depth=1
	s_or_b32 exec_lo, exec_lo, s20
	s_delay_alu instid0(SALU_CYCLE_1)
	s_and_not1_b32 s14, s102, exec_lo
	s_and_b32 s15, s19, exec_lo
	s_and_not1_b32 s16, s100, exec_lo
	s_and_b32 s17, s18, exec_lo
	s_and_not1_b32 s99, s99, exec_lo
	s_wait_alu 0xfffe
	s_or_b32 s102, s14, s15
	s_or_b32 s100, s16, s17
                                        ; implicit-def: $vgpr11_vgpr12
	s_and_saveexec_b32 s20, s5
	s_cbranch_execz .LBB29_15
; %bb.117:                              ;   in Loop: Header=BB29_16 Depth=1
	v_dual_mov_b32 v11, 1 :: v_dual_mov_b32 v36, 1
	v_mov_b32_e32 v12, 0
	s_xor_b32 s15, s22, -1
	s_mov_b32 s14, 0
	s_wait_alu 0xfffe
	s_and_saveexec_b32 s5, s15
	s_cbranch_execz .LBB29_126
; %bb.118:                              ;   in Loop: Header=BB29_16 Depth=1
	s_mov_b32 s14, exec_lo
	v_cmpx_le_i64_e64 v[34:35], v[7:8]
	s_wait_alu 0xfffe
	s_xor_b32 s14, exec_lo, s14
	s_cbranch_execz .LBB29_123
; %bb.119:                              ;   in Loop: Header=BB29_16 Depth=1
	ds_load_b64 v[3:4], v18 offset:5120
	v_and_b32_e32 v31, s13, v31
	v_and_b32_e32 v30, s12, v30
	v_or_b32_e32 v33, s9, v33
	v_or_b32_e32 v32, s8, v32
	s_wait_dscnt 0x0
	v_cmp_ne_u64_e32 vcc_lo, 0, v[3:4]
	s_cbranch_vccnz .LBB29_123
; %bb.120:                              ;   in Loop: Header=BB29_16 Depth=1
	s_and_saveexec_b32 s15, s2
; %bb.121:                              ;   in Loop: Header=BB29_16 Depth=1
	ds_store_b64 v18, v[7:8] offset:5128
; %bb.122:                              ;   in Loop: Header=BB29_16 Depth=1
	s_wait_alu 0xfffe
	s_or_b32 exec_lo, exec_lo, s15
	s_wait_loadcnt_dscnt 0x0
	s_barrier_signal -1
	s_barrier_wait -1
	global_inv scope:SCOPE_SE
.LBB29_123:                             ;   in Loop: Header=BB29_16 Depth=1
	s_wait_alu 0xfffe
	s_or_saveexec_b32 s14, s14
	v_mov_b32_e32 v36, 8
	s_mov_b32 s15, 0
	s_wait_alu 0xfffe
	s_xor_b32 exec_lo, exec_lo, s14
; %bb.124:                              ;   in Loop: Header=BB29_16 Depth=1
	v_sub_co_u32 v34, vcc_lo, v34, v7
	s_wait_alu 0xfffd
	v_sub_co_ci_u32_e64 v35, null, v35, v8, vcc_lo
	v_mov_b32_e32 v36, 0
	s_mov_b32 s15, exec_lo
; %bb.125:                              ;   in Loop: Header=BB29_16 Depth=1
	s_or_b32 exec_lo, exec_lo, s14
	s_delay_alu instid0(VALU_DEP_2)
	v_dual_mov_b32 v11, v34 :: v_dual_mov_b32 v12, v35
	s_wait_alu 0xfffe
	s_and_b32 s14, s15, exec_lo
.LBB29_126:                             ;   in Loop: Header=BB29_16 Depth=1
	s_wait_alu 0xfffe
	s_or_b32 exec_lo, exec_lo, s5
	s_mov_b32 s21, -1
	s_mov_b32 s5, -1
                                        ; implicit-def: $sgpr23
                                        ; implicit-def: $sgpr72
	s_and_saveexec_b32 s15, s14
	s_wait_alu 0xfffe
	s_xor_b32 s22, exec_lo, s15
	s_cbranch_execz .LBB29_268
; %bb.127:                              ;   in Loop: Header=BB29_16 Depth=1
	v_cmp_eq_u64_e32 vcc_lo, 1, v[9:10]
	v_cmp_eq_u64_e64 s5, 1, v[11:12]
                                        ; implicit-def: $sgpr72
                                        ; implicit-def: $sgpr23
	s_and_b32 s74, vcc_lo, s5
	s_mov_b32 s5, -1
	s_wait_alu 0xfffe
	s_and_saveexec_b32 s73, s74
	s_cbranch_execz .LBB29_161
; %bb.128:                              ;   in Loop: Header=BB29_16 Depth=1
	ds_load_b64 v[3:4], v18 offset:5120
	s_wait_loadcnt_dscnt 0x0
	s_barrier_signal -1
	s_barrier_wait -1
	global_inv scope:SCOPE_SE
	v_readfirstlane_b32 s14, v3
	v_readfirstlane_b32 s15, v4
	s_and_saveexec_b32 s5, s3
; %bb.129:                              ;   in Loop: Header=BB29_16 Depth=1
	v_mov_b32_e32 v17, v18
	ds_store_b64 v44, v[17:18]
; %bb.130:                              ;   in Loop: Header=BB29_16 Depth=1
	s_wait_alu 0xfffe
	s_or_b32 exec_lo, exec_lo, s5
	v_and_b32_e32 v3, s13, v31
	v_and_b32_e32 v4, s12, v30
	v_cmp_gt_i64_e64 s5, s[14:15], 0
	s_lshl_b64 s[16:17], 1, s95
	v_or_b32_e32 v33, s9, v33
	s_wait_alu 0xfffe
	v_or_b32_e32 v31, s17, v3
	v_or_b32_e32 v30, s16, v4
	v_or_b32_e32 v32, s8, v32
	s_mov_b32 s23, -1
	s_mov_b32 s72, 0
	s_and_b32 vcc_lo, exec_lo, s5
	s_mov_b32 s5, 0
	s_mov_b32 s18, -1
	s_wait_loadcnt_dscnt 0x0
	s_barrier_signal -1
	s_barrier_wait -1
	global_inv scope:SCOPE_SE
                                        ; implicit-def: $vgpr5_vgpr6
	s_wait_alu 0xfffe
	s_cbranch_vccnz .LBB29_146
; %bb.131:                              ;   in Loop: Header=BB29_16 Depth=1
	s_mov_b32 s16, s25
	s_mov_b32 s17, s65
	s_wait_alu 0xfffe
	s_cmp_lg_u64 s[16:17], 0
	s_cbranch_scc0 .LBB29_188
; %bb.132:                              ;   in Loop: Header=BB29_16 Depth=1
	s_add_nc_u64 s[16:17], s[56:57], 0
	s_wait_alu 0xfffe
	s_xor_b64 s[16:17], s[16:17], 0
	s_wait_alu 0xfffe
	s_cvt_f32_u32 s5, s16
	s_cvt_f32_u32 s18, s17
	s_sub_nc_u64 s[76:77], 0, s[16:17]
	s_wait_alu 0xfffe
	s_delay_alu instid0(SALU_CYCLE_1) | instskip(SKIP_1) | instid1(SALU_CYCLE_2)
	s_fmamk_f32 s5, s18, 0x4f800000, s5
	s_wait_alu 0xfffe
	v_s_rcp_f32 s5, s5
	s_delay_alu instid0(TRANS32_DEP_1) | instskip(SKIP_1) | instid1(SALU_CYCLE_2)
	s_mul_f32 s5, s5, 0x5f7ffffc
	s_wait_alu 0xfffe
	s_mul_f32 s18, s5, 0x2f800000
	s_delay_alu instid0(SALU_CYCLE_3) | instskip(NEXT) | instid1(SALU_CYCLE_3)
	s_trunc_f32 s18, s18
	s_fmamk_f32 s5, s18, 0xcf800000, s5
	s_cvt_u32_f32 s19, s18
	s_wait_alu 0xfffe
	s_delay_alu instid0(SALU_CYCLE_1) | instskip(NEXT) | instid1(SALU_CYCLE_3)
	s_cvt_u32_f32 s18, s5
	s_mul_u64 s[78:79], s[76:77], s[18:19]
	s_wait_alu 0xfffe
	s_mul_hi_u32 s81, s18, s79
	s_mul_i32 s80, s18, s79
	s_mul_hi_u32 s24, s18, s78
	s_mul_i32 s75, s19, s78
	s_wait_alu 0xfffe
	s_add_nc_u64 s[80:81], s[24:25], s[80:81]
	s_mul_hi_u32 s5, s19, s78
	s_mul_hi_u32 s82, s19, s79
	s_wait_alu 0xfffe
	s_add_co_u32 s24, s80, s75
	s_add_co_ci_u32 s24, s81, s5
	s_mul_i32 s78, s19, s79
	s_add_co_ci_u32 s79, s82, 0
	s_wait_alu 0xfffe
	s_add_nc_u64 s[78:79], s[24:25], s[78:79]
	s_wait_alu 0xfffe
	s_add_co_u32 s18, s18, s78
	s_cselect_b32 s5, -1, 0
	s_wait_alu 0xfffe
	s_cmp_lg_u32 s5, 0
	s_add_co_ci_u32 s19, s19, s79
	s_delay_alu instid0(SALU_CYCLE_1)
	s_mul_u64 s[76:77], s[76:77], s[18:19]
	s_wait_alu 0xfffe
	s_mul_hi_u32 s79, s18, s77
	s_mul_i32 s78, s18, s77
	s_mul_hi_u32 s24, s18, s76
	s_mul_i32 s75, s19, s76
	s_wait_alu 0xfffe
	s_add_nc_u64 s[78:79], s[24:25], s[78:79]
	s_mul_hi_u32 s5, s19, s76
	s_mul_hi_u32 s80, s19, s77
	s_wait_alu 0xfffe
	s_add_co_u32 s24, s78, s75
	s_add_co_ci_u32 s24, s79, s5
	s_mul_i32 s76, s19, s77
	s_add_co_ci_u32 s77, s80, 0
	s_wait_alu 0xfffe
	s_add_nc_u64 s[76:77], s[24:25], s[76:77]
	s_wait_alu 0xfffe
	s_add_co_u32 s5, s18, s76
	s_cselect_b32 s18, -1, 0
	s_delay_alu instid0(SALU_CYCLE_1) | instskip(SKIP_2) | instid1(SALU_CYCLE_1)
	s_cmp_lg_u32 s18, 0
	s_add_co_ci_u32 s75, s19, s77
	s_ashr_i32 s18, s65, 31
	s_mov_b32 s19, s18
	s_delay_alu instid0(SALU_CYCLE_1)
	s_add_nc_u64 s[76:77], s[64:65], s[18:19]
	s_wait_alu 0xfffe
	s_xor_b64 s[76:77], s[76:77], s[18:19]
	s_wait_alu 0xfffe
	s_mul_hi_u32 s79, s76, s75
	s_mul_i32 s78, s76, s75
	s_mul_hi_u32 s24, s76, s5
	s_mul_hi_u32 s82, s77, s5
	s_mul_i32 s5, s77, s5
	s_wait_alu 0xfffe
	s_add_nc_u64 s[78:79], s[24:25], s[78:79]
	s_mul_hi_u32 s81, s77, s75
	s_wait_alu 0xfffe
	s_add_co_u32 s5, s78, s5
	s_add_co_ci_u32 s24, s79, s82
	s_mul_i32 s80, s77, s75
	s_add_co_ci_u32 s81, s81, 0
	s_wait_alu 0xfffe
	s_add_nc_u64 s[78:79], s[24:25], s[80:81]
	s_wait_alu 0xfffe
	s_mul_u64 s[78:79], s[16:17], s[78:79]
	s_wait_alu 0xfffe
	s_sub_co_u32 s5, s76, s78
	s_cselect_b32 s24, -1, 0
	s_sub_co_i32 s75, s77, s79
	s_wait_alu 0xfffe
	s_cmp_lg_u32 s24, 0
	s_sub_co_ci_u32 s75, s75, s17
	s_sub_co_u32 s76, s5, s16
	s_cselect_b32 s78, -1, 0
	s_wait_alu 0xfffe
	s_cmp_lg_u32 s78, 0
	s_sub_co_ci_u32 s80, s75, 0
	s_wait_alu 0xfffe
	s_cmp_ge_u32 s80, s17
	s_cselect_b32 s81, -1, 0
	s_cmp_ge_u32 s76, s16
	s_cselect_b32 s82, -1, 0
	s_cmp_eq_u32 s80, s17
	s_wait_alu 0xfffe
	s_cselect_b32 s81, s82, s81
	s_cmp_lg_u32 s78, 0
	s_sub_co_ci_u32 s75, s75, s17
	s_sub_co_u32 s78, s76, s16
	s_cselect_b32 s82, -1, 0
	s_wait_alu 0xfffe
	s_cmp_lg_u32 s82, 0
	s_sub_co_ci_u32 s75, s75, 0
	s_cmp_lg_u32 s81, 0
	s_cselect_b32 s76, s78, s76
	s_wait_alu 0xfffe
	s_cselect_b32 s75, s75, s80
	s_cmp_lg_u32 s24, 0
	s_sub_co_ci_u32 s24, s77, s79
	s_wait_alu 0xfffe
	s_cmp_ge_u32 s24, s17
	s_cselect_b32 s77, -1, 0
	s_cmp_ge_u32 s5, s16
	s_cselect_b32 s16, -1, 0
	s_cmp_eq_u32 s24, s17
	s_wait_alu 0xfffe
	s_cselect_b32 s16, s16, s77
	s_wait_alu 0xfffe
	s_cmp_lg_u32 s16, 0
	s_cselect_b32 s17, s75, s24
	s_cselect_b32 s16, s76, s5
	s_wait_alu 0xfffe
	s_xor_b64 s[16:17], s[16:17], s[18:19]
	s_wait_alu 0xfffe
	s_sub_nc_u64 s[16:17], s[16:17], s[18:19]
	s_cbranch_execnz .LBB29_134
.LBB29_133:                             ;   in Loop: Header=BB29_16 Depth=1
	v_cvt_f32_u32_e32 v3, s56
	s_sub_co_i32 s16, 0, s56
	s_delay_alu instid0(VALU_DEP_1) | instskip(NEXT) | instid1(TRANS32_DEP_1)
	v_rcp_iflag_f32_e32 v3, v3
	v_mul_f32_e32 v3, 0x4f7ffffe, v3
	s_delay_alu instid0(VALU_DEP_1) | instskip(NEXT) | instid1(VALU_DEP_1)
	v_cvt_u32_f32_e32 v3, v3
	v_readfirstlane_b32 s5, v3
	s_wait_alu 0xfffe
	s_mul_i32 s16, s16, s5
	s_wait_alu 0xfffe
	s_mul_hi_u32 s16, s5, s16
	s_wait_alu 0xfffe
	s_add_co_i32 s5, s5, s16
	s_wait_alu 0xfffe
	s_mul_hi_u32 s5, s64, s5
	s_wait_alu 0xfffe
	s_mul_i32 s5, s5, s56
	s_wait_alu 0xfffe
	s_sub_co_i32 s5, s64, s5
	s_wait_alu 0xfffe
	s_sub_co_i32 s16, s5, s56
	s_cmp_ge_u32 s5, s56
	s_wait_alu 0xfffe
	s_cselect_b32 s5, s16, s5
	s_wait_alu 0xfffe
	s_sub_co_i32 s16, s5, s56
	s_cmp_ge_u32 s5, s56
	s_wait_alu 0xfffe
	s_cselect_b32 s24, s16, s5
	s_wait_alu 0xfffe
	s_mov_b64 s[16:17], s[24:25]
.LBB29_134:                             ;   in Loop: Header=BB29_16 Depth=1
	s_wait_alu 0xfffe
	s_sub_nc_u64 s[16:17], s[64:65], s[16:17]
	s_mov_b32 s18, 0
	s_mov_b32 s5, 0
	s_mov_b32 s19, exec_lo
                                        ; implicit-def: $vgpr5_vgpr6
	s_wait_alu 0xfffe
	v_cmpx_gt_i64_e64 s[16:17], v[0:1]
	s_cbranch_execz .LBB29_145
; %bb.135:                              ;   in Loop: Header=BB29_16 Depth=1
	v_dual_mov_b32 v7, v15 :: v_dual_mov_b32 v8, v16
	v_dual_mov_b32 v14, v1 :: v_dual_mov_b32 v13, v0
	s_mov_b32 s24, 0
                                        ; implicit-def: $sgpr75
	s_branch .LBB29_138
.LBB29_136:                             ;   in Loop: Header=BB29_138 Depth=2
	s_wait_alu 0xfffe
	s_or_b32 exec_lo, exec_lo, s5
	s_wait_loadcnt_dscnt 0x0
	s_barrier_signal -1
	s_barrier_wait -1
	global_inv scope:SCOPE_SE
	ds_load_b128 v[3:6], v18 offset:3072
	s_mov_b32 s5, -1
	s_mov_b32 s76, -1
	s_wait_loadcnt_dscnt 0x0
	s_barrier_signal -1
	s_barrier_wait -1
	global_inv scope:SCOPE_SE
	v_cmp_ne_u64_e32 vcc_lo, 0, v[3:4]
	s_cbranch_vccz .LBB29_141
.LBB29_137:                             ;   in Loop: Header=BB29_138 Depth=2
	s_wait_alu 0xfffe
	s_and_b32 s5, exec_lo, s5
	s_wait_alu 0xfffe
	s_or_b32 s24, s5, s24
	s_and_not1_b32 s5, s75, exec_lo
	s_and_b32 s75, s76, exec_lo
	s_wait_alu 0xfffe
	s_or_b32 s75, s5, s75
	s_and_not1_b32 exec_lo, exec_lo, s24
	s_cbranch_execz .LBB29_144
.LBB29_138:                             ;   Parent Loop BB29_16 Depth=1
                                        ; =>  This Inner Loop Header: Depth=2
	s_mov_b32 s5, exec_lo
	s_delay_alu instid0(VALU_DEP_1)
	v_cmpx_gt_i64_e64 s[36:37], v[13:14]
	s_cbranch_execz .LBB29_136
; %bb.139:                              ;   in Loop: Header=BB29_138 Depth=2
	global_load_b64 v[4:5], v[7:8], off
	s_wait_loadcnt 0x0
	v_xor_b32_e32 v3, 0x80000000, v5
	v_and_b32_e32 v34, v4, v32
	s_delay_alu instid0(VALU_DEP_2) | instskip(NEXT) | instid1(VALU_DEP_1)
	v_and_b32_e32 v35, v3, v33
	v_cmp_eq_u64_e32 vcc_lo, v[34:35], v[30:31]
	s_and_b32 exec_lo, exec_lo, vcc_lo
	s_cbranch_execz .LBB29_136
; %bb.140:                              ;   in Loop: Header=BB29_138 Depth=2
	v_mov_b32_e32 v3, v18
	ds_store_b128 v18, v[2:5] offset:3072
	s_branch .LBB29_136
.LBB29_141:                             ;   in Loop: Header=BB29_138 Depth=2
	v_add_co_u32 v13, vcc_lo, v13, s56
	s_wait_alu 0xfffd
	v_add_co_ci_u32_e64 v14, null, 0, v14, vcc_lo
	v_add_co_u32 v7, s5, v7, s58
	s_wait_alu 0xf1fe
	v_add_co_ci_u32_e64 v8, null, s59, v8, s5
	s_delay_alu instid0(VALU_DEP_3)
	v_cmp_le_i64_e32 vcc_lo, s[16:17], v[13:14]
	s_mov_b32 s76, 0
	s_or_not1_b32 s5, vcc_lo, exec_lo
	s_branch .LBB29_137
.LBB29_142:                             ;   in Loop: Header=BB29_16 Depth=1
                                        ; implicit-def: $sgpr16_sgpr17
	s_branch .LBB29_90
.LBB29_143:                             ;   in Loop: Header=BB29_16 Depth=1
                                        ; implicit-def: $sgpr18_sgpr19
	s_branch .LBB29_104
.LBB29_144:                             ;   in Loop: Header=BB29_16 Depth=1
	s_or_b32 exec_lo, exec_lo, s24
	s_wait_alu 0xfffe
	s_and_b32 s5, s75, exec_lo
.LBB29_145:                             ;   in Loop: Header=BB29_16 Depth=1
	s_or_b32 exec_lo, exec_lo, s19
.LBB29_146:                             ;   in Loop: Header=BB29_16 Depth=1
	s_delay_alu instid0(SALU_CYCLE_1)
	s_and_b32 vcc_lo, exec_lo, s18
	s_wait_alu 0xfffe
	s_cbranch_vccz .LBB29_160
; %bb.147:                              ;   in Loop: Header=BB29_16 Depth=1
	s_add_nc_u64 s[16:17], s[14:15], s[62:63]
	s_mov_b32 s18, s25
	s_wait_alu 0xfffe
	s_mov_b32 s19, s17
	s_delay_alu instid0(SALU_CYCLE_1)
	s_cmp_lg_u64 s[18:19], 0
	s_cbranch_scc0 .LBB29_189
; %bb.148:                              ;   in Loop: Header=BB29_16 Depth=1
	s_add_nc_u64 s[18:19], s[56:57], 0
	s_delay_alu instid0(SALU_CYCLE_1) | instskip(NEXT) | instid1(SALU_CYCLE_1)
	s_xor_b64 s[18:19], s[18:19], 0
	s_cvt_f32_u32 s23, s18
	s_cvt_f32_u32 s24, s19
	s_sub_nc_u64 s[78:79], 0, s[18:19]
	s_wait_alu 0xfffe
	s_delay_alu instid0(SALU_CYCLE_1) | instskip(SKIP_1) | instid1(SALU_CYCLE_2)
	s_fmamk_f32 s23, s24, 0x4f800000, s23
	s_wait_alu 0xfffe
	v_s_rcp_f32 s23, s23
	s_delay_alu instid0(TRANS32_DEP_1) | instskip(SKIP_1) | instid1(SALU_CYCLE_2)
	s_mul_f32 s23, s23, 0x5f7ffffc
	s_wait_alu 0xfffe
	s_mul_f32 s24, s23, 0x2f800000
	s_wait_alu 0xfffe
	s_delay_alu instid0(SALU_CYCLE_2) | instskip(SKIP_1) | instid1(SALU_CYCLE_2)
	s_trunc_f32 s24, s24
	s_wait_alu 0xfffe
	s_fmamk_f32 s23, s24, 0xcf800000, s23
	s_cvt_u32_f32 s77, s24
	s_wait_alu 0xfffe
	s_delay_alu instid0(SALU_CYCLE_1) | instskip(SKIP_1) | instid1(SALU_CYCLE_2)
	s_cvt_u32_f32 s76, s23
	s_wait_alu 0xfffe
	s_mul_u64 s[80:81], s[78:79], s[76:77]
	s_wait_alu 0xfffe
	s_mul_hi_u32 s83, s76, s81
	s_mul_i32 s82, s76, s81
	s_mul_hi_u32 s24, s76, s80
	s_mul_i32 s72, s77, s80
	s_wait_alu 0xfffe
	s_add_nc_u64 s[82:83], s[24:25], s[82:83]
	s_mul_hi_u32 s23, s77, s80
	s_mul_hi_u32 s75, s77, s81
	s_wait_alu 0xfffe
	s_add_co_u32 s24, s82, s72
	s_add_co_ci_u32 s24, s83, s23
	s_mul_i32 s80, s77, s81
	s_add_co_ci_u32 s81, s75, 0
	s_wait_alu 0xfffe
	s_add_nc_u64 s[80:81], s[24:25], s[80:81]
	s_wait_alu 0xfffe
	s_add_co_u32 s76, s76, s80
	s_cselect_b32 s23, -1, 0
	s_wait_alu 0xfffe
	s_cmp_lg_u32 s23, 0
	s_add_co_ci_u32 s77, s77, s81
	s_wait_alu 0xfffe
	s_mul_u64 s[78:79], s[78:79], s[76:77]
	s_wait_alu 0xfffe
	s_mul_hi_u32 s81, s76, s79
	s_mul_i32 s80, s76, s79
	s_mul_hi_u32 s24, s76, s78
	s_mul_i32 s72, s77, s78
	s_wait_alu 0xfffe
	s_add_nc_u64 s[80:81], s[24:25], s[80:81]
	s_mul_hi_u32 s23, s77, s78
	s_mul_hi_u32 s75, s77, s79
	s_wait_alu 0xfffe
	s_add_co_u32 s24, s80, s72
	s_add_co_ci_u32 s24, s81, s23
	s_mul_i32 s78, s77, s79
	s_add_co_ci_u32 s79, s75, 0
	s_wait_alu 0xfffe
	s_add_nc_u64 s[78:79], s[24:25], s[78:79]
	s_wait_alu 0xfffe
	s_add_co_u32 s23, s76, s78
	s_cselect_b32 s24, -1, 0
	s_wait_alu 0xfffe
	s_cmp_lg_u32 s24, 0
	s_add_co_ci_u32 s72, s77, s79
	s_ashr_i32 s76, s17, 31
	s_wait_alu 0xfffe
	s_mov_b32 s77, s76
	s_wait_alu 0xfffe
	s_add_nc_u64 s[78:79], s[16:17], s[76:77]
	s_wait_alu 0xfffe
	s_xor_b64 s[78:79], s[78:79], s[76:77]
	s_wait_alu 0xfffe
	s_mul_hi_u32 s81, s78, s72
	s_mul_i32 s80, s78, s72
	s_mul_hi_u32 s24, s78, s23
	s_mul_hi_u32 s83, s79, s23
	s_mul_i32 s23, s79, s23
	s_wait_alu 0xfffe
	s_add_nc_u64 s[80:81], s[24:25], s[80:81]
	s_mul_hi_u32 s75, s79, s72
	s_wait_alu 0xfffe
	s_add_co_u32 s23, s80, s23
	s_add_co_ci_u32 s24, s81, s83
	s_mul_i32 s82, s79, s72
	s_add_co_ci_u32 s83, s75, 0
	s_wait_alu 0xfffe
	s_add_nc_u64 s[80:81], s[24:25], s[82:83]
	s_wait_alu 0xfffe
	s_mul_u64 s[80:81], s[18:19], s[80:81]
	s_wait_alu 0xfffe
	s_sub_co_u32 s23, s78, s80
	s_cselect_b32 s24, -1, 0
	s_sub_co_i32 s72, s79, s81
	s_wait_alu 0xfffe
	s_cmp_lg_u32 s24, 0
	s_sub_co_ci_u32 s72, s72, s19
	s_sub_co_u32 s75, s23, s18
	s_cselect_b32 s78, -1, 0
	s_wait_alu 0xfffe
	s_cmp_lg_u32 s78, 0
	s_sub_co_ci_u32 s80, s72, 0
	s_wait_alu 0xfffe
	s_cmp_ge_u32 s80, s19
	s_cselect_b32 s82, -1, 0
	s_cmp_ge_u32 s75, s18
	s_cselect_b32 s83, -1, 0
	s_cmp_eq_u32 s80, s19
	s_wait_alu 0xfffe
	s_cselect_b32 s82, s83, s82
	s_cmp_lg_u32 s78, 0
	s_sub_co_ci_u32 s72, s72, s19
	s_sub_co_u32 s78, s75, s18
	s_cselect_b32 s83, -1, 0
	s_wait_alu 0xfffe
	s_cmp_lg_u32 s83, 0
	s_sub_co_ci_u32 s72, s72, 0
	s_cmp_lg_u32 s82, 0
	s_cselect_b32 s75, s78, s75
	s_wait_alu 0xfffe
	s_cselect_b32 s72, s72, s80
	s_cmp_lg_u32 s24, 0
	s_sub_co_ci_u32 s24, s79, s81
	s_wait_alu 0xfffe
	s_cmp_ge_u32 s24, s19
	s_cselect_b32 s78, -1, 0
	s_cmp_ge_u32 s23, s18
	s_cselect_b32 s18, -1, 0
	s_cmp_eq_u32 s24, s19
	s_wait_alu 0xfffe
	s_cselect_b32 s18, s18, s78
	s_delay_alu instid0(SALU_CYCLE_1) | instskip(SKIP_2) | instid1(SALU_CYCLE_1)
	s_cmp_lg_u32 s18, 0
	s_cselect_b32 s19, s72, s24
	s_cselect_b32 s18, s75, s23
	s_xor_b64 s[18:19], s[18:19], s[76:77]
	s_delay_alu instid0(SALU_CYCLE_1)
	s_sub_nc_u64 s[18:19], s[18:19], s[76:77]
	s_cbranch_execnz .LBB29_150
.LBB29_149:                             ;   in Loop: Header=BB29_16 Depth=1
	v_cvt_f32_u32_e32 v3, s56
	s_sub_co_i32 s19, 0, s56
	s_delay_alu instid0(VALU_DEP_1) | instskip(NEXT) | instid1(TRANS32_DEP_1)
	v_rcp_iflag_f32_e32 v3, v3
	v_mul_f32_e32 v3, 0x4f7ffffe, v3
	s_delay_alu instid0(VALU_DEP_1) | instskip(NEXT) | instid1(VALU_DEP_1)
	v_cvt_u32_f32_e32 v3, v3
	v_readfirstlane_b32 s18, v3
	s_mul_i32 s19, s19, s18
	s_delay_alu instid0(SALU_CYCLE_1) | instskip(NEXT) | instid1(SALU_CYCLE_1)
	s_mul_hi_u32 s19, s18, s19
	s_add_co_i32 s18, s18, s19
	s_delay_alu instid0(SALU_CYCLE_1) | instskip(NEXT) | instid1(SALU_CYCLE_1)
	s_mul_hi_u32 s18, s16, s18
	s_mul_i32 s18, s18, s56
	s_delay_alu instid0(SALU_CYCLE_1) | instskip(NEXT) | instid1(SALU_CYCLE_1)
	s_sub_co_i32 s18, s16, s18
	s_sub_co_i32 s19, s18, s56
	s_cmp_ge_u32 s18, s56
	s_cselect_b32 s18, s19, s18
	s_delay_alu instid0(SALU_CYCLE_1)
	s_sub_co_i32 s19, s18, s56
	s_cmp_ge_u32 s18, s56
	s_cselect_b32 s24, s19, s18
	s_wait_alu 0xfffe
	s_mov_b64 s[18:19], s[24:25]
.LBB29_150:                             ;   in Loop: Header=BB29_16 Depth=1
	s_delay_alu instid0(SALU_CYCLE_1)
	s_sub_nc_u64 s[16:17], s[16:17], s[18:19]
	s_mov_b32 s18, exec_lo
                                        ; implicit-def: $vgpr5_vgpr6
	s_wait_alu 0xfffe
	v_cmpx_gt_i64_e64 s[16:17], v[0:1]
	s_cbranch_execz .LBB29_159
; %bb.151:                              ;   in Loop: Header=BB29_16 Depth=1
	v_dual_mov_b32 v13, v43 :: v_dual_mov_b32 v8, v1
	v_mov_b32_e32 v7, v0
	s_mov_b32 s19, 0
                                        ; implicit-def: $sgpr23
	s_branch .LBB29_154
.LBB29_152:                             ;   in Loop: Header=BB29_154 Depth=2
	s_wait_alu 0xfffe
	s_or_b32 exec_lo, exec_lo, s24
	s_wait_loadcnt_dscnt 0x0
	s_barrier_signal -1
	s_barrier_wait -1
	global_inv scope:SCOPE_SE
	ds_load_b128 v[3:6], v18 offset:3072
	s_mov_b32 s24, -1
	s_mov_b32 s72, -1
	s_wait_loadcnt_dscnt 0x0
	s_barrier_signal -1
	s_barrier_wait -1
	global_inv scope:SCOPE_SE
	v_cmp_eq_u64_e32 vcc_lo, 0, v[3:4]
	s_cbranch_vccnz .LBB29_157
.LBB29_153:                             ;   in Loop: Header=BB29_154 Depth=2
	s_wait_alu 0xfffe
	s_and_b32 s24, exec_lo, s24
	s_wait_alu 0xfffe
	s_or_b32 s19, s24, s19
	s_and_not1_b32 s23, s23, exec_lo
	s_and_b32 s24, s72, exec_lo
	s_wait_alu 0xfffe
	s_or_b32 s23, s23, s24
	s_and_not1_b32 exec_lo, exec_lo, s19
	s_cbranch_execz .LBB29_158
.LBB29_154:                             ;   Parent Loop BB29_16 Depth=1
                                        ; =>  This Inner Loop Header: Depth=2
	s_mov_b32 s24, exec_lo
	s_delay_alu instid0(VALU_DEP_1)
	v_cmpx_gt_u64_e64 s[14:15], v[7:8]
	s_cbranch_execz .LBB29_152
; %bb.155:                              ;   in Loop: Header=BB29_154 Depth=2
	ds_load_b64 v[4:5], v13
	s_wait_dscnt 0x0
	v_xor_b32_e32 v3, 0x80000000, v5
	v_and_b32_e32 v34, v4, v32
	s_delay_alu instid0(VALU_DEP_2) | instskip(NEXT) | instid1(VALU_DEP_1)
	v_and_b32_e32 v35, v3, v33
	v_cmp_eq_u64_e32 vcc_lo, v[34:35], v[30:31]
	s_and_b32 exec_lo, exec_lo, vcc_lo
	s_cbranch_execz .LBB29_152
; %bb.156:                              ;   in Loop: Header=BB29_154 Depth=2
	v_mov_b32_e32 v3, v18
	ds_store_b128 v18, v[2:5] offset:3072
	s_branch .LBB29_152
.LBB29_157:                             ;   in Loop: Header=BB29_154 Depth=2
	v_add_co_u32 v7, vcc_lo, v7, s56
	s_wait_alu 0xfffd
	v_add_co_ci_u32_e64 v8, null, 0, v8, vcc_lo
	v_add_nc_u32_e32 v13, s94, v13
	s_mov_b32 s72, 0
	s_delay_alu instid0(VALU_DEP_2)
	v_cmp_le_i64_e32 vcc_lo, s[16:17], v[7:8]
	s_or_not1_b32 s24, vcc_lo, exec_lo
	s_branch .LBB29_153
.LBB29_158:                             ;   in Loop: Header=BB29_16 Depth=1
	s_or_b32 exec_lo, exec_lo, s19
	s_delay_alu instid0(SALU_CYCLE_1)
	s_and_not1_b32 s5, s5, exec_lo
	s_wait_alu 0xfffe
	s_and_b32 s14, s23, exec_lo
	s_wait_alu 0xfffe
	s_or_b32 s5, s5, s14
.LBB29_159:                             ;   in Loop: Header=BB29_16 Depth=1
	s_or_b32 exec_lo, exec_lo, s18
	s_mov_b32 s23, 0
	s_mov_b32 s72, -1
.LBB29_160:                             ;   in Loop: Header=BB29_16 Depth=1
	s_wait_alu 0xfffe
	s_or_not1_b32 s5, s5, exec_lo
.LBB29_161:                             ;   in Loop: Header=BB29_16 Depth=1
	s_wait_alu 0xfffe
	s_or_b32 exec_lo, exec_lo, s73
	s_mov_b32 s14, 0
	s_and_saveexec_b32 s73, s5
	s_cbranch_execz .LBB29_267
; %bb.162:                              ;   in Loop: Header=BB29_16 Depth=1
	v_dual_mov_b32 v7, 1 :: v_dual_mov_b32 v36, 1
	v_mov_b32_e32 v8, 0
	s_xor_b32 s15, s74, -1
	s_wait_alu 0xfffe
	s_and_saveexec_b32 s5, s15
	s_cbranch_execz .LBB29_172
; %bb.163:                              ;   in Loop: Header=BB29_16 Depth=1
	s_mov_b32 s14, exec_lo
	v_cmpx_le_i64_e64 v[11:12], v[9:10]
	s_wait_alu 0xfffe
	s_xor_b32 s14, exec_lo, s14
	s_cbranch_execz .LBB29_169
; %bb.164:                              ;   in Loop: Header=BB29_16 Depth=1
	ds_load_b64 v[3:4], v18 offset:5120
	v_and_b32_e32 v7, s13, v31
	v_and_b32_e32 v8, s12, v30
	s_lshl_b64 s[16:17], 1, s95
	v_or_b32_e32 v33, s9, v33
	v_or_b32_e32 v32, s8, v32
	s_wait_alu 0xfffe
	v_or_b32_e32 v31, s17, v7
	v_or_b32_e32 v30, s16, v8
	s_wait_dscnt 0x0
	v_cmp_ne_u64_e32 vcc_lo, 0, v[3:4]
	s_cbranch_vccnz .LBB29_168
; %bb.165:                              ;   in Loop: Header=BB29_16 Depth=1
	s_and_saveexec_b32 s15, s2
; %bb.166:                              ;   in Loop: Header=BB29_16 Depth=1
	ds_store_b64 v18, v[9:10] offset:5128
; %bb.167:                              ;   in Loop: Header=BB29_16 Depth=1
	s_wait_alu 0xfffe
	s_or_b32 exec_lo, exec_lo, s15
	s_wait_loadcnt_dscnt 0x0
	s_barrier_signal -1
	s_barrier_wait -1
	global_inv scope:SCOPE_SE
.LBB29_168:                             ;   in Loop: Header=BB29_16 Depth=1
                                        ; implicit-def: $vgpr7_vgpr8_vgpr9_vgpr10
.LBB29_169:                             ;   in Loop: Header=BB29_16 Depth=1
	s_wait_alu 0xfffe
	s_or_saveexec_b32 s14, s14
	v_mov_b32_e32 v36, 8
	s_mov_b32 s15, 0
	s_wait_alu 0xfffe
	s_xor_b32 exec_lo, exec_lo, s14
; %bb.170:                              ;   in Loop: Header=BB29_16 Depth=1
	v_sub_co_u32 v11, vcc_lo, v11, v9
	s_wait_alu 0xfffd
	v_sub_co_ci_u32_e64 v12, null, v12, v10, vcc_lo
	v_mov_b32_e32 v36, 0
	s_mov_b32 s15, exec_lo
; %bb.171:                              ;   in Loop: Header=BB29_16 Depth=1
	s_or_b32 exec_lo, exec_lo, s14
	s_delay_alu instid0(VALU_DEP_2)
	v_dual_mov_b32 v7, v11 :: v_dual_mov_b32 v8, v12
	s_wait_alu 0xfffe
	s_and_b32 s14, s15, exec_lo
.LBB29_172:                             ;   in Loop: Header=BB29_16 Depth=1
	s_wait_alu 0xfffe
	s_or_b32 exec_lo, exec_lo, s5
	s_mov_b32 s5, -1
                                        ; implicit-def: $sgpr18
                                        ; implicit-def: $sgpr19
	s_and_saveexec_b32 s74, s14
	s_cbranch_execz .LBB29_266
; %bb.173:                              ;   in Loop: Header=BB29_16 Depth=1
	v_cmp_eq_u64_e32 vcc_lo, 1, v[7:8]
	s_cmp_eq_u64 s[10:11], 1
                                        ; implicit-def: $sgpr19
                                        ; implicit-def: $sgpr18
	s_cselect_b32 s5, -1, 0
	s_wait_alu 0xfffe
	s_and_b32 s75, s5, vcc_lo
	s_mov_b32 s5, -1
	s_wait_alu 0xfffe
	s_and_saveexec_b32 s76, s75
	s_cbranch_execz .LBB29_207
; %bb.174:                              ;   in Loop: Header=BB29_16 Depth=1
	ds_load_b64 v[3:4], v18 offset:5120
	s_wait_loadcnt_dscnt 0x0
	s_barrier_signal -1
	s_barrier_wait -1
	global_inv scope:SCOPE_SE
	v_readfirstlane_b32 s14, v3
	v_readfirstlane_b32 s15, v4
	s_and_saveexec_b32 s5, s3
; %bb.175:                              ;   in Loop: Header=BB29_16 Depth=1
	v_mov_b32_e32 v17, v18
	ds_store_b64 v44, v[17:18]
; %bb.176:                              ;   in Loop: Header=BB29_16 Depth=1
	s_wait_alu 0xfffe
	s_or_b32 exec_lo, exec_lo, s5
	v_and_b32_e32 v3, s13, v31
	v_and_b32_e32 v4, s12, v30
	v_cmp_gt_i64_e64 s5, s[14:15], 0
	s_lshl_b64 s[16:17], 2, s95
	v_or_b32_e32 v33, s9, v33
	s_wait_alu 0xfffe
	v_or_b32_e32 v31, s17, v3
	v_or_b32_e32 v30, s16, v4
	;; [unrolled: 1-line block ×3, first 2 shown]
	s_mov_b32 s18, -1
	s_mov_b32 s19, 0
	s_and_b32 vcc_lo, exec_lo, s5
	s_mov_b32 s5, 0
	s_mov_b32 s24, -1
	s_wait_loadcnt_dscnt 0x0
	s_barrier_signal -1
	s_barrier_wait -1
	global_inv scope:SCOPE_SE
                                        ; implicit-def: $vgpr5_vgpr6
	s_wait_alu 0xfffe
	s_cbranch_vccnz .LBB29_192
; %bb.177:                              ;   in Loop: Header=BB29_16 Depth=1
	s_mov_b32 s16, s25
	s_mov_b32 s17, s65
	s_wait_alu 0xfffe
	s_cmp_lg_u64 s[16:17], 0
	s_cbranch_scc0 .LBB29_233
; %bb.178:                              ;   in Loop: Header=BB29_16 Depth=1
	s_add_nc_u64 s[16:17], s[56:57], 0
	s_wait_alu 0xfffe
	s_xor_b64 s[16:17], s[16:17], 0
	s_wait_alu 0xfffe
	s_cvt_f32_u32 s5, s16
	s_cvt_f32_u32 s24, s17
	s_sub_nc_u64 s[80:81], 0, s[16:17]
	s_wait_alu 0xfffe
	s_delay_alu instid0(SALU_CYCLE_1) | instskip(SKIP_1) | instid1(SALU_CYCLE_2)
	s_fmamk_f32 s5, s24, 0x4f800000, s5
	s_wait_alu 0xfffe
	v_s_rcp_f32 s5, s5
	s_delay_alu instid0(TRANS32_DEP_1) | instskip(SKIP_1) | instid1(SALU_CYCLE_2)
	s_mul_f32 s5, s5, 0x5f7ffffc
	s_wait_alu 0xfffe
	s_mul_f32 s24, s5, 0x2f800000
	s_wait_alu 0xfffe
	s_delay_alu instid0(SALU_CYCLE_2) | instskip(SKIP_1) | instid1(SALU_CYCLE_2)
	s_trunc_f32 s24, s24
	s_wait_alu 0xfffe
	s_fmamk_f32 s5, s24, 0xcf800000, s5
	s_cvt_u32_f32 s79, s24
	s_wait_alu 0xfffe
	s_delay_alu instid0(SALU_CYCLE_1) | instskip(SKIP_1) | instid1(SALU_CYCLE_2)
	s_cvt_u32_f32 s78, s5
	s_wait_alu 0xfffe
	s_mul_u64 s[82:83], s[80:81], s[78:79]
	s_wait_alu 0xfffe
	s_mul_hi_u32 s85, s78, s83
	s_mul_i32 s84, s78, s83
	s_mul_hi_u32 s24, s78, s82
	s_mul_i32 s77, s79, s82
	s_wait_alu 0xfffe
	s_add_nc_u64 s[84:85], s[24:25], s[84:85]
	s_mul_hi_u32 s5, s79, s82
	s_mul_hi_u32 s86, s79, s83
	s_wait_alu 0xfffe
	s_add_co_u32 s24, s84, s77
	s_add_co_ci_u32 s24, s85, s5
	s_mul_i32 s82, s79, s83
	s_add_co_ci_u32 s83, s86, 0
	s_wait_alu 0xfffe
	s_add_nc_u64 s[82:83], s[24:25], s[82:83]
	s_wait_alu 0xfffe
	s_add_co_u32 s78, s78, s82
	s_cselect_b32 s5, -1, 0
	s_wait_alu 0xfffe
	s_cmp_lg_u32 s5, 0
	s_add_co_ci_u32 s79, s79, s83
	s_wait_alu 0xfffe
	s_mul_u64 s[80:81], s[80:81], s[78:79]
	s_wait_alu 0xfffe
	s_mul_hi_u32 s83, s78, s81
	s_mul_i32 s82, s78, s81
	s_mul_hi_u32 s24, s78, s80
	s_mul_i32 s77, s79, s80
	s_wait_alu 0xfffe
	s_add_nc_u64 s[82:83], s[24:25], s[82:83]
	s_mul_hi_u32 s5, s79, s80
	s_mul_hi_u32 s84, s79, s81
	s_wait_alu 0xfffe
	s_add_co_u32 s24, s82, s77
	s_add_co_ci_u32 s24, s83, s5
	s_mul_i32 s80, s79, s81
	s_add_co_ci_u32 s81, s84, 0
	s_wait_alu 0xfffe
	s_add_nc_u64 s[80:81], s[24:25], s[80:81]
	s_wait_alu 0xfffe
	s_add_co_u32 s5, s78, s80
	s_cselect_b32 s24, -1, 0
	s_wait_alu 0xfffe
	s_cmp_lg_u32 s24, 0
	s_add_co_ci_u32 s77, s79, s81
	s_ashr_i32 s78, s65, 31
	s_wait_alu 0xfffe
	s_mov_b32 s79, s78
	s_wait_alu 0xfffe
	s_add_nc_u64 s[80:81], s[64:65], s[78:79]
	s_wait_alu 0xfffe
	s_xor_b64 s[80:81], s[80:81], s[78:79]
	s_wait_alu 0xfffe
	s_mul_hi_u32 s83, s80, s77
	s_mul_i32 s82, s80, s77
	s_mul_hi_u32 s24, s80, s5
	s_mul_hi_u32 s86, s81, s5
	s_mul_i32 s5, s81, s5
	s_wait_alu 0xfffe
	s_add_nc_u64 s[82:83], s[24:25], s[82:83]
	s_mul_hi_u32 s85, s81, s77
	s_wait_alu 0xfffe
	s_add_co_u32 s5, s82, s5
	s_add_co_ci_u32 s24, s83, s86
	s_mul_i32 s84, s81, s77
	s_add_co_ci_u32 s85, s85, 0
	s_wait_alu 0xfffe
	s_add_nc_u64 s[82:83], s[24:25], s[84:85]
	s_wait_alu 0xfffe
	s_mul_u64 s[82:83], s[16:17], s[82:83]
	s_wait_alu 0xfffe
	s_sub_co_u32 s5, s80, s82
	s_cselect_b32 s24, -1, 0
	s_sub_co_i32 s77, s81, s83
	s_wait_alu 0xfffe
	s_cmp_lg_u32 s24, 0
	s_sub_co_ci_u32 s77, s77, s17
	s_sub_co_u32 s80, s5, s16
	s_cselect_b32 s82, -1, 0
	s_wait_alu 0xfffe
	s_cmp_lg_u32 s82, 0
	s_sub_co_ci_u32 s84, s77, 0
	s_wait_alu 0xfffe
	s_cmp_ge_u32 s84, s17
	s_cselect_b32 s85, -1, 0
	s_cmp_ge_u32 s80, s16
	s_cselect_b32 s86, -1, 0
	s_cmp_eq_u32 s84, s17
	s_wait_alu 0xfffe
	s_cselect_b32 s85, s86, s85
	s_cmp_lg_u32 s82, 0
	s_sub_co_ci_u32 s77, s77, s17
	s_sub_co_u32 s82, s80, s16
	s_cselect_b32 s86, -1, 0
	s_wait_alu 0xfffe
	s_cmp_lg_u32 s86, 0
	s_sub_co_ci_u32 s77, s77, 0
	s_cmp_lg_u32 s85, 0
	s_cselect_b32 s80, s82, s80
	s_wait_alu 0xfffe
	s_cselect_b32 s77, s77, s84
	s_cmp_lg_u32 s24, 0
	s_sub_co_ci_u32 s24, s81, s83
	s_wait_alu 0xfffe
	s_cmp_ge_u32 s24, s17
	s_cselect_b32 s81, -1, 0
	s_cmp_ge_u32 s5, s16
	s_cselect_b32 s16, -1, 0
	s_cmp_eq_u32 s24, s17
	s_wait_alu 0xfffe
	s_cselect_b32 s16, s16, s81
	s_wait_alu 0xfffe
	s_cmp_lg_u32 s16, 0
	s_cselect_b32 s17, s77, s24
	s_cselect_b32 s16, s80, s5
	s_wait_alu 0xfffe
	s_xor_b64 s[16:17], s[16:17], s[78:79]
	s_wait_alu 0xfffe
	s_sub_nc_u64 s[16:17], s[16:17], s[78:79]
	s_cbranch_execnz .LBB29_180
.LBB29_179:                             ;   in Loop: Header=BB29_16 Depth=1
	v_cvt_f32_u32_e32 v3, s56
	s_sub_co_i32 s16, 0, s56
	s_delay_alu instid0(VALU_DEP_1) | instskip(NEXT) | instid1(TRANS32_DEP_1)
	v_rcp_iflag_f32_e32 v3, v3
	v_mul_f32_e32 v3, 0x4f7ffffe, v3
	s_delay_alu instid0(VALU_DEP_1) | instskip(NEXT) | instid1(VALU_DEP_1)
	v_cvt_u32_f32_e32 v3, v3
	v_readfirstlane_b32 s5, v3
	s_wait_alu 0xfffe
	s_mul_i32 s16, s16, s5
	s_wait_alu 0xfffe
	s_mul_hi_u32 s16, s5, s16
	s_wait_alu 0xfffe
	s_add_co_i32 s5, s5, s16
	s_wait_alu 0xfffe
	s_mul_hi_u32 s5, s64, s5
	s_wait_alu 0xfffe
	s_mul_i32 s5, s5, s56
	s_wait_alu 0xfffe
	s_sub_co_i32 s5, s64, s5
	s_wait_alu 0xfffe
	s_sub_co_i32 s16, s5, s56
	s_cmp_ge_u32 s5, s56
	s_wait_alu 0xfffe
	s_cselect_b32 s5, s16, s5
	s_wait_alu 0xfffe
	s_sub_co_i32 s16, s5, s56
	s_cmp_ge_u32 s5, s56
	s_wait_alu 0xfffe
	s_cselect_b32 s24, s16, s5
	s_wait_alu 0xfffe
	s_mov_b64 s[16:17], s[24:25]
.LBB29_180:                             ;   in Loop: Header=BB29_16 Depth=1
	s_wait_alu 0xfffe
	s_sub_nc_u64 s[16:17], s[64:65], s[16:17]
	s_mov_b32 s24, 0
	s_mov_b32 s5, 0
	s_mov_b32 s77, exec_lo
                                        ; implicit-def: $vgpr5_vgpr6
	s_wait_alu 0xfffe
	v_cmpx_gt_i64_e64 s[16:17], v[0:1]
	s_cbranch_execz .LBB29_191
; %bb.181:                              ;   in Loop: Header=BB29_16 Depth=1
	v_dual_mov_b32 v9, v15 :: v_dual_mov_b32 v10, v16
	v_dual_mov_b32 v12, v1 :: v_dual_mov_b32 v11, v0
	s_mov_b32 s78, 0
                                        ; implicit-def: $sgpr79
	s_branch .LBB29_184
.LBB29_182:                             ;   in Loop: Header=BB29_184 Depth=2
	s_wait_alu 0xfffe
	s_or_b32 exec_lo, exec_lo, s5
	s_wait_loadcnt_dscnt 0x0
	s_barrier_signal -1
	s_barrier_wait -1
	global_inv scope:SCOPE_SE
	ds_load_b128 v[3:6], v18 offset:3072
	s_mov_b32 s5, -1
	s_mov_b32 s80, -1
	s_wait_loadcnt_dscnt 0x0
	s_barrier_signal -1
	s_barrier_wait -1
	global_inv scope:SCOPE_SE
	v_cmp_ne_u64_e32 vcc_lo, 0, v[3:4]
	s_cbranch_vccz .LBB29_187
.LBB29_183:                             ;   in Loop: Header=BB29_184 Depth=2
	s_wait_alu 0xfffe
	s_and_b32 s5, exec_lo, s5
	s_wait_alu 0xfffe
	s_or_b32 s78, s5, s78
	s_and_not1_b32 s5, s79, exec_lo
	s_and_b32 s79, s80, exec_lo
	s_wait_alu 0xfffe
	s_or_b32 s79, s5, s79
	s_and_not1_b32 exec_lo, exec_lo, s78
	s_cbranch_execz .LBB29_190
.LBB29_184:                             ;   Parent Loop BB29_16 Depth=1
                                        ; =>  This Inner Loop Header: Depth=2
	s_mov_b32 s5, exec_lo
	s_delay_alu instid0(VALU_DEP_1)
	v_cmpx_gt_i64_e64 s[36:37], v[11:12]
	s_cbranch_execz .LBB29_182
; %bb.185:                              ;   in Loop: Header=BB29_184 Depth=2
	global_load_b64 v[4:5], v[9:10], off
	s_wait_loadcnt 0x0
	v_xor_b32_e32 v3, 0x80000000, v5
	v_and_b32_e32 v13, v4, v32
	s_delay_alu instid0(VALU_DEP_2) | instskip(NEXT) | instid1(VALU_DEP_1)
	v_and_b32_e32 v14, v3, v33
	v_cmp_eq_u64_e32 vcc_lo, v[13:14], v[30:31]
	s_and_b32 exec_lo, exec_lo, vcc_lo
	s_cbranch_execz .LBB29_182
; %bb.186:                              ;   in Loop: Header=BB29_184 Depth=2
	v_mov_b32_e32 v3, v18
	ds_store_b128 v18, v[2:5] offset:3072
	s_branch .LBB29_182
.LBB29_187:                             ;   in Loop: Header=BB29_184 Depth=2
	v_add_co_u32 v11, vcc_lo, v11, s56
	s_wait_alu 0xfffd
	v_add_co_ci_u32_e64 v12, null, 0, v12, vcc_lo
	v_add_co_u32 v9, s5, v9, s58
	s_wait_alu 0xf1fe
	v_add_co_ci_u32_e64 v10, null, s59, v10, s5
	s_delay_alu instid0(VALU_DEP_3)
	v_cmp_le_i64_e32 vcc_lo, s[16:17], v[11:12]
	s_mov_b32 s80, 0
	s_or_not1_b32 s5, vcc_lo, exec_lo
	s_branch .LBB29_183
.LBB29_188:                             ;   in Loop: Header=BB29_16 Depth=1
                                        ; implicit-def: $sgpr16_sgpr17
	s_branch .LBB29_133
.LBB29_189:                             ;   in Loop: Header=BB29_16 Depth=1
                                        ; implicit-def: $sgpr18_sgpr19
	s_branch .LBB29_149
.LBB29_190:                             ;   in Loop: Header=BB29_16 Depth=1
	s_or_b32 exec_lo, exec_lo, s78
	s_wait_alu 0xfffe
	s_and_b32 s5, s79, exec_lo
.LBB29_191:                             ;   in Loop: Header=BB29_16 Depth=1
	s_or_b32 exec_lo, exec_lo, s77
.LBB29_192:                             ;   in Loop: Header=BB29_16 Depth=1
	s_delay_alu instid0(SALU_CYCLE_1)
	s_and_b32 vcc_lo, exec_lo, s24
	s_wait_alu 0xfffe
	s_cbranch_vccz .LBB29_206
; %bb.193:                              ;   in Loop: Header=BB29_16 Depth=1
	s_add_nc_u64 s[16:17], s[14:15], s[62:63]
	s_mov_b32 s18, s25
	s_wait_alu 0xfffe
	s_mov_b32 s19, s17
	s_delay_alu instid0(SALU_CYCLE_1)
	s_cmp_lg_u64 s[18:19], 0
	s_cbranch_scc0 .LBB29_234
; %bb.194:                              ;   in Loop: Header=BB29_16 Depth=1
	s_add_nc_u64 s[18:19], s[56:57], 0
	s_delay_alu instid0(SALU_CYCLE_1) | instskip(NEXT) | instid1(SALU_CYCLE_1)
	s_xor_b64 s[18:19], s[18:19], 0
	s_cvt_f32_u32 s24, s18
	s_cvt_f32_u32 s77, s19
	s_sub_nc_u64 s[80:81], 0, s[18:19]
	s_wait_alu 0xfffe
	s_delay_alu instid0(SALU_CYCLE_1) | instskip(SKIP_1) | instid1(SALU_CYCLE_2)
	s_fmamk_f32 s24, s77, 0x4f800000, s24
	s_wait_alu 0xfffe
	v_s_rcp_f32 s24, s24
	s_delay_alu instid0(TRANS32_DEP_1) | instskip(SKIP_1) | instid1(SALU_CYCLE_2)
	s_mul_f32 s24, s24, 0x5f7ffffc
	s_wait_alu 0xfffe
	s_mul_f32 s77, s24, 0x2f800000
	s_wait_alu 0xfffe
	s_delay_alu instid0(SALU_CYCLE_2) | instskip(SKIP_1) | instid1(SALU_CYCLE_2)
	s_trunc_f32 s77, s77
	s_wait_alu 0xfffe
	s_fmamk_f32 s24, s77, 0xcf800000, s24
	s_cvt_u32_f32 s79, s77
	s_wait_alu 0xfffe
	s_delay_alu instid0(SALU_CYCLE_1) | instskip(SKIP_1) | instid1(SALU_CYCLE_2)
	s_cvt_u32_f32 s78, s24
	s_wait_alu 0xfffe
	s_mul_u64 s[82:83], s[80:81], s[78:79]
	s_wait_alu 0xfffe
	s_mul_hi_u32 s85, s78, s83
	s_mul_i32 s84, s78, s83
	s_mul_hi_u32 s24, s78, s82
	s_mul_i32 s86, s79, s82
	s_wait_alu 0xfffe
	s_add_nc_u64 s[84:85], s[24:25], s[84:85]
	s_mul_hi_u32 s77, s79, s82
	s_mul_hi_u32 s87, s79, s83
	s_wait_alu 0xfffe
	s_add_co_u32 s24, s84, s86
	s_add_co_ci_u32 s24, s85, s77
	s_mul_i32 s82, s79, s83
	s_add_co_ci_u32 s83, s87, 0
	s_wait_alu 0xfffe
	s_add_nc_u64 s[82:83], s[24:25], s[82:83]
	s_wait_alu 0xfffe
	s_add_co_u32 s78, s78, s82
	s_cselect_b32 s24, -1, 0
	s_wait_alu 0xfffe
	s_cmp_lg_u32 s24, 0
	s_add_co_ci_u32 s79, s79, s83
	s_wait_alu 0xfffe
	s_mul_u64 s[80:81], s[80:81], s[78:79]
	s_wait_alu 0xfffe
	s_mul_hi_u32 s83, s78, s81
	s_mul_i32 s82, s78, s81
	s_mul_hi_u32 s24, s78, s80
	s_mul_i32 s84, s79, s80
	s_wait_alu 0xfffe
	s_add_nc_u64 s[82:83], s[24:25], s[82:83]
	s_mul_hi_u32 s77, s79, s80
	s_mul_hi_u32 s85, s79, s81
	s_wait_alu 0xfffe
	s_add_co_u32 s24, s82, s84
	s_add_co_ci_u32 s24, s83, s77
	s_mul_i32 s80, s79, s81
	s_add_co_ci_u32 s81, s85, 0
	s_wait_alu 0xfffe
	s_add_nc_u64 s[80:81], s[24:25], s[80:81]
	s_wait_alu 0xfffe
	s_add_co_u32 s77, s78, s80
	s_cselect_b32 s24, -1, 0
	s_wait_alu 0xfffe
	s_cmp_lg_u32 s24, 0
	s_add_co_ci_u32 s84, s79, s81
	s_ashr_i32 s78, s17, 31
	s_wait_alu 0xfffe
	s_mov_b32 s79, s78
	s_wait_alu 0xfffe
	s_add_nc_u64 s[80:81], s[16:17], s[78:79]
	s_wait_alu 0xfffe
	s_xor_b64 s[80:81], s[80:81], s[78:79]
	s_wait_alu 0xfffe
	s_mul_hi_u32 s83, s80, s84
	s_mul_i32 s82, s80, s84
	s_mul_hi_u32 s24, s80, s77
	s_mul_hi_u32 s86, s81, s77
	s_mul_i32 s77, s81, s77
	s_wait_alu 0xfffe
	s_add_nc_u64 s[82:83], s[24:25], s[82:83]
	s_mul_hi_u32 s85, s81, s84
	s_wait_alu 0xfffe
	s_add_co_u32 s24, s82, s77
	s_add_co_ci_u32 s24, s83, s86
	s_mul_i32 s84, s81, s84
	s_add_co_ci_u32 s85, s85, 0
	s_wait_alu 0xfffe
	s_add_nc_u64 s[82:83], s[24:25], s[84:85]
	s_wait_alu 0xfffe
	s_mul_u64 s[82:83], s[18:19], s[82:83]
	s_wait_alu 0xfffe
	s_sub_co_u32 s24, s80, s82
	s_cselect_b32 s77, -1, 0
	s_sub_co_i32 s80, s81, s83
	s_wait_alu 0xfffe
	s_cmp_lg_u32 s77, 0
	s_sub_co_ci_u32 s80, s80, s19
	s_sub_co_u32 s82, s24, s18
	s_cselect_b32 s84, -1, 0
	s_wait_alu 0xfffe
	s_cmp_lg_u32 s84, 0
	s_sub_co_ci_u32 s85, s80, 0
	s_wait_alu 0xfffe
	s_cmp_ge_u32 s85, s19
	s_cselect_b32 s86, -1, 0
	s_cmp_ge_u32 s82, s18
	s_cselect_b32 s87, -1, 0
	s_cmp_eq_u32 s85, s19
	s_wait_alu 0xfffe
	s_cselect_b32 s86, s87, s86
	s_cmp_lg_u32 s84, 0
	s_sub_co_ci_u32 s80, s80, s19
	s_sub_co_u32 s84, s82, s18
	s_cselect_b32 s87, -1, 0
	s_wait_alu 0xfffe
	s_cmp_lg_u32 s87, 0
	s_sub_co_ci_u32 s80, s80, 0
	s_cmp_lg_u32 s86, 0
	s_cselect_b32 s82, s84, s82
	s_wait_alu 0xfffe
	s_cselect_b32 s80, s80, s85
	s_cmp_lg_u32 s77, 0
	s_sub_co_ci_u32 s77, s81, s83
	s_wait_alu 0xfffe
	s_cmp_ge_u32 s77, s19
	s_cselect_b32 s81, -1, 0
	s_cmp_ge_u32 s24, s18
	s_cselect_b32 s18, -1, 0
	s_cmp_eq_u32 s77, s19
	s_wait_alu 0xfffe
	s_cselect_b32 s18, s18, s81
	s_delay_alu instid0(SALU_CYCLE_1) | instskip(SKIP_2) | instid1(SALU_CYCLE_1)
	s_cmp_lg_u32 s18, 0
	s_cselect_b32 s19, s80, s77
	s_cselect_b32 s18, s82, s24
	s_xor_b64 s[18:19], s[18:19], s[78:79]
	s_delay_alu instid0(SALU_CYCLE_1)
	s_sub_nc_u64 s[18:19], s[18:19], s[78:79]
	s_cbranch_execnz .LBB29_196
.LBB29_195:                             ;   in Loop: Header=BB29_16 Depth=1
	v_cvt_f32_u32_e32 v3, s56
	s_sub_co_i32 s19, 0, s56
	s_delay_alu instid0(VALU_DEP_1) | instskip(NEXT) | instid1(TRANS32_DEP_1)
	v_rcp_iflag_f32_e32 v3, v3
	v_mul_f32_e32 v3, 0x4f7ffffe, v3
	s_delay_alu instid0(VALU_DEP_1) | instskip(NEXT) | instid1(VALU_DEP_1)
	v_cvt_u32_f32_e32 v3, v3
	v_readfirstlane_b32 s18, v3
	s_mul_i32 s19, s19, s18
	s_delay_alu instid0(SALU_CYCLE_1) | instskip(NEXT) | instid1(SALU_CYCLE_1)
	s_mul_hi_u32 s19, s18, s19
	s_add_co_i32 s18, s18, s19
	s_delay_alu instid0(SALU_CYCLE_1) | instskip(NEXT) | instid1(SALU_CYCLE_1)
	s_mul_hi_u32 s18, s16, s18
	s_mul_i32 s18, s18, s56
	s_delay_alu instid0(SALU_CYCLE_1) | instskip(NEXT) | instid1(SALU_CYCLE_1)
	s_sub_co_i32 s18, s16, s18
	s_sub_co_i32 s19, s18, s56
	s_cmp_ge_u32 s18, s56
	s_cselect_b32 s18, s19, s18
	s_delay_alu instid0(SALU_CYCLE_1)
	s_sub_co_i32 s19, s18, s56
	s_cmp_ge_u32 s18, s56
	s_cselect_b32 s24, s19, s18
	s_wait_alu 0xfffe
	s_mov_b64 s[18:19], s[24:25]
.LBB29_196:                             ;   in Loop: Header=BB29_16 Depth=1
	s_delay_alu instid0(SALU_CYCLE_1)
	s_sub_nc_u64 s[16:17], s[16:17], s[18:19]
	s_mov_b32 s18, exec_lo
                                        ; implicit-def: $vgpr5_vgpr6
	s_wait_alu 0xfffe
	v_cmpx_gt_i64_e64 s[16:17], v[0:1]
	s_cbranch_execz .LBB29_205
; %bb.197:                              ;   in Loop: Header=BB29_16 Depth=1
	v_dual_mov_b32 v11, v43 :: v_dual_mov_b32 v10, v1
	v_mov_b32_e32 v9, v0
	s_mov_b32 s19, 0
                                        ; implicit-def: $sgpr24
	s_branch .LBB29_200
.LBB29_198:                             ;   in Loop: Header=BB29_200 Depth=2
	s_wait_alu 0xfffe
	s_or_b32 exec_lo, exec_lo, s77
	s_wait_loadcnt_dscnt 0x0
	s_barrier_signal -1
	s_barrier_wait -1
	global_inv scope:SCOPE_SE
	ds_load_b128 v[3:6], v18 offset:3072
	s_mov_b32 s77, -1
	s_mov_b32 s78, -1
	s_wait_loadcnt_dscnt 0x0
	s_barrier_signal -1
	s_barrier_wait -1
	global_inv scope:SCOPE_SE
	v_cmp_eq_u64_e32 vcc_lo, 0, v[3:4]
	s_cbranch_vccnz .LBB29_203
.LBB29_199:                             ;   in Loop: Header=BB29_200 Depth=2
	s_wait_alu 0xfffe
	s_and_b32 s77, exec_lo, s77
	s_wait_alu 0xfffe
	s_or_b32 s19, s77, s19
	s_and_not1_b32 s24, s24, exec_lo
	s_and_b32 s77, s78, exec_lo
	s_wait_alu 0xfffe
	s_or_b32 s24, s24, s77
	s_and_not1_b32 exec_lo, exec_lo, s19
	s_cbranch_execz .LBB29_204
.LBB29_200:                             ;   Parent Loop BB29_16 Depth=1
                                        ; =>  This Inner Loop Header: Depth=2
	s_mov_b32 s77, exec_lo
	s_delay_alu instid0(VALU_DEP_1)
	v_cmpx_gt_u64_e64 s[14:15], v[9:10]
	s_cbranch_execz .LBB29_198
; %bb.201:                              ;   in Loop: Header=BB29_200 Depth=2
	ds_load_b64 v[4:5], v11
	s_wait_dscnt 0x0
	v_xor_b32_e32 v3, 0x80000000, v5
	v_and_b32_e32 v12, v4, v32
	s_delay_alu instid0(VALU_DEP_2) | instskip(NEXT) | instid1(VALU_DEP_1)
	v_and_b32_e32 v13, v3, v33
	v_cmp_eq_u64_e32 vcc_lo, v[12:13], v[30:31]
	s_and_b32 exec_lo, exec_lo, vcc_lo
	s_cbranch_execz .LBB29_198
; %bb.202:                              ;   in Loop: Header=BB29_200 Depth=2
	v_mov_b32_e32 v3, v18
	ds_store_b128 v18, v[2:5] offset:3072
	s_branch .LBB29_198
.LBB29_203:                             ;   in Loop: Header=BB29_200 Depth=2
	v_add_co_u32 v9, vcc_lo, v9, s56
	s_wait_alu 0xfffd
	v_add_co_ci_u32_e64 v10, null, 0, v10, vcc_lo
	v_add_nc_u32_e32 v11, s94, v11
	s_mov_b32 s78, 0
	s_delay_alu instid0(VALU_DEP_2)
	v_cmp_le_i64_e32 vcc_lo, s[16:17], v[9:10]
	s_or_not1_b32 s77, vcc_lo, exec_lo
	s_branch .LBB29_199
.LBB29_204:                             ;   in Loop: Header=BB29_16 Depth=1
	s_or_b32 exec_lo, exec_lo, s19
	s_delay_alu instid0(SALU_CYCLE_1)
	s_and_not1_b32 s5, s5, exec_lo
	s_wait_alu 0xfffe
	s_and_b32 s14, s24, exec_lo
	s_wait_alu 0xfffe
	s_or_b32 s5, s5, s14
.LBB29_205:                             ;   in Loop: Header=BB29_16 Depth=1
	s_or_b32 exec_lo, exec_lo, s18
	s_mov_b32 s18, 0
	s_mov_b32 s19, -1
.LBB29_206:                             ;   in Loop: Header=BB29_16 Depth=1
	s_wait_alu 0xfffe
	s_or_not1_b32 s5, s5, exec_lo
.LBB29_207:                             ;   in Loop: Header=BB29_16 Depth=1
	s_wait_alu 0xfffe
	s_or_b32 exec_lo, exec_lo, s76
	s_mov_b32 s14, 0
	s_and_saveexec_b32 s16, s5
	s_cbranch_execz .LBB29_265
; %bb.208:                              ;   in Loop: Header=BB29_16 Depth=1
	v_dual_mov_b32 v9, 1 :: v_dual_mov_b32 v36, 1
	v_mov_b32_e32 v10, 0
	s_xor_b32 s14, s75, -1
	s_mov_b32 s24, 0
	s_wait_alu 0xfffe
	s_and_saveexec_b32 s5, s14
	s_cbranch_execz .LBB29_217
; %bb.209:                              ;   in Loop: Header=BB29_16 Depth=1
	s_mov_b32 s14, exec_lo
	v_cmpx_ge_i64_e64 s[10:11], v[7:8]
	s_wait_alu 0xfffe
	s_xor_b32 s14, exec_lo, s14
	s_cbranch_execz .LBB29_214
; %bb.210:                              ;   in Loop: Header=BB29_16 Depth=1
	ds_load_b64 v[3:4], v18 offset:5120
	v_and_b32_e32 v9, s13, v31
	v_and_b32_e32 v10, s12, v30
	s_lshl_b64 s[12:13], 2, s95
	v_or_b32_e32 v33, s9, v33
	v_or_b32_e32 v32, s8, v32
	s_wait_alu 0xfffe
	v_or_b32_e32 v31, s13, v9
	v_or_b32_e32 v30, s12, v10
	s_wait_dscnt 0x0
	v_cmp_ne_u64_e32 vcc_lo, 0, v[3:4]
	s_cbranch_vccnz .LBB29_214
; %bb.211:                              ;   in Loop: Header=BB29_16 Depth=1
	s_and_saveexec_b32 s12, s2
; %bb.212:                              ;   in Loop: Header=BB29_16 Depth=1
	v_dual_mov_b32 v3, s10 :: v_dual_mov_b32 v4, s11
	ds_store_b64 v18, v[3:4] offset:5128
; %bb.213:                              ;   in Loop: Header=BB29_16 Depth=1
	s_wait_alu 0xfffe
	s_or_b32 exec_lo, exec_lo, s12
	s_wait_loadcnt_dscnt 0x0
	s_barrier_signal -1
	s_barrier_wait -1
	global_inv scope:SCOPE_SE
.LBB29_214:                             ;   in Loop: Header=BB29_16 Depth=1
	s_wait_alu 0xfffe
	s_or_saveexec_b32 s12, s14
	v_mov_b32_e32 v36, 8
	s_mov_b32 s13, 0
	s_wait_alu 0xfffe
	s_xor_b32 exec_lo, exec_lo, s12
; %bb.215:                              ;   in Loop: Header=BB29_16 Depth=1
	v_sub_co_u32 v7, vcc_lo, v7, s10
	s_wait_alu 0xfffd
	v_subrev_co_ci_u32_e64 v8, null, s11, v8, vcc_lo
	v_mov_b32_e32 v36, 0
	s_mov_b32 s13, exec_lo
; %bb.216:                              ;   in Loop: Header=BB29_16 Depth=1
	s_or_b32 exec_lo, exec_lo, s12
	s_delay_alu instid0(VALU_DEP_2)
	v_dual_mov_b32 v10, v8 :: v_dual_mov_b32 v9, v7
	s_wait_alu 0xfffe
	s_and_b32 s24, s13, exec_lo
.LBB29_217:                             ;   in Loop: Header=BB29_16 Depth=1
	s_wait_alu 0xfffe
	s_or_b32 exec_lo, exec_lo, s5
	s_mov_b32 s5, -1
                                        ; implicit-def: $sgpr15
                                        ; implicit-def: $sgpr14
	s_and_saveexec_b32 s17, s24
	s_cbranch_execz .LBB29_264
; %bb.218:                              ;   in Loop: Header=BB29_16 Depth=1
	v_cmp_eq_u64_e32 vcc_lo, 1, v[9:10]
	s_cmp_eq_u64 s[6:7], 1
	s_mov_b32 s10, -1
	s_cselect_b32 s5, -1, 0
                                        ; implicit-def: $sgpr15
                                        ; implicit-def: $sgpr14
	s_wait_alu 0xfffe
	s_and_b32 s75, s5, vcc_lo
	s_wait_alu 0xfffe
	s_and_saveexec_b32 s76, s75
	s_cbranch_execz .LBB29_252
; %bb.219:                              ;   in Loop: Header=BB29_16 Depth=1
	ds_load_b64 v[3:4], v18 offset:5120
	s_wait_loadcnt_dscnt 0x0
	s_barrier_signal -1
	s_barrier_wait -1
	global_inv scope:SCOPE_SE
	v_readfirstlane_b32 s10, v3
	v_readfirstlane_b32 s11, v4
	s_and_saveexec_b32 s5, s3
; %bb.220:                              ;   in Loop: Header=BB29_16 Depth=1
	v_mov_b32_e32 v17, v18
	ds_store_b64 v44, v[17:18]
; %bb.221:                              ;   in Loop: Header=BB29_16 Depth=1
	s_wait_alu 0xfffe
	s_or_b32 exec_lo, exec_lo, s5
	v_cmp_gt_i64_e64 s5, s[10:11], 0
	v_or_b32_e32 v31, s9, v31
	v_or_b32_e32 v30, s8, v30
	;; [unrolled: 1-line block ×4, first 2 shown]
	s_mov_b32 s14, -1
	s_mov_b32 s15, 0
	s_and_b32 vcc_lo, exec_lo, s5
	s_mov_b32 s5, 0
	s_mov_b32 s24, -1
	s_wait_loadcnt_dscnt 0x0
	s_barrier_signal -1
	s_barrier_wait -1
	global_inv scope:SCOPE_SE
                                        ; implicit-def: $vgpr5_vgpr6
	s_wait_alu 0xfffe
	s_cbranch_vccnz .LBB29_237
; %bb.222:                              ;   in Loop: Header=BB29_16 Depth=1
	s_mov_b32 s12, s25
	s_mov_b32 s13, s65
	s_wait_alu 0xfffe
	s_cmp_lg_u64 s[12:13], 0
	s_cbranch_scc0 .LBB29_271
; %bb.223:                              ;   in Loop: Header=BB29_16 Depth=1
	s_add_nc_u64 s[12:13], s[56:57], 0
	s_wait_alu 0xfffe
	s_xor_b64 s[12:13], s[12:13], 0
	s_wait_alu 0xfffe
	s_cvt_f32_u32 s5, s12
	s_cvt_f32_u32 s24, s13
	s_sub_nc_u64 s[80:81], 0, s[12:13]
	s_wait_alu 0xfffe
	s_delay_alu instid0(SALU_CYCLE_1) | instskip(SKIP_1) | instid1(SALU_CYCLE_2)
	s_fmamk_f32 s5, s24, 0x4f800000, s5
	s_wait_alu 0xfffe
	v_s_rcp_f32 s5, s5
	s_delay_alu instid0(TRANS32_DEP_1) | instskip(SKIP_1) | instid1(SALU_CYCLE_2)
	s_mul_f32 s5, s5, 0x5f7ffffc
	s_wait_alu 0xfffe
	s_mul_f32 s24, s5, 0x2f800000
	s_wait_alu 0xfffe
	s_delay_alu instid0(SALU_CYCLE_2) | instskip(SKIP_1) | instid1(SALU_CYCLE_2)
	s_trunc_f32 s24, s24
	s_wait_alu 0xfffe
	s_fmamk_f32 s5, s24, 0xcf800000, s5
	s_cvt_u32_f32 s79, s24
	s_wait_alu 0xfffe
	s_delay_alu instid0(SALU_CYCLE_1) | instskip(SKIP_1) | instid1(SALU_CYCLE_2)
	s_cvt_u32_f32 s78, s5
	s_wait_alu 0xfffe
	s_mul_u64 s[82:83], s[80:81], s[78:79]
	s_wait_alu 0xfffe
	s_mul_hi_u32 s85, s78, s83
	s_mul_i32 s84, s78, s83
	s_mul_hi_u32 s24, s78, s82
	s_mul_i32 s77, s79, s82
	s_wait_alu 0xfffe
	s_add_nc_u64 s[84:85], s[24:25], s[84:85]
	s_mul_hi_u32 s5, s79, s82
	s_mul_hi_u32 s86, s79, s83
	s_wait_alu 0xfffe
	s_add_co_u32 s24, s84, s77
	s_add_co_ci_u32 s24, s85, s5
	s_mul_i32 s82, s79, s83
	s_add_co_ci_u32 s83, s86, 0
	s_wait_alu 0xfffe
	s_add_nc_u64 s[82:83], s[24:25], s[82:83]
	s_wait_alu 0xfffe
	s_add_co_u32 s78, s78, s82
	s_cselect_b32 s5, -1, 0
	s_wait_alu 0xfffe
	s_cmp_lg_u32 s5, 0
	s_add_co_ci_u32 s79, s79, s83
	s_wait_alu 0xfffe
	s_mul_u64 s[80:81], s[80:81], s[78:79]
	s_wait_alu 0xfffe
	s_mul_hi_u32 s83, s78, s81
	s_mul_i32 s82, s78, s81
	s_mul_hi_u32 s24, s78, s80
	s_mul_i32 s77, s79, s80
	s_wait_alu 0xfffe
	s_add_nc_u64 s[82:83], s[24:25], s[82:83]
	s_mul_hi_u32 s5, s79, s80
	s_mul_hi_u32 s84, s79, s81
	s_wait_alu 0xfffe
	s_add_co_u32 s24, s82, s77
	s_add_co_ci_u32 s24, s83, s5
	s_mul_i32 s80, s79, s81
	s_add_co_ci_u32 s81, s84, 0
	s_wait_alu 0xfffe
	s_add_nc_u64 s[80:81], s[24:25], s[80:81]
	s_wait_alu 0xfffe
	s_add_co_u32 s5, s78, s80
	s_cselect_b32 s24, -1, 0
	s_wait_alu 0xfffe
	s_cmp_lg_u32 s24, 0
	s_add_co_ci_u32 s77, s79, s81
	s_ashr_i32 s78, s65, 31
	s_wait_alu 0xfffe
	s_mov_b32 s79, s78
	s_wait_alu 0xfffe
	s_add_nc_u64 s[80:81], s[64:65], s[78:79]
	s_wait_alu 0xfffe
	s_xor_b64 s[80:81], s[80:81], s[78:79]
	s_wait_alu 0xfffe
	s_mul_hi_u32 s83, s80, s77
	s_mul_i32 s82, s80, s77
	s_mul_hi_u32 s24, s80, s5
	s_mul_hi_u32 s86, s81, s5
	s_mul_i32 s5, s81, s5
	s_wait_alu 0xfffe
	s_add_nc_u64 s[82:83], s[24:25], s[82:83]
	s_mul_hi_u32 s85, s81, s77
	s_wait_alu 0xfffe
	s_add_co_u32 s5, s82, s5
	s_add_co_ci_u32 s24, s83, s86
	s_mul_i32 s84, s81, s77
	s_add_co_ci_u32 s85, s85, 0
	s_wait_alu 0xfffe
	s_add_nc_u64 s[82:83], s[24:25], s[84:85]
	s_wait_alu 0xfffe
	s_mul_u64 s[82:83], s[12:13], s[82:83]
	s_wait_alu 0xfffe
	s_sub_co_u32 s5, s80, s82
	s_cselect_b32 s24, -1, 0
	s_sub_co_i32 s77, s81, s83
	s_wait_alu 0xfffe
	s_cmp_lg_u32 s24, 0
	s_sub_co_ci_u32 s77, s77, s13
	s_sub_co_u32 s80, s5, s12
	s_cselect_b32 s82, -1, 0
	s_wait_alu 0xfffe
	s_cmp_lg_u32 s82, 0
	s_sub_co_ci_u32 s84, s77, 0
	s_wait_alu 0xfffe
	s_cmp_ge_u32 s84, s13
	s_cselect_b32 s85, -1, 0
	s_cmp_ge_u32 s80, s12
	s_cselect_b32 s86, -1, 0
	s_cmp_eq_u32 s84, s13
	s_wait_alu 0xfffe
	s_cselect_b32 s85, s86, s85
	s_cmp_lg_u32 s82, 0
	s_sub_co_ci_u32 s77, s77, s13
	s_sub_co_u32 s82, s80, s12
	s_cselect_b32 s86, -1, 0
	s_wait_alu 0xfffe
	s_cmp_lg_u32 s86, 0
	s_sub_co_ci_u32 s77, s77, 0
	s_cmp_lg_u32 s85, 0
	s_cselect_b32 s80, s82, s80
	s_wait_alu 0xfffe
	s_cselect_b32 s77, s77, s84
	s_cmp_lg_u32 s24, 0
	s_sub_co_ci_u32 s24, s81, s83
	s_wait_alu 0xfffe
	s_cmp_ge_u32 s24, s13
	s_cselect_b32 s81, -1, 0
	s_cmp_ge_u32 s5, s12
	s_cselect_b32 s12, -1, 0
	s_cmp_eq_u32 s24, s13
	s_wait_alu 0xfffe
	s_cselect_b32 s12, s12, s81
	s_wait_alu 0xfffe
	s_cmp_lg_u32 s12, 0
	s_cselect_b32 s13, s77, s24
	s_cselect_b32 s12, s80, s5
	s_wait_alu 0xfffe
	s_xor_b64 s[12:13], s[12:13], s[78:79]
	s_wait_alu 0xfffe
	s_sub_nc_u64 s[12:13], s[12:13], s[78:79]
	s_cbranch_execnz .LBB29_225
.LBB29_224:                             ;   in Loop: Header=BB29_16 Depth=1
	v_cvt_f32_u32_e32 v3, s56
	s_sub_co_i32 s12, 0, s56
	s_delay_alu instid0(VALU_DEP_1) | instskip(NEXT) | instid1(TRANS32_DEP_1)
	v_rcp_iflag_f32_e32 v3, v3
	v_mul_f32_e32 v3, 0x4f7ffffe, v3
	s_delay_alu instid0(VALU_DEP_1) | instskip(NEXT) | instid1(VALU_DEP_1)
	v_cvt_u32_f32_e32 v3, v3
	v_readfirstlane_b32 s5, v3
	s_wait_alu 0xfffe
	s_mul_i32 s12, s12, s5
	s_wait_alu 0xfffe
	s_mul_hi_u32 s12, s5, s12
	s_wait_alu 0xfffe
	s_add_co_i32 s5, s5, s12
	s_wait_alu 0xfffe
	s_mul_hi_u32 s5, s64, s5
	s_wait_alu 0xfffe
	s_mul_i32 s5, s5, s56
	s_wait_alu 0xfffe
	s_sub_co_i32 s5, s64, s5
	s_wait_alu 0xfffe
	s_sub_co_i32 s12, s5, s56
	s_cmp_ge_u32 s5, s56
	s_wait_alu 0xfffe
	s_cselect_b32 s5, s12, s5
	s_wait_alu 0xfffe
	s_sub_co_i32 s12, s5, s56
	s_cmp_ge_u32 s5, s56
	s_wait_alu 0xfffe
	s_cselect_b32 s24, s12, s5
	s_wait_alu 0xfffe
	s_mov_b64 s[12:13], s[24:25]
.LBB29_225:                             ;   in Loop: Header=BB29_16 Depth=1
	s_wait_alu 0xfffe
	s_sub_nc_u64 s[12:13], s[64:65], s[12:13]
	s_mov_b32 s24, 0
	s_mov_b32 s5, 0
	s_mov_b32 s77, exec_lo
                                        ; implicit-def: $vgpr5_vgpr6
	s_wait_alu 0xfffe
	v_cmpx_gt_i64_e64 s[12:13], v[0:1]
	s_cbranch_execz .LBB29_236
; %bb.226:                              ;   in Loop: Header=BB29_16 Depth=1
	v_dual_mov_b32 v7, v15 :: v_dual_mov_b32 v8, v16
	v_dual_mov_b32 v12, v1 :: v_dual_mov_b32 v11, v0
	s_mov_b32 s78, 0
                                        ; implicit-def: $sgpr79
	s_branch .LBB29_229
.LBB29_227:                             ;   in Loop: Header=BB29_229 Depth=2
	s_wait_alu 0xfffe
	s_or_b32 exec_lo, exec_lo, s5
	s_wait_loadcnt_dscnt 0x0
	s_barrier_signal -1
	s_barrier_wait -1
	global_inv scope:SCOPE_SE
	ds_load_b128 v[3:6], v18 offset:3072
	s_mov_b32 s5, -1
	s_mov_b32 s80, -1
	s_wait_loadcnt_dscnt 0x0
	s_barrier_signal -1
	s_barrier_wait -1
	global_inv scope:SCOPE_SE
	v_cmp_ne_u64_e32 vcc_lo, 0, v[3:4]
	s_cbranch_vccz .LBB29_232
.LBB29_228:                             ;   in Loop: Header=BB29_229 Depth=2
	s_wait_alu 0xfffe
	s_and_b32 s5, exec_lo, s5
	s_wait_alu 0xfffe
	s_or_b32 s78, s5, s78
	s_and_not1_b32 s5, s79, exec_lo
	s_and_b32 s79, s80, exec_lo
	s_wait_alu 0xfffe
	s_or_b32 s79, s5, s79
	s_and_not1_b32 exec_lo, exec_lo, s78
	s_cbranch_execz .LBB29_235
.LBB29_229:                             ;   Parent Loop BB29_16 Depth=1
                                        ; =>  This Inner Loop Header: Depth=2
	s_mov_b32 s5, exec_lo
	s_delay_alu instid0(VALU_DEP_1)
	v_cmpx_gt_i64_e64 s[36:37], v[11:12]
	s_cbranch_execz .LBB29_227
; %bb.230:                              ;   in Loop: Header=BB29_229 Depth=2
	global_load_b64 v[4:5], v[7:8], off
	s_wait_loadcnt 0x0
	v_xor_b32_e32 v3, 0x80000000, v5
	v_and_b32_e32 v13, v4, v32
	s_delay_alu instid0(VALU_DEP_2) | instskip(NEXT) | instid1(VALU_DEP_1)
	v_and_b32_e32 v14, v3, v33
	v_cmp_eq_u64_e32 vcc_lo, v[13:14], v[30:31]
	s_and_b32 exec_lo, exec_lo, vcc_lo
	s_cbranch_execz .LBB29_227
; %bb.231:                              ;   in Loop: Header=BB29_229 Depth=2
	v_mov_b32_e32 v3, v18
	ds_store_b128 v18, v[2:5] offset:3072
	s_branch .LBB29_227
.LBB29_232:                             ;   in Loop: Header=BB29_229 Depth=2
	v_add_co_u32 v11, vcc_lo, v11, s56
	s_wait_alu 0xfffd
	v_add_co_ci_u32_e64 v12, null, 0, v12, vcc_lo
	v_add_co_u32 v7, s5, v7, s58
	s_wait_alu 0xf1fe
	v_add_co_ci_u32_e64 v8, null, s59, v8, s5
	s_delay_alu instid0(VALU_DEP_3)
	v_cmp_le_i64_e32 vcc_lo, s[12:13], v[11:12]
	s_mov_b32 s80, 0
	s_or_not1_b32 s5, vcc_lo, exec_lo
	s_branch .LBB29_228
.LBB29_233:                             ;   in Loop: Header=BB29_16 Depth=1
                                        ; implicit-def: $sgpr16_sgpr17
	s_branch .LBB29_179
.LBB29_234:                             ;   in Loop: Header=BB29_16 Depth=1
                                        ; implicit-def: $sgpr18_sgpr19
	s_branch .LBB29_195
.LBB29_235:                             ;   in Loop: Header=BB29_16 Depth=1
	s_or_b32 exec_lo, exec_lo, s78
	s_wait_alu 0xfffe
	s_and_b32 s5, s79, exec_lo
.LBB29_236:                             ;   in Loop: Header=BB29_16 Depth=1
	s_or_b32 exec_lo, exec_lo, s77
.LBB29_237:                             ;   in Loop: Header=BB29_16 Depth=1
	s_delay_alu instid0(SALU_CYCLE_1)
	s_and_b32 vcc_lo, exec_lo, s24
	s_wait_alu 0xfffe
	s_cbranch_vccz .LBB29_251
; %bb.238:                              ;   in Loop: Header=BB29_16 Depth=1
	s_add_nc_u64 s[12:13], s[10:11], s[62:63]
	s_mov_b32 s14, s25
	s_wait_alu 0xfffe
	s_mov_b32 s15, s13
	s_wait_alu 0xfffe
	s_cmp_lg_u64 s[14:15], 0
	s_cbranch_scc0 .LBB29_272
; %bb.239:                              ;   in Loop: Header=BB29_16 Depth=1
	s_add_nc_u64 s[14:15], s[56:57], 0
	s_wait_alu 0xfffe
	s_xor_b64 s[14:15], s[14:15], 0
	s_wait_alu 0xfffe
	s_cvt_f32_u32 s24, s14
	s_cvt_f32_u32 s77, s15
	s_sub_nc_u64 s[80:81], 0, s[14:15]
	s_wait_alu 0xfffe
	s_delay_alu instid0(SALU_CYCLE_1) | instskip(SKIP_1) | instid1(SALU_CYCLE_2)
	s_fmamk_f32 s24, s77, 0x4f800000, s24
	s_wait_alu 0xfffe
	v_s_rcp_f32 s24, s24
	s_delay_alu instid0(TRANS32_DEP_1) | instskip(SKIP_1) | instid1(SALU_CYCLE_2)
	s_mul_f32 s24, s24, 0x5f7ffffc
	s_wait_alu 0xfffe
	s_mul_f32 s77, s24, 0x2f800000
	s_wait_alu 0xfffe
	s_delay_alu instid0(SALU_CYCLE_2) | instskip(SKIP_1) | instid1(SALU_CYCLE_2)
	s_trunc_f32 s77, s77
	s_wait_alu 0xfffe
	s_fmamk_f32 s24, s77, 0xcf800000, s24
	s_cvt_u32_f32 s79, s77
	s_wait_alu 0xfffe
	s_delay_alu instid0(SALU_CYCLE_1) | instskip(SKIP_1) | instid1(SALU_CYCLE_2)
	s_cvt_u32_f32 s78, s24
	s_wait_alu 0xfffe
	s_mul_u64 s[82:83], s[80:81], s[78:79]
	s_wait_alu 0xfffe
	s_mul_hi_u32 s85, s78, s83
	s_mul_i32 s84, s78, s83
	s_mul_hi_u32 s24, s78, s82
	s_mul_i32 s86, s79, s82
	s_wait_alu 0xfffe
	s_add_nc_u64 s[84:85], s[24:25], s[84:85]
	s_mul_hi_u32 s77, s79, s82
	s_mul_hi_u32 s87, s79, s83
	s_wait_alu 0xfffe
	s_add_co_u32 s24, s84, s86
	s_add_co_ci_u32 s24, s85, s77
	s_mul_i32 s82, s79, s83
	s_add_co_ci_u32 s83, s87, 0
	s_wait_alu 0xfffe
	s_add_nc_u64 s[82:83], s[24:25], s[82:83]
	s_wait_alu 0xfffe
	s_add_co_u32 s78, s78, s82
	s_cselect_b32 s24, -1, 0
	s_wait_alu 0xfffe
	s_cmp_lg_u32 s24, 0
	s_add_co_ci_u32 s79, s79, s83
	s_wait_alu 0xfffe
	s_mul_u64 s[80:81], s[80:81], s[78:79]
	s_wait_alu 0xfffe
	s_mul_hi_u32 s83, s78, s81
	s_mul_i32 s82, s78, s81
	s_mul_hi_u32 s24, s78, s80
	s_mul_i32 s84, s79, s80
	s_wait_alu 0xfffe
	s_add_nc_u64 s[82:83], s[24:25], s[82:83]
	s_mul_hi_u32 s77, s79, s80
	s_mul_hi_u32 s85, s79, s81
	s_wait_alu 0xfffe
	s_add_co_u32 s24, s82, s84
	s_add_co_ci_u32 s24, s83, s77
	s_mul_i32 s80, s79, s81
	s_add_co_ci_u32 s81, s85, 0
	s_wait_alu 0xfffe
	s_add_nc_u64 s[80:81], s[24:25], s[80:81]
	s_wait_alu 0xfffe
	s_add_co_u32 s77, s78, s80
	s_cselect_b32 s24, -1, 0
	s_wait_alu 0xfffe
	s_cmp_lg_u32 s24, 0
	s_add_co_ci_u32 s84, s79, s81
	s_ashr_i32 s78, s13, 31
	s_wait_alu 0xfffe
	s_mov_b32 s79, s78
	s_wait_alu 0xfffe
	s_add_nc_u64 s[80:81], s[12:13], s[78:79]
	s_wait_alu 0xfffe
	s_xor_b64 s[80:81], s[80:81], s[78:79]
	s_wait_alu 0xfffe
	s_mul_hi_u32 s83, s80, s84
	s_mul_i32 s82, s80, s84
	s_mul_hi_u32 s24, s80, s77
	s_mul_hi_u32 s86, s81, s77
	s_mul_i32 s77, s81, s77
	s_wait_alu 0xfffe
	s_add_nc_u64 s[82:83], s[24:25], s[82:83]
	s_mul_hi_u32 s85, s81, s84
	s_wait_alu 0xfffe
	s_add_co_u32 s24, s82, s77
	s_add_co_ci_u32 s24, s83, s86
	s_mul_i32 s84, s81, s84
	s_add_co_ci_u32 s85, s85, 0
	s_wait_alu 0xfffe
	s_add_nc_u64 s[82:83], s[24:25], s[84:85]
	s_wait_alu 0xfffe
	s_mul_u64 s[82:83], s[14:15], s[82:83]
	s_wait_alu 0xfffe
	s_sub_co_u32 s24, s80, s82
	s_cselect_b32 s77, -1, 0
	s_sub_co_i32 s80, s81, s83
	s_wait_alu 0xfffe
	s_cmp_lg_u32 s77, 0
	s_sub_co_ci_u32 s80, s80, s15
	s_sub_co_u32 s82, s24, s14
	s_cselect_b32 s84, -1, 0
	s_wait_alu 0xfffe
	s_cmp_lg_u32 s84, 0
	s_sub_co_ci_u32 s85, s80, 0
	s_wait_alu 0xfffe
	s_cmp_ge_u32 s85, s15
	s_cselect_b32 s86, -1, 0
	s_cmp_ge_u32 s82, s14
	s_cselect_b32 s87, -1, 0
	s_cmp_eq_u32 s85, s15
	s_wait_alu 0xfffe
	s_cselect_b32 s86, s87, s86
	s_cmp_lg_u32 s84, 0
	s_sub_co_ci_u32 s80, s80, s15
	s_sub_co_u32 s84, s82, s14
	s_cselect_b32 s87, -1, 0
	s_wait_alu 0xfffe
	s_cmp_lg_u32 s87, 0
	s_sub_co_ci_u32 s80, s80, 0
	s_cmp_lg_u32 s86, 0
	s_cselect_b32 s82, s84, s82
	s_wait_alu 0xfffe
	s_cselect_b32 s80, s80, s85
	s_cmp_lg_u32 s77, 0
	s_sub_co_ci_u32 s77, s81, s83
	s_wait_alu 0xfffe
	s_cmp_ge_u32 s77, s15
	s_cselect_b32 s81, -1, 0
	s_cmp_ge_u32 s24, s14
	s_cselect_b32 s14, -1, 0
	s_cmp_eq_u32 s77, s15
	s_wait_alu 0xfffe
	s_cselect_b32 s14, s14, s81
	s_wait_alu 0xfffe
	s_cmp_lg_u32 s14, 0
	s_cselect_b32 s15, s80, s77
	s_cselect_b32 s14, s82, s24
	s_wait_alu 0xfffe
	s_xor_b64 s[14:15], s[14:15], s[78:79]
	s_wait_alu 0xfffe
	s_sub_nc_u64 s[14:15], s[14:15], s[78:79]
	s_cbranch_execnz .LBB29_241
.LBB29_240:                             ;   in Loop: Header=BB29_16 Depth=1
	v_cvt_f32_u32_e32 v3, s56
	s_sub_co_i32 s15, 0, s56
	s_delay_alu instid0(VALU_DEP_1) | instskip(NEXT) | instid1(TRANS32_DEP_1)
	v_rcp_iflag_f32_e32 v3, v3
	v_mul_f32_e32 v3, 0x4f7ffffe, v3
	s_delay_alu instid0(VALU_DEP_1) | instskip(NEXT) | instid1(VALU_DEP_1)
	v_cvt_u32_f32_e32 v3, v3
	v_readfirstlane_b32 s14, v3
	s_wait_alu 0xfffe
	s_mul_i32 s15, s15, s14
	s_wait_alu 0xfffe
	s_mul_hi_u32 s15, s14, s15
	s_wait_alu 0xfffe
	s_add_co_i32 s14, s14, s15
	s_wait_alu 0xfffe
	s_mul_hi_u32 s14, s12, s14
	s_wait_alu 0xfffe
	s_mul_i32 s14, s14, s56
	s_wait_alu 0xfffe
	s_sub_co_i32 s14, s12, s14
	s_wait_alu 0xfffe
	s_sub_co_i32 s15, s14, s56
	s_cmp_ge_u32 s14, s56
	s_wait_alu 0xfffe
	s_cselect_b32 s14, s15, s14
	s_wait_alu 0xfffe
	s_sub_co_i32 s15, s14, s56
	s_cmp_ge_u32 s14, s56
	s_wait_alu 0xfffe
	s_cselect_b32 s24, s15, s14
	s_wait_alu 0xfffe
	s_mov_b64 s[14:15], s[24:25]
.LBB29_241:                             ;   in Loop: Header=BB29_16 Depth=1
	s_wait_alu 0xfffe
	s_sub_nc_u64 s[12:13], s[12:13], s[14:15]
	s_mov_b32 s14, exec_lo
                                        ; implicit-def: $vgpr5_vgpr6
	s_wait_alu 0xfffe
	v_cmpx_gt_i64_e64 s[12:13], v[0:1]
	s_cbranch_execz .LBB29_250
; %bb.242:                              ;   in Loop: Header=BB29_16 Depth=1
	v_dual_mov_b32 v11, v43 :: v_dual_mov_b32 v8, v1
	v_mov_b32_e32 v7, v0
	s_mov_b32 s15, 0
                                        ; implicit-def: $sgpr24
	s_branch .LBB29_245
.LBB29_243:                             ;   in Loop: Header=BB29_245 Depth=2
	s_wait_alu 0xfffe
	s_or_b32 exec_lo, exec_lo, s77
	s_wait_loadcnt_dscnt 0x0
	s_barrier_signal -1
	s_barrier_wait -1
	global_inv scope:SCOPE_SE
	ds_load_b128 v[3:6], v18 offset:3072
	s_mov_b32 s77, -1
	s_mov_b32 s78, -1
	s_wait_loadcnt_dscnt 0x0
	s_barrier_signal -1
	s_barrier_wait -1
	global_inv scope:SCOPE_SE
	v_cmp_eq_u64_e32 vcc_lo, 0, v[3:4]
	s_cbranch_vccnz .LBB29_248
.LBB29_244:                             ;   in Loop: Header=BB29_245 Depth=2
	s_wait_alu 0xfffe
	s_and_b32 s77, exec_lo, s77
	s_wait_alu 0xfffe
	s_or_b32 s15, s77, s15
	s_and_not1_b32 s24, s24, exec_lo
	s_and_b32 s77, s78, exec_lo
	s_wait_alu 0xfffe
	s_or_b32 s24, s24, s77
	s_and_not1_b32 exec_lo, exec_lo, s15
	s_cbranch_execz .LBB29_249
.LBB29_245:                             ;   Parent Loop BB29_16 Depth=1
                                        ; =>  This Inner Loop Header: Depth=2
	s_mov_b32 s77, exec_lo
	s_delay_alu instid0(VALU_DEP_1)
	v_cmpx_gt_u64_e64 s[10:11], v[7:8]
	s_cbranch_execz .LBB29_243
; %bb.246:                              ;   in Loop: Header=BB29_245 Depth=2
	ds_load_b64 v[4:5], v11
	s_wait_dscnt 0x0
	v_xor_b32_e32 v3, 0x80000000, v5
	v_and_b32_e32 v12, v4, v32
	s_delay_alu instid0(VALU_DEP_2) | instskip(NEXT) | instid1(VALU_DEP_1)
	v_and_b32_e32 v13, v3, v33
	v_cmp_eq_u64_e32 vcc_lo, v[12:13], v[30:31]
	s_and_b32 exec_lo, exec_lo, vcc_lo
	s_cbranch_execz .LBB29_243
; %bb.247:                              ;   in Loop: Header=BB29_245 Depth=2
	v_mov_b32_e32 v3, v18
	ds_store_b128 v18, v[2:5] offset:3072
	s_branch .LBB29_243
.LBB29_248:                             ;   in Loop: Header=BB29_245 Depth=2
	v_add_co_u32 v7, vcc_lo, v7, s56
	s_wait_alu 0xfffd
	v_add_co_ci_u32_e64 v8, null, 0, v8, vcc_lo
	v_add_nc_u32_e32 v11, s94, v11
	s_mov_b32 s78, 0
	s_delay_alu instid0(VALU_DEP_2)
	v_cmp_le_i64_e32 vcc_lo, s[12:13], v[7:8]
	s_or_not1_b32 s77, vcc_lo, exec_lo
	s_branch .LBB29_244
.LBB29_249:                             ;   in Loop: Header=BB29_16 Depth=1
	s_or_b32 exec_lo, exec_lo, s15
	s_delay_alu instid0(SALU_CYCLE_1)
	s_and_not1_b32 s5, s5, exec_lo
	s_wait_alu 0xfffe
	s_and_b32 s10, s24, exec_lo
	s_wait_alu 0xfffe
	s_or_b32 s5, s5, s10
.LBB29_250:                             ;   in Loop: Header=BB29_16 Depth=1
	s_or_b32 exec_lo, exec_lo, s14
	s_mov_b32 s14, 0
	s_mov_b32 s15, -1
.LBB29_251:                             ;   in Loop: Header=BB29_16 Depth=1
	s_wait_alu 0xfffe
	s_or_not1_b32 s10, s5, exec_lo
.LBB29_252:                             ;   in Loop: Header=BB29_16 Depth=1
	s_wait_alu 0xfffe
	s_or_b32 exec_lo, exec_lo, s76
	s_mov_b32 s11, 0
	s_and_saveexec_b32 s5, s10
	s_cbranch_execz .LBB29_263
; %bb.253:                              ;   in Loop: Header=BB29_16 Depth=1
	v_dual_mov_b32 v3, 1 :: v_dual_mov_b32 v36, 1
	v_mov_b32_e32 v4, 0
	s_xor_b32 s11, s75, -1
	s_wait_alu 0xfffe
	s_and_saveexec_b32 s10, s11
	s_cbranch_execz .LBB29_262
; %bb.254:                              ;   in Loop: Header=BB29_16 Depth=1
	s_mov_b32 s11, exec_lo
	v_cmpx_ge_i64_e64 s[6:7], v[9:10]
	s_wait_alu 0xfffe
	s_xor_b32 s11, exec_lo, s11
	s_cbranch_execz .LBB29_259
; %bb.255:                              ;   in Loop: Header=BB29_16 Depth=1
	ds_load_b64 v[3:4], v18 offset:5120
	v_or_b32_e32 v31, s9, v31
	v_or_b32_e32 v30, s8, v30
	;; [unrolled: 1-line block ×4, first 2 shown]
	s_wait_dscnt 0x0
	v_cmp_ne_u64_e32 vcc_lo, 0, v[3:4]
	s_cbranch_vccnz .LBB29_259
; %bb.256:                              ;   in Loop: Header=BB29_16 Depth=1
	s_and_saveexec_b32 s8, s2
; %bb.257:                              ;   in Loop: Header=BB29_16 Depth=1
	v_dual_mov_b32 v3, s6 :: v_dual_mov_b32 v4, s7
	ds_store_b64 v18, v[3:4] offset:5128
; %bb.258:                              ;   in Loop: Header=BB29_16 Depth=1
	s_wait_alu 0xfffe
	s_or_b32 exec_lo, exec_lo, s8
	s_wait_loadcnt_dscnt 0x0
	s_barrier_signal -1
	s_barrier_wait -1
	global_inv scope:SCOPE_SE
.LBB29_259:                             ;   in Loop: Header=BB29_16 Depth=1
	s_wait_alu 0xfffe
	s_and_not1_saveexec_b32 s8, s11
; %bb.260:                              ;   in Loop: Header=BB29_16 Depth=1
	v_sub_co_u32 v9, vcc_lo, v9, s6
	s_wait_alu 0xfffd
	v_subrev_co_ci_u32_e64 v10, null, s7, v10, vcc_lo
; %bb.261:                              ;   in Loop: Header=BB29_16 Depth=1
	s_wait_alu 0xfffe
	s_or_b32 exec_lo, exec_lo, s8
	v_dual_mov_b32 v36, 8 :: v_dual_mov_b32 v3, v9
	s_delay_alu instid0(VALU_DEP_2)
	v_mov_b32_e32 v4, v10
.LBB29_262:                             ;   in Loop: Header=BB29_16 Depth=1
	s_wait_alu 0xfffe
	s_or_b32 exec_lo, exec_lo, s10
	s_delay_alu instid0(VALU_DEP_1)
	v_dual_mov_b32 v10, v4 :: v_dual_mov_b32 v9, v3
	s_mov_b32 s11, exec_lo
.LBB29_263:                             ;   in Loop: Header=BB29_16 Depth=1
	s_wait_alu 0xfffe
	s_or_b32 exec_lo, exec_lo, s5
	s_delay_alu instid0(SALU_CYCLE_1)
	s_or_not1_b32 s5, s11, exec_lo
.LBB29_264:                             ;   in Loop: Header=BB29_16 Depth=1
	s_wait_alu 0xfffe
	s_or_b32 exec_lo, exec_lo, s17
	v_dual_mov_b32 v7, v9 :: v_dual_mov_b32 v8, v10
	s_and_not1_b32 s6, s19, exec_lo
	s_and_b32 s7, s15, exec_lo
	s_and_not1_b32 s8, s18, exec_lo
	s_and_b32 s9, s14, exec_lo
	s_wait_alu 0xfffe
	s_or_b32 s19, s6, s7
	s_or_b32 s18, s8, s9
	s_and_b32 s14, s5, exec_lo
.LBB29_265:                             ;   in Loop: Header=BB29_16 Depth=1
	s_wait_alu 0xfffe
	s_or_b32 exec_lo, exec_lo, s16
	s_delay_alu instid0(SALU_CYCLE_1)
	s_or_not1_b32 s5, s14, exec_lo
.LBB29_266:                             ;   in Loop: Header=BB29_16 Depth=1
	s_wait_alu 0xfffe
	s_or_b32 exec_lo, exec_lo, s74
	v_dual_mov_b32 v12, v8 :: v_dual_mov_b32 v11, v7
	s_and_not1_b32 s6, s72, exec_lo
	s_and_b32 s7, s19, exec_lo
	s_and_not1_b32 s8, s23, exec_lo
	s_and_b32 s9, s18, exec_lo
	s_wait_alu 0xfffe
	s_or_b32 s72, s6, s7
	s_or_b32 s23, s8, s9
	s_and_b32 s14, s5, exec_lo
.LBB29_267:                             ;   in Loop: Header=BB29_16 Depth=1
	s_wait_alu 0xfffe
	s_or_b32 exec_lo, exec_lo, s73
	s_delay_alu instid0(SALU_CYCLE_1)
	s_or_not1_b32 s5, s14, exec_lo
.LBB29_268:                             ;   in Loop: Header=BB29_16 Depth=1
	s_wait_alu 0xfffe
	s_or_b32 exec_lo, exec_lo, s22
	s_mov_b32 s6, 0
	s_and_saveexec_b32 s7, s5
	s_wait_alu 0xfffe
	s_xor_b32 s5, exec_lo, s7
	s_cbranch_execz .LBB29_14
; %bb.269:                              ;   in Loop: Header=BB29_16 Depth=1
	v_and_b32_e32 v3, 7, v36
	s_mov_b32 s7, -1
	s_mov_b32 s6, -1
	s_mov_b32 s8, exec_lo
	s_delay_alu instid0(VALU_DEP_1)
	v_cmpx_eq_u32_e32 0, v3
	s_cbranch_execz .LBB29_13
; %bb.270:                              ;   in Loop: Header=BB29_16 Depth=1
	s_xor_b32 s97, s97, 1
	s_add_co_i32 s9, s95, -2
	s_cmp_eq_u32 s95, 0
	s_wait_alu 0xfffe
	s_mov_b32 s95, s9
	s_cselect_b32 s7, -1, 0
	s_xor_b32 s6, exec_lo, -1
	s_wait_alu 0xfffe
	s_or_not1_b32 s7, s7, exec_lo
	s_branch .LBB29_13
.LBB29_271:                             ;   in Loop: Header=BB29_16 Depth=1
                                        ; implicit-def: $sgpr12_sgpr13
	s_branch .LBB29_224
.LBB29_272:                             ;   in Loop: Header=BB29_16 Depth=1
                                        ; implicit-def: $sgpr14_sgpr15
	s_branch .LBB29_240
.LBB29_273:
	s_or_b32 exec_lo, exec_lo, s96
	s_xor_b32 s5, s103, -1
	s_xor_b32 s1, s101, -1
	;; [unrolled: 1-line block ×3, first 2 shown]
	s_mov_b32 s3, 0
	s_and_saveexec_b32 s6, s1
	s_wait_alu 0xfffe
	s_xor_b32 s1, exec_lo, s6
	s_cbranch_execnz .LBB29_278
; %bb.274:
	s_and_not1_saveexec_b32 s0, s1
	s_cbranch_execnz .LBB29_303
.LBB29_275:
	s_wait_alu 0xfffe
	s_or_b32 exec_lo, exec_lo, s0
	s_and_saveexec_b32 s0, s3
.LBB29_276:
	; divergent unreachable
.LBB29_277:
	s_endpgm
.LBB29_278:
	s_and_saveexec_b32 s3, s5
	s_delay_alu instid0(SALU_CYCLE_1)
	s_xor_b32 s3, exec_lo, s3
	s_cbranch_execz .LBB29_301
; %bb.279:
	s_and_saveexec_b32 s5, s4
	s_wait_alu 0xfffe
	s_xor_b32 s4, exec_lo, s5
; %bb.280:
	v_xor_b32_e32 v31, 0x80000000, v31
	s_delay_alu instid0(VALU_DEP_1)
	v_dual_mov_b32 v5, v30 :: v_dual_mov_b32 v6, v31
; %bb.281:
	s_wait_alu 0xfffe
	s_or_b32 exec_lo, exec_lo, s4
	s_and_saveexec_b32 s4, s2
; %bb.282:
	v_dual_mov_b32 v2, 0 :: v_dual_mov_b32 v3, s36
	ds_store_b32 v2, v3 offset:5140
; %bb.283:
	s_wait_alu 0xfffe
	s_or_b32 exec_lo, exec_lo, s4
	s_wait_loadcnt_dscnt 0x0
	s_barrier_signal -1
	s_barrier_wait -1
	global_inv scope:SCOPE_SE
	s_and_saveexec_b32 s4, s0
	s_cbranch_execz .LBB29_298
; %bb.284:
	v_mov_b32_e32 v2, 0
	s_mov_b32 s5, 0
                                        ; implicit-def: $sgpr6
                                        ; implicit-def: $sgpr7
                                        ; implicit-def: $sgpr8
	ds_load_b32 v7, v2 offset:5140
	s_wait_dscnt 0x0
	v_ashrrev_i32_e32 v8, 31, v7
	s_branch .LBB29_287
.LBB29_285:                             ;   in Loop: Header=BB29_287 Depth=1
	s_wait_alu 0xfffe
	s_or_b32 exec_lo, exec_lo, s11
	s_delay_alu instid0(SALU_CYCLE_1)
	s_and_not1_b32 s8, s8, exec_lo
	s_and_b32 s10, s10, exec_lo
	s_and_not1_b32 s7, s7, exec_lo
	s_and_b32 s0, s0, exec_lo
	s_wait_alu 0xfffe
	s_or_b32 s8, s8, s10
	s_or_b32 s7, s7, s0
.LBB29_286:                             ;   in Loop: Header=BB29_287 Depth=1
	s_wait_alu 0xfffe
	s_or_b32 exec_lo, exec_lo, s9
	s_delay_alu instid0(SALU_CYCLE_1)
	s_and_b32 s0, exec_lo, s7
	s_wait_alu 0xfffe
	s_or_b32 s5, s0, s5
	s_and_not1_b32 s0, s6, exec_lo
	s_and_b32 s6, s8, exec_lo
	s_wait_alu 0xfffe
	s_or_b32 s6, s0, s6
	s_and_not1_b32 exec_lo, exec_lo, s5
	s_cbranch_execz .LBB29_293
.LBB29_287:                             ; =>This Inner Loop Header: Depth=1
	v_dual_mov_b32 v3, v1 :: v_dual_mov_b32 v2, v0
	s_or_b32 s8, s8, exec_lo
	s_or_b32 s7, s7, exec_lo
	s_mov_b32 s9, exec_lo
                                        ; implicit-def: $vgpr0_vgpr1
	s_delay_alu instid0(VALU_DEP_1)
	v_cmpx_lt_i64_e64 v[2:3], v[7:8]
	s_cbranch_execz .LBB29_286
; %bb.288:                              ;   in Loop: Header=BB29_287 Depth=1
	global_load_b64 v[0:1], v[15:16], off
	s_mov_b32 s0, -1
	s_mov_b32 s10, 0
	s_wait_loadcnt 0x0
	v_cmp_ne_u64_e32 vcc_lo, v[0:1], v[5:6]
                                        ; implicit-def: $vgpr0_vgpr1
	s_and_saveexec_b32 s11, vcc_lo
	s_cbranch_execz .LBB29_285
; %bb.289:                              ;   in Loop: Header=BB29_287 Depth=1
	v_add_co_u32 v0, vcc_lo, v2, s56
	s_wait_alu 0xfffd
	v_add_co_ci_u32_e64 v1, null, 0, v3, vcc_lo
	v_add_co_u32 v15, s0, v15, s58
	s_wait_alu 0xf1fe
	v_add_co_ci_u32_e64 v16, null, s59, v16, s0
	s_delay_alu instid0(VALU_DEP_3)
	v_cmp_le_i64_e32 vcc_lo, s[36:37], v[0:1]
	s_mov_b32 s10, exec_lo
	s_or_not1_b32 s0, vcc_lo, exec_lo
	s_branch .LBB29_285
.LBB29_290:
                                        ; implicit-def: $sgpr12_sgpr13
	s_branch .LBB29_3
.LBB29_291:
                                        ; implicit-def: $sgpr48_sgpr49
	s_branch .LBB29_6
.LBB29_292:
                                        ; implicit-def: $sgpr50_sgpr51
	s_branch .LBB29_9
.LBB29_293:
	s_or_b32 exec_lo, exec_lo, s5
	s_wait_alu 0xfffe
	s_xor_b32 s0, s6, -1
	s_wait_alu 0xfffe
	s_and_saveexec_b32 s5, s0
	s_wait_alu 0xfffe
	s_xor_b32 s5, exec_lo, s5
	s_cbranch_execz .LBB29_298
; %bb.294:
	s_mov_b32 s5, exec_lo
	s_brev_b32 s0, -2
.LBB29_295:                             ; =>This Inner Loop Header: Depth=1
	s_wait_alu 0xfffe
	s_ctz_i32_b32 s6, s5
	s_wait_alu 0xfffe
	v_readlane_b32 s7, v2, s6
	s_lshl_b32 s6, 1, s6
	s_wait_alu 0xfffe
	s_and_not1_b32 s5, s5, s6
	s_min_i32 s0, s0, s7
	s_wait_alu 0xfffe
	s_cmp_lg_u32 s5, 0
	s_cbranch_scc1 .LBB29_295
; %bb.296:
	v_mbcnt_lo_u32_b32 v0, exec_lo, 0
	s_mov_b32 s5, exec_lo
	s_delay_alu instid0(VALU_DEP_1)
	v_cmpx_eq_u32_e32 0, v0
	s_wait_alu 0xfffe
	s_xor_b32 s5, exec_lo, s5
; %bb.297:
	v_dual_mov_b32 v0, 0 :: v_dual_mov_b32 v1, s0
	ds_min_i32 v0, v1 offset:5140
.LBB29_298:
	s_wait_alu 0xfffe
	s_or_b32 exec_lo, exec_lo, s4
	s_wait_loadcnt_dscnt 0x0
	s_barrier_signal -1
	s_barrier_wait -1
	global_inv scope:SCOPE_SE
	s_and_saveexec_b32 s0, s2
	s_cbranch_execz .LBB29_300
; %bb.299:
	v_mov_b32_e32 v2, 0
	s_mul_u64 s[8:9], s[50:51], s[40:41]
	s_mul_u64 s[4:5], s[48:49], s[34:35]
	;; [unrolled: 1-line block ×3, first 2 shown]
	s_wait_alu 0xfffe
	s_sub_nc_u64 s[8:9], s[26:27], s[8:9]
	ds_load_b32 v0, v2 offset:5140
	s_mul_u64 s[6:7], s[48:49], s[44:45]
	s_sub_nc_u64 s[4:5], s[26:27], s[4:5]
	s_lshl_b64 s[10:11], s[10:11], 3
	s_wait_alu 0xfffe
	s_mul_u64 s[8:9], s[8:9], s[30:31]
	s_lshl_b64 s[6:7], s[6:7], 3
	s_mul_u64 s[4:5], s[4:5], s[46:47]
	s_add_nc_u64 s[10:11], s[52:53], s[10:11]
	s_wait_alu 0xfffe
	s_lshl_b64 s[8:9], s[8:9], 3
	s_add_nc_u64 s[6:7], s[54:55], s[6:7]
	s_lshl_b64 s[4:5], s[4:5], 3
	s_wait_alu 0xfffe
	s_add_nc_u64 s[8:9], s[10:11], s[8:9]
	s_add_nc_u64 s[4:5], s[6:7], s[4:5]
	s_wait_dscnt 0x0
	v_ashrrev_i32_e32 v1, 31, v0
	s_clause 0x1
	global_store_b64 v2, v[0:1], s[8:9]
	global_store_b64 v2, v[5:6], s[4:5]
.LBB29_300:
	s_wait_alu 0xfffe
	s_or_b32 exec_lo, exec_lo, s0
.LBB29_301:
	s_or_saveexec_b32 s0, s3
	s_mov_b32 s2, 0
	s_wait_alu 0xfffe
	s_xor_b32 exec_lo, exec_lo, s0
	s_cbranch_execnz .LBB29_304
.LBB29_302:
	s_or_b32 exec_lo, exec_lo, s0
	s_delay_alu instid0(SALU_CYCLE_1)
	s_and_b32 s3, s2, exec_lo
	s_and_not1_saveexec_b32 s0, s1
	s_cbranch_execz .LBB29_275
.LBB29_303:
	s_or_b32 s3, s3, exec_lo
	s_trap 2
	s_wait_alu 0xfffe
	s_or_b32 exec_lo, exec_lo, s0
	s_and_saveexec_b32 s0, s3
	s_cbranch_execnz .LBB29_276
	s_branch .LBB29_277
.LBB29_304:
	s_mov_b32 s2, exec_lo
	s_trap 2
	s_branch .LBB29_302
	.section	.rodata,"a",@progbits
	.p2align	6, 0x0
	.amdhsa_kernel _ZN2at6native12_GLOBAL__N_114gatherKthValueIllLi2EEEvNS_4cuda6detail10TensorInfoIKT_T0_EES8_S8_S8_S8_NS5_IS6_S8_EENS5_IlS8_EE
		.amdhsa_group_segment_fixed_size 5144
		.amdhsa_private_segment_fixed_size 0
		.amdhsa_kernarg_size 1536
		.amdhsa_user_sgpr_count 2
		.amdhsa_user_sgpr_dispatch_ptr 0
		.amdhsa_user_sgpr_queue_ptr 0
		.amdhsa_user_sgpr_kernarg_segment_ptr 1
		.amdhsa_user_sgpr_dispatch_id 0
		.amdhsa_user_sgpr_private_segment_size 0
		.amdhsa_wavefront_size32 1
		.amdhsa_uses_dynamic_stack 0
		.amdhsa_enable_private_segment 0
		.amdhsa_system_sgpr_workgroup_id_x 1
		.amdhsa_system_sgpr_workgroup_id_y 1
		.amdhsa_system_sgpr_workgroup_id_z 1
		.amdhsa_system_sgpr_workgroup_info 0
		.amdhsa_system_vgpr_workitem_id 0
		.amdhsa_next_free_vgpr 67
		.amdhsa_next_free_sgpr 104
		.amdhsa_reserve_vcc 1
		.amdhsa_float_round_mode_32 0
		.amdhsa_float_round_mode_16_64 0
		.amdhsa_float_denorm_mode_32 3
		.amdhsa_float_denorm_mode_16_64 3
		.amdhsa_fp16_overflow 0
		.amdhsa_workgroup_processor_mode 1
		.amdhsa_memory_ordered 1
		.amdhsa_forward_progress 1
		.amdhsa_inst_pref_size 164
		.amdhsa_round_robin_scheduling 0
		.amdhsa_exception_fp_ieee_invalid_op 0
		.amdhsa_exception_fp_denorm_src 0
		.amdhsa_exception_fp_ieee_div_zero 0
		.amdhsa_exception_fp_ieee_overflow 0
		.amdhsa_exception_fp_ieee_underflow 0
		.amdhsa_exception_fp_ieee_inexact 0
		.amdhsa_exception_int_div_zero 0
	.end_amdhsa_kernel
	.section	.text._ZN2at6native12_GLOBAL__N_114gatherKthValueIllLi2EEEvNS_4cuda6detail10TensorInfoIKT_T0_EES8_S8_S8_S8_NS5_IS6_S8_EENS5_IlS8_EE,"axG",@progbits,_ZN2at6native12_GLOBAL__N_114gatherKthValueIllLi2EEEvNS_4cuda6detail10TensorInfoIKT_T0_EES8_S8_S8_S8_NS5_IS6_S8_EENS5_IlS8_EE,comdat
.Lfunc_end29:
	.size	_ZN2at6native12_GLOBAL__N_114gatherKthValueIllLi2EEEvNS_4cuda6detail10TensorInfoIKT_T0_EES8_S8_S8_S8_NS5_IS6_S8_EENS5_IlS8_EE, .Lfunc_end29-_ZN2at6native12_GLOBAL__N_114gatherKthValueIllLi2EEEvNS_4cuda6detail10TensorInfoIKT_T0_EES8_S8_S8_S8_NS5_IS6_S8_EENS5_IlS8_EE
                                        ; -- End function
	.set _ZN2at6native12_GLOBAL__N_114gatherKthValueIllLi2EEEvNS_4cuda6detail10TensorInfoIKT_T0_EES8_S8_S8_S8_NS5_IS6_S8_EENS5_IlS8_EE.num_vgpr, 67
	.set _ZN2at6native12_GLOBAL__N_114gatherKthValueIllLi2EEEvNS_4cuda6detail10TensorInfoIKT_T0_EES8_S8_S8_S8_NS5_IS6_S8_EENS5_IlS8_EE.num_agpr, 0
	.set _ZN2at6native12_GLOBAL__N_114gatherKthValueIllLi2EEEvNS_4cuda6detail10TensorInfoIKT_T0_EES8_S8_S8_S8_NS5_IS6_S8_EENS5_IlS8_EE.numbered_sgpr, 104
	.set _ZN2at6native12_GLOBAL__N_114gatherKthValueIllLi2EEEvNS_4cuda6detail10TensorInfoIKT_T0_EES8_S8_S8_S8_NS5_IS6_S8_EENS5_IlS8_EE.num_named_barrier, 0
	.set _ZN2at6native12_GLOBAL__N_114gatherKthValueIllLi2EEEvNS_4cuda6detail10TensorInfoIKT_T0_EES8_S8_S8_S8_NS5_IS6_S8_EENS5_IlS8_EE.private_seg_size, 0
	.set _ZN2at6native12_GLOBAL__N_114gatherKthValueIllLi2EEEvNS_4cuda6detail10TensorInfoIKT_T0_EES8_S8_S8_S8_NS5_IS6_S8_EENS5_IlS8_EE.uses_vcc, 1
	.set _ZN2at6native12_GLOBAL__N_114gatherKthValueIllLi2EEEvNS_4cuda6detail10TensorInfoIKT_T0_EES8_S8_S8_S8_NS5_IS6_S8_EENS5_IlS8_EE.uses_flat_scratch, 0
	.set _ZN2at6native12_GLOBAL__N_114gatherKthValueIllLi2EEEvNS_4cuda6detail10TensorInfoIKT_T0_EES8_S8_S8_S8_NS5_IS6_S8_EENS5_IlS8_EE.has_dyn_sized_stack, 0
	.set _ZN2at6native12_GLOBAL__N_114gatherKthValueIllLi2EEEvNS_4cuda6detail10TensorInfoIKT_T0_EES8_S8_S8_S8_NS5_IS6_S8_EENS5_IlS8_EE.has_recursion, 0
	.set _ZN2at6native12_GLOBAL__N_114gatherKthValueIllLi2EEEvNS_4cuda6detail10TensorInfoIKT_T0_EES8_S8_S8_S8_NS5_IS6_S8_EENS5_IlS8_EE.has_indirect_call, 0
	.section	.AMDGPU.csdata,"",@progbits
; Kernel info:
; codeLenInByte = 20888
; TotalNumSgprs: 106
; NumVgprs: 67
; ScratchSize: 0
; MemoryBound: 0
; FloatMode: 240
; IeeeMode: 1
; LDSByteSize: 5144 bytes/workgroup (compile time only)
; SGPRBlocks: 0
; VGPRBlocks: 8
; NumSGPRsForWavesPerEU: 106
; NumVGPRsForWavesPerEU: 67
; Occupancy: 16
; WaveLimiterHint : 1
; COMPUTE_PGM_RSRC2:SCRATCH_EN: 0
; COMPUTE_PGM_RSRC2:USER_SGPR: 2
; COMPUTE_PGM_RSRC2:TRAP_HANDLER: 0
; COMPUTE_PGM_RSRC2:TGID_X_EN: 1
; COMPUTE_PGM_RSRC2:TGID_Y_EN: 1
; COMPUTE_PGM_RSRC2:TGID_Z_EN: 1
; COMPUTE_PGM_RSRC2:TIDIG_COMP_CNT: 0
	.section	.text._ZN2at6native12_GLOBAL__N_114gatherKthValueIllLi3EEEvNS_4cuda6detail10TensorInfoIKT_T0_EES8_S8_S8_S8_NS5_IS6_S8_EENS5_IlS8_EE,"axG",@progbits,_ZN2at6native12_GLOBAL__N_114gatherKthValueIllLi3EEEvNS_4cuda6detail10TensorInfoIKT_T0_EES8_S8_S8_S8_NS5_IS6_S8_EENS5_IlS8_EE,comdat
	.globl	_ZN2at6native12_GLOBAL__N_114gatherKthValueIllLi3EEEvNS_4cuda6detail10TensorInfoIKT_T0_EES8_S8_S8_S8_NS5_IS6_S8_EENS5_IlS8_EE ; -- Begin function _ZN2at6native12_GLOBAL__N_114gatherKthValueIllLi3EEEvNS_4cuda6detail10TensorInfoIKT_T0_EES8_S8_S8_S8_NS5_IS6_S8_EENS5_IlS8_EE
	.p2align	8
	.type	_ZN2at6native12_GLOBAL__N_114gatherKthValueIllLi3EEEvNS_4cuda6detail10TensorInfoIKT_T0_EES8_S8_S8_S8_NS5_IS6_S8_EENS5_IlS8_EE,@function
_ZN2at6native12_GLOBAL__N_114gatherKthValueIllLi3EEEvNS_4cuda6detail10TensorInfoIKT_T0_EES8_S8_S8_S8_NS5_IS6_S8_EENS5_IlS8_EE: ; @_ZN2at6native12_GLOBAL__N_114gatherKthValueIllLi3EEEvNS_4cuda6detail10TensorInfoIKT_T0_EES8_S8_S8_S8_NS5_IS6_S8_EENS5_IlS8_EE
; %bb.0:
	s_clause 0x1
	s_load_b64 s[12:13], s[0:1], 0x500
	s_load_b256 s[36:43], s[0:1], 0x1a0
	s_lshr_b32 s2, ttmp7, 16
	s_and_b32 s3, ttmp7, 0xffff
	s_mov_b32 s27, 0
	s_wait_kmcnt 0x0
	s_mul_i32 s2, s13, s2
	s_delay_alu instid0(SALU_CYCLE_1) | instskip(NEXT) | instid1(SALU_CYCLE_1)
	s_add_co_i32 s2, s2, s3
	s_mul_i32 s2, s2, s12
	s_delay_alu instid0(SALU_CYCLE_1) | instskip(NEXT) | instid1(SALU_CYCLE_1)
	s_add_co_i32 s26, s2, ttmp9
	v_cmp_le_i64_e64 s2, s[40:41], s[26:27]
	s_and_b32 vcc_lo, exec_lo, s2
	s_cbranch_vccnz .LBB30_293
; %bb.1:
	s_load_b128 s[4:7], s[0:1], 0x10
	s_mov_b32 s2, s27
	s_wait_kmcnt 0x0
	s_mov_b32 s3, s7
	s_delay_alu instid0(SALU_CYCLE_1)
	s_cmp_lg_u64 s[2:3], 0
	s_add_nc_u64 s[2:3], s[26:27], 0
	s_cbranch_scc0 .LBB30_18
; %bb.2:
	s_ashr_i32 s8, s7, 31
	s_mov_b32 s17, 0
	s_mov_b32 s9, s8
	s_delay_alu instid0(SALU_CYCLE_1) | instskip(NEXT) | instid1(SALU_CYCLE_1)
	s_add_nc_u64 s[10:11], s[6:7], s[8:9]
	s_xor_b64 s[10:11], s[10:11], s[8:9]
	s_delay_alu instid0(SALU_CYCLE_1) | instskip(SKIP_2) | instid1(SALU_CYCLE_2)
	s_cvt_f32_u32 s13, s10
	s_cvt_f32_u32 s14, s11
	s_sub_nc_u64 s[18:19], 0, s[10:11]
	s_fmamk_f32 s13, s14, 0x4f800000, s13
	s_delay_alu instid0(SALU_CYCLE_3) | instskip(NEXT) | instid1(TRANS32_DEP_1)
	v_s_rcp_f32 s13, s13
	s_mul_f32 s13, s13, 0x5f7ffffc
	s_wait_alu 0xfffe
	s_delay_alu instid0(SALU_CYCLE_2) | instskip(NEXT) | instid1(SALU_CYCLE_3)
	s_mul_f32 s14, s13, 0x2f800000
	s_trunc_f32 s14, s14
	s_delay_alu instid0(SALU_CYCLE_3) | instskip(SKIP_2) | instid1(SALU_CYCLE_1)
	s_fmamk_f32 s13, s14, 0xcf800000, s13
	s_cvt_u32_f32 s15, s14
	s_wait_alu 0xfffe
	s_cvt_u32_f32 s14, s13
	s_delay_alu instid0(SALU_CYCLE_3) | instskip(NEXT) | instid1(SALU_CYCLE_1)
	s_mul_u64 s[20:21], s[18:19], s[14:15]
	s_mul_hi_u32 s23, s14, s21
	s_mul_i32 s22, s14, s21
	s_mul_hi_u32 s16, s14, s20
	s_mul_i32 s24, s15, s20
	s_add_nc_u64 s[22:23], s[16:17], s[22:23]
	s_mul_hi_u32 s13, s15, s20
	s_mul_hi_u32 s25, s15, s21
	s_add_co_u32 s16, s22, s24
	s_wait_alu 0xfffe
	s_add_co_ci_u32 s16, s23, s13
	s_mul_i32 s20, s15, s21
	s_add_co_ci_u32 s21, s25, 0
	s_delay_alu instid0(SALU_CYCLE_1) | instskip(NEXT) | instid1(SALU_CYCLE_1)
	s_add_nc_u64 s[20:21], s[16:17], s[20:21]
	s_add_co_u32 s14, s14, s20
	s_cselect_b32 s13, -1, 0
	s_wait_alu 0xfffe
	s_cmp_lg_u32 s13, 0
	s_add_co_ci_u32 s15, s15, s21
	s_delay_alu instid0(SALU_CYCLE_1) | instskip(NEXT) | instid1(SALU_CYCLE_1)
	s_mul_u64 s[18:19], s[18:19], s[14:15]
	s_mul_hi_u32 s21, s14, s19
	s_mul_i32 s20, s14, s19
	s_mul_hi_u32 s16, s14, s18
	s_mul_i32 s22, s15, s18
	s_add_nc_u64 s[20:21], s[16:17], s[20:21]
	s_mul_hi_u32 s13, s15, s18
	s_mul_hi_u32 s23, s15, s19
	s_add_co_u32 s16, s20, s22
	s_wait_alu 0xfffe
	s_add_co_ci_u32 s16, s21, s13
	s_mul_i32 s18, s15, s19
	s_add_co_ci_u32 s19, s23, 0
	s_delay_alu instid0(SALU_CYCLE_1) | instskip(NEXT) | instid1(SALU_CYCLE_1)
	s_add_nc_u64 s[18:19], s[16:17], s[18:19]
	s_add_co_u32 s13, s14, s18
	s_cselect_b32 s14, -1, 0
	s_delay_alu instid0(SALU_CYCLE_1) | instskip(SKIP_2) | instid1(SALU_CYCLE_1)
	s_cmp_lg_u32 s14, 0
	s_add_co_ci_u32 s20, s15, s19
	s_xor_b64 s[14:15], s[2:3], 0
	s_mul_hi_u32 s19, s14, s20
	s_mul_i32 s18, s14, s20
	s_wait_alu 0xfffe
	s_mul_hi_u32 s16, s14, s13
	s_mul_hi_u32 s22, s15, s13
	s_mul_i32 s13, s15, s13
	s_add_nc_u64 s[18:19], s[16:17], s[18:19]
	s_mul_hi_u32 s21, s15, s20
	s_wait_alu 0xfffe
	s_add_co_u32 s13, s18, s13
	s_add_co_ci_u32 s16, s19, s22
	s_mul_i32 s20, s15, s20
	s_add_co_ci_u32 s21, s21, 0
	s_delay_alu instid0(SALU_CYCLE_1) | instskip(NEXT) | instid1(SALU_CYCLE_1)
	s_add_nc_u64 s[18:19], s[16:17], s[20:21]
	s_mul_u64 s[20:21], s[10:11], s[18:19]
	s_delay_alu instid0(SALU_CYCLE_1)
	s_sub_co_u32 s13, s14, s20
	s_cselect_b32 s14, -1, 0
	s_sub_co_i32 s16, s15, s21
	s_cmp_lg_u32 s14, 0
	s_sub_co_ci_u32 s16, s16, s11
	s_wait_alu 0xfffe
	s_sub_co_u32 s20, s13, s10
	s_cselect_b32 s22, -1, 0
	s_delay_alu instid0(SALU_CYCLE_1) | instskip(SKIP_2) | instid1(SALU_CYCLE_1)
	s_cmp_lg_u32 s22, 0
	s_add_nc_u64 s[22:23], s[18:19], 1
	s_sub_co_ci_u32 s16, s16, 0
	s_cmp_ge_u32 s16, s11
	s_cselect_b32 s24, -1, 0
	s_cmp_ge_u32 s20, s10
	s_cselect_b32 s20, -1, 0
	s_cmp_eq_u32 s16, s11
	s_cselect_b32 s16, s20, s24
	s_add_nc_u64 s[24:25], s[18:19], 2
	s_cmp_lg_u32 s16, 0
	s_cselect_b32 s16, s24, s22
	s_cselect_b32 s20, s25, s23
	s_cmp_lg_u32 s14, 0
	s_sub_co_ci_u32 s14, s15, s21
	s_delay_alu instid0(SALU_CYCLE_1)
	s_cmp_ge_u32 s14, s11
	s_cselect_b32 s15, -1, 0
	s_cmp_ge_u32 s13, s10
	s_cselect_b32 s10, -1, 0
	s_cmp_eq_u32 s14, s11
	s_cselect_b32 s10, s10, s15
	s_delay_alu instid0(SALU_CYCLE_1) | instskip(SKIP_3) | instid1(SALU_CYCLE_1)
	s_cmp_lg_u32 s10, 0
	s_cselect_b32 s11, s20, s19
	s_cselect_b32 s10, s16, s18
	s_xor_b64 s[8:9], 0, s[8:9]
	s_xor_b64 s[10:11], s[10:11], s[8:9]
	s_delay_alu instid0(SALU_CYCLE_1)
	s_sub_nc_u64 s[14:15], s[10:11], s[8:9]
	s_cbranch_execnz .LBB30_4
.LBB30_3:
	v_cvt_f32_u32_e32 v1, s6
	s_sub_co_i32 s9, 0, s6
	s_mov_b32 s15, 0
	s_delay_alu instid0(VALU_DEP_1) | instskip(NEXT) | instid1(TRANS32_DEP_1)
	v_rcp_iflag_f32_e32 v1, v1
	v_mul_f32_e32 v1, 0x4f7ffffe, v1
	s_delay_alu instid0(VALU_DEP_1) | instskip(NEXT) | instid1(VALU_DEP_1)
	v_cvt_u32_f32_e32 v1, v1
	v_readfirstlane_b32 s8, v1
	s_mul_i32 s9, s9, s8
	s_delay_alu instid0(SALU_CYCLE_1) | instskip(NEXT) | instid1(SALU_CYCLE_1)
	s_mul_hi_u32 s9, s8, s9
	s_add_co_i32 s8, s8, s9
	s_delay_alu instid0(SALU_CYCLE_1) | instskip(NEXT) | instid1(SALU_CYCLE_1)
	s_mul_hi_u32 s8, s26, s8
	s_mul_i32 s9, s8, s6
	s_add_co_i32 s10, s8, 1
	s_sub_co_i32 s9, s26, s9
	s_delay_alu instid0(SALU_CYCLE_1)
	s_sub_co_i32 s11, s9, s6
	s_cmp_ge_u32 s9, s6
	s_cselect_b32 s8, s10, s8
	s_cselect_b32 s9, s11, s9
	s_add_co_i32 s10, s8, 1
	s_cmp_ge_u32 s9, s6
	s_cselect_b32 s14, s10, s8
.LBB30_4:
	s_delay_alu instid0(SALU_CYCLE_1) | instskip(SKIP_1) | instid1(SALU_CYCLE_1)
	s_or_b64 s[8:9], s[14:15], s[4:5]
	s_mov_b32 s8, 0
	s_cmp_lg_u64 s[8:9], 0
	s_cbranch_scc0 .LBB30_19
; %bb.5:
	s_ashr_i32 s10, s5, 31
	s_mov_b32 s23, s8
	s_mov_b32 s11, s10
	;; [unrolled: 1-line block ×3, first 2 shown]
	s_add_nc_u64 s[16:17], s[4:5], s[10:11]
	s_delay_alu instid0(SALU_CYCLE_1) | instskip(NEXT) | instid1(SALU_CYCLE_1)
	s_xor_b64 s[16:17], s[16:17], s[10:11]
	s_cvt_f32_u32 s9, s16
	s_cvt_f32_u32 s13, s17
	s_sub_nc_u64 s[20:21], 0, s[16:17]
	s_wait_alu 0xfffe
	s_delay_alu instid0(SALU_CYCLE_1) | instskip(NEXT) | instid1(SALU_CYCLE_3)
	s_fmamk_f32 s9, s13, 0x4f800000, s9
	v_s_rcp_f32 s9, s9
	s_delay_alu instid0(TRANS32_DEP_1) | instskip(SKIP_1) | instid1(SALU_CYCLE_2)
	s_mul_f32 s9, s9, 0x5f7ffffc
	s_wait_alu 0xfffe
	s_mul_f32 s13, s9, 0x2f800000
	s_wait_alu 0xfffe
	s_delay_alu instid0(SALU_CYCLE_2) | instskip(SKIP_1) | instid1(SALU_CYCLE_2)
	s_trunc_f32 s13, s13
	s_wait_alu 0xfffe
	s_fmamk_f32 s9, s13, 0xcf800000, s9
	s_cvt_u32_f32 s19, s13
	s_wait_alu 0xfffe
	s_delay_alu instid0(SALU_CYCLE_1) | instskip(NEXT) | instid1(SALU_CYCLE_3)
	s_cvt_u32_f32 s18, s9
	s_mul_u64 s[24:25], s[20:21], s[18:19]
	s_delay_alu instid0(SALU_CYCLE_1)
	s_mul_hi_u32 s31, s18, s25
	s_mul_i32 s30, s18, s25
	s_mul_hi_u32 s22, s18, s24
	s_mul_i32 s13, s19, s24
	s_add_nc_u64 s[22:23], s[22:23], s[30:31]
	s_mul_hi_u32 s9, s19, s24
	s_mul_hi_u32 s33, s19, s25
	s_wait_alu 0xfffe
	s_add_co_u32 s13, s22, s13
	s_add_co_ci_u32 s28, s23, s9
	s_mul_i32 s24, s19, s25
	s_add_co_ci_u32 s25, s33, 0
	s_delay_alu instid0(SALU_CYCLE_1)
	s_add_nc_u64 s[22:23], s[28:29], s[24:25]
	s_mov_b32 s25, s8
	s_add_co_u32 s18, s18, s22
	s_cselect_b32 s9, -1, 0
	s_wait_alu 0xfffe
	s_cmp_lg_u32 s9, 0
	s_add_co_ci_u32 s19, s19, s23
	s_mov_b32 s23, s8
	s_mul_u64 s[20:21], s[20:21], s[18:19]
	s_delay_alu instid0(SALU_CYCLE_1)
	s_mul_hi_u32 s29, s18, s21
	s_mul_i32 s28, s18, s21
	s_mul_hi_u32 s22, s18, s20
	s_mul_i32 s13, s19, s20
	s_add_nc_u64 s[22:23], s[22:23], s[28:29]
	s_mul_hi_u32 s9, s19, s20
	s_mul_hi_u32 s30, s19, s21
	s_wait_alu 0xfffe
	s_add_co_u32 s13, s22, s13
	s_add_co_ci_u32 s24, s23, s9
	s_mul_i32 s20, s19, s21
	s_add_co_ci_u32 s21, s30, 0
	s_mov_b32 s23, s8
	s_add_nc_u64 s[20:21], s[24:25], s[20:21]
	s_delay_alu instid0(SALU_CYCLE_1)
	s_add_co_u32 s9, s18, s20
	s_cselect_b32 s13, -1, 0
	s_wait_alu 0xfffe
	s_cmp_lg_u32 s13, 0
	s_add_co_ci_u32 s13, s19, s21
	s_ashr_i32 s18, s15, 31
	s_delay_alu instid0(SALU_CYCLE_1) | instskip(NEXT) | instid1(SALU_CYCLE_1)
	s_mov_b32 s19, s18
	s_add_nc_u64 s[20:21], s[14:15], s[18:19]
	s_delay_alu instid0(SALU_CYCLE_1)
	s_xor_b64 s[20:21], s[20:21], s[18:19]
	s_wait_alu 0xfffe
	s_mul_hi_u32 s29, s20, s13
	s_mul_i32 s28, s20, s13
	s_mul_hi_u32 s22, s20, s9
	s_mul_hi_u32 s24, s21, s9
	s_mul_i32 s9, s21, s9
	s_add_nc_u64 s[22:23], s[22:23], s[28:29]
	s_mul_hi_u32 s30, s21, s13
	s_wait_alu 0xfffe
	s_add_co_u32 s9, s22, s9
	s_add_co_ci_u32 s24, s23, s24
	s_mul_i32 s28, s21, s13
	s_add_co_ci_u32 s29, s30, 0
	s_delay_alu instid0(SALU_CYCLE_1) | instskip(NEXT) | instid1(SALU_CYCLE_1)
	s_add_nc_u64 s[22:23], s[24:25], s[28:29]
	s_mul_u64 s[24:25], s[16:17], s[22:23]
	s_delay_alu instid0(SALU_CYCLE_1)
	s_sub_co_u32 s9, s20, s24
	s_cselect_b32 s13, -1, 0
	s_sub_co_i32 s20, s21, s25
	s_wait_alu 0xfffe
	s_cmp_lg_u32 s13, 0
	s_sub_co_ci_u32 s20, s20, s17
	s_sub_co_u32 s24, s9, s16
	s_cselect_b32 s28, -1, 0
	s_delay_alu instid0(SALU_CYCLE_1) | instskip(SKIP_2) | instid1(SALU_CYCLE_1)
	s_cmp_lg_u32 s28, 0
	s_add_nc_u64 s[28:29], s[22:23], 1
	s_sub_co_ci_u32 s20, s20, 0
	s_cmp_ge_u32 s20, s17
	s_cselect_b32 s30, -1, 0
	s_cmp_ge_u32 s24, s16
	s_cselect_b32 s24, -1, 0
	s_cmp_eq_u32 s20, s17
	s_cselect_b32 s20, s24, s30
	s_add_nc_u64 s[30:31], s[22:23], 2
	s_cmp_lg_u32 s20, 0
	s_cselect_b32 s20, s30, s28
	s_cselect_b32 s24, s31, s29
	s_cmp_lg_u32 s13, 0
	s_sub_co_ci_u32 s13, s21, s25
	s_wait_alu 0xfffe
	s_cmp_ge_u32 s13, s17
	s_cselect_b32 s21, -1, 0
	s_cmp_ge_u32 s9, s16
	s_cselect_b32 s9, -1, 0
	s_cmp_eq_u32 s13, s17
	s_wait_alu 0xfffe
	s_cselect_b32 s9, s9, s21
	s_wait_alu 0xfffe
	s_cmp_lg_u32 s9, 0
	s_cselect_b32 s17, s24, s23
	s_cselect_b32 s16, s20, s22
	s_xor_b64 s[10:11], s[18:19], s[10:11]
	s_delay_alu instid0(SALU_CYCLE_1) | instskip(NEXT) | instid1(SALU_CYCLE_1)
	s_xor_b64 s[16:17], s[16:17], s[10:11]
	s_sub_nc_u64 s[16:17], s[16:17], s[10:11]
	s_load_b128 s[28:31], s[0:1], 0x1d0
	s_and_not1_b32 vcc_lo, exec_lo, s8
	s_cbranch_vccnz .LBB30_7
.LBB30_6:
	v_cvt_f32_u32_e32 v1, s4
	s_sub_co_i32 s9, 0, s4
	s_mov_b32 s17, 0
	s_delay_alu instid0(VALU_DEP_1) | instskip(NEXT) | instid1(TRANS32_DEP_1)
	v_rcp_iflag_f32_e32 v1, v1
	v_mul_f32_e32 v1, 0x4f7ffffe, v1
	s_delay_alu instid0(VALU_DEP_1) | instskip(NEXT) | instid1(VALU_DEP_1)
	v_cvt_u32_f32_e32 v1, v1
	v_readfirstlane_b32 s8, v1
	s_wait_alu 0xfffe
	s_mul_i32 s9, s9, s8
	s_wait_alu 0xfffe
	s_mul_hi_u32 s9, s8, s9
	s_wait_alu 0xfffe
	s_add_co_i32 s8, s8, s9
	s_wait_alu 0xfffe
	s_mul_hi_u32 s8, s14, s8
	s_wait_alu 0xfffe
	s_mul_i32 s9, s8, s4
	s_add_co_i32 s10, s8, 1
	s_wait_alu 0xfffe
	s_sub_co_i32 s9, s14, s9
	s_wait_alu 0xfffe
	s_sub_co_i32 s11, s9, s4
	s_cmp_ge_u32 s9, s4
	s_cselect_b32 s8, s10, s8
	s_cselect_b32 s9, s11, s9
	s_wait_alu 0xfffe
	s_add_co_i32 s10, s8, 1
	s_cmp_ge_u32 s9, s4
	s_cselect_b32 s16, s10, s8
.LBB30_7:
	s_mov_b32 s8, 0
	s_wait_kmcnt 0x0
	s_mov_b32 s9, s31
	s_wait_alu 0xfffe
	s_cmp_lg_u64 s[8:9], 0
	s_cbranch_scc0 .LBB30_20
; %bb.8:
	s_ashr_i32 s10, s31, 31
	s_mov_b32 s25, s8
	s_mov_b32 s11, s10
	;; [unrolled: 1-line block ×3, first 2 shown]
	s_add_nc_u64 s[18:19], s[30:31], s[10:11]
	s_delay_alu instid0(SALU_CYCLE_1) | instskip(NEXT) | instid1(SALU_CYCLE_1)
	s_xor_b64 s[18:19], s[18:19], s[10:11]
	s_cvt_f32_u32 s9, s18
	s_cvt_f32_u32 s13, s19
	s_sub_nc_u64 s[22:23], 0, s[18:19]
	s_wait_alu 0xfffe
	s_delay_alu instid0(SALU_CYCLE_1) | instskip(SKIP_1) | instid1(SALU_CYCLE_2)
	s_fmamk_f32 s9, s13, 0x4f800000, s9
	s_wait_alu 0xfffe
	v_s_rcp_f32 s9, s9
	s_delay_alu instid0(TRANS32_DEP_1) | instskip(SKIP_1) | instid1(SALU_CYCLE_2)
	s_mul_f32 s9, s9, 0x5f7ffffc
	s_wait_alu 0xfffe
	s_mul_f32 s13, s9, 0x2f800000
	s_wait_alu 0xfffe
	s_delay_alu instid0(SALU_CYCLE_2) | instskip(SKIP_1) | instid1(SALU_CYCLE_2)
	s_trunc_f32 s13, s13
	s_wait_alu 0xfffe
	s_fmamk_f32 s9, s13, 0xcf800000, s9
	s_cvt_u32_f32 s21, s13
	s_wait_alu 0xfffe
	s_delay_alu instid0(SALU_CYCLE_1) | instskip(NEXT) | instid1(SALU_CYCLE_3)
	s_cvt_u32_f32 s20, s9
	s_mul_u64 s[34:35], s[22:23], s[20:21]
	s_delay_alu instid0(SALU_CYCLE_1)
	s_mul_hi_u32 s45, s20, s35
	s_mul_i32 s44, s20, s35
	s_mul_hi_u32 s24, s20, s34
	s_mul_i32 s13, s21, s34
	s_add_nc_u64 s[24:25], s[24:25], s[44:45]
	s_mul_hi_u32 s9, s21, s34
	s_mul_hi_u32 s33, s21, s35
	s_wait_alu 0xfffe
	s_add_co_u32 s13, s24, s13
	s_add_co_ci_u32 s40, s25, s9
	s_mul_i32 s34, s21, s35
	s_add_co_ci_u32 s35, s33, 0
	s_wait_alu 0xfffe
	s_add_nc_u64 s[24:25], s[40:41], s[34:35]
	s_mov_b32 s35, s8
	s_add_co_u32 s20, s20, s24
	s_cselect_b32 s9, -1, 0
	s_wait_alu 0xfffe
	s_cmp_lg_u32 s9, 0
	s_add_co_ci_u32 s21, s21, s25
	s_mov_b32 s25, s8
	s_mul_u64 s[22:23], s[22:23], s[20:21]
	s_delay_alu instid0(SALU_CYCLE_1)
	s_mul_hi_u32 s41, s20, s23
	s_mul_i32 s40, s20, s23
	s_mul_hi_u32 s24, s20, s22
	s_mul_i32 s13, s21, s22
	s_wait_alu 0xfffe
	s_add_nc_u64 s[24:25], s[24:25], s[40:41]
	s_mul_hi_u32 s9, s21, s22
	s_mul_hi_u32 s33, s21, s23
	s_add_co_u32 s13, s24, s13
	s_wait_alu 0xfffe
	s_add_co_ci_u32 s34, s25, s9
	s_mul_i32 s22, s21, s23
	s_add_co_ci_u32 s23, s33, 0
	s_mov_b32 s25, s8
	s_add_nc_u64 s[22:23], s[34:35], s[22:23]
	s_delay_alu instid0(SALU_CYCLE_1)
	s_add_co_u32 s9, s20, s22
	s_cselect_b32 s13, -1, 0
	s_wait_alu 0xfffe
	s_cmp_lg_u32 s13, 0
	s_add_co_ci_u32 s13, s21, s23
	s_xor_b64 s[20:21], s[2:3], 0
	s_mov_b32 s23, s8
	s_wait_alu 0xfffe
	s_mul_hi_u32 s35, s20, s13
	s_mul_i32 s34, s20, s13
	s_mul_hi_u32 s24, s20, s9
	s_mul_hi_u32 s22, s21, s9
	s_mul_i32 s9, s21, s9
	s_add_nc_u64 s[24:25], s[24:25], s[34:35]
	s_mul_hi_u32 s33, s21, s13
	s_wait_alu 0xfffe
	s_add_co_u32 s9, s24, s9
	s_add_co_ci_u32 s22, s25, s22
	s_mul_i32 s34, s21, s13
	s_add_co_ci_u32 s35, s33, 0
	s_delay_alu instid0(SALU_CYCLE_1) | instskip(NEXT) | instid1(SALU_CYCLE_1)
	s_add_nc_u64 s[22:23], s[22:23], s[34:35]
	s_mul_u64 s[24:25], s[18:19], s[22:23]
	s_add_nc_u64 s[34:35], s[22:23], 1
	s_sub_co_u32 s9, s20, s24
	s_cselect_b32 s13, -1, 0
	s_sub_co_i32 s20, s21, s25
	s_wait_alu 0xfffe
	s_cmp_lg_u32 s13, 0
	s_add_nc_u64 s[40:41], s[22:23], 2
	s_sub_co_ci_u32 s20, s20, s19
	s_sub_co_u32 s24, s9, s18
	s_cselect_b32 s33, -1, 0
	s_delay_alu instid0(SALU_CYCLE_1) | instskip(SKIP_1) | instid1(SALU_CYCLE_1)
	s_cmp_lg_u32 s33, 0
	s_sub_co_ci_u32 s20, s20, 0
	s_cmp_ge_u32 s20, s19
	s_cselect_b32 s33, -1, 0
	s_cmp_ge_u32 s24, s18
	s_cselect_b32 s24, -1, 0
	s_cmp_eq_u32 s20, s19
	s_cselect_b32 s20, s24, s33
	s_delay_alu instid0(SALU_CYCLE_1)
	s_cmp_lg_u32 s20, 0
	s_wait_alu 0xfffe
	s_cselect_b32 s20, s40, s34
	s_cselect_b32 s24, s41, s35
	s_cmp_lg_u32 s13, 0
	s_sub_co_ci_u32 s13, s21, s25
	s_wait_alu 0xfffe
	s_cmp_ge_u32 s13, s19
	s_cselect_b32 s21, -1, 0
	s_cmp_ge_u32 s9, s18
	s_cselect_b32 s9, -1, 0
	s_cmp_eq_u32 s13, s19
	s_wait_alu 0xfffe
	s_cselect_b32 s9, s9, s21
	s_wait_alu 0xfffe
	s_cmp_lg_u32 s9, 0
	s_cselect_b32 s19, s24, s23
	s_cselect_b32 s18, s20, s22
	s_xor_b64 s[10:11], 0, s[10:11]
	s_delay_alu instid0(SALU_CYCLE_1) | instskip(NEXT) | instid1(SALU_CYCLE_1)
	s_xor_b64 s[18:19], s[18:19], s[10:11]
	s_sub_nc_u64 s[34:35], s[18:19], s[10:11]
	s_and_not1_b32 vcc_lo, exec_lo, s8
	s_cbranch_vccnz .LBB30_10
.LBB30_9:
	v_cvt_f32_u32_e32 v1, s30
	s_sub_co_i32 s9, 0, s30
	s_mov_b32 s35, 0
	s_delay_alu instid0(VALU_DEP_1) | instskip(NEXT) | instid1(TRANS32_DEP_1)
	v_rcp_iflag_f32_e32 v1, v1
	v_mul_f32_e32 v1, 0x4f7ffffe, v1
	s_delay_alu instid0(VALU_DEP_1) | instskip(NEXT) | instid1(VALU_DEP_1)
	v_cvt_u32_f32_e32 v1, v1
	v_readfirstlane_b32 s8, v1
	s_wait_alu 0xfffe
	s_mul_i32 s9, s9, s8
	s_wait_alu 0xfffe
	s_mul_hi_u32 s9, s8, s9
	s_wait_alu 0xfffe
	s_add_co_i32 s8, s8, s9
	s_wait_alu 0xfffe
	s_mul_hi_u32 s8, s26, s8
	s_wait_alu 0xfffe
	s_mul_i32 s9, s8, s30
	s_add_co_i32 s10, s8, 1
	s_wait_alu 0xfffe
	s_sub_co_i32 s9, s26, s9
	s_wait_alu 0xfffe
	s_sub_co_i32 s11, s9, s30
	s_cmp_ge_u32 s9, s30
	s_cselect_b32 s8, s10, s8
	s_cselect_b32 s9, s11, s9
	s_wait_alu 0xfffe
	s_add_co_i32 s10, s8, 1
	s_cmp_ge_u32 s9, s30
	s_cselect_b32 s34, s10, s8
.LBB30_10:
	s_delay_alu instid0(SALU_CYCLE_1)
	s_or_b64 s[8:9], s[34:35], s[28:29]
	s_mov_b32 s8, 0
	s_wait_alu 0xfffe
	s_cmp_lg_u64 s[8:9], 0
	s_cbranch_scc0 .LBB30_21
; %bb.11:
	s_ashr_i32 s10, s29, 31
	s_mov_b32 s25, s8
	s_mov_b32 s11, s10
	;; [unrolled: 1-line block ×3, first 2 shown]
	s_add_nc_u64 s[18:19], s[28:29], s[10:11]
	s_delay_alu instid0(SALU_CYCLE_1) | instskip(NEXT) | instid1(SALU_CYCLE_1)
	s_xor_b64 s[18:19], s[18:19], s[10:11]
	s_cvt_f32_u32 s9, s18
	s_cvt_f32_u32 s13, s19
	s_sub_nc_u64 s[22:23], 0, s[18:19]
	s_wait_alu 0xfffe
	s_delay_alu instid0(SALU_CYCLE_1) | instskip(SKIP_1) | instid1(SALU_CYCLE_2)
	s_fmamk_f32 s9, s13, 0x4f800000, s9
	s_wait_alu 0xfffe
	v_s_rcp_f32 s9, s9
	s_delay_alu instid0(TRANS32_DEP_1) | instskip(SKIP_1) | instid1(SALU_CYCLE_2)
	s_mul_f32 s9, s9, 0x5f7ffffc
	s_wait_alu 0xfffe
	s_mul_f32 s13, s9, 0x2f800000
	s_wait_alu 0xfffe
	s_delay_alu instid0(SALU_CYCLE_2) | instskip(SKIP_1) | instid1(SALU_CYCLE_2)
	s_trunc_f32 s13, s13
	s_wait_alu 0xfffe
	s_fmamk_f32 s9, s13, 0xcf800000, s9
	s_cvt_u32_f32 s21, s13
	s_wait_alu 0xfffe
	s_delay_alu instid0(SALU_CYCLE_1) | instskip(NEXT) | instid1(SALU_CYCLE_3)
	s_cvt_u32_f32 s20, s9
	s_mul_u64 s[40:41], s[22:23], s[20:21]
	s_wait_alu 0xfffe
	s_mul_hi_u32 s47, s20, s41
	s_mul_i32 s46, s20, s41
	s_mul_hi_u32 s24, s20, s40
	s_mul_i32 s13, s21, s40
	s_add_nc_u64 s[24:25], s[24:25], s[46:47]
	s_mul_hi_u32 s9, s21, s40
	s_mul_hi_u32 s33, s21, s41
	s_wait_alu 0xfffe
	s_add_co_u32 s13, s24, s13
	s_add_co_ci_u32 s44, s25, s9
	s_mul_i32 s40, s21, s41
	s_add_co_ci_u32 s41, s33, 0
	s_wait_alu 0xfffe
	s_add_nc_u64 s[24:25], s[44:45], s[40:41]
	s_mov_b32 s41, s8
	s_add_co_u32 s20, s20, s24
	s_cselect_b32 s9, -1, 0
	s_wait_alu 0xfffe
	s_cmp_lg_u32 s9, 0
	s_add_co_ci_u32 s21, s21, s25
	s_mov_b32 s25, s8
	s_mul_u64 s[22:23], s[22:23], s[20:21]
	s_delay_alu instid0(SALU_CYCLE_1)
	s_mul_hi_u32 s45, s20, s23
	s_mul_i32 s44, s20, s23
	s_mul_hi_u32 s24, s20, s22
	s_mul_i32 s13, s21, s22
	s_add_nc_u64 s[24:25], s[24:25], s[44:45]
	s_mul_hi_u32 s9, s21, s22
	s_mul_hi_u32 s33, s21, s23
	s_wait_alu 0xfffe
	s_add_co_u32 s13, s24, s13
	s_add_co_ci_u32 s40, s25, s9
	s_mul_i32 s22, s21, s23
	s_add_co_ci_u32 s23, s33, 0
	s_mov_b32 s25, s8
	s_wait_alu 0xfffe
	s_add_nc_u64 s[22:23], s[40:41], s[22:23]
	s_delay_alu instid0(SALU_CYCLE_1)
	s_add_co_u32 s9, s20, s22
	s_cselect_b32 s13, -1, 0
	s_wait_alu 0xfffe
	s_cmp_lg_u32 s13, 0
	s_add_co_ci_u32 s13, s21, s23
	s_ashr_i32 s20, s35, 31
	s_delay_alu instid0(SALU_CYCLE_1) | instskip(NEXT) | instid1(SALU_CYCLE_1)
	s_mov_b32 s21, s20
	s_add_nc_u64 s[22:23], s[34:35], s[20:21]
	s_delay_alu instid0(SALU_CYCLE_1)
	s_xor_b64 s[22:23], s[22:23], s[20:21]
	s_wait_alu 0xfffe
	s_mul_hi_u32 s45, s22, s13
	s_mul_i32 s44, s22, s13
	s_mul_hi_u32 s24, s22, s9
	s_mul_hi_u32 s40, s23, s9
	s_mul_i32 s9, s23, s9
	s_add_nc_u64 s[24:25], s[24:25], s[44:45]
	s_mul_hi_u32 s33, s23, s13
	s_wait_alu 0xfffe
	s_add_co_u32 s9, s24, s9
	s_add_co_ci_u32 s40, s25, s40
	s_mul_i32 s44, s23, s13
	s_add_co_ci_u32 s45, s33, 0
	s_wait_alu 0xfffe
	s_add_nc_u64 s[24:25], s[40:41], s[44:45]
	s_delay_alu instid0(SALU_CYCLE_1)
	s_mul_u64 s[40:41], s[18:19], s[24:25]
	s_add_nc_u64 s[44:45], s[24:25], 1
	s_wait_alu 0xfffe
	s_sub_co_u32 s9, s22, s40
	s_cselect_b32 s13, -1, 0
	s_sub_co_i32 s22, s23, s41
	s_wait_alu 0xfffe
	s_cmp_lg_u32 s13, 0
	s_add_nc_u64 s[46:47], s[24:25], 2
	s_sub_co_ci_u32 s22, s22, s19
	s_sub_co_u32 s33, s9, s18
	s_cselect_b32 s40, -1, 0
	s_wait_alu 0xfffe
	s_cmp_lg_u32 s40, 0
	s_sub_co_ci_u32 s22, s22, 0
	s_delay_alu instid0(SALU_CYCLE_1)
	s_cmp_ge_u32 s22, s19
	s_cselect_b32 s40, -1, 0
	s_cmp_ge_u32 s33, s18
	s_cselect_b32 s33, -1, 0
	s_cmp_eq_u32 s22, s19
	s_wait_alu 0xfffe
	s_cselect_b32 s22, s33, s40
	s_delay_alu instid0(SALU_CYCLE_1)
	s_cmp_lg_u32 s22, 0
	s_cselect_b32 s22, s46, s44
	s_cselect_b32 s33, s47, s45
	s_cmp_lg_u32 s13, 0
	s_sub_co_ci_u32 s13, s23, s41
	s_wait_alu 0xfffe
	s_cmp_ge_u32 s13, s19
	s_cselect_b32 s23, -1, 0
	s_cmp_ge_u32 s9, s18
	s_cselect_b32 s9, -1, 0
	s_cmp_eq_u32 s13, s19
	s_wait_alu 0xfffe
	s_cselect_b32 s9, s9, s23
	s_wait_alu 0xfffe
	s_cmp_lg_u32 s9, 0
	s_cselect_b32 s19, s33, s25
	s_cselect_b32 s18, s22, s24
	s_xor_b64 s[10:11], s[20:21], s[10:11]
	s_delay_alu instid0(SALU_CYCLE_1) | instskip(NEXT) | instid1(SALU_CYCLE_1)
	s_xor_b64 s[18:19], s[18:19], s[10:11]
	s_sub_nc_u64 s[40:41], s[18:19], s[10:11]
	s_load_b128 s[44:47], s[0:1], 0x370
	s_and_not1_b32 vcc_lo, exec_lo, s8
	s_cbranch_vccnz .LBB30_13
.LBB30_12:
	v_cvt_f32_u32_e32 v1, s28
	s_sub_co_i32 s9, 0, s28
	s_mov_b32 s41, 0
	s_delay_alu instid0(VALU_DEP_1) | instskip(NEXT) | instid1(TRANS32_DEP_1)
	v_rcp_iflag_f32_e32 v1, v1
	v_mul_f32_e32 v1, 0x4f7ffffe, v1
	s_delay_alu instid0(VALU_DEP_1) | instskip(NEXT) | instid1(VALU_DEP_1)
	v_cvt_u32_f32_e32 v1, v1
	v_readfirstlane_b32 s8, v1
	s_wait_alu 0xfffe
	s_mul_i32 s9, s9, s8
	s_wait_alu 0xfffe
	s_mul_hi_u32 s9, s8, s9
	s_wait_alu 0xfffe
	s_add_co_i32 s8, s8, s9
	s_wait_alu 0xfffe
	s_mul_hi_u32 s8, s34, s8
	s_wait_alu 0xfffe
	s_mul_i32 s9, s8, s28
	s_add_co_i32 s10, s8, 1
	s_wait_alu 0xfffe
	s_sub_co_i32 s9, s34, s9
	s_wait_alu 0xfffe
	s_sub_co_i32 s11, s9, s28
	s_cmp_ge_u32 s9, s28
	s_cselect_b32 s8, s10, s8
	s_cselect_b32 s9, s11, s9
	s_wait_alu 0xfffe
	s_add_co_i32 s10, s8, 1
	s_cmp_ge_u32 s9, s28
	s_cselect_b32 s40, s10, s8
.LBB30_13:
	s_mov_b32 s8, 0
	s_wait_kmcnt 0x0
	s_mov_b32 s9, s47
	s_wait_alu 0xfffe
	s_cmp_lg_u64 s[8:9], 0
	s_cbranch_scc0 .LBB30_22
; %bb.14:
	s_ashr_i32 s10, s47, 31
	s_mov_b32 s25, s8
	s_mov_b32 s11, s10
	;; [unrolled: 1-line block ×3, first 2 shown]
	s_add_nc_u64 s[18:19], s[46:47], s[10:11]
	s_delay_alu instid0(SALU_CYCLE_1) | instskip(NEXT) | instid1(SALU_CYCLE_1)
	s_xor_b64 s[18:19], s[18:19], s[10:11]
	s_cvt_f32_u32 s9, s18
	s_cvt_f32_u32 s13, s19
	s_sub_nc_u64 s[22:23], 0, s[18:19]
	s_wait_alu 0xfffe
	s_delay_alu instid0(SALU_CYCLE_1) | instskip(SKIP_1) | instid1(SALU_CYCLE_2)
	s_fmamk_f32 s9, s13, 0x4f800000, s9
	s_wait_alu 0xfffe
	v_s_rcp_f32 s9, s9
	s_delay_alu instid0(TRANS32_DEP_1) | instskip(SKIP_1) | instid1(SALU_CYCLE_2)
	s_mul_f32 s9, s9, 0x5f7ffffc
	s_wait_alu 0xfffe
	s_mul_f32 s13, s9, 0x2f800000
	s_wait_alu 0xfffe
	s_delay_alu instid0(SALU_CYCLE_2) | instskip(SKIP_1) | instid1(SALU_CYCLE_2)
	s_trunc_f32 s13, s13
	s_wait_alu 0xfffe
	s_fmamk_f32 s9, s13, 0xcf800000, s9
	s_cvt_u32_f32 s21, s13
	s_wait_alu 0xfffe
	s_delay_alu instid0(SALU_CYCLE_1) | instskip(NEXT) | instid1(SALU_CYCLE_3)
	s_cvt_u32_f32 s20, s9
	s_mul_u64 s[48:49], s[22:23], s[20:21]
	s_delay_alu instid0(SALU_CYCLE_1)
	s_mul_hi_u32 s53, s20, s49
	s_mul_i32 s52, s20, s49
	s_mul_hi_u32 s24, s20, s48
	s_mul_i32 s13, s21, s48
	s_add_nc_u64 s[24:25], s[24:25], s[52:53]
	s_mul_hi_u32 s9, s21, s48
	s_mul_hi_u32 s33, s21, s49
	s_wait_alu 0xfffe
	s_add_co_u32 s13, s24, s13
	s_add_co_ci_u32 s50, s25, s9
	s_mul_i32 s48, s21, s49
	s_add_co_ci_u32 s49, s33, 0
	s_delay_alu instid0(SALU_CYCLE_1)
	s_add_nc_u64 s[24:25], s[50:51], s[48:49]
	s_mov_b32 s49, s8
	s_add_co_u32 s20, s20, s24
	s_cselect_b32 s9, -1, 0
	s_wait_alu 0xfffe
	s_cmp_lg_u32 s9, 0
	s_add_co_ci_u32 s21, s21, s25
	s_mov_b32 s25, s8
	s_mul_u64 s[22:23], s[22:23], s[20:21]
	s_delay_alu instid0(SALU_CYCLE_1)
	s_mul_hi_u32 s51, s20, s23
	s_mul_i32 s50, s20, s23
	s_mul_hi_u32 s24, s20, s22
	s_mul_i32 s13, s21, s22
	s_add_nc_u64 s[24:25], s[24:25], s[50:51]
	s_mul_hi_u32 s9, s21, s22
	s_mul_hi_u32 s33, s21, s23
	s_wait_alu 0xfffe
	s_add_co_u32 s13, s24, s13
	s_add_co_ci_u32 s48, s25, s9
	s_mul_i32 s22, s21, s23
	s_add_co_ci_u32 s23, s33, 0
	s_mov_b32 s25, s8
	s_add_nc_u64 s[22:23], s[48:49], s[22:23]
	s_delay_alu instid0(SALU_CYCLE_1)
	s_add_co_u32 s9, s20, s22
	s_cselect_b32 s13, -1, 0
	s_wait_alu 0xfffe
	s_cmp_lg_u32 s13, 0
	s_add_co_ci_u32 s13, s21, s23
	s_xor_b64 s[2:3], s[2:3], 0
	s_mov_b32 s21, s8
	s_wait_alu 0xfffe
	s_mul_hi_u32 s23, s2, s13
	s_mul_i32 s22, s2, s13
	s_mul_hi_u32 s24, s2, s9
	s_mul_hi_u32 s20, s3, s9
	s_mul_i32 s9, s3, s9
	s_add_nc_u64 s[22:23], s[24:25], s[22:23]
	s_mul_hi_u32 s33, s3, s13
	s_wait_alu 0xfffe
	s_add_co_u32 s9, s22, s9
	s_add_co_ci_u32 s20, s23, s20
	s_mul_i32 s24, s3, s13
	s_add_co_ci_u32 s25, s33, 0
	s_delay_alu instid0(SALU_CYCLE_1) | instskip(NEXT) | instid1(SALU_CYCLE_1)
	s_add_nc_u64 s[20:21], s[20:21], s[24:25]
	s_mul_u64 s[22:23], s[18:19], s[20:21]
	s_add_nc_u64 s[48:49], s[20:21], 2
	s_sub_co_u32 s2, s2, s22
	s_cselect_b32 s9, -1, 0
	s_sub_co_i32 s13, s3, s23
	s_wait_alu 0xfffe
	s_cmp_lg_u32 s9, 0
	s_sub_co_ci_u32 s13, s13, s19
	s_sub_co_u32 s22, s2, s18
	s_cselect_b32 s24, -1, 0
	s_delay_alu instid0(SALU_CYCLE_1)
	s_cmp_lg_u32 s24, 0
	s_add_nc_u64 s[24:25], s[20:21], 1
	s_wait_alu 0xfffe
	s_sub_co_ci_u32 s13, s13, 0
	s_wait_alu 0xfffe
	s_cmp_ge_u32 s13, s19
	s_cselect_b32 s33, -1, 0
	s_cmp_ge_u32 s22, s18
	s_cselect_b32 s22, -1, 0
	s_cmp_eq_u32 s13, s19
	s_cselect_b32 s13, s22, s33
	s_wait_alu 0xfffe
	s_cmp_lg_u32 s13, 0
	s_cselect_b32 s13, s48, s24
	s_cselect_b32 s22, s49, s25
	s_cmp_lg_u32 s9, 0
	s_sub_co_ci_u32 s3, s3, s23
	s_delay_alu instid0(SALU_CYCLE_1)
	s_cmp_ge_u32 s3, s19
	s_cselect_b32 s9, -1, 0
	s_cmp_ge_u32 s2, s18
	s_cselect_b32 s2, -1, 0
	s_cmp_eq_u32 s3, s19
	s_wait_alu 0xfffe
	s_cselect_b32 s2, s2, s9
	s_delay_alu instid0(SALU_CYCLE_1) | instskip(SKIP_3) | instid1(SALU_CYCLE_1)
	s_cmp_lg_u32 s2, 0
	s_cselect_b32 s3, s22, s21
	s_cselect_b32 s2, s13, s20
	s_xor_b64 s[10:11], 0, s[10:11]
	s_xor_b64 s[2:3], s[2:3], s[10:11]
	s_delay_alu instid0(SALU_CYCLE_1)
	s_sub_nc_u64 s[56:57], s[2:3], s[10:11]
	s_and_not1_b32 vcc_lo, exec_lo, s8
	s_cbranch_vccnz .LBB30_16
.LBB30_15:
	v_cvt_f32_u32_e32 v1, s46
	s_sub_co_i32 s3, 0, s46
	s_mov_b32 s57, 0
	s_delay_alu instid0(VALU_DEP_1) | instskip(NEXT) | instid1(TRANS32_DEP_1)
	v_rcp_iflag_f32_e32 v1, v1
	v_mul_f32_e32 v1, 0x4f7ffffe, v1
	s_delay_alu instid0(VALU_DEP_1) | instskip(NEXT) | instid1(VALU_DEP_1)
	v_cvt_u32_f32_e32 v1, v1
	v_readfirstlane_b32 s2, v1
	s_mul_i32 s3, s3, s2
	s_delay_alu instid0(SALU_CYCLE_1) | instskip(NEXT) | instid1(SALU_CYCLE_1)
	s_mul_hi_u32 s3, s2, s3
	s_add_co_i32 s2, s2, s3
	s_delay_alu instid0(SALU_CYCLE_1) | instskip(NEXT) | instid1(SALU_CYCLE_1)
	s_mul_hi_u32 s2, s26, s2
	s_mul_i32 s3, s2, s46
	s_add_co_i32 s8, s2, 1
	s_sub_co_i32 s3, s26, s3
	s_delay_alu instid0(SALU_CYCLE_1)
	s_sub_co_i32 s9, s3, s46
	s_cmp_ge_u32 s3, s46
	s_wait_alu 0xfffe
	s_cselect_b32 s2, s8, s2
	s_cselect_b32 s3, s9, s3
	s_add_co_i32 s8, s2, 1
	s_cmp_ge_u32 s3, s46
	s_wait_alu 0xfffe
	s_cselect_b32 s56, s8, s2
.LBB30_16:
	s_clause 0x1
	s_load_b64 s[18:19], s[0:1], 0xe0
	s_load_b128 s[8:11], s[0:1], 0xd0
	s_or_b64 s[2:3], s[56:57], s[44:45]
	s_mov_b32 s2, 0
	s_delay_alu instid0(SALU_CYCLE_1)
	s_cmp_lg_u64 s[2:3], 0
	s_cbranch_scc0 .LBB30_23
; %bb.17:
	s_ashr_i32 s20, s45, 31
	s_mov_b32 s51, s2
	s_mov_b32 s21, s20
	;; [unrolled: 1-line block ×3, first 2 shown]
	s_add_nc_u64 s[22:23], s[44:45], s[20:21]
	s_delay_alu instid0(SALU_CYCLE_1) | instskip(NEXT) | instid1(SALU_CYCLE_1)
	s_xor_b64 s[22:23], s[22:23], s[20:21]
	s_cvt_f32_u32 s3, s22
	s_cvt_f32_u32 s13, s23
	s_sub_nc_u64 s[48:49], 0, s[22:23]
	s_wait_alu 0xfffe
	s_delay_alu instid0(SALU_CYCLE_1) | instskip(NEXT) | instid1(SALU_CYCLE_3)
	s_fmamk_f32 s3, s13, 0x4f800000, s3
	v_s_rcp_f32 s3, s3
	s_delay_alu instid0(TRANS32_DEP_1) | instskip(SKIP_1) | instid1(SALU_CYCLE_2)
	s_mul_f32 s3, s3, 0x5f7ffffc
	s_wait_alu 0xfffe
	s_mul_f32 s13, s3, 0x2f800000
	s_wait_alu 0xfffe
	s_delay_alu instid0(SALU_CYCLE_2) | instskip(SKIP_1) | instid1(SALU_CYCLE_2)
	s_trunc_f32 s13, s13
	s_wait_alu 0xfffe
	s_fmamk_f32 s3, s13, 0xcf800000, s3
	s_cvt_u32_f32 s25, s13
	s_wait_alu 0xfffe
	s_delay_alu instid0(SALU_CYCLE_1) | instskip(NEXT) | instid1(SALU_CYCLE_3)
	s_cvt_u32_f32 s24, s3
	s_mul_u64 s[52:53], s[48:49], s[24:25]
	s_delay_alu instid0(SALU_CYCLE_1)
	s_mul_hi_u32 s59, s24, s53
	s_mul_i32 s58, s24, s53
	s_mul_hi_u32 s50, s24, s52
	s_mul_i32 s13, s25, s52
	s_add_nc_u64 s[50:51], s[50:51], s[58:59]
	s_mul_hi_u32 s3, s25, s52
	s_mul_hi_u32 s33, s25, s53
	s_wait_alu 0xfffe
	s_add_co_u32 s13, s50, s13
	s_add_co_ci_u32 s54, s51, s3
	s_mul_i32 s52, s25, s53
	s_add_co_ci_u32 s53, s33, 0
	s_delay_alu instid0(SALU_CYCLE_1)
	s_add_nc_u64 s[50:51], s[54:55], s[52:53]
	s_mov_b32 s53, s2
	s_add_co_u32 s24, s24, s50
	s_cselect_b32 s3, -1, 0
	s_wait_alu 0xfffe
	s_cmp_lg_u32 s3, 0
	s_add_co_ci_u32 s25, s25, s51
	s_mov_b32 s51, s2
	s_mul_u64 s[48:49], s[48:49], s[24:25]
	s_delay_alu instid0(SALU_CYCLE_1)
	s_mul_hi_u32 s55, s24, s49
	s_mul_i32 s54, s24, s49
	s_mul_hi_u32 s50, s24, s48
	s_mul_i32 s13, s25, s48
	s_add_nc_u64 s[50:51], s[50:51], s[54:55]
	s_mul_hi_u32 s3, s25, s48
	s_mul_hi_u32 s33, s25, s49
	s_wait_alu 0xfffe
	s_add_co_u32 s13, s50, s13
	s_add_co_ci_u32 s52, s51, s3
	s_mul_i32 s48, s25, s49
	s_add_co_ci_u32 s49, s33, 0
	s_mov_b32 s51, s2
	s_add_nc_u64 s[48:49], s[52:53], s[48:49]
	s_delay_alu instid0(SALU_CYCLE_1)
	s_add_co_u32 s3, s24, s48
	s_cselect_b32 s13, -1, 0
	s_wait_alu 0xfffe
	s_cmp_lg_u32 s13, 0
	s_add_co_ci_u32 s13, s25, s49
	s_ashr_i32 s24, s57, 31
	s_delay_alu instid0(SALU_CYCLE_1) | instskip(NEXT) | instid1(SALU_CYCLE_1)
	s_mov_b32 s25, s24
	s_add_nc_u64 s[48:49], s[56:57], s[24:25]
	s_delay_alu instid0(SALU_CYCLE_1)
	s_xor_b64 s[48:49], s[48:49], s[24:25]
	s_wait_alu 0xfffe
	s_mul_hi_u32 s55, s48, s13
	s_mul_i32 s54, s48, s13
	s_mul_hi_u32 s50, s48, s3
	s_mul_hi_u32 s52, s49, s3
	s_mul_i32 s3, s49, s3
	s_add_nc_u64 s[50:51], s[50:51], s[54:55]
	s_mul_hi_u32 s33, s49, s13
	s_wait_alu 0xfffe
	s_add_co_u32 s3, s50, s3
	s_add_co_ci_u32 s52, s51, s52
	s_mul_i32 s54, s49, s13
	s_add_co_ci_u32 s55, s33, 0
	s_delay_alu instid0(SALU_CYCLE_1) | instskip(NEXT) | instid1(SALU_CYCLE_1)
	s_add_nc_u64 s[50:51], s[52:53], s[54:55]
	s_mul_u64 s[52:53], s[22:23], s[50:51]
	s_add_nc_u64 s[54:55], s[50:51], 1
	s_sub_co_u32 s3, s48, s52
	s_cselect_b32 s13, -1, 0
	s_sub_co_i32 s33, s49, s53
	s_wait_alu 0xfffe
	s_cmp_lg_u32 s13, 0
	s_add_nc_u64 s[58:59], s[50:51], 2
	s_sub_co_ci_u32 s33, s33, s23
	s_sub_co_u32 s48, s3, s22
	s_cselect_b32 s52, -1, 0
	s_delay_alu instid0(SALU_CYCLE_1) | instskip(SKIP_1) | instid1(SALU_CYCLE_1)
	s_cmp_lg_u32 s52, 0
	s_sub_co_ci_u32 s33, s33, 0
	s_cmp_ge_u32 s33, s23
	s_cselect_b32 s52, -1, 0
	s_cmp_ge_u32 s48, s22
	s_cselect_b32 s48, -1, 0
	s_cmp_eq_u32 s33, s23
	s_cselect_b32 s33, s48, s52
	s_delay_alu instid0(SALU_CYCLE_1)
	s_cmp_lg_u32 s33, 0
	s_cselect_b32 s33, s58, s54
	s_cselect_b32 s48, s59, s55
	s_cmp_lg_u32 s13, 0
	s_sub_co_ci_u32 s13, s49, s53
	s_wait_alu 0xfffe
	s_cmp_ge_u32 s13, s23
	s_cselect_b32 s49, -1, 0
	s_cmp_ge_u32 s3, s22
	s_cselect_b32 s3, -1, 0
	s_cmp_eq_u32 s13, s23
	s_wait_alu 0xfffe
	s_cselect_b32 s3, s3, s49
	s_wait_alu 0xfffe
	s_cmp_lg_u32 s3, 0
	s_cselect_b32 s23, s48, s51
	s_cselect_b32 s22, s33, s50
	s_xor_b64 s[20:21], s[24:25], s[20:21]
	s_delay_alu instid0(SALU_CYCLE_1) | instskip(NEXT) | instid1(SALU_CYCLE_1)
	s_xor_b64 s[22:23], s[22:23], s[20:21]
	s_sub_nc_u64 s[62:63], s[22:23], s[20:21]
	s_branch .LBB30_24
.LBB30_18:
                                        ; implicit-def: $sgpr14_sgpr15
	s_branch .LBB30_3
.LBB30_19:
                                        ; implicit-def: $sgpr16_sgpr17
	s_load_b128 s[28:31], s[0:1], 0x1d0
	s_branch .LBB30_6
.LBB30_20:
                                        ; implicit-def: $sgpr34_sgpr35
	s_branch .LBB30_9
.LBB30_21:
                                        ; implicit-def: $sgpr40_sgpr41
	s_load_b128 s[44:47], s[0:1], 0x370
	s_branch .LBB30_12
.LBB30_22:
                                        ; implicit-def: $sgpr56_sgpr57
	s_branch .LBB30_15
.LBB30_23:
	s_mov_b32 s2, -1
                                        ; implicit-def: $sgpr62_sgpr63
.LBB30_24:
	s_load_b64 s[20:21], s[0:1], 0x440
                                        ; implicit-def: $vgpr59 : SGPR spill to VGPR lane
	s_and_not1_b32 vcc_lo, exec_lo, s2
	s_load_b128 s[52:55], s[0:1], 0x290
	s_wait_kmcnt 0x0
	v_writelane_b32 v59, s20, 0
	v_writelane_b32 v59, s21, 1
	s_load_b128 s[20:23], s[0:1], 0x430
	s_wait_kmcnt 0x0
	v_writelane_b32 v59, s20, 2
	v_writelane_b32 v59, s21, 3
	;; [unrolled: 1-line block ×4, first 2 shown]
	s_load_b64 s[20:21], s[0:1], 0x2a0
	s_wait_kmcnt 0x0
	v_writelane_b32 v59, s20, 6
	v_writelane_b32 v59, s21, 7
	s_cbranch_vccnz .LBB30_26
; %bb.25:
	v_cvt_f32_u32_e32 v1, s44
	s_sub_co_i32 s3, 0, s44
	s_mov_b32 s63, 0
	s_delay_alu instid0(VALU_DEP_1) | instskip(NEXT) | instid1(TRANS32_DEP_1)
	v_rcp_iflag_f32_e32 v1, v1
	v_mul_f32_e32 v1, 0x4f7ffffe, v1
	s_delay_alu instid0(VALU_DEP_1) | instskip(NEXT) | instid1(VALU_DEP_1)
	v_cvt_u32_f32_e32 v1, v1
	v_readfirstlane_b32 s2, v1
	s_wait_alu 0xfffe
	s_mul_i32 s3, s3, s2
	s_wait_alu 0xfffe
	s_mul_hi_u32 s3, s2, s3
	s_wait_alu 0xfffe
	s_add_co_i32 s2, s2, s3
	s_wait_alu 0xfffe
	s_mul_hi_u32 s2, s56, s2
	s_wait_alu 0xfffe
	s_mul_i32 s3, s2, s44
	s_add_co_i32 s13, s2, 1
	s_wait_alu 0xfffe
	s_sub_co_i32 s3, s56, s3
	s_wait_alu 0xfffe
	s_sub_co_i32 s20, s3, s44
	s_cmp_ge_u32 s3, s44
	s_cselect_b32 s2, s13, s2
	s_wait_alu 0xfffe
	s_cselect_b32 s3, s20, s3
	s_add_co_i32 s13, s2, 1
	s_wait_alu 0xfffe
	s_cmp_ge_u32 s3, s44
	s_cselect_b32 s62, s13, s2
.LBB30_26:
	s_load_b64 s[22:23], s[0:1], 0x0
	v_cmp_eq_u32_e64 s2, 0, v0
	s_add_nc_u64 s[20:21], s[0:1], 0x500
	s_mov_b32 s25, 0
	s_and_saveexec_b32 s3, s2
	s_cbranch_execz .LBB30_28
; %bb.27:
	v_dual_mov_b32 v1, 0 :: v_dual_mov_b32 v4, s37
	s_delay_alu instid0(VALU_DEP_1)
	v_dual_mov_b32 v3, s36 :: v_dual_mov_b32 v2, v1
	ds_store_b32 v1, v1 offset:5136
	ds_store_b128 v1, v[1:4] offset:5120
.LBB30_28:
	s_wait_alu 0xfffe
	s_or_b32 exec_lo, exec_lo, s3
	s_mul_u64 s[4:5], s[16:17], s[4:5]
	s_mul_u64 s[8:9], s[16:17], s[8:9]
	s_wait_alu 0xfffe
	s_sub_nc_u64 s[4:5], s[14:15], s[4:5]
	s_mul_u64 s[14:15], s[14:15], s[6:7]
	s_wait_alu 0xfffe
	s_mul_u64 s[4:5], s[4:5], s[10:11]
	s_lshl_b64 s[6:7], s[8:9], 3
	s_sub_nc_u64 s[10:11], s[26:27], s[14:15]
	s_wait_kmcnt 0x0
	s_wait_alu 0xfffe
	s_add_nc_u64 s[14:15], s[22:23], s[6:7]
	s_lshl_b64 s[8:9], s[4:5], 3
	s_mul_u64 s[4:5], s[10:11], s[18:19]
	s_wait_alu 0xfffe
	s_add_nc_u64 s[10:11], s[14:15], s[8:9]
	s_lshl_b64 s[14:15], s[4:5], 3
	s_load_b64 s[4:5], s[0:1], 0x360
	v_lshlrev_b32_e32 v46, 5, v0
	s_load_b64 s[0:1], s[0:1], 0x1c0
	s_wait_dscnt 0x0
	s_barrier_signal -1
	v_mbcnt_lo_u32_b32 v42, -1, 0
	v_or_b32_e32 v11, 16, v46
	s_barrier_wait -1
	global_inv scope:SCOPE_SE
	v_mad_co_u64_u32 v[2:3], null, s42, v0, 0
	v_mad_co_u64_u32 v[25:26], null, s42, v11, 0
	v_lshlrev_b64_e64 v[6:7], v42, -1
	v_mov_b32_e32 v18, 0
	v_cmp_gt_u32_e32 vcc_lo, 32, v0
	s_add_nc_u64 s[6:7], s[6:7], s[14:15]
	v_mov_b32_e32 v1, v3
	s_add_nc_u64 s[72:73], s[10:11], s[14:15]
	v_mov_b32_e32 v7, v26
	s_wait_kmcnt 0x0
	v_writelane_b32 v59, s4, 8
	v_or_b32_e32 v9, 24, v46
	v_or_b32_e32 v12, 8, v46
	v_mad_co_u64_u32 v[3:4], null, s43, v0, v[1:2]
	v_writelane_b32 v59, s5, 9
	s_load_b32 s5, s[20:21], 0xc
	v_mad_co_u64_u32 v[23:24], null, s42, v9, 0
	v_mad_co_u64_u32 v[27:28], null, s42, v12, 0
	v_writelane_b32 v59, s0, 10
	v_lshlrev_b32_e32 v21, 2, v0
	v_not_b32_e32 v45, v6
	v_lshlrev_b64_e32 v[4:5], 3, v[2:3]
	v_mov_b32_e32 v6, v24
	v_writelane_b32 v59, s1, 11
	v_cmp_gt_i32_e64 s0, 4, v42
	v_mov_b32_e32 v8, v28
	s_add_nc_u64 s[6:7], s[6:7], s[8:9]
	v_mad_co_u64_u32 v[9:10], null, s43, v9, v[6:7]
	s_and_b32 s33, vcc_lo, s0
	v_mad_co_u64_u32 v[6:7], null, s43, v11, v[7:8]
	v_add_co_u32 v19, vcc_lo, s72, v4
	s_wait_kmcnt 0x0
	s_and_b32 s68, s5, 0xffff
	s_bfe_u32 s5, s5, 0xb0005
	s_cmp_gt_u32 s68, 31
	s_wait_alu 0xfffe
	s_add_nc_u64 s[78:79], s[22:23], s[6:7]
	s_cselect_b32 s101, -1, 0
	s_cmp_lt_u32 ttmp9, s12
	v_add_co_ci_u32_e64 v20, null, s73, v5, vcc_lo
	s_cselect_b32 s24, 12, 18
	s_add_co_i32 s11, s5, -1
	s_bfe_u32 s102, s68, 0x30005
	s_and_b32 s11, s11, 0xffff
	v_add_co_u32 v15, vcc_lo, s78, v4
	s_cmp_gt_u32 s11, 6
	v_mov_b32_e32 v26, v6
	s_cselect_b32 s103, -1, 0
	s_and_b32 s104, s5, 0x7f8
	s_wait_alu 0xfffd
	v_add_co_ci_u32_e64 v16, null, s79, v5, vcc_lo
	v_mov_b32_e32 v5, 0
	v_mad_co_u64_u32 v[7:8], null, s43, v12, v[8:9]
	s_cmp_lg_u32 s102, 0
	v_dual_mov_b32 v22, v18 :: v_dual_lshlrev_b32 v43, 3, v0
	v_mov_b32_e32 v1, v18
	s_cselect_b32 vcc_hi, -1, 0
	s_lshl_b64 s[80:81], s[42:43], 3
	s_lshl_b64 s[82:83], s[42:43], 5
	v_mul_lo_u32 v52, 0, s80
	v_mul_lo_u32 v53, 0, s82
	s_movk_i32 s10, 0x3e0
	v_add_co_u32 v49, s5, s36, v0
	v_add_nc_u32_e32 v44, 0xc00, v43
	v_cmp_lt_i64_e64 s100, 0x180, s[36:37]
	v_cmp_gt_u64_e64 s4, s[36:37], v[0:1]
	v_cmp_gt_i64_e64 s0, s[36:37], v[0:1]
	s_mov_b32 s69, s25
	v_lshlrev_b64_e32 v[28:29], 5, v[2:3]
	v_mov_b32_e32 v34, s38
	v_mov_b32_e32 v30, 0
	;; [unrolled: 1-line block ×3, first 2 shown]
	v_cmp_eq_u32_e64 s1, 0, v42
	v_cmp_gt_u32_e64 s3, 2, v0
	v_and_or_b32 v47, v0, s10, 0xc00
	v_dual_mov_b32 v24, v9 :: v_dual_mov_b32 v35, s39
	v_dual_mov_b32 v48, v7 :: v_dual_mov_b32 v33, 0
	s_wait_alu 0xf1ff
	v_add_co_ci_u32_e64 v50, null, s37, 0, s5
	v_lshl_or_b32 v51, v42, 3, 0xc00
	v_dual_mov_b32 v6, 0 :: v_dual_mov_b32 v31, 0
	v_mov_b32_e32 v2, 1
	s_add_nc_u64 s[74:75], s[68:69], -1
	s_mul_u64 s[6:7], s[42:43], s[68:69]
	s_add_nc_u64 s[76:77], s[74:75], s[36:37]
	s_wait_alu 0xfffe
	s_lshl_b64 s[70:71], s[6:7], 3
	s_lshl_b32 s58, s68, 3
	s_mov_b32 s59, 62
	s_add_nc_u64 s[38:39], s[20:21], s[24:25]
	s_mov_b32 s60, 0
	s_mov_b32 s61, 0
                                        ; implicit-def: $sgpr67
                                        ; implicit-def: $sgpr49
                                        ; implicit-def: $sgpr64
                                        ; implicit-def: $sgpr66
                                        ; implicit-def: $sgpr48
                                        ; implicit-def: $sgpr65
	s_branch .LBB30_32
.LBB30_29:                              ;   in Loop: Header=BB30_32 Depth=1
	s_wait_alu 0xfffe
	s_or_b32 exec_lo, exec_lo, s8
	s_delay_alu instid0(SALU_CYCLE_1)
	s_and_b32 s6, s6, exec_lo
	s_and_not1_b32 s50, s50, exec_lo
	s_and_not1_b32 s23, s23, exec_lo
	s_or_not1_b32 s21, s7, exec_lo
.LBB30_30:                              ;   in Loop: Header=BB30_32 Depth=1
	s_wait_alu 0xfffe
	s_or_b32 exec_lo, exec_lo, s5
	s_delay_alu instid0(SALU_CYCLE_1)
	s_and_not1_b32 s5, s65, exec_lo
	s_and_b32 s6, s6, exec_lo
	s_and_not1_b32 s7, s66, exec_lo
	s_wait_alu 0xfffe
	s_or_b32 s65, s5, s6
	s_and_not1_b32 s5, s48, exec_lo
	s_and_b32 s6, s50, exec_lo
	s_and_b32 s8, s23, exec_lo
	s_wait_alu 0xfffe
	s_or_b32 s48, s5, s6
	s_or_b32 s66, s7, s8
	s_or_not1_b32 s21, s21, exec_lo
.LBB30_31:                              ;   in Loop: Header=BB30_32 Depth=1
	s_wait_alu 0xfffe
	s_or_b32 exec_lo, exec_lo, s20
	s_delay_alu instid0(SALU_CYCLE_1)
	s_and_b32 s5, exec_lo, s21
	v_dual_mov_b32 v35, v12 :: v_dual_mov_b32 v34, v11
	s_wait_alu 0xfffe
	s_or_b32 s60, s5, s60
	s_and_not1_b32 s5, s64, exec_lo
	s_and_b32 s6, s65, exec_lo
	s_and_not1_b32 s7, s49, exec_lo
	s_wait_alu 0xfffe
	s_or_b32 s64, s5, s6
	s_and_b32 s5, s48, exec_lo
	s_and_not1_b32 s6, s67, exec_lo
	s_and_b32 s8, s66, exec_lo
	s_wait_alu 0xfffe
	s_or_b32 s49, s7, s5
	s_or_b32 s67, s6, s8
	s_and_not1_b32 exec_lo, exec_lo, s60
	s_cbranch_execz .LBB30_289
.LBB30_32:                              ; =>This Loop Header: Depth=1
                                        ;     Child Loop BB30_38 Depth 2
                                        ;     Child Loop BB30_51 Depth 2
	;; [unrolled: 1-line block ×16, first 2 shown]
	ds_load_b128 v[7:10], v18 offset:5120
	s_wait_dscnt 0x0
	v_readfirstlane_b32 s85, v8
	v_readfirstlane_b32 s84, v7
	s_wait_alu 0xf1ff
	s_delay_alu instid0(VALU_DEP_1)
	v_cmp_gt_i64_e64 s5, s[84:85], 0
	s_and_b32 vcc_lo, exec_lo, s5
	s_wait_alu 0xfffe
	s_cbranch_vccnz .LBB30_59
; %bb.33:                               ;   in Loop: Header=BB30_32 Depth=1
	s_and_b32 vcc_lo, exec_lo, s100
	s_wait_alu 0xfffe
	s_cbranch_vccz .LBB30_46
; %bb.34:                               ;   in Loop: Header=BB30_32 Depth=1
	v_cmp_gt_i64_e32 vcc_lo, 0x181, v[9:10]
	s_mov_b32 s7, 0
	s_mov_b32 s5, 0
	s_cbranch_vccz .LBB30_47
; %bb.35:                               ;   in Loop: Header=BB30_32 Depth=1
	s_and_saveexec_b32 s8, s4
	s_cbranch_execz .LBB30_93
; %bb.36:                               ;   in Loop: Header=BB30_32 Depth=1
	global_load_u16 v3, v18, s[38:39]
	global_load_b64 v[7:8], v[19:20], off
	s_mov_b32 s9, 0
	s_wait_loadcnt 0x1
	v_and_b32_e32 v13, 0xffff, v3
	s_delay_alu instid0(VALU_DEP_1) | instskip(SKIP_2) | instid1(VALU_DEP_3)
	v_add_nc_u32_e32 v9, v0, v13
	v_mul_lo_u32 v11, v13, s81
	v_mul_hi_u32 v12, v13, s80
	v_mad_co_u64_u32 v[3:4], null, s80, v9, s[78:79]
	s_delay_alu instid0(VALU_DEP_1) | instskip(NEXT) | instid1(VALU_DEP_4)
	v_mad_co_u64_u32 v[9:10], null, s81, v9, v[4:5]
	v_add_nc_u32_e32 v4, v11, v52
	s_delay_alu instid0(VALU_DEP_1)
	v_dual_mov_b32 v4, v9 :: v_dual_add_nc_u32 v17, v4, v12
	v_mul_lo_u32 v14, v13, s80
	v_dual_mov_b32 v10, v1 :: v_dual_mov_b32 v9, v0
	s_branch .LBB30_38
.LBB30_37:                              ;   in Loop: Header=BB30_38 Depth=2
	s_wait_alu 0xfffe
	s_or_b32 exec_lo, exec_lo, s6
	v_add_co_u32 v3, vcc_lo, v3, v14
	s_wait_alu 0xfffd
	v_add_co_ci_u32_e64 v4, null, v4, v17, vcc_lo
	v_dual_mov_b32 v7, v11 :: v_dual_mov_b32 v8, v12
	s_and_not1_b32 exec_lo, exec_lo, s9
	s_cbranch_execz .LBB30_93
.LBB30_38:                              ;   Parent Loop BB30_32 Depth=1
                                        ; =>  This Inner Loop Header: Depth=2
	s_delay_alu instid0(VALU_DEP_1)
	v_add_co_u32 v9, vcc_lo, v9, v13
	v_mov_b32_e32 v11, 0
	s_wait_alu 0xfffd
	v_add_co_ci_u32_e64 v10, null, 0, v10, vcc_lo
	v_mov_b32_e32 v12, 0
	s_mov_b32 s6, exec_lo
	s_delay_alu instid0(VALU_DEP_2)
	v_cmp_le_i64_e32 vcc_lo, s[36:37], v[9:10]
	v_cmpx_gt_i64_e64 s[36:37], v[9:10]
	s_cbranch_execz .LBB30_40
; %bb.39:                               ;   in Loop: Header=BB30_38 Depth=2
	global_load_b64 v[11:12], v[3:4], off
.LBB30_40:                              ;   in Loop: Header=BB30_38 Depth=2
	s_wait_alu 0xfffe
	s_or_b32 exec_lo, exec_lo, s6
	s_wait_loadcnt_dscnt 0x0
	v_xor_b32_e32 v36, 0x80000000, v8
	s_delay_alu instid0(VALU_DEP_1) | instskip(SKIP_1) | instid1(VALU_DEP_1)
	v_and_b32_e32 v37, v36, v33
	v_and_b32_e32 v36, v7, v32
	v_cmp_eq_u64_e64 s5, v[36:37], v[30:31]
	v_mov_b32_e32 v36, 0
	s_cmp_lg_u32 s5, 0
	s_cselect_b32 s6, -1, 0
	s_wait_alu 0xfffe
	s_and_b32 s6, s1, s6
	s_wait_alu 0xfffe
	s_and_saveexec_b32 s10, s6
	s_cbranch_execz .LBB30_44
; %bb.41:                               ;   in Loop: Header=BB30_38 Depth=2
	s_mov_b32 s13, exec_lo
	s_bcnt1_i32_b32 s11, s5
	s_wait_alu 0xfffe
	v_mbcnt_lo_u32_b32 v36, s13, 0
	s_mov_b32 s12, exec_lo
                                        ; implicit-def: $vgpr37
	s_delay_alu instid0(VALU_DEP_1)
	v_cmpx_eq_u32_e32 0, v36
; %bb.42:                               ;   in Loop: Header=BB30_38 Depth=2
	s_bcnt1_i32_b32 s6, s13
	s_wait_alu 0xfffe
	s_mul_i32 s6, s11, s6
	s_wait_alu 0xfffe
	v_mov_b32_e32 v37, s6
	ds_add_rtn_u32 v37, v18, v37 offset:5136
; %bb.43:                               ;   in Loop: Header=BB30_38 Depth=2
	s_or_b32 exec_lo, exec_lo, s12
	s_wait_dscnt 0x0
	v_readfirstlane_b32 s6, v37
	s_wait_alu 0xf1ff
	s_delay_alu instid0(VALU_DEP_1)
	v_mad_u32_u24 v36, s11, v36, s6
.LBB30_44:                              ;   in Loop: Header=BB30_38 Depth=2
	s_wait_alu 0xfffe
	s_or_b32 exec_lo, exec_lo, s10
	ds_bpermute_b32 v36, v18, v36
	s_and_b32 s6, exec_lo, vcc_lo
	s_wait_alu 0xfffe
	s_or_b32 s9, s6, s9
	s_and_saveexec_b32 s6, s5
	s_cbranch_execz .LBB30_37
; %bb.45:                               ;   in Loop: Header=BB30_38 Depth=2
	v_and_b32_e32 v37, s5, v45
	s_delay_alu instid0(VALU_DEP_1) | instskip(NEXT) | instid1(VALU_DEP_1)
	v_bcnt_u32_b32 v37, v37, 0
	v_lshlrev_b32_e32 v37, 3, v37
	s_wait_dscnt 0x0
	s_delay_alu instid0(VALU_DEP_1)
	v_lshl_add_u32 v36, v36, 3, v37
	ds_store_b64 v36, v[7:8]
	s_branch .LBB30_37
.LBB30_46:                              ;   in Loop: Header=BB30_32 Depth=1
	s_mov_b32 s7, -1
	s_mov_b32 s5, 0
.LBB30_47:                              ;   in Loop: Header=BB30_32 Depth=1
	s_wait_alu 0xfffe
	s_and_b32 vcc_lo, exec_lo, s7
	s_wait_alu 0xfffe
	s_cbranch_vccz .LBB30_57
.LBB30_48:                              ;   in Loop: Header=BB30_32 Depth=1
	s_and_saveexec_b32 s6, s0
	s_cbranch_execz .LBB30_54
; %bb.49:                               ;   in Loop: Header=BB30_32 Depth=1
	global_load_u16 v7, v18, s[38:39]
	global_load_b64 v[3:4], v[19:20], off
	s_mov_b32 s7, exec_lo
	s_wait_loadcnt 0x1
	v_dual_mov_b32 v7, v0 :: v_dual_and_b32 v36, 0xffff, v7
	s_delay_alu instid0(VALU_DEP_1) | instskip(NEXT) | instid1(VALU_DEP_1)
	v_add_nc_u32_e32 v17, v36, v0
	v_cmpx_gt_i64_e64 s[36:37], v[17:18]
	s_cbranch_execz .LBB30_53
; %bb.50:                               ;   in Loop: Header=BB30_32 Depth=1
	v_mul_lo_u32 v10, v36, s81
	v_mad_co_u64_u32 v[7:8], null, s80, v17, s[78:79]
	v_mul_hi_u32 v11, v36, s80
	v_mul_lo_u32 v37, v36, s80
	v_dual_mov_b32 v14, v1 :: v_dual_mov_b32 v13, v0
	s_mov_b32 s8, 0
	v_add_nc_u32_e32 v12, v10, v52
	v_mad_co_u64_u32 v[8:9], null, s81, v17, v[8:9]
	v_dual_mov_b32 v9, v17 :: v_dual_mov_b32 v10, v18
	s_delay_alu instid0(VALU_DEP_3)
	v_add_nc_u32_e32 v17, v12, v11
.LBB30_51:                              ;   Parent Loop BB30_32 Depth=1
                                        ; =>  This Inner Loop Header: Depth=2
	global_load_b64 v[11:12], v[7:8], off
	v_dual_mov_b32 v39, v10 :: v_dual_mov_b32 v38, v9
	v_lshlrev_b32_e32 v13, 3, v13
	s_delay_alu instid0(VALU_DEP_2) | instskip(SKIP_1) | instid1(VALU_DEP_3)
	v_add_co_u32 v9, vcc_lo, v38, v36
	s_wait_alu 0xfffd
	v_add_co_ci_u32_e64 v10, null, 0, v39, vcc_lo
	v_add_co_u32 v7, vcc_lo, v7, v37
	s_wait_loadcnt 0x1
	ds_store_b64 v13, v[3:4]
	v_cmp_le_i64_e64 s5, s[36:37], v[9:10]
	s_wait_alu 0xfffd
	v_add_co_ci_u32_e64 v8, null, v8, v17, vcc_lo
	v_dual_mov_b32 v13, v38 :: v_dual_mov_b32 v14, v39
	s_wait_alu 0xfffe
	s_delay_alu instid0(VALU_DEP_3)
	s_or_b32 s8, s5, s8
	s_wait_loadcnt 0x0
	v_dual_mov_b32 v3, v11 :: v_dual_mov_b32 v4, v12
	s_wait_alu 0xfffe
	s_and_not1_b32 exec_lo, exec_lo, s8
	s_cbranch_execnz .LBB30_51
; %bb.52:                               ;   in Loop: Header=BB30_32 Depth=1
	s_or_b32 exec_lo, exec_lo, s8
	v_sub_nc_u32_e32 v7, v9, v36
	v_dual_mov_b32 v3, v11 :: v_dual_mov_b32 v4, v12
.LBB30_53:                              ;   in Loop: Header=BB30_32 Depth=1
	s_wait_alu 0xfffe
	s_or_b32 exec_lo, exec_lo, s7
	s_delay_alu instid0(VALU_DEP_2)
	v_lshlrev_b32_e32 v7, 3, v7
	s_wait_loadcnt 0x0
	ds_store_b64 v7, v[3:4]
.LBB30_54:                              ;   in Loop: Header=BB30_32 Depth=1
	s_wait_alu 0xfffe
	s_or_b32 exec_lo, exec_lo, s6
	s_wait_loadcnt_dscnt 0x0
	s_barrier_signal -1
	s_barrier_wait -1
	global_inv scope:SCOPE_SE
	s_and_saveexec_b32 s5, s2
; %bb.55:                               ;   in Loop: Header=BB30_32 Depth=1
	v_dual_mov_b32 v3, s36 :: v_dual_mov_b32 v4, s37
	ds_store_b64 v18, v[3:4] offset:5120
; %bb.56:                               ;   in Loop: Header=BB30_32 Depth=1
	s_wait_alu 0xfffe
	s_or_b32 exec_lo, exec_lo, s5
	s_mov_b32 s5, -1
	s_wait_loadcnt_dscnt 0x0
	s_barrier_signal -1
	s_barrier_wait -1
.LBB30_57:                              ;   in Loop: Header=BB30_32 Depth=1
	s_wait_alu 0xfffe
	s_and_b32 vcc_lo, exec_lo, s5
	s_wait_alu 0xfffe
	s_cbranch_vccz .LBB30_59
; %bb.58:                               ;   in Loop: Header=BB30_32 Depth=1
	s_wait_loadcnt 0x0
	global_inv scope:SCOPE_SE
	ds_load_b64 v[3:4], v18 offset:5120
	s_wait_dscnt 0x0
	v_readfirstlane_b32 s84, v3
.LBB30_59:                              ;   in Loop: Header=BB30_32 Depth=1
	s_delay_alu instid0(VALU_DEP_1)
	s_cmp_lt_i32 s84, 1
	s_mov_b32 s5, -1
                                        ; implicit-def: $vgpr13_vgpr14
                                        ; implicit-def: $vgpr9_vgpr10
	s_cbranch_scc1 .LBB30_69
; %bb.60:                               ;   in Loop: Header=BB30_32 Depth=1
	s_wait_alu 0xfffe
	s_and_b32 vcc_lo, exec_lo, s5
	s_wait_alu 0xfffe
	s_cbranch_vccnz .LBB30_83
.LBB30_61:                              ;   in Loop: Header=BB30_32 Depth=1
	s_lshl_b32 s5, s61, 7
	s_and_saveexec_b32 s6, s1
	s_cbranch_execz .LBB30_63
.LBB30_62:                              ;   in Loop: Header=BB30_32 Depth=1
	s_wait_alu 0xfffe
	v_lshl_add_u32 v3, s5, 3, v47
	ds_store_b128 v3, v[7:10]
	ds_store_b128 v3, v[11:14] offset:16
.LBB30_63:                              ;   in Loop: Header=BB30_32 Depth=1
	s_wait_alu 0xfffe
	s_or_b32 exec_lo, exec_lo, s6
	s_wait_loadcnt_dscnt 0x0
	s_barrier_signal -1
	s_barrier_wait -1
	global_inv scope:SCOPE_SE
	s_and_saveexec_b32 s6, s33
	s_cbranch_execz .LBB30_100
; %bb.64:                               ;   in Loop: Header=BB30_32 Depth=1
	v_mov_b32_e32 v3, 0
	v_mov_b32_e32 v4, 0
	s_and_not1_b32 vcc_lo, exec_lo, s101
	s_wait_alu 0xfffe
	s_cbranch_vccnz .LBB30_99
; %bb.65:                               ;   in Loop: Header=BB30_32 Depth=1
	v_mov_b32_e32 v3, 0
	v_mov_b32_e32 v4, 0
	s_and_not1_b32 vcc_lo, exec_lo, s103
	s_wait_alu 0xfffe
	s_cbranch_vccnz .LBB30_96
; %bb.66:                               ;   in Loop: Header=BB30_32 Depth=1
	v_lshl_add_u32 v7, s61, 10, v51
	s_mov_b32 s7, 0
.LBB30_67:                              ;   Parent Loop BB30_32 Depth=1
                                        ; =>  This Inner Loop Header: Depth=2
	ds_load_2addr_b64 v[8:11], v7 offset1:4
	ds_load_2addr_b64 v[36:39], v7 offset0:8 offset1:12
	ds_load_2addr_b64 v[54:57], v7 offset0:16 offset1:20
	s_wait_alu 0xfffe
	s_add_co_i32 s7, s7, 8
	s_wait_alu 0xfffe
	s_cmp_eq_u32 s104, s7
	s_wait_dscnt 0x2
	v_add_co_u32 v3, vcc_lo, v8, v3
	s_wait_alu 0xfffd
	v_add_co_ci_u32_e64 v4, null, v9, v4, vcc_lo
	s_delay_alu instid0(VALU_DEP_2) | instskip(SKIP_1) | instid1(VALU_DEP_2)
	v_add_co_u32 v3, vcc_lo, v10, v3
	s_wait_alu 0xfffd
	v_add_co_ci_u32_e64 v4, null, v11, v4, vcc_lo
	ds_load_2addr_b64 v[8:11], v7 offset0:24 offset1:28
	s_wait_dscnt 0x2
	v_add_co_u32 v3, vcc_lo, v36, v3
	s_wait_alu 0xfffd
	v_add_co_ci_u32_e64 v4, null, v37, v4, vcc_lo
	v_add_nc_u32_e32 v7, 0x100, v7
	s_delay_alu instid0(VALU_DEP_3) | instskip(SKIP_1) | instid1(VALU_DEP_3)
	v_add_co_u32 v3, vcc_lo, v38, v3
	s_wait_alu 0xfffd
	v_add_co_ci_u32_e64 v4, null, v39, v4, vcc_lo
	s_wait_dscnt 0x1
	s_delay_alu instid0(VALU_DEP_2) | instskip(SKIP_1) | instid1(VALU_DEP_2)
	v_add_co_u32 v3, vcc_lo, v54, v3
	s_wait_alu 0xfffd
	v_add_co_ci_u32_e64 v4, null, v55, v4, vcc_lo
	s_delay_alu instid0(VALU_DEP_2) | instskip(SKIP_1) | instid1(VALU_DEP_2)
	v_add_co_u32 v3, vcc_lo, v56, v3
	s_wait_alu 0xfffd
	v_add_co_ci_u32_e64 v4, null, v57, v4, vcc_lo
	s_wait_dscnt 0x0
	s_delay_alu instid0(VALU_DEP_2) | instskip(SKIP_1) | instid1(VALU_DEP_2)
	v_add_co_u32 v3, vcc_lo, v8, v3
	s_wait_alu 0xfffd
	v_add_co_ci_u32_e64 v4, null, v9, v4, vcc_lo
	s_delay_alu instid0(VALU_DEP_2) | instskip(SKIP_1) | instid1(VALU_DEP_2)
	v_add_co_u32 v3, vcc_lo, v10, v3
	s_wait_alu 0xfffd
	v_add_co_ci_u32_e64 v4, null, v11, v4, vcc_lo
	s_cbranch_scc0 .LBB30_67
; %bb.68:                               ;   in Loop: Header=BB30_32 Depth=1
	s_mov_b32 s7, s104
	s_and_not1_b32 vcc_lo, exec_lo, vcc_hi
	s_wait_alu 0xfffe
	s_cbranch_vccz .LBB30_97
	s_branch .LBB30_99
.LBB30_69:                              ;   in Loop: Header=BB30_32 Depth=1
	global_load_u16 v3, v18, s[38:39]
	s_mov_b32 s6, s25
	s_mov_b32 s7, s37
	s_wait_loadcnt 0x0
	v_readfirstlane_b32 s5, v3
	s_wait_alu 0xfffe
	s_and_b32 s5, 0xffff, s5
	s_wait_alu 0xfffe
	s_lshl_b32 s86, s5, 2
	s_cmp_lg_u64 s[6:7], 0
	s_cbranch_scc0 .LBB30_92
; %bb.70:                               ;   in Loop: Header=BB30_32 Depth=1
	s_mov_b32 s87, s25
	s_wait_alu 0xfffe
	s_add_nc_u64 s[6:7], s[86:87], 0
	s_wait_alu 0xfffe
	s_xor_b64 s[6:7], s[6:7], 0
	s_wait_alu 0xfffe
	s_cvt_f32_u32 s5, s6
	s_cvt_f32_u32 s8, s7
	s_sub_nc_u64 s[10:11], 0, s[6:7]
	s_wait_alu 0xfffe
	s_delay_alu instid0(SALU_CYCLE_1) | instskip(SKIP_1) | instid1(SALU_CYCLE_2)
	s_fmamk_f32 s5, s8, 0x4f800000, s5
	s_wait_alu 0xfffe
	v_s_rcp_f32 s5, s5
	s_delay_alu instid0(TRANS32_DEP_1) | instskip(SKIP_1) | instid1(SALU_CYCLE_2)
	s_mul_f32 s5, s5, 0x5f7ffffc
	s_wait_alu 0xfffe
	s_mul_f32 s8, s5, 0x2f800000
	s_wait_alu 0xfffe
	s_delay_alu instid0(SALU_CYCLE_2) | instskip(SKIP_1) | instid1(SALU_CYCLE_2)
	s_trunc_f32 s8, s8
	s_wait_alu 0xfffe
	s_fmamk_f32 s5, s8, 0xcf800000, s5
	s_cvt_u32_f32 s9, s8
	s_wait_alu 0xfffe
	s_delay_alu instid0(SALU_CYCLE_1) | instskip(SKIP_1) | instid1(SALU_CYCLE_2)
	s_cvt_u32_f32 s8, s5
	s_wait_alu 0xfffe
	s_mul_u64 s[12:13], s[10:11], s[8:9]
	s_wait_alu 0xfffe
	s_mul_hi_u32 s15, s8, s13
	s_mul_i32 s14, s8, s13
	s_mul_hi_u32 s24, s8, s12
	s_mul_i32 s16, s9, s12
	s_wait_alu 0xfffe
	s_add_nc_u64 s[14:15], s[24:25], s[14:15]
	s_mul_hi_u32 s5, s9, s12
	s_mul_hi_u32 s17, s9, s13
	s_mul_i32 s12, s9, s13
	s_wait_alu 0xfffe
	s_add_co_u32 s13, s14, s16
	s_add_co_ci_u32 s24, s15, s5
	s_add_co_ci_u32 s13, s17, 0
	s_wait_alu 0xfffe
	s_add_nc_u64 s[12:13], s[24:25], s[12:13]
	s_wait_alu 0xfffe
	s_add_co_u32 s8, s8, s12
	s_cselect_b32 s5, -1, 0
	s_wait_alu 0xfffe
	s_cmp_lg_u32 s5, 0
	s_add_co_ci_u32 s9, s9, s13
	s_wait_alu 0xfffe
	s_mul_u64 s[10:11], s[10:11], s[8:9]
	s_wait_alu 0xfffe
	s_mul_hi_u32 s13, s8, s11
	s_mul_i32 s12, s8, s11
	s_mul_hi_u32 s24, s8, s10
	s_mul_i32 s14, s9, s10
	s_wait_alu 0xfffe
	s_add_nc_u64 s[12:13], s[24:25], s[12:13]
	s_mul_hi_u32 s5, s9, s10
	s_mul_hi_u32 s15, s9, s11
	s_mul_i32 s10, s9, s11
	s_wait_alu 0xfffe
	s_add_co_u32 s11, s12, s14
	s_add_co_ci_u32 s24, s13, s5
	s_add_co_ci_u32 s11, s15, 0
	s_wait_alu 0xfffe
	s_add_nc_u64 s[10:11], s[24:25], s[10:11]
	s_wait_alu 0xfffe
	s_add_co_u32 s5, s8, s10
	s_cselect_b32 s8, -1, 0
	s_wait_alu 0xfffe
	s_cmp_lg_u32 s8, 0
	s_add_co_ci_u32 s14, s9, s11
	s_ashr_i32 s8, s37, 31
	s_wait_alu 0xfffe
	s_mov_b32 s9, s8
	s_wait_alu 0xfffe
	s_add_nc_u64 s[10:11], s[36:37], s[8:9]
	s_wait_alu 0xfffe
	s_xor_b64 s[10:11], s[10:11], s[8:9]
	s_wait_alu 0xfffe
	s_mul_hi_u32 s13, s10, s14
	s_mul_i32 s12, s10, s14
	s_mul_hi_u32 s24, s10, s5
	s_mul_hi_u32 s16, s11, s5
	s_mul_i32 s5, s11, s5
	s_wait_alu 0xfffe
	s_add_nc_u64 s[12:13], s[24:25], s[12:13]
	s_mul_hi_u32 s15, s11, s14
	s_wait_alu 0xfffe
	s_add_co_u32 s5, s12, s5
	s_add_co_ci_u32 s24, s13, s16
	s_mul_i32 s14, s11, s14
	s_add_co_ci_u32 s15, s15, 0
	s_wait_alu 0xfffe
	s_add_nc_u64 s[12:13], s[24:25], s[14:15]
	s_wait_alu 0xfffe
	s_mul_u64 s[12:13], s[6:7], s[12:13]
	s_wait_alu 0xfffe
	s_sub_co_u32 s5, s10, s12
	s_cselect_b32 s10, -1, 0
	s_sub_co_i32 s12, s11, s13
	s_wait_alu 0xfffe
	s_cmp_lg_u32 s10, 0
	s_sub_co_ci_u32 s12, s12, s7
	s_sub_co_u32 s14, s5, s6
	s_cselect_b32 s15, -1, 0
	s_wait_alu 0xfffe
	s_cmp_lg_u32 s15, 0
	s_sub_co_ci_u32 s16, s12, 0
	s_wait_alu 0xfffe
	s_cmp_ge_u32 s16, s7
	s_cselect_b32 s17, -1, 0
	s_cmp_ge_u32 s14, s6
	s_cselect_b32 s18, -1, 0
	s_cmp_eq_u32 s16, s7
	s_wait_alu 0xfffe
	s_cselect_b32 s17, s18, s17
	s_cmp_lg_u32 s15, 0
	s_sub_co_ci_u32 s12, s12, s7
	s_sub_co_u32 s15, s14, s6
	s_cselect_b32 s18, -1, 0
	s_wait_alu 0xfffe
	s_cmp_lg_u32 s18, 0
	s_sub_co_ci_u32 s12, s12, 0
	s_cmp_lg_u32 s17, 0
	s_cselect_b32 s14, s15, s14
	s_wait_alu 0xfffe
	s_cselect_b32 s12, s12, s16
	s_cmp_lg_u32 s10, 0
	s_sub_co_ci_u32 s10, s11, s13
	s_wait_alu 0xfffe
	s_cmp_ge_u32 s10, s7
	s_cselect_b32 s11, -1, 0
	s_cmp_ge_u32 s5, s6
	s_cselect_b32 s6, -1, 0
	s_cmp_eq_u32 s10, s7
	s_wait_alu 0xfffe
	s_cselect_b32 s6, s6, s11
	s_wait_alu 0xfffe
	s_cmp_lg_u32 s6, 0
	s_cselect_b32 s7, s12, s10
	s_cselect_b32 s6, s14, s5
	s_wait_alu 0xfffe
	s_xor_b64 s[6:7], s[6:7], s[8:9]
	s_wait_alu 0xfffe
	s_sub_nc_u64 s[88:89], s[6:7], s[8:9]
	s_cbranch_execnz .LBB30_72
.LBB30_71:                              ;   in Loop: Header=BB30_32 Depth=1
	s_wait_alu 0xfffe
	v_cvt_f32_u32_e32 v4, s86
	s_sub_co_i32 s6, 0, s86
	s_delay_alu instid0(VALU_DEP_1) | instskip(NEXT) | instid1(TRANS32_DEP_1)
	v_rcp_iflag_f32_e32 v4, v4
	v_mul_f32_e32 v4, 0x4f7ffffe, v4
	s_delay_alu instid0(VALU_DEP_1) | instskip(NEXT) | instid1(VALU_DEP_1)
	v_cvt_u32_f32_e32 v4, v4
	v_readfirstlane_b32 s5, v4
	s_wait_alu 0xfffe
	s_mul_i32 s6, s6, s5
	s_wait_alu 0xfffe
	s_mul_hi_u32 s6, s5, s6
	s_wait_alu 0xfffe
	s_add_co_i32 s5, s5, s6
	s_wait_alu 0xfffe
	s_mul_hi_u32 s5, s36, s5
	s_wait_alu 0xfffe
	s_mul_i32 s5, s5, s86
	s_wait_alu 0xfffe
	s_sub_co_i32 s5, s36, s5
	s_wait_alu 0xfffe
	s_sub_co_i32 s6, s5, s86
	s_cmp_ge_u32 s5, s86
	s_wait_alu 0xfffe
	s_cselect_b32 s5, s6, s5
	s_wait_alu 0xfffe
	s_sub_co_i32 s6, s5, s86
	s_cmp_ge_u32 s5, s86
	s_wait_alu 0xfffe
	s_cselect_b32 s24, s6, s5
	s_wait_alu 0xfffe
	s_mov_b64 s[88:89], s[24:25]
.LBB30_72:                              ;   in Loop: Header=BB30_32 Depth=1
	v_mov_b32_e32 v7, 0
	v_dual_mov_b32 v11, 0 :: v_dual_mov_b32 v8, 0
	v_dual_mov_b32 v9, 0 :: v_dual_mov_b32 v12, 0
	;; [unrolled: 1-line block ×3, first 2 shown]
	v_mov_b32_e32 v14, 0
	v_and_b32_e32 v54, 0xffff, v3
	s_wait_alu 0xfffe
	s_sub_nc_u64 s[90:91], s[36:37], s[88:89]
	s_mov_b32 s50, exec_lo
	s_wait_alu 0xfffe
	v_cmpx_gt_i64_e64 s[90:91], v[21:22]
	s_cbranch_execz .LBB30_76
; %bb.73:                               ;   in Loop: Header=BB30_32 Depth=1
	v_mul_lo_u32 v3, v54, s83
	v_mul_hi_u32 v7, v54, s82
	v_mul_lo_u32 v38, v54, s82
	v_dual_mov_b32 v37, v22 :: v_dual_mov_b32 v36, v21
	s_mov_b64 s[92:93], 0
	s_mov_b32 s51, 0
	s_mov_b64 s[94:95], 0
	s_delay_alu instid0(VALU_DEP_4) | instskip(SKIP_3) | instid1(VALU_DEP_2)
	v_dual_mov_b32 v3, s72 :: v_dual_add_nc_u32 v8, v3, v53
	v_mov_b32_e32 v4, s73
	s_mov_b64 s[96:97], 0
	s_mov_b64 s[98:99], 0
	v_add_nc_u32_e32 v39, v8, v7
.LBB30_74:                              ;   Parent Loop BB30_32 Depth=1
                                        ; =>  This Inner Loop Header: Depth=2
	v_add_co_u32 v7, vcc_lo, v3, v28
	s_wait_alu 0xfffd
	v_add_co_ci_u32_e64 v8, null, v4, v29, vcc_lo
	global_load_b64 v[7:8], v[7:8], off
	s_wait_loadcnt 0x0
	v_xor_b32_e32 v8, 0x80000000, v8
	v_and_b32_e32 v9, v7, v32
	s_delay_alu instid0(VALU_DEP_2) | instskip(SKIP_1) | instid1(VALU_DEP_2)
	v_and_b32_e32 v10, v8, v33
	v_lshrrev_b64 v[7:8], s59, v[7:8]
	v_cmp_eq_u64_e32 vcc_lo, v[9:10], v[30:31]
	v_add_co_u32 v9, s5, v3, v27
	s_wait_alu 0xf1ff
	v_add_co_ci_u32_e64 v10, null, v4, v48, s5
	s_delay_alu instid0(VALU_DEP_4)
	v_and_b32_e32 v17, 3, v7
	global_load_b64 v[9:10], v[9:10], off
	v_cmp_eq_u64_e64 s20, 0, v[17:18]
	v_cmp_eq_u64_e64 s21, 1, v[17:18]
	s_and_b32 s20, vcc_lo, s20
	s_and_b32 s21, vcc_lo, s21
	s_wait_loadcnt 0x0
	v_xor_b32_e32 v10, 0x80000000, v10
	v_and_b32_e32 v11, v9, v32
	s_delay_alu instid0(VALU_DEP_2) | instskip(SKIP_2) | instid1(VALU_DEP_3)
	v_and_b32_e32 v12, v10, v33
	v_lshrrev_b64 v[7:8], s59, v[9:10]
	v_mov_b32_e32 v8, v18
	v_cmp_eq_u64_e64 s5, v[11:12], v[30:31]
	v_add_co_u32 v11, s6, v3, v25
	s_wait_alu 0xf1ff
	v_add_co_ci_u32_e64 v12, null, v4, v26, s6
	v_and_b32_e32 v7, 3, v7
	global_load_b64 v[11:12], v[11:12], off
	v_cmp_eq_u64_e64 s8, 0, v[7:8]
	v_cmp_eq_u64_e64 s9, 1, v[7:8]
	;; [unrolled: 1-line block ×4, first 2 shown]
	s_and_b32 s8, s5, s8
	s_and_b32 s9, s5, s9
	;; [unrolled: 1-line block ×4, first 2 shown]
	v_add_co_u32 v36, s11, v36, s86
	s_wait_alu 0xf1ff
	v_add_co_ci_u32_e64 v37, null, 0, v37, s11
	s_delay_alu instid0(VALU_DEP_1) | instskip(SKIP_3) | instid1(VALU_DEP_2)
	v_cmp_le_i64_e64 s11, s[90:91], v[36:37]
	s_wait_loadcnt 0x0
	v_xor_b32_e32 v12, 0x80000000, v12
	v_and_b32_e32 v13, v11, v32
	v_and_b32_e32 v14, v12, v33
	v_lshrrev_b64 v[7:8], s59, v[11:12]
	v_mov_b32_e32 v8, v18
	s_delay_alu instid0(VALU_DEP_3)
	v_cmp_eq_u64_e64 s6, v[13:14], v[30:31]
	v_add_co_u32 v13, s7, v3, v23
	s_wait_alu 0xf1ff
	v_add_co_ci_u32_e64 v14, null, v4, v24, s7
	v_and_b32_e32 v7, 3, v7
	global_load_b64 v[13:14], v[13:14], off
	v_cmp_eq_u64_e64 s12, 0, v[7:8]
	v_cmp_eq_u64_e64 s13, 1, v[7:8]
	;; [unrolled: 1-line block ×4, first 2 shown]
	s_and_b32 s12, s6, s12
	s_and_b32 s13, s6, s13
	;; [unrolled: 1-line block ×4, first 2 shown]
	v_add_co_u32 v3, s15, v3, v38
	s_wait_alu 0xf1ff
	v_add_co_ci_u32_e64 v4, null, v4, v39, s15
	s_wait_loadcnt 0x0
	v_xor_b32_e32 v14, 0x80000000, v14
	v_and_b32_e32 v40, v13, v32
	s_delay_alu instid0(VALU_DEP_2) | instskip(SKIP_2) | instid1(VALU_DEP_3)
	v_lshrrev_b64 v[7:8], s59, v[13:14]
	v_mov_b32_e32 v8, v18
	v_and_b32_e32 v41, v14, v33
	v_and_b32_e32 v7, 3, v7
	s_delay_alu instid0(VALU_DEP_2) | instskip(NEXT) | instid1(VALU_DEP_2)
	v_cmp_eq_u64_e64 s7, v[40:41], v[30:31]
	v_cmp_eq_u64_e64 s16, 0, v[7:8]
	;; [unrolled: 1-line block ×5, first 2 shown]
	s_wait_alu 0xfffe
	v_cndmask_b32_e64 v7, 0, 1, s20
	s_and_b32 s16, s7, s16
	s_and_b32 s17, s7, s17
	;; [unrolled: 1-line block ×3, first 2 shown]
	s_delay_alu instid0(VALU_DEP_1) | instskip(SKIP_3) | instid1(VALU_DEP_1)
	v_cmp_ne_u32_e64 s20, 0, v7
	v_cndmask_b32_e64 v7, 0, 1, s8
	s_and_b32 s7, s7, s19
	s_bcnt1_i32_b32 s15, s20
	v_cmp_ne_u32_e64 s8, 0, v7
	v_cndmask_b32_e64 v7, 0, 1, s12
	s_bcnt1_i32_b32 s8, s8
	s_delay_alu instid0(VALU_DEP_1) | instskip(SKIP_4) | instid1(VALU_DEP_1)
	v_cmp_ne_u32_e64 s12, 0, v7
	s_wait_alu 0xfffe
	v_cndmask_b32_e64 v7, 0, 1, s16
	s_add_co_i32 s8, s8, s15
	s_bcnt1_i32_b32 s12, s12
	v_cmp_ne_u32_e64 s16, 0, v7
	v_cndmask_b32_e64 v7, 0, 1, s21
	s_wait_alu 0xfffe
	s_add_co_i32 s8, s8, s12
	s_bcnt1_i32_b32 s16, s16
	s_delay_alu instid0(VALU_DEP_1)
	v_cmp_ne_u32_e64 s21, 0, v7
	v_cndmask_b32_e64 v7, 0, 1, s9
	s_wait_alu 0xfffe
	s_add_co_i32 s24, s8, s16
	s_wait_alu 0xfffe
	s_add_nc_u64 s[98:99], s[98:99], s[24:25]
	s_bcnt1_i32_b32 s19, s21
	v_cmp_ne_u32_e64 s9, 0, v7
	v_cndmask_b32_e64 v7, 0, 1, s13
	s_bcnt1_i32_b32 s9, s9
	s_delay_alu instid0(VALU_DEP_1) | instskip(SKIP_4) | instid1(VALU_DEP_1)
	v_cmp_ne_u32_e64 s13, 0, v7
	v_cndmask_b32_e64 v7, 0, 1, s17
	s_wait_alu 0xfffe
	s_add_co_i32 s9, s9, s19
	s_bcnt1_i32_b32 s13, s13
	v_cmp_ne_u32_e64 s17, 0, v7
	s_wait_alu 0xfffe
	s_add_co_i32 s9, s9, s13
	s_bcnt1_i32_b32 s17, s17
	s_wait_alu 0xfffe
	s_add_co_i32 s24, s9, s17
	s_wait_alu 0xfffe
	s_add_nc_u64 s[96:97], s[96:97], s[24:25]
	s_wait_alu 0xfffe
	v_dual_mov_b32 v9, s96 :: v_dual_mov_b32 v10, s97
	v_cmp_eq_u64_e64 s22, 2, v[17:18]
	v_cmp_eq_u64_e64 s23, 3, v[17:18]
	s_and_b32 s22, vcc_lo, s22
	s_and_b32 s23, vcc_lo, s23
	s_wait_alu 0xfffe
	v_cndmask_b32_e64 v7, 0, 1, s22
	s_delay_alu instid0(VALU_DEP_1) | instskip(SKIP_2) | instid1(VALU_DEP_1)
	v_cmp_ne_u32_e64 s22, 0, v7
	v_cndmask_b32_e64 v7, 0, 1, s10
	s_bcnt1_i32_b32 s20, s22
	v_cmp_ne_u32_e64 s10, 0, v7
	v_cndmask_b32_e64 v7, 0, 1, s14
	s_bcnt1_i32_b32 s10, s10
	s_delay_alu instid0(VALU_DEP_1) | instskip(SKIP_4) | instid1(VALU_DEP_1)
	v_cmp_ne_u32_e64 s14, 0, v7
	v_cndmask_b32_e64 v7, 0, 1, s18
	s_wait_alu 0xfffe
	s_add_co_i32 s10, s10, s20
	s_bcnt1_i32_b32 s14, s14
	v_cmp_ne_u32_e64 s18, 0, v7
	v_cndmask_b32_e64 v7, 0, 1, s23
	s_wait_alu 0xfffe
	s_add_co_i32 s10, s10, s14
	s_bcnt1_i32_b32 s18, s18
	s_delay_alu instid0(VALU_DEP_1)
	v_cmp_ne_u32_e32 vcc_lo, 0, v7
	v_cndmask_b32_e64 v7, 0, 1, s5
	s_wait_alu 0xfffe
	s_add_co_i32 s24, s10, s18
	s_wait_alu 0xfffe
	s_add_nc_u64 s[94:95], s[94:95], s[24:25]
	s_bcnt1_i32_b32 s21, vcc_lo
	v_cmp_ne_u32_e64 s5, 0, v7
	v_cndmask_b32_e64 v7, 0, 1, s6
	s_wait_alu 0xfffe
	v_dual_mov_b32 v11, s94 :: v_dual_mov_b32 v12, s95
	s_bcnt1_i32_b32 s5, s5
	s_delay_alu instid0(VALU_DEP_2) | instskip(SKIP_4) | instid1(VALU_DEP_1)
	v_cmp_ne_u32_e64 s6, 0, v7
	v_cndmask_b32_e64 v7, 0, 1, s7
	s_wait_alu 0xfffe
	s_add_co_i32 s5, s5, s21
	s_bcnt1_i32_b32 s6, s6
	v_cmp_ne_u32_e64 s7, 0, v7
	s_wait_alu 0xfffe
	s_add_co_i32 s5, s5, s6
	v_dual_mov_b32 v7, s98 :: v_dual_mov_b32 v8, s99
	s_bcnt1_i32_b32 s7, s7
	s_wait_alu 0xfffe
	s_add_co_i32 s24, s5, s7
	s_or_b32 s51, s11, s51
	s_wait_alu 0xfffe
	s_add_nc_u64 s[92:93], s[92:93], s[24:25]
	s_wait_alu 0xfffe
	v_dual_mov_b32 v13, s92 :: v_dual_mov_b32 v14, s93
	s_and_not1_b32 exec_lo, exec_lo, s51
	s_cbranch_execnz .LBB30_74
; %bb.75:                               ;   in Loop: Header=BB30_32 Depth=1
	s_or_b32 exec_lo, exec_lo, s51
.LBB30_76:                              ;   in Loop: Header=BB30_32 Depth=1
	s_delay_alu instid0(SALU_CYCLE_1)
	s_or_b32 exec_lo, exec_lo, s50
	v_add_co_u32 v3, s5, s90, v0
	s_wait_alu 0xf1ff
	v_add_co_ci_u32_e64 v4, null, s91, 0, s5
	s_mov_b32 s9, exec_lo
	v_cmpx_gt_i64_e64 s[36:37], v[3:4]
	s_cbranch_execz .LBB30_82
; %bb.77:                               ;   in Loop: Header=BB30_32 Depth=1
	v_mul_lo_u32 v17, v4, s42
	v_mul_lo_u32 v38, v3, s43
	v_mad_co_u64_u32 v[36:37], null, v3, s42, 0
	v_mul_lo_u32 v55, v54, s80
	s_mov_b32 s10, 0
	s_delay_alu instid0(VALU_DEP_2) | instskip(SKIP_1) | instid1(VALU_DEP_2)
	v_add3_u32 v37, v37, v38, v17
	v_mul_lo_u32 v38, v54, s81
	v_lshlrev_b64_e32 v[36:37], 3, v[36:37]
	s_delay_alu instid0(VALU_DEP_2) | instskip(NEXT) | instid1(VALU_DEP_2)
	v_add_nc_u32_e32 v38, v38, v52
	v_add_co_u32 v36, vcc_lo, s72, v36
	s_wait_alu 0xfffd
	s_delay_alu instid0(VALU_DEP_3)
	v_add_co_ci_u32_e64 v37, null, s73, v37, vcc_lo
	v_add_co_u32 v17, vcc_lo, v49, v54
	global_load_b64 v[40:41], v[36:37], off
	s_wait_alu 0xfffd
	v_add_co_ci_u32_e64 v36, null, 0, v50, vcc_lo
	v_sub_co_u32 v17, vcc_lo, v17, s88
	s_wait_alu 0xfffd
	s_delay_alu instid0(VALU_DEP_2) | instskip(NEXT) | instid1(VALU_DEP_2)
	v_subrev_co_ci_u32_e64 v36, null, s89, v36, vcc_lo
	v_mul_lo_u32 v56, s81, v17
	s_delay_alu instid0(VALU_DEP_2) | instskip(SKIP_2) | instid1(VALU_DEP_2)
	v_mul_lo_u32 v39, s80, v36
	v_mad_co_u64_u32 v[36:37], null, s80, v17, s[78:79]
	v_mul_hi_u32 v17, v54, s80
	v_add3_u32 v37, v56, v37, v39
	s_delay_alu instid0(VALU_DEP_2)
	v_add_nc_u32_e32 v56, v38, v17
	s_branch .LBB30_79
.LBB30_78:                              ;   in Loop: Header=BB30_79 Depth=2
	s_wait_alu 0xfffe
	s_or_b32 exec_lo, exec_lo, s6
	s_wait_loadcnt 0x0
	v_xor_b32_e32 v41, 0x80000000, v41
	s_and_b32 s7, exec_lo, vcc_lo
	s_wait_alu 0xfffe
	s_or_b32 s10, s7, s10
	s_delay_alu instid0(VALU_DEP_1) | instskip(SKIP_2) | instid1(VALU_DEP_3)
	v_lshrrev_b64 v[57:58], s59, v[40:41]
	v_and_b32_e32 v40, v40, v32
	v_and_b32_e32 v41, v41, v33
	;; [unrolled: 1-line block ×3, first 2 shown]
	s_delay_alu instid0(VALU_DEP_2) | instskip(NEXT) | instid1(VALU_DEP_2)
	v_cmp_eq_u64_e64 s5, v[40:41], v[30:31]
	v_cmp_eq_u64_e64 s6, 0, v[17:18]
	v_cmp_eq_u64_e32 vcc_lo, 1, v[17:18]
	v_cmp_eq_u64_e64 s7, 2, v[17:18]
	v_cmp_eq_u64_e64 s8, 3, v[17:18]
	s_and_b32 s6, s5, s6
	s_wait_alu 0xfffe
	v_cndmask_b32_e64 v17, 0, 1, s6
	s_and_b32 s6, s5, vcc_lo
	s_wait_alu 0xfffe
	v_cndmask_b32_e64 v40, 0, 1, s6
	s_and_b32 s6, s5, s7
	s_and_b32 s5, s5, s8
	s_wait_alu 0xfffe
	v_cndmask_b32_e64 v41, 0, 1, s6
	v_cmp_ne_u32_e32 vcc_lo, 0, v17
	v_cndmask_b32_e64 v57, 0, 1, s5
	v_cmp_ne_u32_e64 s5, 0, v40
	s_delay_alu instid0(VALU_DEP_4)
	v_cmp_ne_u32_e64 s6, 0, v41
	s_bcnt1_i32_b32 s8, vcc_lo
	v_cmp_ne_u32_e64 s7, 0, v57
	s_bcnt1_i32_b32 s5, s5
	s_wait_alu 0xfffe
	v_add_co_u32 v7, vcc_lo, v7, s8
	s_bcnt1_i32_b32 s6, s6
	s_wait_alu 0xfffd
	v_add_co_ci_u32_e64 v8, null, 0, v8, vcc_lo
	v_add_co_u32 v9, vcc_lo, v9, s5
	s_wait_alu 0xfffd
	v_add_co_ci_u32_e64 v10, null, 0, v10, vcc_lo
	s_wait_alu 0xfffe
	v_add_co_u32 v11, vcc_lo, v11, s6
	s_bcnt1_i32_b32 s5, s7
	s_wait_alu 0xfffd
	v_add_co_ci_u32_e64 v12, null, 0, v12, vcc_lo
	s_wait_alu 0xfffe
	v_add_co_u32 v13, vcc_lo, v13, s5
	s_wait_alu 0xfffd
	v_add_co_ci_u32_e64 v14, null, 0, v14, vcc_lo
	v_add_co_u32 v36, vcc_lo, v36, v55
	v_mov_b32_e32 v41, v39
	s_wait_alu 0xfffd
	v_add_co_ci_u32_e64 v37, null, v37, v56, vcc_lo
	v_mov_b32_e32 v40, v38
	s_and_not1_b32 exec_lo, exec_lo, s10
	s_cbranch_execz .LBB30_81
.LBB30_79:                              ;   Parent Loop BB30_32 Depth=1
                                        ; =>  This Inner Loop Header: Depth=2
	v_add_co_u32 v3, vcc_lo, v3, v54
	v_mov_b32_e32 v38, 0
	s_wait_alu 0xfffd
	v_add_co_ci_u32_e64 v4, null, 0, v4, vcc_lo
	v_mov_b32_e32 v39, 0
	s_mov_b32 s6, exec_lo
	s_delay_alu instid0(VALU_DEP_2)
	v_cmp_le_i64_e32 vcc_lo, s[36:37], v[3:4]
	v_cmpx_gt_i64_e64 s[36:37], v[3:4]
	s_cbranch_execz .LBB30_78
; %bb.80:                               ;   in Loop: Header=BB30_79 Depth=2
	global_load_b64 v[38:39], v[36:37], off
	s_branch .LBB30_78
.LBB30_81:                              ;   in Loop: Header=BB30_32 Depth=1
	s_or_b32 exec_lo, exec_lo, s10
.LBB30_82:                              ;   in Loop: Header=BB30_32 Depth=1
	s_wait_alu 0xfffe
	s_or_b32 exec_lo, exec_lo, s9
	s_branch .LBB30_61
.LBB30_83:                              ;   in Loop: Header=BB30_32 Depth=1
	global_load_u16 v3, v18, s[38:39]
	s_mov_b32 s94, exec_lo
	v_mov_b32_e32 v7, 0
	v_dual_mov_b32 v8, 0 :: v_dual_mov_b32 v9, 0
	v_dual_mov_b32 v10, 0 :: v_dual_mov_b32 v11, 0
	;; [unrolled: 1-line block ×3, first 2 shown]
	v_mov_b32_e32 v14, 0
	s_wait_loadcnt 0x0
	v_readfirstlane_b32 s5, v3
	v_and_b32_e32 v38, 0xffff, v3
	s_and_b32 s50, 0xffff, s5
	s_wait_alu 0xfffe
	s_lshl_b32 s85, s50, 2
	s_wait_alu 0xfffe
	s_cvt_f32_u32 s5, s85
	s_sub_co_i32 s6, 0, s85
	s_wait_alu 0xfffe
	s_delay_alu instid0(SALU_CYCLE_1) | instskip(NEXT) | instid1(TRANS32_DEP_1)
	v_rcp_iflag_f32_e32 v4, s5
	v_readfirstlane_b32 s5, v4
	s_mul_f32 s5, s5, 0x4f7ffffe
	s_wait_alu 0xfffe
	s_delay_alu instid0(SALU_CYCLE_2) | instskip(SKIP_1) | instid1(SALU_CYCLE_2)
	s_cvt_u32_f32 s5, s5
	s_wait_alu 0xfffe
	s_mul_i32 s6, s6, s5
	s_wait_alu 0xfffe
	s_mul_hi_u32 s6, s5, s6
	s_wait_alu 0xfffe
	s_add_co_i32 s5, s5, s6
	s_wait_alu 0xfffe
	s_mul_hi_u32 s5, s84, s5
	s_wait_alu 0xfffe
	s_mul_i32 s6, s5, s85
	s_add_co_i32 s7, s5, 1
	s_wait_alu 0xfffe
	s_sub_co_i32 s6, s84, s6
	s_wait_alu 0xfffe
	s_sub_co_i32 s8, s6, s85
	s_cmp_ge_u32 s6, s85
	s_cselect_b32 s5, s7, s5
	s_wait_alu 0xfffe
	s_cselect_b32 s6, s8, s6
	s_add_co_i32 s7, s5, 1
	s_wait_alu 0xfffe
	s_cmp_ge_u32 s6, s85
	s_cselect_b32 s51, s7, s5
	s_wait_alu 0xfffe
	v_mul_hi_u32 v4, s51, v38
	v_mul_lo_u32 v3, s51, v38
	s_delay_alu instid0(VALU_DEP_1) | instskip(NEXT) | instid1(VALU_DEP_1)
	v_lshlrev_b64_e32 v[3:4], 2, v[3:4]
	v_cmpx_gt_u64_e64 v[3:4], v[21:22]
	s_cbranch_execz .LBB30_87
; %bb.84:                               ;   in Loop: Header=BB30_32 Depth=1
	v_mov_b32_e32 v37, v22
	v_dual_mov_b32 v39, v46 :: v_dual_mov_b32 v36, v21
	s_lshl_b32 s95, s50, 5
	s_mov_b64 s[86:87], 0
	s_mov_b32 s96, 0
	s_mov_b64 s[88:89], 0
	s_mov_b64 s[90:91], 0
	s_mov_b64 s[92:93], 0
.LBB30_85:                              ;   Parent Loop BB30_32 Depth=1
                                        ; =>  This Inner Loop Header: Depth=2
	ds_load_b128 v[7:10], v39
	v_add_co_u32 v36, s16, v36, s85
	s_wait_alu 0xf1ff
	v_add_co_ci_u32_e64 v37, null, 0, v37, s16
	s_delay_alu instid0(VALU_DEP_1)
	v_cmp_ge_u64_e64 s16, v[36:37], v[3:4]
	s_wait_dscnt 0x0
	v_xor_b32_e32 v8, 0x80000000, v8
	v_xor_b32_e32 v10, 0x80000000, v10
	v_and_b32_e32 v11, v7, v32
	v_and_b32_e32 v13, v9, v32
	s_delay_alu instid0(VALU_DEP_4) | instskip(NEXT) | instid1(VALU_DEP_4)
	v_and_b32_e32 v12, v8, v33
	v_and_b32_e32 v14, v10, v33
	v_lshrrev_b64 v[40:41], s59, v[7:8]
	v_lshrrev_b64 v[54:55], s59, v[9:10]
	ds_load_b128 v[7:10], v39 offset:16
	s_wait_alu 0xfffe
	v_add_nc_u32_e32 v39, s95, v39
	v_and_b32_e32 v17, 3, v40
	s_delay_alu instid0(VALU_DEP_1)
	v_cmp_eq_u64_e64 s17, 0, v[17:18]
	v_cmp_eq_u64_e64 s19, 1, v[17:18]
	;; [unrolled: 1-line block ×4, first 2 shown]
	s_wait_dscnt 0x0
	v_xor_b32_e32 v8, 0x80000000, v8
	v_xor_b32_e32 v10, 0x80000000, v10
	v_and_b32_e32 v55, v7, v32
	v_and_b32_e32 v57, v9, v32
	s_delay_alu instid0(VALU_DEP_4)
	v_and_b32_e32 v56, v8, v33
	v_lshrrev_b64 v[7:8], s59, v[7:8]
	v_lshrrev_b64 v[8:9], s59, v[9:10]
	v_and_b32_e32 v58, v10, v33
	v_dual_mov_b32 v10, v18 :: v_dual_and_b32 v9, 3, v54
	v_cmp_eq_u64_e32 vcc_lo, v[11:12], v[30:31]
	v_cmp_eq_u64_e64 s6, v[55:56], v[30:31]
	s_delay_alu instid0(VALU_DEP_4) | instskip(NEXT) | instid1(VALU_DEP_4)
	v_cmp_eq_u64_e64 s7, v[57:58], v[30:31]
	v_cmp_eq_u64_e64 s8, 0, v[9:10]
	;; [unrolled: 1-line block ×5, first 2 shown]
	v_and_b32_e32 v9, 3, v7
	v_dual_mov_b32 v8, v18 :: v_dual_and_b32 v7, 3, v8
	v_cmp_eq_u64_e64 s5, v[13:14], v[30:31]
	s_and_b32 s17, vcc_lo, s17
	v_cmp_eq_u64_e64 s12, 0, v[9:10]
	v_cmp_eq_u64_e64 s13, 1, v[9:10]
	;; [unrolled: 1-line block ×6, first 2 shown]
	s_and_b32 s8, s5, s8
	s_wait_alu 0xfffe
	v_cndmask_b32_e64 v7, 0, 1, s17
	v_cndmask_b32_e64 v8, 0, 1, s8
	s_and_b32 s12, s6, s12
	v_cmp_eq_u64_e64 s14, 2, v[9:10]
	v_cmp_eq_u64_e64 s15, 3, v[9:10]
	s_and_b32 s18, s7, s18
	s_and_b32 s19, vcc_lo, s19
	s_and_b32 s21, vcc_lo, s21
	;; [unrolled: 1-line block ×3, first 2 shown]
	v_cmp_ne_u32_e32 vcc_lo, 0, v7
	s_wait_alu 0xfffe
	v_cndmask_b32_e64 v7, 0, 1, s12
	s_and_b32 s9, s5, s9
	s_and_b32 s97, s5, s10
	s_and_b32 s98, s5, s11
	v_cmp_ne_u32_e64 s5, 0, v8
	v_cndmask_b32_e64 v8, 0, 1, s18
	s_and_b32 s13, s6, s13
	s_and_b32 s14, s6, s14
	s_and_b32 s99, s6, s15
	v_cmp_ne_u32_e64 s6, 0, v7
	v_cndmask_b32_e64 v7, 0, 1, s19
	s_and_b32 s20, s7, s20
	s_and_b32 s22, s7, s22
	s_and_b32 s24, s7, s24
	v_cmp_ne_u32_e64 s7, 0, v8
	s_wait_alu 0xfffe
	v_cndmask_b32_e64 v8, 0, 1, s9
	v_cmp_ne_u32_e64 s8, 0, v7
	v_cndmask_b32_e64 v7, 0, 1, s13
	s_bcnt1_i32_b32 s5, s5
	s_bcnt1_i32_b32 s6, s6
	v_cmp_ne_u32_e64 s9, 0, v8
	v_cndmask_b32_e64 v8, 0, 1, s20
	v_cmp_ne_u32_e64 s10, 0, v7
	v_cndmask_b32_e64 v7, 0, 1, s21
	s_bcnt1_i32_b32 s21, vcc_lo
	s_bcnt1_i32_b32 s8, s8
	v_cmp_ne_u32_e64 s11, 0, v8
	v_cndmask_b32_e64 v8, 0, 1, s97
	v_cmp_ne_u32_e64 s12, 0, v7
	v_cndmask_b32_e64 v7, 0, 1, s14
	s_bcnt1_i32_b32 s9, s9
	s_wait_alu 0xfffe
	s_add_co_i32 s5, s5, s21
	v_cmp_ne_u32_e64 s13, 0, v8
	v_cndmask_b32_e64 v8, 0, 1, s22
	v_cmp_ne_u32_e64 s14, 0, v7
	v_cndmask_b32_e64 v7, 0, 1, s23
	s_bcnt1_i32_b32 s7, s7
	s_bcnt1_i32_b32 s10, s10
	v_cmp_ne_u32_e64 s15, 0, v8
	v_cndmask_b32_e64 v8, 0, 1, s98
	v_cmp_ne_u32_e64 s17, 0, v7
	v_cndmask_b32_e64 v7, 0, 1, s99
	s_bcnt1_i32_b32 s12, s12
	s_bcnt1_i32_b32 s13, s13
	v_cmp_ne_u32_e64 s18, 0, v8
	v_cndmask_b32_e64 v8, 0, 1, s24
	v_cmp_ne_u32_e64 s19, 0, v7
	s_add_co_i32 s8, s9, s8
	s_wait_alu 0xfffe
	s_add_co_i32 s5, s5, s6
	s_bcnt1_i32_b32 s11, s11
	v_cmp_ne_u32_e64 s20, 0, v8
	s_bcnt1_i32_b32 s14, s14
	s_bcnt1_i32_b32 s17, s17
	;; [unrolled: 1-line block ×3, first 2 shown]
	s_add_co_i32 s9, s13, s12
	s_add_co_i32 s6, s8, s10
	s_wait_alu 0xfffe
	s_add_co_i32 s24, s5, s7
	s_bcnt1_i32_b32 s15, s15
	s_bcnt1_i32_b32 s19, s19
	s_add_co_i32 s12, s18, s17
	s_add_co_i32 s8, s9, s14
	s_wait_alu 0xfffe
	s_add_nc_u64 s[92:93], s[92:93], s[24:25]
	s_add_co_i32 s24, s6, s11
	s_bcnt1_i32_b32 s20, s20
	s_add_co_i32 s9, s12, s19
	s_wait_alu 0xfffe
	s_add_nc_u64 s[90:91], s[90:91], s[24:25]
	s_add_co_i32 s24, s8, s15
	v_mov_b32_e32 v7, s92
	s_wait_alu 0xfffe
	s_add_nc_u64 s[88:89], s[88:89], s[24:25]
	s_add_co_i32 s24, s9, s20
	v_mov_b32_e32 v9, s90
	s_wait_alu 0xfffe
	s_add_nc_u64 s[86:87], s[86:87], s[24:25]
	v_mov_b32_e32 v11, s88
	s_wait_alu 0xfffe
	v_dual_mov_b32 v13, s86 :: v_dual_mov_b32 v8, s93
	v_mov_b32_e32 v10, s91
	v_mov_b32_e32 v12, s89
	;; [unrolled: 1-line block ×3, first 2 shown]
	s_or_b32 s96, s16, s96
	s_wait_alu 0xfffe
	s_and_not1_b32 exec_lo, exec_lo, s96
	s_cbranch_execnz .LBB30_85
; %bb.86:                               ;   in Loop: Header=BB30_32 Depth=1
	s_or_b32 exec_lo, exec_lo, s96
.LBB30_87:                              ;   in Loop: Header=BB30_32 Depth=1
	s_delay_alu instid0(SALU_CYCLE_1)
	s_or_b32 exec_lo, exec_lo, s94
	v_add_co_u32 v3, vcc_lo, v3, v0
	s_wait_alu 0xfffd
	v_add_co_ci_u32_e64 v4, null, 0, v4, vcc_lo
	s_and_b32 s24, s84, 0x7fffffff
	s_mov_b32 s10, exec_lo
	s_wait_alu 0xfffe
	v_cmpx_gt_u64_e64 s[24:25], v[3:4]
	s_cbranch_execz .LBB30_91
; %bb.88:                               ;   in Loop: Header=BB30_32 Depth=1
	s_mul_i32 s51, s51, s50
	s_lshl_b32 s12, s50, 3
	s_wait_alu 0xfffe
	v_lshl_add_u32 v36, s51, 5, v43
	s_mov_b32 s11, 0
.LBB30_89:                              ;   Parent Loop BB30_32 Depth=1
                                        ; =>  This Inner Loop Header: Depth=2
	ds_load_b64 v[39:40], v36
	v_add_co_u32 v3, vcc_lo, v3, v38
	s_wait_alu 0xfffd
	v_add_co_ci_u32_e64 v4, null, 0, v4, vcc_lo
	v_add_nc_u32_e32 v36, s12, v36
	s_delay_alu instid0(VALU_DEP_2) | instskip(SKIP_3) | instid1(VALU_DEP_2)
	v_cmp_le_u64_e32 vcc_lo, s[24:25], v[3:4]
	s_wait_dscnt 0x0
	v_xor_b32_e32 v40, 0x80000000, v40
	v_and_b32_e32 v54, v39, v32
	v_and_b32_e32 v55, v40, v33
	v_lshrrev_b64 v[39:40], s59, v[39:40]
	s_delay_alu instid0(VALU_DEP_2) | instskip(NEXT) | instid1(VALU_DEP_2)
	v_cmp_eq_u64_e64 s5, v[54:55], v[30:31]
	v_and_b32_e32 v17, 3, v39
	s_delay_alu instid0(VALU_DEP_1)
	v_cmp_eq_u64_e64 s6, 0, v[17:18]
	v_cmp_eq_u64_e64 s7, 1, v[17:18]
	;; [unrolled: 1-line block ×4, first 2 shown]
	s_and_b32 s6, s5, s6
	s_wait_alu 0xfffe
	v_cndmask_b32_e64 v17, 0, 1, s6
	s_and_b32 s6, s5, s7
	s_wait_alu 0xfffe
	v_cndmask_b32_e64 v37, 0, 1, s6
	s_and_b32 s6, s5, s8
	s_and_b32 s5, s5, s9
	s_wait_alu 0xfffe
	v_cndmask_b32_e64 v39, 0, 1, s6
	v_cndmask_b32_e64 v40, 0, 1, s5
	v_cmp_ne_u32_e64 s5, 0, v17
	v_cmp_ne_u32_e64 s6, 0, v37
	s_delay_alu instid0(VALU_DEP_4) | instskip(NEXT) | instid1(VALU_DEP_4)
	v_cmp_ne_u32_e64 s7, 0, v39
	v_cmp_ne_u32_e64 s8, 0, v40
	s_bcnt1_i32_b32 s5, s5
	s_bcnt1_i32_b32 s6, s6
	s_wait_alu 0xfffe
	v_add_co_u32 v7, s5, v7, s5
	s_bcnt1_i32_b32 s7, s7
	v_add_co_ci_u32_e64 v8, null, 0, v8, s5
	v_add_co_u32 v9, s5, v9, s6
	s_bcnt1_i32_b32 s8, s8
	v_add_co_ci_u32_e64 v10, null, 0, v10, s5
	s_wait_alu 0xfffe
	v_add_co_u32 v11, s5, v11, s7
	s_wait_alu 0xf1ff
	v_add_co_ci_u32_e64 v12, null, 0, v12, s5
	v_add_co_u32 v13, s5, v13, s8
	s_wait_alu 0xf1ff
	v_add_co_ci_u32_e64 v14, null, 0, v14, s5
	s_or_b32 s11, vcc_lo, s11
	s_wait_alu 0xfffe
	s_and_not1_b32 exec_lo, exec_lo, s11
	s_cbranch_execnz .LBB30_89
; %bb.90:                               ;   in Loop: Header=BB30_32 Depth=1
	s_or_b32 exec_lo, exec_lo, s11
.LBB30_91:                              ;   in Loop: Header=BB30_32 Depth=1
	s_delay_alu instid0(SALU_CYCLE_1)
	s_or_b32 exec_lo, exec_lo, s10
	s_lshl_b32 s5, s61, 7
	s_and_saveexec_b32 s6, s1
	s_cbranch_execnz .LBB30_62
	s_branch .LBB30_63
.LBB30_92:                              ;   in Loop: Header=BB30_32 Depth=1
                                        ; implicit-def: $sgpr88_sgpr89
	s_branch .LBB30_71
.LBB30_93:                              ;   in Loop: Header=BB30_32 Depth=1
	s_wait_alu 0xfffe
	s_or_b32 exec_lo, exec_lo, s8
	s_wait_loadcnt_dscnt 0x0
	s_barrier_signal -1
	s_barrier_wait -1
	global_inv scope:SCOPE_SE
	s_and_saveexec_b32 s5, s2
	s_cbranch_execz .LBB30_95
; %bb.94:                               ;   in Loop: Header=BB30_32 Depth=1
	ds_load_b32 v3, v18 offset:5136
	s_wait_dscnt 0x0
	v_ashrrev_i32_e32 v4, 31, v3
	ds_store_b64 v18, v[3:4] offset:5120
.LBB30_95:                              ;   in Loop: Header=BB30_32 Depth=1
	s_wait_alu 0xfffe
	s_or_b32 exec_lo, exec_lo, s5
	s_wait_loadcnt_dscnt 0x0
	s_barrier_signal -1
	s_mov_b32 s5, -1
	s_barrier_wait -1
	s_and_b32 vcc_lo, exec_lo, s7
	s_wait_alu 0xfffe
	s_cbranch_vccnz .LBB30_48
	s_branch .LBB30_57
.LBB30_96:                              ;   in Loop: Header=BB30_32 Depth=1
	s_mov_b32 s7, 0
	s_and_not1_b32 vcc_lo, exec_lo, vcc_hi
	s_wait_alu 0xfffe
	s_cbranch_vccnz .LBB30_99
.LBB30_97:                              ;   in Loop: Header=BB30_32 Depth=1
	s_lshl_b32 s8, s61, 10
	s_lshl_b32 s7, s7, 5
	s_wait_alu 0xfffe
	v_add3_u32 v7, s8, s7, v51
	s_mov_b32 s7, s102
.LBB30_98:                              ;   Parent Loop BB30_32 Depth=1
                                        ; =>  This Inner Loop Header: Depth=2
	ds_load_b64 v[8:9], v7
	v_add_nc_u32_e32 v7, 32, v7
	s_wait_alu 0xfffe
	s_add_co_i32 s7, s7, -1
	s_wait_alu 0xfffe
	s_cmp_lg_u32 s7, 0
	s_wait_dscnt 0x0
	v_add_co_u32 v3, vcc_lo, v8, v3
	s_wait_alu 0xfffd
	v_add_co_ci_u32_e64 v4, null, v9, v4, vcc_lo
	s_cbranch_scc1 .LBB30_98
.LBB30_99:                              ;   in Loop: Header=BB30_32 Depth=1
	v_add_lshl_u32 v7, s5, v42, 3
	ds_store_b64 v7, v[3:4] offset:3072
.LBB30_100:                             ;   in Loop: Header=BB30_32 Depth=1
	s_wait_alu 0xfffe
	s_or_b32 exec_lo, exec_lo, s6
	s_lshl_b32 s5, s5, 3
	s_wait_loadcnt_dscnt 0x0
	s_wait_alu 0xfffe
	v_mov_b32_e32 v3, s5
	s_barrier_signal -1
	s_barrier_wait -1
	global_inv scope:SCOPE_SE
	v_cmp_eq_u64_e32 vcc_lo, 1, v[34:35]
	ds_load_b128 v[7:10], v3 offset:3072
	ds_load_b128 v[11:14], v3 offset:3088
	s_lshl_b64 s[8:9], 3, s59
	s_mov_b32 s21, -1
	s_wait_alu 0xfffe
	s_not_b64 s[12:13], s[8:9]
                                        ; implicit-def: $sgpr19
                                        ; implicit-def: $sgpr18
	s_wait_dscnt 0x1
	v_cmp_eq_u64_e64 s5, 1, v[7:8]
	s_wait_dscnt 0x0
	v_readfirstlane_b32 s10, v11
	v_readfirstlane_b32 s11, v12
	;; [unrolled: 1-line block ×4, first 2 shown]
	s_and_b32 s22, s5, vcc_lo
	s_mov_b32 s5, -1
	s_wait_alu 0xfffe
	s_and_saveexec_b32 s20, s22
	s_cbranch_execz .LBB30_132
; %bb.101:                              ;   in Loop: Header=BB30_32 Depth=1
	ds_load_b64 v[3:4], v18 offset:5120
	s_wait_loadcnt_dscnt 0x0
	s_barrier_signal -1
	s_barrier_wait -1
	global_inv scope:SCOPE_SE
	v_readfirstlane_b32 s14, v3
	v_readfirstlane_b32 s15, v4
	s_and_saveexec_b32 s5, s3
; %bb.102:                              ;   in Loop: Header=BB30_32 Depth=1
	v_mov_b32_e32 v17, v18
	ds_store_b64 v44, v[17:18]
; %bb.103:                              ;   in Loop: Header=BB30_32 Depth=1
	s_wait_alu 0xfffe
	s_or_b32 exec_lo, exec_lo, s5
	v_cmp_lt_i64_e64 s5, s[14:15], 1
	v_and_b32_e32 v31, s13, v31
	v_and_b32_e32 v30, s12, v30
	v_or_b32_e32 v33, s9, v33
	v_or_b32_e32 v32, s8, v32
	s_mov_b32 s18, -1
	s_mov_b32 s19, 0
	s_and_b32 vcc_lo, exec_lo, s5
	s_mov_b32 s5, 0
	s_mov_b32 s23, -1
	s_wait_loadcnt_dscnt 0x0
	s_barrier_signal -1
	s_barrier_wait -1
	global_inv scope:SCOPE_SE
                                        ; implicit-def: $vgpr5_vgpr6
	s_wait_alu 0xfffe
	s_cbranch_vccz .LBB30_117
; %bb.104:                              ;   in Loop: Header=BB30_32 Depth=1
	s_mov_b32 s16, s25
	s_mov_b32 s17, s77
	s_wait_alu 0xfffe
	s_cmp_lg_u64 s[16:17], 0
	s_cbranch_scc0 .LBB30_158
; %bb.105:                              ;   in Loop: Header=BB30_32 Depth=1
	s_add_nc_u64 s[16:17], s[68:69], 0
	s_wait_alu 0xfffe
	s_xor_b64 s[16:17], s[16:17], 0
	s_wait_alu 0xfffe
	s_cvt_f32_u32 s5, s16
	s_cvt_f32_u32 s23, s17
	s_sub_nc_u64 s[84:85], 0, s[16:17]
	s_wait_alu 0xfffe
	s_delay_alu instid0(SALU_CYCLE_1) | instskip(SKIP_1) | instid1(SALU_CYCLE_2)
	s_fmamk_f32 s5, s23, 0x4f800000, s5
	s_wait_alu 0xfffe
	v_s_rcp_f32 s5, s5
	s_delay_alu instid0(TRANS32_DEP_1) | instskip(SKIP_1) | instid1(SALU_CYCLE_2)
	s_mul_f32 s5, s5, 0x5f7ffffc
	s_wait_alu 0xfffe
	s_mul_f32 s23, s5, 0x2f800000
	s_wait_alu 0xfffe
	s_delay_alu instid0(SALU_CYCLE_2) | instskip(SKIP_1) | instid1(SALU_CYCLE_2)
	s_trunc_f32 s23, s23
	s_wait_alu 0xfffe
	s_fmamk_f32 s5, s23, 0xcf800000, s5
	s_cvt_u32_f32 s51, s23
	s_wait_alu 0xfffe
	s_delay_alu instid0(SALU_CYCLE_1) | instskip(SKIP_1) | instid1(SALU_CYCLE_2)
	s_cvt_u32_f32 s50, s5
	s_wait_alu 0xfffe
	s_mul_u64 s[86:87], s[84:85], s[50:51]
	s_wait_alu 0xfffe
	s_mul_hi_u32 s89, s50, s87
	s_mul_i32 s88, s50, s87
	s_mul_hi_u32 s24, s50, s86
	s_mul_i32 s23, s51, s86
	s_wait_alu 0xfffe
	s_add_nc_u64 s[88:89], s[24:25], s[88:89]
	s_mul_hi_u32 s5, s51, s86
	s_mul_hi_u32 s90, s51, s87
	s_wait_alu 0xfffe
	s_add_co_u32 s23, s88, s23
	s_add_co_ci_u32 s24, s89, s5
	s_mul_i32 s86, s51, s87
	s_add_co_ci_u32 s87, s90, 0
	s_wait_alu 0xfffe
	s_add_nc_u64 s[86:87], s[24:25], s[86:87]
	s_wait_alu 0xfffe
	s_add_co_u32 s50, s50, s86
	s_cselect_b32 s5, -1, 0
	s_wait_alu 0xfffe
	s_cmp_lg_u32 s5, 0
	s_add_co_ci_u32 s51, s51, s87
	s_wait_alu 0xfffe
	s_mul_u64 s[84:85], s[84:85], s[50:51]
	s_wait_alu 0xfffe
	s_mul_hi_u32 s87, s50, s85
	s_mul_i32 s86, s50, s85
	s_mul_hi_u32 s24, s50, s84
	s_mul_i32 s23, s51, s84
	s_wait_alu 0xfffe
	s_add_nc_u64 s[86:87], s[24:25], s[86:87]
	s_mul_hi_u32 s5, s51, s84
	s_mul_hi_u32 s88, s51, s85
	s_wait_alu 0xfffe
	s_add_co_u32 s23, s86, s23
	s_add_co_ci_u32 s24, s87, s5
	s_mul_i32 s84, s51, s85
	s_add_co_ci_u32 s85, s88, 0
	s_wait_alu 0xfffe
	s_add_nc_u64 s[84:85], s[24:25], s[84:85]
	s_wait_alu 0xfffe
	s_add_co_u32 s5, s50, s84
	s_cselect_b32 s23, -1, 0
	s_wait_alu 0xfffe
	s_cmp_lg_u32 s23, 0
	s_add_co_ci_u32 s23, s51, s85
	s_ashr_i32 s50, s77, 31
	s_wait_alu 0xfffe
	s_mov_b32 s51, s50
	s_wait_alu 0xfffe
	s_add_nc_u64 s[84:85], s[76:77], s[50:51]
	s_wait_alu 0xfffe
	s_xor_b64 s[84:85], s[84:85], s[50:51]
	s_wait_alu 0xfffe
	s_mul_hi_u32 s87, s84, s23
	s_mul_i32 s86, s84, s23
	s_mul_hi_u32 s24, s84, s5
	s_mul_hi_u32 s90, s85, s5
	s_mul_i32 s5, s85, s5
	s_wait_alu 0xfffe
	s_add_nc_u64 s[86:87], s[24:25], s[86:87]
	s_mul_hi_u32 s89, s85, s23
	s_wait_alu 0xfffe
	s_add_co_u32 s5, s86, s5
	s_add_co_ci_u32 s24, s87, s90
	s_mul_i32 s88, s85, s23
	s_add_co_ci_u32 s89, s89, 0
	s_wait_alu 0xfffe
	s_add_nc_u64 s[86:87], s[24:25], s[88:89]
	s_wait_alu 0xfffe
	s_mul_u64 s[86:87], s[16:17], s[86:87]
	s_wait_alu 0xfffe
	s_sub_co_u32 s5, s84, s86
	s_cselect_b32 s23, -1, 0
	s_sub_co_i32 s24, s85, s87
	s_wait_alu 0xfffe
	s_cmp_lg_u32 s23, 0
	s_sub_co_ci_u32 s24, s24, s17
	s_sub_co_u32 s84, s5, s16
	s_cselect_b32 s86, -1, 0
	s_wait_alu 0xfffe
	s_cmp_lg_u32 s86, 0
	s_sub_co_ci_u32 s88, s24, 0
	s_wait_alu 0xfffe
	s_cmp_ge_u32 s88, s17
	s_cselect_b32 s89, -1, 0
	s_cmp_ge_u32 s84, s16
	s_cselect_b32 s90, -1, 0
	s_cmp_eq_u32 s88, s17
	s_wait_alu 0xfffe
	s_cselect_b32 s89, s90, s89
	s_cmp_lg_u32 s86, 0
	s_sub_co_ci_u32 s24, s24, s17
	s_sub_co_u32 s86, s84, s16
	s_cselect_b32 s90, -1, 0
	s_wait_alu 0xfffe
	s_cmp_lg_u32 s90, 0
	s_sub_co_ci_u32 s24, s24, 0
	s_cmp_lg_u32 s89, 0
	s_cselect_b32 s84, s86, s84
	s_wait_alu 0xfffe
	s_cselect_b32 s24, s24, s88
	s_cmp_lg_u32 s23, 0
	s_sub_co_ci_u32 s23, s85, s87
	s_wait_alu 0xfffe
	s_cmp_ge_u32 s23, s17
	s_cselect_b32 s85, -1, 0
	s_cmp_ge_u32 s5, s16
	s_cselect_b32 s16, -1, 0
	s_cmp_eq_u32 s23, s17
	s_wait_alu 0xfffe
	s_cselect_b32 s16, s16, s85
	s_wait_alu 0xfffe
	s_cmp_lg_u32 s16, 0
	s_cselect_b32 s17, s24, s23
	s_cselect_b32 s16, s84, s5
	s_wait_alu 0xfffe
	s_xor_b64 s[16:17], s[16:17], s[50:51]
	s_wait_alu 0xfffe
	s_sub_nc_u64 s[16:17], s[16:17], s[50:51]
	s_cbranch_execnz .LBB30_107
.LBB30_106:                             ;   in Loop: Header=BB30_32 Depth=1
	v_cvt_f32_u32_e32 v3, s68
	s_sub_co_i32 s16, 0, s68
	s_delay_alu instid0(VALU_DEP_1) | instskip(NEXT) | instid1(TRANS32_DEP_1)
	v_rcp_iflag_f32_e32 v3, v3
	v_mul_f32_e32 v3, 0x4f7ffffe, v3
	s_delay_alu instid0(VALU_DEP_1) | instskip(NEXT) | instid1(VALU_DEP_1)
	v_cvt_u32_f32_e32 v3, v3
	v_readfirstlane_b32 s5, v3
	s_wait_alu 0xfffe
	s_mul_i32 s16, s16, s5
	s_wait_alu 0xfffe
	s_mul_hi_u32 s16, s5, s16
	s_wait_alu 0xfffe
	s_add_co_i32 s5, s5, s16
	s_wait_alu 0xfffe
	s_mul_hi_u32 s5, s76, s5
	s_wait_alu 0xfffe
	s_mul_i32 s5, s5, s68
	s_wait_alu 0xfffe
	s_sub_co_i32 s5, s76, s5
	s_wait_alu 0xfffe
	s_sub_co_i32 s16, s5, s68
	s_cmp_ge_u32 s5, s68
	s_wait_alu 0xfffe
	s_cselect_b32 s5, s16, s5
	s_wait_alu 0xfffe
	s_sub_co_i32 s16, s5, s68
	s_cmp_ge_u32 s5, s68
	s_wait_alu 0xfffe
	s_cselect_b32 s24, s16, s5
	s_wait_alu 0xfffe
	s_mov_b64 s[16:17], s[24:25]
.LBB30_107:                             ;   in Loop: Header=BB30_32 Depth=1
	s_wait_alu 0xfffe
	s_sub_nc_u64 s[16:17], s[76:77], s[16:17]
	s_mov_b32 s23, 0
	s_mov_b32 s5, 0
	s_mov_b32 s24, exec_lo
                                        ; implicit-def: $vgpr5_vgpr6
	s_wait_alu 0xfffe
	v_cmpx_gt_i64_e64 s[16:17], v[0:1]
	s_cbranch_execz .LBB30_116
; %bb.108:                              ;   in Loop: Header=BB30_32 Depth=1
	v_dual_mov_b32 v11, v15 :: v_dual_mov_b32 v12, v16
	v_dual_mov_b32 v14, v1 :: v_dual_mov_b32 v13, v0
	s_mov_b32 s50, 0
                                        ; implicit-def: $sgpr51
	s_branch .LBB30_111
.LBB30_109:                             ;   in Loop: Header=BB30_111 Depth=2
	s_wait_alu 0xfffe
	s_or_b32 exec_lo, exec_lo, s5
	s_wait_loadcnt_dscnt 0x0
	s_barrier_signal -1
	s_barrier_wait -1
	global_inv scope:SCOPE_SE
	ds_load_b128 v[3:6], v18 offset:3072
	s_mov_b32 s5, -1
	s_mov_b32 s84, -1
	s_wait_loadcnt_dscnt 0x0
	s_barrier_signal -1
	s_barrier_wait -1
	global_inv scope:SCOPE_SE
	v_cmp_ne_u64_e32 vcc_lo, 0, v[3:4]
	s_cbranch_vccz .LBB30_114
.LBB30_110:                             ;   in Loop: Header=BB30_111 Depth=2
	s_wait_alu 0xfffe
	s_and_b32 s5, exec_lo, s5
	s_wait_alu 0xfffe
	s_or_b32 s50, s5, s50
	s_and_not1_b32 s5, s51, exec_lo
	s_and_b32 s51, s84, exec_lo
	s_wait_alu 0xfffe
	s_or_b32 s51, s5, s51
	s_and_not1_b32 exec_lo, exec_lo, s50
	s_cbranch_execz .LBB30_115
.LBB30_111:                             ;   Parent Loop BB30_32 Depth=1
                                        ; =>  This Inner Loop Header: Depth=2
	s_mov_b32 s5, exec_lo
	s_delay_alu instid0(VALU_DEP_1)
	v_cmpx_gt_i64_e64 s[36:37], v[13:14]
	s_cbranch_execz .LBB30_109
; %bb.112:                              ;   in Loop: Header=BB30_111 Depth=2
	global_load_b64 v[4:5], v[11:12], off
	s_wait_loadcnt 0x0
	v_xor_b32_e32 v3, 0x80000000, v5
	v_and_b32_e32 v36, v4, v32
	s_delay_alu instid0(VALU_DEP_2) | instskip(NEXT) | instid1(VALU_DEP_1)
	v_and_b32_e32 v37, v3, v33
	v_cmp_eq_u64_e32 vcc_lo, v[36:37], v[30:31]
	s_and_b32 exec_lo, exec_lo, vcc_lo
	s_cbranch_execz .LBB30_109
; %bb.113:                              ;   in Loop: Header=BB30_111 Depth=2
	v_mov_b32_e32 v3, v18
	ds_store_b128 v18, v[2:5] offset:3072
	s_branch .LBB30_109
.LBB30_114:                             ;   in Loop: Header=BB30_111 Depth=2
	v_add_co_u32 v13, vcc_lo, v13, s68
	s_wait_alu 0xfffd
	v_add_co_ci_u32_e64 v14, null, 0, v14, vcc_lo
	v_add_co_u32 v11, s5, v11, s70
	s_wait_alu 0xf1fe
	v_add_co_ci_u32_e64 v12, null, s71, v12, s5
	s_delay_alu instid0(VALU_DEP_3)
	v_cmp_le_i64_e32 vcc_lo, s[16:17], v[13:14]
	s_mov_b32 s84, 0
	s_or_not1_b32 s5, vcc_lo, exec_lo
	s_branch .LBB30_110
.LBB30_115:                             ;   in Loop: Header=BB30_32 Depth=1
	s_or_b32 exec_lo, exec_lo, s50
	s_wait_alu 0xfffe
	s_and_b32 s5, s51, exec_lo
.LBB30_116:                             ;   in Loop: Header=BB30_32 Depth=1
	s_or_b32 exec_lo, exec_lo, s24
.LBB30_117:                             ;   in Loop: Header=BB30_32 Depth=1
	s_delay_alu instid0(SALU_CYCLE_1)
	s_and_b32 vcc_lo, exec_lo, s23
	s_wait_alu 0xfffe
	s_cbranch_vccz .LBB30_131
; %bb.118:                              ;   in Loop: Header=BB30_32 Depth=1
	s_add_nc_u64 s[16:17], s[14:15], s[74:75]
	s_mov_b32 s18, s25
	s_wait_alu 0xfffe
	s_mov_b32 s19, s17
	s_wait_alu 0xfffe
	s_cmp_lg_u64 s[18:19], 0
	s_cbranch_scc0 .LBB30_159
; %bb.119:                              ;   in Loop: Header=BB30_32 Depth=1
	s_add_nc_u64 s[18:19], s[68:69], 0
	s_wait_alu 0xfffe
	s_xor_b64 s[18:19], s[18:19], 0
	s_wait_alu 0xfffe
	s_cvt_f32_u32 s23, s18
	s_cvt_f32_u32 s24, s19
	s_sub_nc_u64 s[84:85], 0, s[18:19]
	s_wait_alu 0xfffe
	s_delay_alu instid0(SALU_CYCLE_1) | instskip(SKIP_1) | instid1(SALU_CYCLE_2)
	s_fmamk_f32 s23, s24, 0x4f800000, s23
	s_wait_alu 0xfffe
	v_s_rcp_f32 s23, s23
	s_delay_alu instid0(TRANS32_DEP_1) | instskip(SKIP_1) | instid1(SALU_CYCLE_2)
	s_mul_f32 s23, s23, 0x5f7ffffc
	s_wait_alu 0xfffe
	s_mul_f32 s24, s23, 0x2f800000
	s_wait_alu 0xfffe
	s_delay_alu instid0(SALU_CYCLE_2) | instskip(SKIP_1) | instid1(SALU_CYCLE_2)
	s_trunc_f32 s24, s24
	s_wait_alu 0xfffe
	s_fmamk_f32 s23, s24, 0xcf800000, s23
	s_cvt_u32_f32 s51, s24
	s_wait_alu 0xfffe
	s_delay_alu instid0(SALU_CYCLE_1) | instskip(SKIP_1) | instid1(SALU_CYCLE_2)
	s_cvt_u32_f32 s50, s23
	s_wait_alu 0xfffe
	s_mul_u64 s[86:87], s[84:85], s[50:51]
	s_wait_alu 0xfffe
	s_mul_hi_u32 s89, s50, s87
	s_mul_i32 s88, s50, s87
	s_mul_hi_u32 s24, s50, s86
	s_mul_i32 s90, s51, s86
	s_wait_alu 0xfffe
	s_add_nc_u64 s[88:89], s[24:25], s[88:89]
	s_mul_hi_u32 s23, s51, s86
	s_mul_hi_u32 s91, s51, s87
	s_wait_alu 0xfffe
	s_add_co_u32 s24, s88, s90
	s_add_co_ci_u32 s24, s89, s23
	s_mul_i32 s86, s51, s87
	s_add_co_ci_u32 s87, s91, 0
	s_wait_alu 0xfffe
	s_add_nc_u64 s[86:87], s[24:25], s[86:87]
	s_wait_alu 0xfffe
	s_add_co_u32 s50, s50, s86
	s_cselect_b32 s23, -1, 0
	s_wait_alu 0xfffe
	s_cmp_lg_u32 s23, 0
	s_add_co_ci_u32 s51, s51, s87
	s_wait_alu 0xfffe
	s_mul_u64 s[84:85], s[84:85], s[50:51]
	s_wait_alu 0xfffe
	s_mul_hi_u32 s87, s50, s85
	s_mul_i32 s86, s50, s85
	s_mul_hi_u32 s24, s50, s84
	s_mul_i32 s88, s51, s84
	s_wait_alu 0xfffe
	s_add_nc_u64 s[86:87], s[24:25], s[86:87]
	s_mul_hi_u32 s23, s51, s84
	s_mul_hi_u32 s89, s51, s85
	s_wait_alu 0xfffe
	s_add_co_u32 s24, s86, s88
	s_add_co_ci_u32 s24, s87, s23
	s_mul_i32 s84, s51, s85
	s_add_co_ci_u32 s85, s89, 0
	s_wait_alu 0xfffe
	s_add_nc_u64 s[84:85], s[24:25], s[84:85]
	s_wait_alu 0xfffe
	s_add_co_u32 s23, s50, s84
	s_cselect_b32 s24, -1, 0
	s_wait_alu 0xfffe
	s_cmp_lg_u32 s24, 0
	s_add_co_ci_u32 s88, s51, s85
	s_ashr_i32 s50, s17, 31
	s_wait_alu 0xfffe
	s_mov_b32 s51, s50
	s_wait_alu 0xfffe
	s_add_nc_u64 s[84:85], s[16:17], s[50:51]
	s_wait_alu 0xfffe
	s_xor_b64 s[84:85], s[84:85], s[50:51]
	s_wait_alu 0xfffe
	s_mul_hi_u32 s87, s84, s88
	s_mul_i32 s86, s84, s88
	s_mul_hi_u32 s24, s84, s23
	s_mul_hi_u32 s90, s85, s23
	s_mul_i32 s23, s85, s23
	s_wait_alu 0xfffe
	s_add_nc_u64 s[86:87], s[24:25], s[86:87]
	s_mul_hi_u32 s89, s85, s88
	s_wait_alu 0xfffe
	s_add_co_u32 s23, s86, s23
	s_add_co_ci_u32 s24, s87, s90
	s_mul_i32 s88, s85, s88
	s_add_co_ci_u32 s89, s89, 0
	s_wait_alu 0xfffe
	s_add_nc_u64 s[86:87], s[24:25], s[88:89]
	s_wait_alu 0xfffe
	s_mul_u64 s[86:87], s[18:19], s[86:87]
	s_wait_alu 0xfffe
	s_sub_co_u32 s23, s84, s86
	s_cselect_b32 s24, -1, 0
	s_sub_co_i32 s84, s85, s87
	s_wait_alu 0xfffe
	s_cmp_lg_u32 s24, 0
	s_sub_co_ci_u32 s84, s84, s19
	s_sub_co_u32 s86, s23, s18
	s_cselect_b32 s88, -1, 0
	s_wait_alu 0xfffe
	s_cmp_lg_u32 s88, 0
	s_sub_co_ci_u32 s89, s84, 0
	s_wait_alu 0xfffe
	s_cmp_ge_u32 s89, s19
	s_cselect_b32 s90, -1, 0
	s_cmp_ge_u32 s86, s18
	s_cselect_b32 s91, -1, 0
	s_cmp_eq_u32 s89, s19
	s_wait_alu 0xfffe
	s_cselect_b32 s90, s91, s90
	s_cmp_lg_u32 s88, 0
	s_sub_co_ci_u32 s84, s84, s19
	s_sub_co_u32 s88, s86, s18
	s_cselect_b32 s91, -1, 0
	s_wait_alu 0xfffe
	s_cmp_lg_u32 s91, 0
	s_sub_co_ci_u32 s84, s84, 0
	s_cmp_lg_u32 s90, 0
	s_cselect_b32 s86, s88, s86
	s_wait_alu 0xfffe
	s_cselect_b32 s84, s84, s89
	s_cmp_lg_u32 s24, 0
	s_sub_co_ci_u32 s24, s85, s87
	s_wait_alu 0xfffe
	s_cmp_ge_u32 s24, s19
	s_cselect_b32 s85, -1, 0
	s_cmp_ge_u32 s23, s18
	s_cselect_b32 s18, -1, 0
	s_cmp_eq_u32 s24, s19
	s_wait_alu 0xfffe
	s_cselect_b32 s18, s18, s85
	s_wait_alu 0xfffe
	s_cmp_lg_u32 s18, 0
	s_cselect_b32 s19, s84, s24
	s_cselect_b32 s18, s86, s23
	s_wait_alu 0xfffe
	s_xor_b64 s[18:19], s[18:19], s[50:51]
	s_wait_alu 0xfffe
	s_sub_nc_u64 s[18:19], s[18:19], s[50:51]
	s_cbranch_execnz .LBB30_121
.LBB30_120:                             ;   in Loop: Header=BB30_32 Depth=1
	v_cvt_f32_u32_e32 v3, s68
	s_sub_co_i32 s19, 0, s68
	s_delay_alu instid0(VALU_DEP_1) | instskip(NEXT) | instid1(TRANS32_DEP_1)
	v_rcp_iflag_f32_e32 v3, v3
	v_mul_f32_e32 v3, 0x4f7ffffe, v3
	s_delay_alu instid0(VALU_DEP_1) | instskip(NEXT) | instid1(VALU_DEP_1)
	v_cvt_u32_f32_e32 v3, v3
	v_readfirstlane_b32 s18, v3
	s_wait_alu 0xfffe
	s_mul_i32 s19, s19, s18
	s_wait_alu 0xfffe
	s_mul_hi_u32 s19, s18, s19
	s_wait_alu 0xfffe
	s_add_co_i32 s18, s18, s19
	s_wait_alu 0xfffe
	s_mul_hi_u32 s18, s16, s18
	s_wait_alu 0xfffe
	s_mul_i32 s18, s18, s68
	s_wait_alu 0xfffe
	s_sub_co_i32 s18, s16, s18
	s_wait_alu 0xfffe
	s_sub_co_i32 s19, s18, s68
	s_cmp_ge_u32 s18, s68
	s_wait_alu 0xfffe
	s_cselect_b32 s18, s19, s18
	s_wait_alu 0xfffe
	s_sub_co_i32 s19, s18, s68
	s_cmp_ge_u32 s18, s68
	s_wait_alu 0xfffe
	s_cselect_b32 s24, s19, s18
	s_wait_alu 0xfffe
	s_mov_b64 s[18:19], s[24:25]
.LBB30_121:                             ;   in Loop: Header=BB30_32 Depth=1
	s_wait_alu 0xfffe
	s_sub_nc_u64 s[16:17], s[16:17], s[18:19]
	s_mov_b32 s18, exec_lo
                                        ; implicit-def: $vgpr5_vgpr6
	s_wait_alu 0xfffe
	v_cmpx_gt_i64_e64 s[16:17], v[0:1]
	s_cbranch_execz .LBB30_130
; %bb.122:                              ;   in Loop: Header=BB30_32 Depth=1
	v_dual_mov_b32 v13, v43 :: v_dual_mov_b32 v12, v1
	v_mov_b32_e32 v11, v0
	s_mov_b32 s23, 0
                                        ; implicit-def: $sgpr19
	s_branch .LBB30_125
.LBB30_123:                             ;   in Loop: Header=BB30_125 Depth=2
	s_wait_alu 0xfffe
	s_or_b32 exec_lo, exec_lo, s24
	s_wait_loadcnt_dscnt 0x0
	s_barrier_signal -1
	s_barrier_wait -1
	global_inv scope:SCOPE_SE
	ds_load_b128 v[3:6], v18 offset:3072
	s_mov_b32 s24, -1
	s_mov_b32 s50, -1
	s_wait_loadcnt_dscnt 0x0
	s_barrier_signal -1
	s_barrier_wait -1
	global_inv scope:SCOPE_SE
	v_cmp_ne_u64_e32 vcc_lo, 0, v[3:4]
	s_cbranch_vccz .LBB30_128
.LBB30_124:                             ;   in Loop: Header=BB30_125 Depth=2
	s_wait_alu 0xfffe
	s_and_b32 s24, exec_lo, s24
	s_wait_alu 0xfffe
	s_or_b32 s23, s24, s23
	s_and_not1_b32 s19, s19, exec_lo
	s_and_b32 s24, s50, exec_lo
	s_wait_alu 0xfffe
	s_or_b32 s19, s19, s24
	s_and_not1_b32 exec_lo, exec_lo, s23
	s_cbranch_execz .LBB30_129
.LBB30_125:                             ;   Parent Loop BB30_32 Depth=1
                                        ; =>  This Inner Loop Header: Depth=2
	s_mov_b32 s24, exec_lo
	s_delay_alu instid0(VALU_DEP_1)
	v_cmpx_gt_u64_e64 s[14:15], v[11:12]
	s_cbranch_execz .LBB30_123
; %bb.126:                              ;   in Loop: Header=BB30_125 Depth=2
	ds_load_b64 v[4:5], v13
	s_wait_dscnt 0x0
	v_xor_b32_e32 v3, 0x80000000, v5
	v_and_b32_e32 v36, v4, v32
	s_delay_alu instid0(VALU_DEP_2) | instskip(NEXT) | instid1(VALU_DEP_1)
	v_and_b32_e32 v37, v3, v33
	v_cmp_eq_u64_e32 vcc_lo, v[36:37], v[30:31]
	s_and_b32 exec_lo, exec_lo, vcc_lo
	s_cbranch_execz .LBB30_123
; %bb.127:                              ;   in Loop: Header=BB30_125 Depth=2
	v_mov_b32_e32 v3, v18
	ds_store_b128 v18, v[2:5] offset:3072
	s_branch .LBB30_123
.LBB30_128:                             ;   in Loop: Header=BB30_125 Depth=2
	v_add_co_u32 v11, vcc_lo, v11, s68
	s_wait_alu 0xfffd
	v_add_co_ci_u32_e64 v12, null, 0, v12, vcc_lo
	v_add_nc_u32_e32 v13, s58, v13
	s_mov_b32 s50, 0
	s_delay_alu instid0(VALU_DEP_2)
	v_cmp_le_i64_e32 vcc_lo, s[16:17], v[11:12]
	s_or_not1_b32 s24, vcc_lo, exec_lo
	s_branch .LBB30_124
.LBB30_129:                             ;   in Loop: Header=BB30_32 Depth=1
	s_or_b32 exec_lo, exec_lo, s23
	s_delay_alu instid0(SALU_CYCLE_1)
	s_and_not1_b32 s5, s5, exec_lo
	s_wait_alu 0xfffe
	s_and_b32 s14, s19, exec_lo
	s_wait_alu 0xfffe
	s_or_b32 s5, s5, s14
.LBB30_130:                             ;   in Loop: Header=BB30_32 Depth=1
	s_or_b32 exec_lo, exec_lo, s18
	s_mov_b32 s18, 0
	s_mov_b32 s19, -1
.LBB30_131:                             ;   in Loop: Header=BB30_32 Depth=1
	s_wait_alu 0xfffe
	s_or_not1_b32 s5, s5, exec_lo
.LBB30_132:                             ;   in Loop: Header=BB30_32 Depth=1
	s_wait_alu 0xfffe
	s_or_b32 exec_lo, exec_lo, s20
	s_delay_alu instid0(SALU_CYCLE_1)
	s_and_not1_b32 s14, s48, exec_lo
	s_and_b32 s15, s19, exec_lo
	s_and_not1_b32 s16, s66, exec_lo
	s_and_b32 s17, s18, exec_lo
	s_and_not1_b32 s65, s65, exec_lo
	s_wait_alu 0xfffe
	s_or_b32 s48, s14, s15
	s_or_b32 s66, s16, s17
                                        ; implicit-def: $vgpr11_vgpr12
	s_and_saveexec_b32 s20, s5
	s_cbranch_execz .LBB30_31
; %bb.133:                              ;   in Loop: Header=BB30_32 Depth=1
	v_dual_mov_b32 v11, 1 :: v_dual_mov_b32 v36, 1
	v_mov_b32_e32 v12, 0
	s_xor_b32 s15, s22, -1
	s_mov_b32 s14, 0
	s_wait_alu 0xfffe
	s_and_saveexec_b32 s5, s15
	s_cbranch_execz .LBB30_142
; %bb.134:                              ;   in Loop: Header=BB30_32 Depth=1
	s_mov_b32 s14, exec_lo
	v_cmpx_le_i64_e64 v[34:35], v[7:8]
	s_wait_alu 0xfffe
	s_xor_b32 s14, exec_lo, s14
	s_cbranch_execz .LBB30_139
; %bb.135:                              ;   in Loop: Header=BB30_32 Depth=1
	ds_load_b64 v[3:4], v18 offset:5120
	v_and_b32_e32 v31, s13, v31
	v_and_b32_e32 v30, s12, v30
	v_or_b32_e32 v33, s9, v33
	v_or_b32_e32 v32, s8, v32
	s_wait_dscnt 0x0
	v_cmp_ne_u64_e32 vcc_lo, 0, v[3:4]
	s_cbranch_vccnz .LBB30_139
; %bb.136:                              ;   in Loop: Header=BB30_32 Depth=1
	s_and_saveexec_b32 s15, s2
; %bb.137:                              ;   in Loop: Header=BB30_32 Depth=1
	ds_store_b64 v18, v[7:8] offset:5128
; %bb.138:                              ;   in Loop: Header=BB30_32 Depth=1
	s_wait_alu 0xfffe
	s_or_b32 exec_lo, exec_lo, s15
	s_wait_loadcnt_dscnt 0x0
	s_barrier_signal -1
	s_barrier_wait -1
	global_inv scope:SCOPE_SE
.LBB30_139:                             ;   in Loop: Header=BB30_32 Depth=1
	s_wait_alu 0xfffe
	s_or_saveexec_b32 s14, s14
	v_mov_b32_e32 v36, 8
	s_mov_b32 s15, 0
	s_wait_alu 0xfffe
	s_xor_b32 exec_lo, exec_lo, s14
; %bb.140:                              ;   in Loop: Header=BB30_32 Depth=1
	v_sub_co_u32 v34, vcc_lo, v34, v7
	s_wait_alu 0xfffd
	v_sub_co_ci_u32_e64 v35, null, v35, v8, vcc_lo
	v_mov_b32_e32 v36, 0
	s_mov_b32 s15, exec_lo
; %bb.141:                              ;   in Loop: Header=BB30_32 Depth=1
	s_or_b32 exec_lo, exec_lo, s14
	s_delay_alu instid0(VALU_DEP_2)
	v_dual_mov_b32 v11, v34 :: v_dual_mov_b32 v12, v35
	s_wait_alu 0xfffe
	s_and_b32 s14, s15, exec_lo
.LBB30_142:                             ;   in Loop: Header=BB30_32 Depth=1
	s_wait_alu 0xfffe
	s_or_b32 exec_lo, exec_lo, s5
	s_mov_b32 s21, -1
	s_mov_b32 s5, -1
                                        ; implicit-def: $sgpr23
                                        ; implicit-def: $sgpr50
	s_and_saveexec_b32 s15, s14
	s_wait_alu 0xfffe
	s_xor_b32 s22, exec_lo, s15
	s_cbranch_execz .LBB30_284
; %bb.143:                              ;   in Loop: Header=BB30_32 Depth=1
	v_cmp_eq_u64_e32 vcc_lo, 1, v[9:10]
	v_cmp_eq_u64_e64 s5, 1, v[11:12]
                                        ; implicit-def: $sgpr50
                                        ; implicit-def: $sgpr23
	s_and_b32 s84, vcc_lo, s5
	s_mov_b32 s5, -1
	s_wait_alu 0xfffe
	s_and_saveexec_b32 s51, s84
	s_cbranch_execz .LBB30_177
; %bb.144:                              ;   in Loop: Header=BB30_32 Depth=1
	ds_load_b64 v[3:4], v18 offset:5120
	s_wait_loadcnt_dscnt 0x0
	s_barrier_signal -1
	s_barrier_wait -1
	global_inv scope:SCOPE_SE
	v_readfirstlane_b32 s14, v3
	v_readfirstlane_b32 s15, v4
	s_and_saveexec_b32 s5, s3
; %bb.145:                              ;   in Loop: Header=BB30_32 Depth=1
	v_mov_b32_e32 v17, v18
	ds_store_b64 v44, v[17:18]
; %bb.146:                              ;   in Loop: Header=BB30_32 Depth=1
	s_wait_alu 0xfffe
	s_or_b32 exec_lo, exec_lo, s5
	v_and_b32_e32 v3, s13, v31
	v_and_b32_e32 v4, s12, v30
	v_cmp_gt_i64_e64 s5, s[14:15], 0
	s_lshl_b64 s[16:17], 1, s59
	v_or_b32_e32 v33, s9, v33
	s_wait_alu 0xfffe
	v_or_b32_e32 v31, s17, v3
	v_or_b32_e32 v30, s16, v4
	;; [unrolled: 1-line block ×3, first 2 shown]
	s_mov_b32 s23, -1
	s_mov_b32 s50, 0
	s_and_b32 vcc_lo, exec_lo, s5
	s_mov_b32 s5, 0
	s_mov_b32 s18, -1
	s_wait_loadcnt_dscnt 0x0
	s_barrier_signal -1
	s_barrier_wait -1
	global_inv scope:SCOPE_SE
                                        ; implicit-def: $vgpr5_vgpr6
	s_wait_alu 0xfffe
	s_cbranch_vccnz .LBB30_162
; %bb.147:                              ;   in Loop: Header=BB30_32 Depth=1
	s_mov_b32 s16, s25
	s_mov_b32 s17, s77
	s_wait_alu 0xfffe
	s_cmp_lg_u64 s[16:17], 0
	s_cbranch_scc0 .LBB30_204
; %bb.148:                              ;   in Loop: Header=BB30_32 Depth=1
	s_add_nc_u64 s[16:17], s[68:69], 0
	s_wait_alu 0xfffe
	s_xor_b64 s[16:17], s[16:17], 0
	s_wait_alu 0xfffe
	s_cvt_f32_u32 s5, s16
	s_cvt_f32_u32 s18, s17
	s_sub_nc_u64 s[86:87], 0, s[16:17]
	s_wait_alu 0xfffe
	s_delay_alu instid0(SALU_CYCLE_1) | instskip(SKIP_1) | instid1(SALU_CYCLE_2)
	s_fmamk_f32 s5, s18, 0x4f800000, s5
	s_wait_alu 0xfffe
	v_s_rcp_f32 s5, s5
	s_delay_alu instid0(TRANS32_DEP_1) | instskip(SKIP_1) | instid1(SALU_CYCLE_2)
	s_mul_f32 s5, s5, 0x5f7ffffc
	s_wait_alu 0xfffe
	s_mul_f32 s18, s5, 0x2f800000
	s_wait_alu 0xfffe
	s_delay_alu instid0(SALU_CYCLE_2) | instskip(SKIP_1) | instid1(SALU_CYCLE_2)
	s_trunc_f32 s18, s18
	s_wait_alu 0xfffe
	s_fmamk_f32 s5, s18, 0xcf800000, s5
	s_cvt_u32_f32 s19, s18
	s_wait_alu 0xfffe
	s_delay_alu instid0(SALU_CYCLE_1) | instskip(SKIP_1) | instid1(SALU_CYCLE_2)
	s_cvt_u32_f32 s18, s5
	s_wait_alu 0xfffe
	s_mul_u64 s[88:89], s[86:87], s[18:19]
	s_wait_alu 0xfffe
	s_mul_hi_u32 s91, s18, s89
	s_mul_i32 s90, s18, s89
	s_mul_hi_u32 s24, s18, s88
	s_mul_i32 s85, s19, s88
	s_wait_alu 0xfffe
	s_add_nc_u64 s[90:91], s[24:25], s[90:91]
	s_mul_hi_u32 s5, s19, s88
	s_mul_hi_u32 s92, s19, s89
	s_wait_alu 0xfffe
	s_add_co_u32 s24, s90, s85
	s_add_co_ci_u32 s24, s91, s5
	s_mul_i32 s88, s19, s89
	s_add_co_ci_u32 s89, s92, 0
	s_wait_alu 0xfffe
	s_add_nc_u64 s[88:89], s[24:25], s[88:89]
	s_wait_alu 0xfffe
	s_add_co_u32 s18, s18, s88
	s_cselect_b32 s5, -1, 0
	s_wait_alu 0xfffe
	s_cmp_lg_u32 s5, 0
	s_add_co_ci_u32 s19, s19, s89
	s_wait_alu 0xfffe
	s_mul_u64 s[86:87], s[86:87], s[18:19]
	s_wait_alu 0xfffe
	s_mul_hi_u32 s89, s18, s87
	s_mul_i32 s88, s18, s87
	s_mul_hi_u32 s24, s18, s86
	s_mul_i32 s85, s19, s86
	s_wait_alu 0xfffe
	s_add_nc_u64 s[88:89], s[24:25], s[88:89]
	s_mul_hi_u32 s5, s19, s86
	s_mul_hi_u32 s90, s19, s87
	s_wait_alu 0xfffe
	s_add_co_u32 s24, s88, s85
	s_add_co_ci_u32 s24, s89, s5
	s_mul_i32 s86, s19, s87
	s_add_co_ci_u32 s87, s90, 0
	s_wait_alu 0xfffe
	s_add_nc_u64 s[86:87], s[24:25], s[86:87]
	s_wait_alu 0xfffe
	s_add_co_u32 s5, s18, s86
	s_cselect_b32 s18, -1, 0
	s_wait_alu 0xfffe
	s_cmp_lg_u32 s18, 0
	s_add_co_ci_u32 s85, s19, s87
	s_ashr_i32 s18, s77, 31
	s_wait_alu 0xfffe
	s_mov_b32 s19, s18
	s_wait_alu 0xfffe
	s_add_nc_u64 s[86:87], s[76:77], s[18:19]
	s_wait_alu 0xfffe
	s_xor_b64 s[86:87], s[86:87], s[18:19]
	s_wait_alu 0xfffe
	s_mul_hi_u32 s89, s86, s85
	s_mul_i32 s88, s86, s85
	s_mul_hi_u32 s24, s86, s5
	s_mul_hi_u32 s92, s87, s5
	s_mul_i32 s5, s87, s5
	s_wait_alu 0xfffe
	s_add_nc_u64 s[88:89], s[24:25], s[88:89]
	s_mul_hi_u32 s91, s87, s85
	s_wait_alu 0xfffe
	s_add_co_u32 s5, s88, s5
	s_add_co_ci_u32 s24, s89, s92
	s_mul_i32 s90, s87, s85
	s_add_co_ci_u32 s91, s91, 0
	s_wait_alu 0xfffe
	s_add_nc_u64 s[88:89], s[24:25], s[90:91]
	s_wait_alu 0xfffe
	s_mul_u64 s[88:89], s[16:17], s[88:89]
	s_wait_alu 0xfffe
	s_sub_co_u32 s5, s86, s88
	s_cselect_b32 s24, -1, 0
	s_sub_co_i32 s85, s87, s89
	s_wait_alu 0xfffe
	s_cmp_lg_u32 s24, 0
	s_sub_co_ci_u32 s85, s85, s17
	s_sub_co_u32 s86, s5, s16
	s_cselect_b32 s88, -1, 0
	s_wait_alu 0xfffe
	s_cmp_lg_u32 s88, 0
	s_sub_co_ci_u32 s90, s85, 0
	s_wait_alu 0xfffe
	s_cmp_ge_u32 s90, s17
	s_cselect_b32 s91, -1, 0
	s_cmp_ge_u32 s86, s16
	s_cselect_b32 s92, -1, 0
	s_cmp_eq_u32 s90, s17
	s_wait_alu 0xfffe
	s_cselect_b32 s91, s92, s91
	s_cmp_lg_u32 s88, 0
	s_sub_co_ci_u32 s85, s85, s17
	s_sub_co_u32 s88, s86, s16
	s_cselect_b32 s92, -1, 0
	s_wait_alu 0xfffe
	s_cmp_lg_u32 s92, 0
	s_sub_co_ci_u32 s85, s85, 0
	s_cmp_lg_u32 s91, 0
	s_cselect_b32 s86, s88, s86
	s_wait_alu 0xfffe
	s_cselect_b32 s85, s85, s90
	s_cmp_lg_u32 s24, 0
	s_sub_co_ci_u32 s24, s87, s89
	s_wait_alu 0xfffe
	s_cmp_ge_u32 s24, s17
	s_cselect_b32 s87, -1, 0
	s_cmp_ge_u32 s5, s16
	s_cselect_b32 s16, -1, 0
	s_cmp_eq_u32 s24, s17
	s_wait_alu 0xfffe
	s_cselect_b32 s16, s16, s87
	s_wait_alu 0xfffe
	s_cmp_lg_u32 s16, 0
	s_cselect_b32 s17, s85, s24
	s_cselect_b32 s16, s86, s5
	s_wait_alu 0xfffe
	s_xor_b64 s[16:17], s[16:17], s[18:19]
	s_wait_alu 0xfffe
	s_sub_nc_u64 s[16:17], s[16:17], s[18:19]
	s_cbranch_execnz .LBB30_150
.LBB30_149:                             ;   in Loop: Header=BB30_32 Depth=1
	v_cvt_f32_u32_e32 v3, s68
	s_sub_co_i32 s16, 0, s68
	s_delay_alu instid0(VALU_DEP_1) | instskip(NEXT) | instid1(TRANS32_DEP_1)
	v_rcp_iflag_f32_e32 v3, v3
	v_mul_f32_e32 v3, 0x4f7ffffe, v3
	s_delay_alu instid0(VALU_DEP_1) | instskip(NEXT) | instid1(VALU_DEP_1)
	v_cvt_u32_f32_e32 v3, v3
	v_readfirstlane_b32 s5, v3
	s_wait_alu 0xfffe
	s_mul_i32 s16, s16, s5
	s_wait_alu 0xfffe
	s_mul_hi_u32 s16, s5, s16
	s_wait_alu 0xfffe
	s_add_co_i32 s5, s5, s16
	s_wait_alu 0xfffe
	s_mul_hi_u32 s5, s76, s5
	s_wait_alu 0xfffe
	s_mul_i32 s5, s5, s68
	s_wait_alu 0xfffe
	s_sub_co_i32 s5, s76, s5
	s_wait_alu 0xfffe
	s_sub_co_i32 s16, s5, s68
	s_cmp_ge_u32 s5, s68
	s_wait_alu 0xfffe
	s_cselect_b32 s5, s16, s5
	s_wait_alu 0xfffe
	s_sub_co_i32 s16, s5, s68
	s_cmp_ge_u32 s5, s68
	s_wait_alu 0xfffe
	s_cselect_b32 s24, s16, s5
	s_wait_alu 0xfffe
	s_mov_b64 s[16:17], s[24:25]
.LBB30_150:                             ;   in Loop: Header=BB30_32 Depth=1
	s_wait_alu 0xfffe
	s_sub_nc_u64 s[16:17], s[76:77], s[16:17]
	s_mov_b32 s18, 0
	s_mov_b32 s5, 0
	s_mov_b32 s19, exec_lo
                                        ; implicit-def: $vgpr5_vgpr6
	s_wait_alu 0xfffe
	v_cmpx_gt_i64_e64 s[16:17], v[0:1]
	s_cbranch_execz .LBB30_161
; %bb.151:                              ;   in Loop: Header=BB30_32 Depth=1
	v_dual_mov_b32 v7, v15 :: v_dual_mov_b32 v8, v16
	v_dual_mov_b32 v14, v1 :: v_dual_mov_b32 v13, v0
	s_mov_b32 s24, 0
                                        ; implicit-def: $sgpr85
	s_branch .LBB30_154
.LBB30_152:                             ;   in Loop: Header=BB30_154 Depth=2
	s_wait_alu 0xfffe
	s_or_b32 exec_lo, exec_lo, s5
	s_wait_loadcnt_dscnt 0x0
	s_barrier_signal -1
	s_barrier_wait -1
	global_inv scope:SCOPE_SE
	ds_load_b128 v[3:6], v18 offset:3072
	s_mov_b32 s5, -1
	s_mov_b32 s86, -1
	s_wait_loadcnt_dscnt 0x0
	s_barrier_signal -1
	s_barrier_wait -1
	global_inv scope:SCOPE_SE
	v_cmp_ne_u64_e32 vcc_lo, 0, v[3:4]
	s_cbranch_vccz .LBB30_157
.LBB30_153:                             ;   in Loop: Header=BB30_154 Depth=2
	s_wait_alu 0xfffe
	s_and_b32 s5, exec_lo, s5
	s_wait_alu 0xfffe
	s_or_b32 s24, s5, s24
	s_and_not1_b32 s5, s85, exec_lo
	s_and_b32 s85, s86, exec_lo
	s_wait_alu 0xfffe
	s_or_b32 s85, s5, s85
	s_and_not1_b32 exec_lo, exec_lo, s24
	s_cbranch_execz .LBB30_160
.LBB30_154:                             ;   Parent Loop BB30_32 Depth=1
                                        ; =>  This Inner Loop Header: Depth=2
	s_mov_b32 s5, exec_lo
	s_delay_alu instid0(VALU_DEP_1)
	v_cmpx_gt_i64_e64 s[36:37], v[13:14]
	s_cbranch_execz .LBB30_152
; %bb.155:                              ;   in Loop: Header=BB30_154 Depth=2
	global_load_b64 v[4:5], v[7:8], off
	s_wait_loadcnt 0x0
	v_xor_b32_e32 v3, 0x80000000, v5
	v_and_b32_e32 v34, v4, v32
	s_delay_alu instid0(VALU_DEP_2) | instskip(NEXT) | instid1(VALU_DEP_1)
	v_and_b32_e32 v35, v3, v33
	v_cmp_eq_u64_e32 vcc_lo, v[34:35], v[30:31]
	s_and_b32 exec_lo, exec_lo, vcc_lo
	s_cbranch_execz .LBB30_152
; %bb.156:                              ;   in Loop: Header=BB30_154 Depth=2
	v_mov_b32_e32 v3, v18
	ds_store_b128 v18, v[2:5] offset:3072
	s_branch .LBB30_152
.LBB30_157:                             ;   in Loop: Header=BB30_154 Depth=2
	v_add_co_u32 v13, vcc_lo, v13, s68
	s_wait_alu 0xfffd
	v_add_co_ci_u32_e64 v14, null, 0, v14, vcc_lo
	v_add_co_u32 v7, s5, v7, s70
	s_wait_alu 0xf1fe
	v_add_co_ci_u32_e64 v8, null, s71, v8, s5
	s_delay_alu instid0(VALU_DEP_3)
	v_cmp_le_i64_e32 vcc_lo, s[16:17], v[13:14]
	s_mov_b32 s86, 0
	s_or_not1_b32 s5, vcc_lo, exec_lo
	s_branch .LBB30_153
.LBB30_158:                             ;   in Loop: Header=BB30_32 Depth=1
                                        ; implicit-def: $sgpr16_sgpr17
	s_branch .LBB30_106
.LBB30_159:                             ;   in Loop: Header=BB30_32 Depth=1
                                        ; implicit-def: $sgpr18_sgpr19
	s_branch .LBB30_120
.LBB30_160:                             ;   in Loop: Header=BB30_32 Depth=1
	s_or_b32 exec_lo, exec_lo, s24
	s_wait_alu 0xfffe
	s_and_b32 s5, s85, exec_lo
.LBB30_161:                             ;   in Loop: Header=BB30_32 Depth=1
	s_or_b32 exec_lo, exec_lo, s19
.LBB30_162:                             ;   in Loop: Header=BB30_32 Depth=1
	s_delay_alu instid0(SALU_CYCLE_1)
	s_and_b32 vcc_lo, exec_lo, s18
	s_wait_alu 0xfffe
	s_cbranch_vccz .LBB30_176
; %bb.163:                              ;   in Loop: Header=BB30_32 Depth=1
	s_add_nc_u64 s[16:17], s[14:15], s[74:75]
	s_mov_b32 s18, s25
	s_wait_alu 0xfffe
	s_mov_b32 s19, s17
	s_wait_alu 0xfffe
	s_cmp_lg_u64 s[18:19], 0
	s_cbranch_scc0 .LBB30_205
; %bb.164:                              ;   in Loop: Header=BB30_32 Depth=1
	s_add_nc_u64 s[18:19], s[68:69], 0
	s_wait_alu 0xfffe
	s_xor_b64 s[18:19], s[18:19], 0
	s_wait_alu 0xfffe
	s_cvt_f32_u32 s23, s18
	s_cvt_f32_u32 s24, s19
	s_sub_nc_u64 s[88:89], 0, s[18:19]
	s_wait_alu 0xfffe
	s_delay_alu instid0(SALU_CYCLE_1) | instskip(SKIP_1) | instid1(SALU_CYCLE_2)
	s_fmamk_f32 s23, s24, 0x4f800000, s23
	s_wait_alu 0xfffe
	v_s_rcp_f32 s23, s23
	s_delay_alu instid0(TRANS32_DEP_1) | instskip(SKIP_1) | instid1(SALU_CYCLE_2)
	s_mul_f32 s23, s23, 0x5f7ffffc
	s_wait_alu 0xfffe
	s_mul_f32 s24, s23, 0x2f800000
	s_wait_alu 0xfffe
	s_delay_alu instid0(SALU_CYCLE_2) | instskip(SKIP_1) | instid1(SALU_CYCLE_2)
	s_trunc_f32 s24, s24
	s_wait_alu 0xfffe
	s_fmamk_f32 s23, s24, 0xcf800000, s23
	s_cvt_u32_f32 s87, s24
	s_wait_alu 0xfffe
	s_delay_alu instid0(SALU_CYCLE_1) | instskip(SKIP_1) | instid1(SALU_CYCLE_2)
	s_cvt_u32_f32 s86, s23
	s_wait_alu 0xfffe
	s_mul_u64 s[90:91], s[88:89], s[86:87]
	s_wait_alu 0xfffe
	s_mul_hi_u32 s93, s86, s91
	s_mul_i32 s92, s86, s91
	s_mul_hi_u32 s24, s86, s90
	s_mul_i32 s50, s87, s90
	s_wait_alu 0xfffe
	s_add_nc_u64 s[92:93], s[24:25], s[92:93]
	s_mul_hi_u32 s23, s87, s90
	s_mul_hi_u32 s85, s87, s91
	s_wait_alu 0xfffe
	s_add_co_u32 s24, s92, s50
	s_add_co_ci_u32 s24, s93, s23
	s_mul_i32 s90, s87, s91
	s_add_co_ci_u32 s91, s85, 0
	s_wait_alu 0xfffe
	s_add_nc_u64 s[90:91], s[24:25], s[90:91]
	s_wait_alu 0xfffe
	s_add_co_u32 s86, s86, s90
	s_cselect_b32 s23, -1, 0
	s_wait_alu 0xfffe
	s_cmp_lg_u32 s23, 0
	s_add_co_ci_u32 s87, s87, s91
	s_wait_alu 0xfffe
	s_mul_u64 s[88:89], s[88:89], s[86:87]
	s_wait_alu 0xfffe
	s_mul_hi_u32 s91, s86, s89
	s_mul_i32 s90, s86, s89
	s_mul_hi_u32 s24, s86, s88
	s_mul_i32 s50, s87, s88
	s_wait_alu 0xfffe
	s_add_nc_u64 s[90:91], s[24:25], s[90:91]
	s_mul_hi_u32 s23, s87, s88
	s_mul_hi_u32 s85, s87, s89
	s_wait_alu 0xfffe
	s_add_co_u32 s24, s90, s50
	s_add_co_ci_u32 s24, s91, s23
	s_mul_i32 s88, s87, s89
	s_add_co_ci_u32 s89, s85, 0
	s_wait_alu 0xfffe
	s_add_nc_u64 s[88:89], s[24:25], s[88:89]
	s_wait_alu 0xfffe
	s_add_co_u32 s23, s86, s88
	s_cselect_b32 s24, -1, 0
	s_wait_alu 0xfffe
	s_cmp_lg_u32 s24, 0
	s_add_co_ci_u32 s50, s87, s89
	s_ashr_i32 s86, s17, 31
	s_wait_alu 0xfffe
	s_mov_b32 s87, s86
	s_wait_alu 0xfffe
	s_add_nc_u64 s[88:89], s[16:17], s[86:87]
	s_wait_alu 0xfffe
	s_xor_b64 s[88:89], s[88:89], s[86:87]
	s_wait_alu 0xfffe
	s_mul_hi_u32 s91, s88, s50
	s_mul_i32 s90, s88, s50
	s_mul_hi_u32 s24, s88, s23
	s_mul_hi_u32 s93, s89, s23
	s_mul_i32 s23, s89, s23
	s_wait_alu 0xfffe
	s_add_nc_u64 s[90:91], s[24:25], s[90:91]
	s_mul_hi_u32 s85, s89, s50
	s_wait_alu 0xfffe
	s_add_co_u32 s23, s90, s23
	s_add_co_ci_u32 s24, s91, s93
	s_mul_i32 s92, s89, s50
	s_add_co_ci_u32 s93, s85, 0
	s_wait_alu 0xfffe
	s_add_nc_u64 s[90:91], s[24:25], s[92:93]
	s_wait_alu 0xfffe
	s_mul_u64 s[90:91], s[18:19], s[90:91]
	s_wait_alu 0xfffe
	s_sub_co_u32 s23, s88, s90
	s_cselect_b32 s24, -1, 0
	s_sub_co_i32 s50, s89, s91
	s_wait_alu 0xfffe
	s_cmp_lg_u32 s24, 0
	s_sub_co_ci_u32 s50, s50, s19
	s_sub_co_u32 s85, s23, s18
	s_cselect_b32 s88, -1, 0
	s_wait_alu 0xfffe
	s_cmp_lg_u32 s88, 0
	s_sub_co_ci_u32 s90, s50, 0
	s_wait_alu 0xfffe
	s_cmp_ge_u32 s90, s19
	s_cselect_b32 s92, -1, 0
	s_cmp_ge_u32 s85, s18
	s_cselect_b32 s93, -1, 0
	s_cmp_eq_u32 s90, s19
	s_wait_alu 0xfffe
	s_cselect_b32 s92, s93, s92
	s_cmp_lg_u32 s88, 0
	s_sub_co_ci_u32 s50, s50, s19
	s_sub_co_u32 s88, s85, s18
	s_cselect_b32 s93, -1, 0
	s_wait_alu 0xfffe
	s_cmp_lg_u32 s93, 0
	s_sub_co_ci_u32 s50, s50, 0
	s_cmp_lg_u32 s92, 0
	s_cselect_b32 s85, s88, s85
	s_wait_alu 0xfffe
	s_cselect_b32 s50, s50, s90
	s_cmp_lg_u32 s24, 0
	s_sub_co_ci_u32 s24, s89, s91
	s_wait_alu 0xfffe
	s_cmp_ge_u32 s24, s19
	s_cselect_b32 s88, -1, 0
	s_cmp_ge_u32 s23, s18
	s_cselect_b32 s18, -1, 0
	s_cmp_eq_u32 s24, s19
	s_wait_alu 0xfffe
	s_cselect_b32 s18, s18, s88
	s_wait_alu 0xfffe
	s_cmp_lg_u32 s18, 0
	s_cselect_b32 s19, s50, s24
	s_cselect_b32 s18, s85, s23
	s_wait_alu 0xfffe
	s_xor_b64 s[18:19], s[18:19], s[86:87]
	s_wait_alu 0xfffe
	s_sub_nc_u64 s[18:19], s[18:19], s[86:87]
	s_cbranch_execnz .LBB30_166
.LBB30_165:                             ;   in Loop: Header=BB30_32 Depth=1
	v_cvt_f32_u32_e32 v3, s68
	s_sub_co_i32 s19, 0, s68
	s_delay_alu instid0(VALU_DEP_1) | instskip(NEXT) | instid1(TRANS32_DEP_1)
	v_rcp_iflag_f32_e32 v3, v3
	v_mul_f32_e32 v3, 0x4f7ffffe, v3
	s_delay_alu instid0(VALU_DEP_1) | instskip(NEXT) | instid1(VALU_DEP_1)
	v_cvt_u32_f32_e32 v3, v3
	v_readfirstlane_b32 s18, v3
	s_wait_alu 0xfffe
	s_mul_i32 s19, s19, s18
	s_wait_alu 0xfffe
	s_mul_hi_u32 s19, s18, s19
	s_wait_alu 0xfffe
	s_add_co_i32 s18, s18, s19
	s_wait_alu 0xfffe
	s_mul_hi_u32 s18, s16, s18
	s_wait_alu 0xfffe
	s_mul_i32 s18, s18, s68
	s_wait_alu 0xfffe
	s_sub_co_i32 s18, s16, s18
	s_wait_alu 0xfffe
	s_sub_co_i32 s19, s18, s68
	s_cmp_ge_u32 s18, s68
	s_wait_alu 0xfffe
	s_cselect_b32 s18, s19, s18
	s_wait_alu 0xfffe
	s_sub_co_i32 s19, s18, s68
	s_cmp_ge_u32 s18, s68
	s_wait_alu 0xfffe
	s_cselect_b32 s24, s19, s18
	s_wait_alu 0xfffe
	s_mov_b64 s[18:19], s[24:25]
.LBB30_166:                             ;   in Loop: Header=BB30_32 Depth=1
	s_wait_alu 0xfffe
	s_sub_nc_u64 s[16:17], s[16:17], s[18:19]
	s_mov_b32 s18, exec_lo
                                        ; implicit-def: $vgpr5_vgpr6
	s_wait_alu 0xfffe
	v_cmpx_gt_i64_e64 s[16:17], v[0:1]
	s_cbranch_execz .LBB30_175
; %bb.167:                              ;   in Loop: Header=BB30_32 Depth=1
	v_dual_mov_b32 v13, v43 :: v_dual_mov_b32 v8, v1
	v_mov_b32_e32 v7, v0
	s_mov_b32 s19, 0
                                        ; implicit-def: $sgpr23
	s_branch .LBB30_170
.LBB30_168:                             ;   in Loop: Header=BB30_170 Depth=2
	s_wait_alu 0xfffe
	s_or_b32 exec_lo, exec_lo, s24
	s_wait_loadcnt_dscnt 0x0
	s_barrier_signal -1
	s_barrier_wait -1
	global_inv scope:SCOPE_SE
	ds_load_b128 v[3:6], v18 offset:3072
	s_mov_b32 s24, -1
	s_mov_b32 s50, -1
	s_wait_loadcnt_dscnt 0x0
	s_barrier_signal -1
	s_barrier_wait -1
	global_inv scope:SCOPE_SE
	v_cmp_eq_u64_e32 vcc_lo, 0, v[3:4]
	s_cbranch_vccnz .LBB30_173
.LBB30_169:                             ;   in Loop: Header=BB30_170 Depth=2
	s_wait_alu 0xfffe
	s_and_b32 s24, exec_lo, s24
	s_wait_alu 0xfffe
	s_or_b32 s19, s24, s19
	s_and_not1_b32 s23, s23, exec_lo
	s_and_b32 s24, s50, exec_lo
	s_wait_alu 0xfffe
	s_or_b32 s23, s23, s24
	s_and_not1_b32 exec_lo, exec_lo, s19
	s_cbranch_execz .LBB30_174
.LBB30_170:                             ;   Parent Loop BB30_32 Depth=1
                                        ; =>  This Inner Loop Header: Depth=2
	s_mov_b32 s24, exec_lo
	s_delay_alu instid0(VALU_DEP_1)
	v_cmpx_gt_u64_e64 s[14:15], v[7:8]
	s_cbranch_execz .LBB30_168
; %bb.171:                              ;   in Loop: Header=BB30_170 Depth=2
	ds_load_b64 v[4:5], v13
	s_wait_dscnt 0x0
	v_xor_b32_e32 v3, 0x80000000, v5
	v_and_b32_e32 v34, v4, v32
	s_delay_alu instid0(VALU_DEP_2) | instskip(NEXT) | instid1(VALU_DEP_1)
	v_and_b32_e32 v35, v3, v33
	v_cmp_eq_u64_e32 vcc_lo, v[34:35], v[30:31]
	s_and_b32 exec_lo, exec_lo, vcc_lo
	s_cbranch_execz .LBB30_168
; %bb.172:                              ;   in Loop: Header=BB30_170 Depth=2
	v_mov_b32_e32 v3, v18
	ds_store_b128 v18, v[2:5] offset:3072
	s_branch .LBB30_168
.LBB30_173:                             ;   in Loop: Header=BB30_170 Depth=2
	v_add_co_u32 v7, vcc_lo, v7, s68
	s_wait_alu 0xfffd
	v_add_co_ci_u32_e64 v8, null, 0, v8, vcc_lo
	v_add_nc_u32_e32 v13, s58, v13
	s_mov_b32 s50, 0
	s_delay_alu instid0(VALU_DEP_2)
	v_cmp_le_i64_e32 vcc_lo, s[16:17], v[7:8]
	s_or_not1_b32 s24, vcc_lo, exec_lo
	s_branch .LBB30_169
.LBB30_174:                             ;   in Loop: Header=BB30_32 Depth=1
	s_or_b32 exec_lo, exec_lo, s19
	s_delay_alu instid0(SALU_CYCLE_1)
	s_and_not1_b32 s5, s5, exec_lo
	s_wait_alu 0xfffe
	s_and_b32 s14, s23, exec_lo
	s_wait_alu 0xfffe
	s_or_b32 s5, s5, s14
.LBB30_175:                             ;   in Loop: Header=BB30_32 Depth=1
	s_or_b32 exec_lo, exec_lo, s18
	s_mov_b32 s23, 0
	s_mov_b32 s50, -1
.LBB30_176:                             ;   in Loop: Header=BB30_32 Depth=1
	s_wait_alu 0xfffe
	s_or_not1_b32 s5, s5, exec_lo
.LBB30_177:                             ;   in Loop: Header=BB30_32 Depth=1
	s_wait_alu 0xfffe
	s_or_b32 exec_lo, exec_lo, s51
	s_mov_b32 s14, 0
	s_and_saveexec_b32 s51, s5
	s_cbranch_execz .LBB30_283
; %bb.178:                              ;   in Loop: Header=BB30_32 Depth=1
	v_dual_mov_b32 v7, 1 :: v_dual_mov_b32 v36, 1
	v_mov_b32_e32 v8, 0
	s_xor_b32 s15, s84, -1
	s_wait_alu 0xfffe
	s_and_saveexec_b32 s5, s15
	s_cbranch_execz .LBB30_188
; %bb.179:                              ;   in Loop: Header=BB30_32 Depth=1
	s_mov_b32 s14, exec_lo
	v_cmpx_le_i64_e64 v[11:12], v[9:10]
	s_wait_alu 0xfffe
	s_xor_b32 s14, exec_lo, s14
	s_cbranch_execz .LBB30_185
; %bb.180:                              ;   in Loop: Header=BB30_32 Depth=1
	ds_load_b64 v[3:4], v18 offset:5120
	v_and_b32_e32 v7, s13, v31
	v_and_b32_e32 v8, s12, v30
	s_lshl_b64 s[16:17], 1, s59
	v_or_b32_e32 v33, s9, v33
	v_or_b32_e32 v32, s8, v32
	s_wait_alu 0xfffe
	v_or_b32_e32 v31, s17, v7
	v_or_b32_e32 v30, s16, v8
	s_wait_dscnt 0x0
	v_cmp_ne_u64_e32 vcc_lo, 0, v[3:4]
	s_cbranch_vccnz .LBB30_184
; %bb.181:                              ;   in Loop: Header=BB30_32 Depth=1
	s_and_saveexec_b32 s15, s2
; %bb.182:                              ;   in Loop: Header=BB30_32 Depth=1
	ds_store_b64 v18, v[9:10] offset:5128
; %bb.183:                              ;   in Loop: Header=BB30_32 Depth=1
	s_wait_alu 0xfffe
	s_or_b32 exec_lo, exec_lo, s15
	s_wait_loadcnt_dscnt 0x0
	s_barrier_signal -1
	s_barrier_wait -1
	global_inv scope:SCOPE_SE
.LBB30_184:                             ;   in Loop: Header=BB30_32 Depth=1
                                        ; implicit-def: $vgpr7_vgpr8_vgpr9_vgpr10
.LBB30_185:                             ;   in Loop: Header=BB30_32 Depth=1
	s_wait_alu 0xfffe
	s_or_saveexec_b32 s14, s14
	v_mov_b32_e32 v36, 8
	s_mov_b32 s15, 0
	s_wait_alu 0xfffe
	s_xor_b32 exec_lo, exec_lo, s14
; %bb.186:                              ;   in Loop: Header=BB30_32 Depth=1
	v_sub_co_u32 v11, vcc_lo, v11, v9
	s_wait_alu 0xfffd
	v_sub_co_ci_u32_e64 v12, null, v12, v10, vcc_lo
	v_mov_b32_e32 v36, 0
	s_mov_b32 s15, exec_lo
; %bb.187:                              ;   in Loop: Header=BB30_32 Depth=1
	s_or_b32 exec_lo, exec_lo, s14
	s_delay_alu instid0(VALU_DEP_2)
	v_dual_mov_b32 v7, v11 :: v_dual_mov_b32 v8, v12
	s_wait_alu 0xfffe
	s_and_b32 s14, s15, exec_lo
.LBB30_188:                             ;   in Loop: Header=BB30_32 Depth=1
	s_wait_alu 0xfffe
	s_or_b32 exec_lo, exec_lo, s5
	s_mov_b32 s5, -1
                                        ; implicit-def: $sgpr18
                                        ; implicit-def: $sgpr19
	s_and_saveexec_b32 s84, s14
	s_cbranch_execz .LBB30_282
; %bb.189:                              ;   in Loop: Header=BB30_32 Depth=1
	v_cmp_eq_u64_e32 vcc_lo, 1, v[7:8]
	s_cmp_eq_u64 s[10:11], 1
                                        ; implicit-def: $sgpr19
                                        ; implicit-def: $sgpr18
	s_cselect_b32 s5, -1, 0
	s_wait_alu 0xfffe
	s_and_b32 s85, s5, vcc_lo
	s_mov_b32 s5, -1
	s_wait_alu 0xfffe
	s_and_saveexec_b32 s86, s85
	s_cbranch_execz .LBB30_223
; %bb.190:                              ;   in Loop: Header=BB30_32 Depth=1
	ds_load_b64 v[3:4], v18 offset:5120
	s_wait_loadcnt_dscnt 0x0
	s_barrier_signal -1
	s_barrier_wait -1
	global_inv scope:SCOPE_SE
	v_readfirstlane_b32 s14, v3
	v_readfirstlane_b32 s15, v4
	s_and_saveexec_b32 s5, s3
; %bb.191:                              ;   in Loop: Header=BB30_32 Depth=1
	v_mov_b32_e32 v17, v18
	ds_store_b64 v44, v[17:18]
; %bb.192:                              ;   in Loop: Header=BB30_32 Depth=1
	s_wait_alu 0xfffe
	s_or_b32 exec_lo, exec_lo, s5
	v_and_b32_e32 v3, s13, v31
	v_and_b32_e32 v4, s12, v30
	v_cmp_gt_i64_e64 s5, s[14:15], 0
	s_lshl_b64 s[16:17], 2, s59
	v_or_b32_e32 v33, s9, v33
	s_wait_alu 0xfffe
	v_or_b32_e32 v31, s17, v3
	v_or_b32_e32 v30, s16, v4
	;; [unrolled: 1-line block ×3, first 2 shown]
	s_mov_b32 s18, -1
	s_mov_b32 s19, 0
	s_and_b32 vcc_lo, exec_lo, s5
	s_mov_b32 s5, 0
	s_mov_b32 s24, -1
	s_wait_loadcnt_dscnt 0x0
	s_barrier_signal -1
	s_barrier_wait -1
	global_inv scope:SCOPE_SE
                                        ; implicit-def: $vgpr5_vgpr6
	s_wait_alu 0xfffe
	s_cbranch_vccnz .LBB30_208
; %bb.193:                              ;   in Loop: Header=BB30_32 Depth=1
	s_mov_b32 s16, s25
	s_mov_b32 s17, s77
	s_wait_alu 0xfffe
	s_cmp_lg_u64 s[16:17], 0
	s_cbranch_scc0 .LBB30_249
; %bb.194:                              ;   in Loop: Header=BB30_32 Depth=1
	s_add_nc_u64 s[16:17], s[68:69], 0
	s_wait_alu 0xfffe
	s_xor_b64 s[16:17], s[16:17], 0
	s_wait_alu 0xfffe
	s_cvt_f32_u32 s5, s16
	s_cvt_f32_u32 s24, s17
	s_sub_nc_u64 s[90:91], 0, s[16:17]
	s_wait_alu 0xfffe
	s_delay_alu instid0(SALU_CYCLE_1) | instskip(SKIP_1) | instid1(SALU_CYCLE_2)
	s_fmamk_f32 s5, s24, 0x4f800000, s5
	s_wait_alu 0xfffe
	v_s_rcp_f32 s5, s5
	s_delay_alu instid0(TRANS32_DEP_1) | instskip(SKIP_1) | instid1(SALU_CYCLE_2)
	s_mul_f32 s5, s5, 0x5f7ffffc
	s_wait_alu 0xfffe
	s_mul_f32 s24, s5, 0x2f800000
	s_wait_alu 0xfffe
	s_delay_alu instid0(SALU_CYCLE_2) | instskip(SKIP_1) | instid1(SALU_CYCLE_2)
	s_trunc_f32 s24, s24
	s_wait_alu 0xfffe
	s_fmamk_f32 s5, s24, 0xcf800000, s5
	s_cvt_u32_f32 s89, s24
	s_wait_alu 0xfffe
	s_delay_alu instid0(SALU_CYCLE_1) | instskip(SKIP_1) | instid1(SALU_CYCLE_2)
	s_cvt_u32_f32 s88, s5
	s_wait_alu 0xfffe
	s_mul_u64 s[92:93], s[90:91], s[88:89]
	s_wait_alu 0xfffe
	s_mul_hi_u32 s95, s88, s93
	s_mul_i32 s94, s88, s93
	s_mul_hi_u32 s24, s88, s92
	s_mul_i32 s87, s89, s92
	s_wait_alu 0xfffe
	s_add_nc_u64 s[94:95], s[24:25], s[94:95]
	s_mul_hi_u32 s5, s89, s92
	s_mul_hi_u32 s96, s89, s93
	s_wait_alu 0xfffe
	s_add_co_u32 s24, s94, s87
	s_add_co_ci_u32 s24, s95, s5
	s_mul_i32 s92, s89, s93
	s_add_co_ci_u32 s93, s96, 0
	s_wait_alu 0xfffe
	s_add_nc_u64 s[92:93], s[24:25], s[92:93]
	s_wait_alu 0xfffe
	s_add_co_u32 s88, s88, s92
	s_cselect_b32 s5, -1, 0
	s_wait_alu 0xfffe
	s_cmp_lg_u32 s5, 0
	s_add_co_ci_u32 s89, s89, s93
	s_wait_alu 0xfffe
	s_mul_u64 s[90:91], s[90:91], s[88:89]
	s_wait_alu 0xfffe
	s_mul_hi_u32 s93, s88, s91
	s_mul_i32 s92, s88, s91
	s_mul_hi_u32 s24, s88, s90
	s_mul_i32 s87, s89, s90
	s_wait_alu 0xfffe
	s_add_nc_u64 s[92:93], s[24:25], s[92:93]
	s_mul_hi_u32 s5, s89, s90
	s_mul_hi_u32 s94, s89, s91
	s_wait_alu 0xfffe
	s_add_co_u32 s24, s92, s87
	s_add_co_ci_u32 s24, s93, s5
	s_mul_i32 s90, s89, s91
	s_add_co_ci_u32 s91, s94, 0
	s_wait_alu 0xfffe
	s_add_nc_u64 s[90:91], s[24:25], s[90:91]
	s_wait_alu 0xfffe
	s_add_co_u32 s5, s88, s90
	s_cselect_b32 s24, -1, 0
	s_wait_alu 0xfffe
	s_cmp_lg_u32 s24, 0
	s_add_co_ci_u32 s87, s89, s91
	s_ashr_i32 s88, s77, 31
	s_wait_alu 0xfffe
	s_mov_b32 s89, s88
	s_wait_alu 0xfffe
	s_add_nc_u64 s[90:91], s[76:77], s[88:89]
	s_wait_alu 0xfffe
	s_xor_b64 s[90:91], s[90:91], s[88:89]
	s_wait_alu 0xfffe
	s_mul_hi_u32 s93, s90, s87
	s_mul_i32 s92, s90, s87
	s_mul_hi_u32 s24, s90, s5
	s_mul_hi_u32 s96, s91, s5
	s_mul_i32 s5, s91, s5
	s_wait_alu 0xfffe
	s_add_nc_u64 s[92:93], s[24:25], s[92:93]
	s_mul_hi_u32 s95, s91, s87
	s_wait_alu 0xfffe
	s_add_co_u32 s5, s92, s5
	s_add_co_ci_u32 s24, s93, s96
	s_mul_i32 s94, s91, s87
	s_add_co_ci_u32 s95, s95, 0
	s_wait_alu 0xfffe
	s_add_nc_u64 s[92:93], s[24:25], s[94:95]
	s_wait_alu 0xfffe
	s_mul_u64 s[92:93], s[16:17], s[92:93]
	s_wait_alu 0xfffe
	s_sub_co_u32 s5, s90, s92
	s_cselect_b32 s24, -1, 0
	s_sub_co_i32 s87, s91, s93
	s_wait_alu 0xfffe
	s_cmp_lg_u32 s24, 0
	s_sub_co_ci_u32 s87, s87, s17
	s_sub_co_u32 s90, s5, s16
	s_cselect_b32 s92, -1, 0
	s_wait_alu 0xfffe
	s_cmp_lg_u32 s92, 0
	s_sub_co_ci_u32 s94, s87, 0
	s_wait_alu 0xfffe
	s_cmp_ge_u32 s94, s17
	s_cselect_b32 s95, -1, 0
	s_cmp_ge_u32 s90, s16
	s_cselect_b32 s96, -1, 0
	s_cmp_eq_u32 s94, s17
	s_wait_alu 0xfffe
	s_cselect_b32 s95, s96, s95
	s_cmp_lg_u32 s92, 0
	s_sub_co_ci_u32 s87, s87, s17
	s_sub_co_u32 s92, s90, s16
	s_cselect_b32 s96, -1, 0
	s_wait_alu 0xfffe
	s_cmp_lg_u32 s96, 0
	s_sub_co_ci_u32 s87, s87, 0
	s_cmp_lg_u32 s95, 0
	s_cselect_b32 s90, s92, s90
	s_wait_alu 0xfffe
	s_cselect_b32 s87, s87, s94
	s_cmp_lg_u32 s24, 0
	s_sub_co_ci_u32 s24, s91, s93
	s_wait_alu 0xfffe
	s_cmp_ge_u32 s24, s17
	s_cselect_b32 s91, -1, 0
	s_cmp_ge_u32 s5, s16
	s_cselect_b32 s16, -1, 0
	s_cmp_eq_u32 s24, s17
	s_wait_alu 0xfffe
	s_cselect_b32 s16, s16, s91
	s_wait_alu 0xfffe
	s_cmp_lg_u32 s16, 0
	s_cselect_b32 s17, s87, s24
	s_cselect_b32 s16, s90, s5
	s_wait_alu 0xfffe
	s_xor_b64 s[16:17], s[16:17], s[88:89]
	s_wait_alu 0xfffe
	s_sub_nc_u64 s[16:17], s[16:17], s[88:89]
	s_cbranch_execnz .LBB30_196
.LBB30_195:                             ;   in Loop: Header=BB30_32 Depth=1
	v_cvt_f32_u32_e32 v3, s68
	s_sub_co_i32 s16, 0, s68
	s_delay_alu instid0(VALU_DEP_1) | instskip(NEXT) | instid1(TRANS32_DEP_1)
	v_rcp_iflag_f32_e32 v3, v3
	v_mul_f32_e32 v3, 0x4f7ffffe, v3
	s_delay_alu instid0(VALU_DEP_1) | instskip(NEXT) | instid1(VALU_DEP_1)
	v_cvt_u32_f32_e32 v3, v3
	v_readfirstlane_b32 s5, v3
	s_wait_alu 0xfffe
	s_mul_i32 s16, s16, s5
	s_wait_alu 0xfffe
	s_mul_hi_u32 s16, s5, s16
	s_wait_alu 0xfffe
	s_add_co_i32 s5, s5, s16
	s_wait_alu 0xfffe
	s_mul_hi_u32 s5, s76, s5
	s_wait_alu 0xfffe
	s_mul_i32 s5, s5, s68
	s_wait_alu 0xfffe
	s_sub_co_i32 s5, s76, s5
	s_wait_alu 0xfffe
	s_sub_co_i32 s16, s5, s68
	s_cmp_ge_u32 s5, s68
	s_wait_alu 0xfffe
	s_cselect_b32 s5, s16, s5
	s_wait_alu 0xfffe
	s_sub_co_i32 s16, s5, s68
	s_cmp_ge_u32 s5, s68
	s_wait_alu 0xfffe
	s_cselect_b32 s24, s16, s5
	s_wait_alu 0xfffe
	s_mov_b64 s[16:17], s[24:25]
.LBB30_196:                             ;   in Loop: Header=BB30_32 Depth=1
	s_wait_alu 0xfffe
	s_sub_nc_u64 s[16:17], s[76:77], s[16:17]
	s_mov_b32 s24, 0
	s_mov_b32 s5, 0
	s_mov_b32 s87, exec_lo
                                        ; implicit-def: $vgpr5_vgpr6
	s_wait_alu 0xfffe
	v_cmpx_gt_i64_e64 s[16:17], v[0:1]
	s_cbranch_execz .LBB30_207
; %bb.197:                              ;   in Loop: Header=BB30_32 Depth=1
	v_dual_mov_b32 v9, v15 :: v_dual_mov_b32 v10, v16
	v_dual_mov_b32 v12, v1 :: v_dual_mov_b32 v11, v0
	s_mov_b32 s88, 0
                                        ; implicit-def: $sgpr89
	s_branch .LBB30_200
.LBB30_198:                             ;   in Loop: Header=BB30_200 Depth=2
	s_wait_alu 0xfffe
	s_or_b32 exec_lo, exec_lo, s5
	s_wait_loadcnt_dscnt 0x0
	s_barrier_signal -1
	s_barrier_wait -1
	global_inv scope:SCOPE_SE
	ds_load_b128 v[3:6], v18 offset:3072
	s_mov_b32 s5, -1
	s_mov_b32 s90, -1
	s_wait_loadcnt_dscnt 0x0
	s_barrier_signal -1
	s_barrier_wait -1
	global_inv scope:SCOPE_SE
	v_cmp_ne_u64_e32 vcc_lo, 0, v[3:4]
	s_cbranch_vccz .LBB30_203
.LBB30_199:                             ;   in Loop: Header=BB30_200 Depth=2
	s_wait_alu 0xfffe
	s_and_b32 s5, exec_lo, s5
	s_wait_alu 0xfffe
	s_or_b32 s88, s5, s88
	s_and_not1_b32 s5, s89, exec_lo
	s_and_b32 s89, s90, exec_lo
	s_wait_alu 0xfffe
	s_or_b32 s89, s5, s89
	s_and_not1_b32 exec_lo, exec_lo, s88
	s_cbranch_execz .LBB30_206
.LBB30_200:                             ;   Parent Loop BB30_32 Depth=1
                                        ; =>  This Inner Loop Header: Depth=2
	s_mov_b32 s5, exec_lo
	s_delay_alu instid0(VALU_DEP_1)
	v_cmpx_gt_i64_e64 s[36:37], v[11:12]
	s_cbranch_execz .LBB30_198
; %bb.201:                              ;   in Loop: Header=BB30_200 Depth=2
	global_load_b64 v[4:5], v[9:10], off
	s_wait_loadcnt 0x0
	v_xor_b32_e32 v3, 0x80000000, v5
	v_and_b32_e32 v13, v4, v32
	s_delay_alu instid0(VALU_DEP_2) | instskip(NEXT) | instid1(VALU_DEP_1)
	v_and_b32_e32 v14, v3, v33
	v_cmp_eq_u64_e32 vcc_lo, v[13:14], v[30:31]
	s_and_b32 exec_lo, exec_lo, vcc_lo
	s_cbranch_execz .LBB30_198
; %bb.202:                              ;   in Loop: Header=BB30_200 Depth=2
	v_mov_b32_e32 v3, v18
	ds_store_b128 v18, v[2:5] offset:3072
	s_branch .LBB30_198
.LBB30_203:                             ;   in Loop: Header=BB30_200 Depth=2
	v_add_co_u32 v11, vcc_lo, v11, s68
	s_wait_alu 0xfffd
	v_add_co_ci_u32_e64 v12, null, 0, v12, vcc_lo
	v_add_co_u32 v9, s5, v9, s70
	s_wait_alu 0xf1fe
	v_add_co_ci_u32_e64 v10, null, s71, v10, s5
	s_delay_alu instid0(VALU_DEP_3)
	v_cmp_le_i64_e32 vcc_lo, s[16:17], v[11:12]
	s_mov_b32 s90, 0
	s_or_not1_b32 s5, vcc_lo, exec_lo
	s_branch .LBB30_199
.LBB30_204:                             ;   in Loop: Header=BB30_32 Depth=1
                                        ; implicit-def: $sgpr16_sgpr17
	s_branch .LBB30_149
.LBB30_205:                             ;   in Loop: Header=BB30_32 Depth=1
                                        ; implicit-def: $sgpr18_sgpr19
	s_branch .LBB30_165
.LBB30_206:                             ;   in Loop: Header=BB30_32 Depth=1
	s_or_b32 exec_lo, exec_lo, s88
	s_wait_alu 0xfffe
	s_and_b32 s5, s89, exec_lo
.LBB30_207:                             ;   in Loop: Header=BB30_32 Depth=1
	s_or_b32 exec_lo, exec_lo, s87
.LBB30_208:                             ;   in Loop: Header=BB30_32 Depth=1
	s_delay_alu instid0(SALU_CYCLE_1)
	s_and_b32 vcc_lo, exec_lo, s24
	s_wait_alu 0xfffe
	s_cbranch_vccz .LBB30_222
; %bb.209:                              ;   in Loop: Header=BB30_32 Depth=1
	s_add_nc_u64 s[16:17], s[14:15], s[74:75]
	s_mov_b32 s18, s25
	s_wait_alu 0xfffe
	s_mov_b32 s19, s17
	s_wait_alu 0xfffe
	s_cmp_lg_u64 s[18:19], 0
	s_cbranch_scc0 .LBB30_250
; %bb.210:                              ;   in Loop: Header=BB30_32 Depth=1
	s_add_nc_u64 s[18:19], s[68:69], 0
	s_wait_alu 0xfffe
	s_xor_b64 s[18:19], s[18:19], 0
	s_wait_alu 0xfffe
	s_cvt_f32_u32 s24, s18
	s_cvt_f32_u32 s87, s19
	s_sub_nc_u64 s[90:91], 0, s[18:19]
	s_wait_alu 0xfffe
	s_delay_alu instid0(SALU_CYCLE_1) | instskip(SKIP_1) | instid1(SALU_CYCLE_2)
	s_fmamk_f32 s24, s87, 0x4f800000, s24
	s_wait_alu 0xfffe
	v_s_rcp_f32 s24, s24
	s_delay_alu instid0(TRANS32_DEP_1) | instskip(SKIP_1) | instid1(SALU_CYCLE_2)
	s_mul_f32 s24, s24, 0x5f7ffffc
	s_wait_alu 0xfffe
	s_mul_f32 s87, s24, 0x2f800000
	s_wait_alu 0xfffe
	s_delay_alu instid0(SALU_CYCLE_2) | instskip(SKIP_1) | instid1(SALU_CYCLE_2)
	s_trunc_f32 s87, s87
	s_wait_alu 0xfffe
	s_fmamk_f32 s24, s87, 0xcf800000, s24
	s_cvt_u32_f32 s89, s87
	s_wait_alu 0xfffe
	s_delay_alu instid0(SALU_CYCLE_1) | instskip(SKIP_1) | instid1(SALU_CYCLE_2)
	s_cvt_u32_f32 s88, s24
	s_wait_alu 0xfffe
	s_mul_u64 s[92:93], s[90:91], s[88:89]
	s_wait_alu 0xfffe
	s_mul_hi_u32 s95, s88, s93
	s_mul_i32 s94, s88, s93
	s_mul_hi_u32 s24, s88, s92
	s_mul_i32 s96, s89, s92
	s_wait_alu 0xfffe
	s_add_nc_u64 s[94:95], s[24:25], s[94:95]
	s_mul_hi_u32 s87, s89, s92
	s_mul_hi_u32 s97, s89, s93
	s_wait_alu 0xfffe
	s_add_co_u32 s24, s94, s96
	s_add_co_ci_u32 s24, s95, s87
	s_mul_i32 s92, s89, s93
	s_add_co_ci_u32 s93, s97, 0
	s_wait_alu 0xfffe
	s_add_nc_u64 s[92:93], s[24:25], s[92:93]
	s_wait_alu 0xfffe
	s_add_co_u32 s88, s88, s92
	s_cselect_b32 s24, -1, 0
	s_wait_alu 0xfffe
	s_cmp_lg_u32 s24, 0
	s_add_co_ci_u32 s89, s89, s93
	s_wait_alu 0xfffe
	s_mul_u64 s[90:91], s[90:91], s[88:89]
	s_wait_alu 0xfffe
	s_mul_hi_u32 s93, s88, s91
	s_mul_i32 s92, s88, s91
	s_mul_hi_u32 s24, s88, s90
	s_mul_i32 s94, s89, s90
	s_wait_alu 0xfffe
	s_add_nc_u64 s[92:93], s[24:25], s[92:93]
	s_mul_hi_u32 s87, s89, s90
	s_mul_hi_u32 s95, s89, s91
	s_wait_alu 0xfffe
	s_add_co_u32 s24, s92, s94
	s_add_co_ci_u32 s24, s93, s87
	s_mul_i32 s90, s89, s91
	s_add_co_ci_u32 s91, s95, 0
	s_wait_alu 0xfffe
	s_add_nc_u64 s[90:91], s[24:25], s[90:91]
	s_wait_alu 0xfffe
	s_add_co_u32 s87, s88, s90
	s_cselect_b32 s24, -1, 0
	s_wait_alu 0xfffe
	s_cmp_lg_u32 s24, 0
	s_add_co_ci_u32 s94, s89, s91
	s_ashr_i32 s88, s17, 31
	s_wait_alu 0xfffe
	s_mov_b32 s89, s88
	s_wait_alu 0xfffe
	s_add_nc_u64 s[90:91], s[16:17], s[88:89]
	s_wait_alu 0xfffe
	s_xor_b64 s[90:91], s[90:91], s[88:89]
	s_wait_alu 0xfffe
	s_mul_hi_u32 s93, s90, s94
	s_mul_i32 s92, s90, s94
	s_mul_hi_u32 s24, s90, s87
	s_mul_hi_u32 s96, s91, s87
	s_mul_i32 s87, s91, s87
	s_wait_alu 0xfffe
	s_add_nc_u64 s[92:93], s[24:25], s[92:93]
	s_mul_hi_u32 s95, s91, s94
	s_wait_alu 0xfffe
	s_add_co_u32 s24, s92, s87
	s_add_co_ci_u32 s24, s93, s96
	s_mul_i32 s94, s91, s94
	s_add_co_ci_u32 s95, s95, 0
	s_wait_alu 0xfffe
	s_add_nc_u64 s[92:93], s[24:25], s[94:95]
	s_wait_alu 0xfffe
	s_mul_u64 s[92:93], s[18:19], s[92:93]
	s_wait_alu 0xfffe
	s_sub_co_u32 s24, s90, s92
	s_cselect_b32 s87, -1, 0
	s_sub_co_i32 s90, s91, s93
	s_wait_alu 0xfffe
	s_cmp_lg_u32 s87, 0
	s_sub_co_ci_u32 s90, s90, s19
	s_sub_co_u32 s92, s24, s18
	s_cselect_b32 s94, -1, 0
	s_wait_alu 0xfffe
	s_cmp_lg_u32 s94, 0
	s_sub_co_ci_u32 s95, s90, 0
	s_wait_alu 0xfffe
	s_cmp_ge_u32 s95, s19
	s_cselect_b32 s96, -1, 0
	s_cmp_ge_u32 s92, s18
	s_cselect_b32 s97, -1, 0
	s_cmp_eq_u32 s95, s19
	s_wait_alu 0xfffe
	s_cselect_b32 s96, s97, s96
	s_cmp_lg_u32 s94, 0
	s_sub_co_ci_u32 s90, s90, s19
	s_sub_co_u32 s94, s92, s18
	s_cselect_b32 s97, -1, 0
	s_wait_alu 0xfffe
	s_cmp_lg_u32 s97, 0
	s_sub_co_ci_u32 s90, s90, 0
	s_cmp_lg_u32 s96, 0
	s_cselect_b32 s92, s94, s92
	s_wait_alu 0xfffe
	s_cselect_b32 s90, s90, s95
	s_cmp_lg_u32 s87, 0
	s_sub_co_ci_u32 s87, s91, s93
	s_wait_alu 0xfffe
	s_cmp_ge_u32 s87, s19
	s_cselect_b32 s91, -1, 0
	s_cmp_ge_u32 s24, s18
	s_cselect_b32 s18, -1, 0
	s_cmp_eq_u32 s87, s19
	s_wait_alu 0xfffe
	s_cselect_b32 s18, s18, s91
	s_wait_alu 0xfffe
	s_cmp_lg_u32 s18, 0
	s_cselect_b32 s19, s90, s87
	s_cselect_b32 s18, s92, s24
	s_wait_alu 0xfffe
	s_xor_b64 s[18:19], s[18:19], s[88:89]
	s_wait_alu 0xfffe
	s_sub_nc_u64 s[18:19], s[18:19], s[88:89]
	s_cbranch_execnz .LBB30_212
.LBB30_211:                             ;   in Loop: Header=BB30_32 Depth=1
	v_cvt_f32_u32_e32 v3, s68
	s_sub_co_i32 s19, 0, s68
	s_delay_alu instid0(VALU_DEP_1) | instskip(NEXT) | instid1(TRANS32_DEP_1)
	v_rcp_iflag_f32_e32 v3, v3
	v_mul_f32_e32 v3, 0x4f7ffffe, v3
	s_delay_alu instid0(VALU_DEP_1) | instskip(NEXT) | instid1(VALU_DEP_1)
	v_cvt_u32_f32_e32 v3, v3
	v_readfirstlane_b32 s18, v3
	s_wait_alu 0xfffe
	s_mul_i32 s19, s19, s18
	s_wait_alu 0xfffe
	s_mul_hi_u32 s19, s18, s19
	s_wait_alu 0xfffe
	s_add_co_i32 s18, s18, s19
	s_wait_alu 0xfffe
	s_mul_hi_u32 s18, s16, s18
	s_wait_alu 0xfffe
	s_mul_i32 s18, s18, s68
	s_wait_alu 0xfffe
	s_sub_co_i32 s18, s16, s18
	s_wait_alu 0xfffe
	s_sub_co_i32 s19, s18, s68
	s_cmp_ge_u32 s18, s68
	s_wait_alu 0xfffe
	s_cselect_b32 s18, s19, s18
	s_wait_alu 0xfffe
	s_sub_co_i32 s19, s18, s68
	s_cmp_ge_u32 s18, s68
	s_wait_alu 0xfffe
	s_cselect_b32 s24, s19, s18
	s_wait_alu 0xfffe
	s_mov_b64 s[18:19], s[24:25]
.LBB30_212:                             ;   in Loop: Header=BB30_32 Depth=1
	s_wait_alu 0xfffe
	s_sub_nc_u64 s[16:17], s[16:17], s[18:19]
	s_mov_b32 s18, exec_lo
                                        ; implicit-def: $vgpr5_vgpr6
	s_wait_alu 0xfffe
	v_cmpx_gt_i64_e64 s[16:17], v[0:1]
	s_cbranch_execz .LBB30_221
; %bb.213:                              ;   in Loop: Header=BB30_32 Depth=1
	v_dual_mov_b32 v11, v43 :: v_dual_mov_b32 v10, v1
	v_mov_b32_e32 v9, v0
	s_mov_b32 s19, 0
                                        ; implicit-def: $sgpr24
	s_branch .LBB30_216
.LBB30_214:                             ;   in Loop: Header=BB30_216 Depth=2
	s_wait_alu 0xfffe
	s_or_b32 exec_lo, exec_lo, s87
	s_wait_loadcnt_dscnt 0x0
	s_barrier_signal -1
	s_barrier_wait -1
	global_inv scope:SCOPE_SE
	ds_load_b128 v[3:6], v18 offset:3072
	s_mov_b32 s87, -1
	s_mov_b32 s88, -1
	s_wait_loadcnt_dscnt 0x0
	s_barrier_signal -1
	s_barrier_wait -1
	global_inv scope:SCOPE_SE
	v_cmp_eq_u64_e32 vcc_lo, 0, v[3:4]
	s_cbranch_vccnz .LBB30_219
.LBB30_215:                             ;   in Loop: Header=BB30_216 Depth=2
	s_wait_alu 0xfffe
	s_and_b32 s87, exec_lo, s87
	s_wait_alu 0xfffe
	s_or_b32 s19, s87, s19
	s_and_not1_b32 s24, s24, exec_lo
	s_and_b32 s87, s88, exec_lo
	s_wait_alu 0xfffe
	s_or_b32 s24, s24, s87
	s_and_not1_b32 exec_lo, exec_lo, s19
	s_cbranch_execz .LBB30_220
.LBB30_216:                             ;   Parent Loop BB30_32 Depth=1
                                        ; =>  This Inner Loop Header: Depth=2
	s_mov_b32 s87, exec_lo
	s_delay_alu instid0(VALU_DEP_1)
	v_cmpx_gt_u64_e64 s[14:15], v[9:10]
	s_cbranch_execz .LBB30_214
; %bb.217:                              ;   in Loop: Header=BB30_216 Depth=2
	ds_load_b64 v[4:5], v11
	s_wait_dscnt 0x0
	v_xor_b32_e32 v3, 0x80000000, v5
	v_and_b32_e32 v12, v4, v32
	s_delay_alu instid0(VALU_DEP_2) | instskip(NEXT) | instid1(VALU_DEP_1)
	v_and_b32_e32 v13, v3, v33
	v_cmp_eq_u64_e32 vcc_lo, v[12:13], v[30:31]
	s_and_b32 exec_lo, exec_lo, vcc_lo
	s_cbranch_execz .LBB30_214
; %bb.218:                              ;   in Loop: Header=BB30_216 Depth=2
	v_mov_b32_e32 v3, v18
	ds_store_b128 v18, v[2:5] offset:3072
	s_branch .LBB30_214
.LBB30_219:                             ;   in Loop: Header=BB30_216 Depth=2
	v_add_co_u32 v9, vcc_lo, v9, s68
	s_wait_alu 0xfffd
	v_add_co_ci_u32_e64 v10, null, 0, v10, vcc_lo
	v_add_nc_u32_e32 v11, s58, v11
	s_mov_b32 s88, 0
	s_delay_alu instid0(VALU_DEP_2)
	v_cmp_le_i64_e32 vcc_lo, s[16:17], v[9:10]
	s_or_not1_b32 s87, vcc_lo, exec_lo
	s_branch .LBB30_215
.LBB30_220:                             ;   in Loop: Header=BB30_32 Depth=1
	s_or_b32 exec_lo, exec_lo, s19
	s_delay_alu instid0(SALU_CYCLE_1)
	s_and_not1_b32 s5, s5, exec_lo
	s_wait_alu 0xfffe
	s_and_b32 s14, s24, exec_lo
	s_wait_alu 0xfffe
	s_or_b32 s5, s5, s14
.LBB30_221:                             ;   in Loop: Header=BB30_32 Depth=1
	s_or_b32 exec_lo, exec_lo, s18
	s_mov_b32 s18, 0
	s_mov_b32 s19, -1
.LBB30_222:                             ;   in Loop: Header=BB30_32 Depth=1
	s_wait_alu 0xfffe
	s_or_not1_b32 s5, s5, exec_lo
.LBB30_223:                             ;   in Loop: Header=BB30_32 Depth=1
	s_wait_alu 0xfffe
	s_or_b32 exec_lo, exec_lo, s86
	s_mov_b32 s14, 0
	s_and_saveexec_b32 s16, s5
	s_cbranch_execz .LBB30_281
; %bb.224:                              ;   in Loop: Header=BB30_32 Depth=1
	v_dual_mov_b32 v9, 1 :: v_dual_mov_b32 v36, 1
	v_mov_b32_e32 v10, 0
	s_xor_b32 s14, s85, -1
	s_mov_b32 s24, 0
	s_wait_alu 0xfffe
	s_and_saveexec_b32 s5, s14
	s_cbranch_execz .LBB30_233
; %bb.225:                              ;   in Loop: Header=BB30_32 Depth=1
	s_mov_b32 s14, exec_lo
	v_cmpx_ge_i64_e64 s[10:11], v[7:8]
	s_wait_alu 0xfffe
	s_xor_b32 s14, exec_lo, s14
	s_cbranch_execz .LBB30_230
; %bb.226:                              ;   in Loop: Header=BB30_32 Depth=1
	ds_load_b64 v[3:4], v18 offset:5120
	v_and_b32_e32 v9, s13, v31
	v_and_b32_e32 v10, s12, v30
	s_lshl_b64 s[12:13], 2, s59
	v_or_b32_e32 v33, s9, v33
	v_or_b32_e32 v32, s8, v32
	s_wait_alu 0xfffe
	v_or_b32_e32 v31, s13, v9
	v_or_b32_e32 v30, s12, v10
	s_wait_dscnt 0x0
	v_cmp_ne_u64_e32 vcc_lo, 0, v[3:4]
	s_cbranch_vccnz .LBB30_230
; %bb.227:                              ;   in Loop: Header=BB30_32 Depth=1
	s_and_saveexec_b32 s12, s2
; %bb.228:                              ;   in Loop: Header=BB30_32 Depth=1
	v_dual_mov_b32 v3, s10 :: v_dual_mov_b32 v4, s11
	ds_store_b64 v18, v[3:4] offset:5128
; %bb.229:                              ;   in Loop: Header=BB30_32 Depth=1
	s_wait_alu 0xfffe
	s_or_b32 exec_lo, exec_lo, s12
	s_wait_loadcnt_dscnt 0x0
	s_barrier_signal -1
	s_barrier_wait -1
	global_inv scope:SCOPE_SE
.LBB30_230:                             ;   in Loop: Header=BB30_32 Depth=1
	s_wait_alu 0xfffe
	s_or_saveexec_b32 s12, s14
	v_mov_b32_e32 v36, 8
	s_mov_b32 s13, 0
	s_wait_alu 0xfffe
	s_xor_b32 exec_lo, exec_lo, s12
; %bb.231:                              ;   in Loop: Header=BB30_32 Depth=1
	v_sub_co_u32 v7, vcc_lo, v7, s10
	s_wait_alu 0xfffd
	v_subrev_co_ci_u32_e64 v8, null, s11, v8, vcc_lo
	v_mov_b32_e32 v36, 0
	s_mov_b32 s13, exec_lo
; %bb.232:                              ;   in Loop: Header=BB30_32 Depth=1
	s_or_b32 exec_lo, exec_lo, s12
	s_delay_alu instid0(VALU_DEP_2)
	v_dual_mov_b32 v10, v8 :: v_dual_mov_b32 v9, v7
	s_wait_alu 0xfffe
	s_and_b32 s24, s13, exec_lo
.LBB30_233:                             ;   in Loop: Header=BB30_32 Depth=1
	s_wait_alu 0xfffe
	s_or_b32 exec_lo, exec_lo, s5
	s_mov_b32 s5, -1
                                        ; implicit-def: $sgpr15
                                        ; implicit-def: $sgpr14
	s_and_saveexec_b32 s17, s24
	s_cbranch_execz .LBB30_280
; %bb.234:                              ;   in Loop: Header=BB30_32 Depth=1
	v_cmp_eq_u64_e32 vcc_lo, 1, v[9:10]
	s_cmp_eq_u64 s[6:7], 1
	s_mov_b32 s10, -1
	s_cselect_b32 s5, -1, 0
                                        ; implicit-def: $sgpr15
                                        ; implicit-def: $sgpr14
	s_wait_alu 0xfffe
	s_and_b32 s85, s5, vcc_lo
	s_wait_alu 0xfffe
	s_and_saveexec_b32 s86, s85
	s_cbranch_execz .LBB30_268
; %bb.235:                              ;   in Loop: Header=BB30_32 Depth=1
	ds_load_b64 v[3:4], v18 offset:5120
	s_wait_loadcnt_dscnt 0x0
	s_barrier_signal -1
	s_barrier_wait -1
	global_inv scope:SCOPE_SE
	v_readfirstlane_b32 s10, v3
	v_readfirstlane_b32 s11, v4
	s_and_saveexec_b32 s5, s3
; %bb.236:                              ;   in Loop: Header=BB30_32 Depth=1
	v_mov_b32_e32 v17, v18
	ds_store_b64 v44, v[17:18]
; %bb.237:                              ;   in Loop: Header=BB30_32 Depth=1
	s_wait_alu 0xfffe
	s_or_b32 exec_lo, exec_lo, s5
	v_cmp_gt_i64_e64 s5, s[10:11], 0
	v_or_b32_e32 v31, s9, v31
	v_or_b32_e32 v30, s8, v30
	;; [unrolled: 1-line block ×4, first 2 shown]
	s_mov_b32 s14, -1
	s_mov_b32 s15, 0
	s_and_b32 vcc_lo, exec_lo, s5
	s_mov_b32 s5, 0
	s_mov_b32 s24, -1
	s_wait_loadcnt_dscnt 0x0
	s_barrier_signal -1
	s_barrier_wait -1
	global_inv scope:SCOPE_SE
                                        ; implicit-def: $vgpr5_vgpr6
	s_wait_alu 0xfffe
	s_cbranch_vccnz .LBB30_253
; %bb.238:                              ;   in Loop: Header=BB30_32 Depth=1
	s_mov_b32 s12, s25
	s_mov_b32 s13, s77
	s_wait_alu 0xfffe
	s_cmp_lg_u64 s[12:13], 0
	s_cbranch_scc0 .LBB30_287
; %bb.239:                              ;   in Loop: Header=BB30_32 Depth=1
	s_add_nc_u64 s[12:13], s[68:69], 0
	s_wait_alu 0xfffe
	s_xor_b64 s[12:13], s[12:13], 0
	s_wait_alu 0xfffe
	s_cvt_f32_u32 s5, s12
	s_cvt_f32_u32 s24, s13
	s_sub_nc_u64 s[90:91], 0, s[12:13]
	s_wait_alu 0xfffe
	s_delay_alu instid0(SALU_CYCLE_1) | instskip(SKIP_1) | instid1(SALU_CYCLE_2)
	s_fmamk_f32 s5, s24, 0x4f800000, s5
	s_wait_alu 0xfffe
	v_s_rcp_f32 s5, s5
	s_delay_alu instid0(TRANS32_DEP_1) | instskip(SKIP_1) | instid1(SALU_CYCLE_2)
	s_mul_f32 s5, s5, 0x5f7ffffc
	s_wait_alu 0xfffe
	s_mul_f32 s24, s5, 0x2f800000
	s_wait_alu 0xfffe
	s_delay_alu instid0(SALU_CYCLE_2) | instskip(SKIP_1) | instid1(SALU_CYCLE_2)
	s_trunc_f32 s24, s24
	s_wait_alu 0xfffe
	s_fmamk_f32 s5, s24, 0xcf800000, s5
	s_cvt_u32_f32 s89, s24
	s_wait_alu 0xfffe
	s_delay_alu instid0(SALU_CYCLE_1) | instskip(SKIP_1) | instid1(SALU_CYCLE_2)
	s_cvt_u32_f32 s88, s5
	s_wait_alu 0xfffe
	s_mul_u64 s[92:93], s[90:91], s[88:89]
	s_wait_alu 0xfffe
	s_mul_hi_u32 s95, s88, s93
	s_mul_i32 s94, s88, s93
	s_mul_hi_u32 s24, s88, s92
	s_mul_i32 s87, s89, s92
	s_wait_alu 0xfffe
	s_add_nc_u64 s[94:95], s[24:25], s[94:95]
	s_mul_hi_u32 s5, s89, s92
	s_mul_hi_u32 s96, s89, s93
	s_wait_alu 0xfffe
	s_add_co_u32 s24, s94, s87
	s_add_co_ci_u32 s24, s95, s5
	s_mul_i32 s92, s89, s93
	s_add_co_ci_u32 s93, s96, 0
	s_wait_alu 0xfffe
	s_add_nc_u64 s[92:93], s[24:25], s[92:93]
	s_wait_alu 0xfffe
	s_add_co_u32 s88, s88, s92
	s_cselect_b32 s5, -1, 0
	s_wait_alu 0xfffe
	s_cmp_lg_u32 s5, 0
	s_add_co_ci_u32 s89, s89, s93
	s_wait_alu 0xfffe
	s_mul_u64 s[90:91], s[90:91], s[88:89]
	s_wait_alu 0xfffe
	s_mul_hi_u32 s93, s88, s91
	s_mul_i32 s92, s88, s91
	s_mul_hi_u32 s24, s88, s90
	s_mul_i32 s87, s89, s90
	s_wait_alu 0xfffe
	s_add_nc_u64 s[92:93], s[24:25], s[92:93]
	s_mul_hi_u32 s5, s89, s90
	s_mul_hi_u32 s94, s89, s91
	s_wait_alu 0xfffe
	s_add_co_u32 s24, s92, s87
	s_add_co_ci_u32 s24, s93, s5
	s_mul_i32 s90, s89, s91
	s_add_co_ci_u32 s91, s94, 0
	s_wait_alu 0xfffe
	s_add_nc_u64 s[90:91], s[24:25], s[90:91]
	s_wait_alu 0xfffe
	s_add_co_u32 s5, s88, s90
	s_cselect_b32 s24, -1, 0
	s_wait_alu 0xfffe
	s_cmp_lg_u32 s24, 0
	s_add_co_ci_u32 s87, s89, s91
	s_ashr_i32 s88, s77, 31
	s_wait_alu 0xfffe
	s_mov_b32 s89, s88
	s_wait_alu 0xfffe
	s_add_nc_u64 s[90:91], s[76:77], s[88:89]
	s_wait_alu 0xfffe
	s_xor_b64 s[90:91], s[90:91], s[88:89]
	s_wait_alu 0xfffe
	s_mul_hi_u32 s93, s90, s87
	s_mul_i32 s92, s90, s87
	s_mul_hi_u32 s24, s90, s5
	s_mul_hi_u32 s96, s91, s5
	s_mul_i32 s5, s91, s5
	s_wait_alu 0xfffe
	s_add_nc_u64 s[92:93], s[24:25], s[92:93]
	s_mul_hi_u32 s95, s91, s87
	s_wait_alu 0xfffe
	s_add_co_u32 s5, s92, s5
	s_add_co_ci_u32 s24, s93, s96
	s_mul_i32 s94, s91, s87
	s_add_co_ci_u32 s95, s95, 0
	s_wait_alu 0xfffe
	s_add_nc_u64 s[92:93], s[24:25], s[94:95]
	s_wait_alu 0xfffe
	s_mul_u64 s[92:93], s[12:13], s[92:93]
	s_wait_alu 0xfffe
	s_sub_co_u32 s5, s90, s92
	s_cselect_b32 s24, -1, 0
	s_sub_co_i32 s87, s91, s93
	s_wait_alu 0xfffe
	s_cmp_lg_u32 s24, 0
	s_sub_co_ci_u32 s87, s87, s13
	s_sub_co_u32 s90, s5, s12
	s_cselect_b32 s92, -1, 0
	s_wait_alu 0xfffe
	s_cmp_lg_u32 s92, 0
	s_sub_co_ci_u32 s94, s87, 0
	s_wait_alu 0xfffe
	s_cmp_ge_u32 s94, s13
	s_cselect_b32 s95, -1, 0
	s_cmp_ge_u32 s90, s12
	s_cselect_b32 s96, -1, 0
	s_cmp_eq_u32 s94, s13
	s_wait_alu 0xfffe
	s_cselect_b32 s95, s96, s95
	s_cmp_lg_u32 s92, 0
	s_sub_co_ci_u32 s87, s87, s13
	s_sub_co_u32 s92, s90, s12
	s_cselect_b32 s96, -1, 0
	s_wait_alu 0xfffe
	s_cmp_lg_u32 s96, 0
	s_sub_co_ci_u32 s87, s87, 0
	s_cmp_lg_u32 s95, 0
	s_cselect_b32 s90, s92, s90
	s_wait_alu 0xfffe
	s_cselect_b32 s87, s87, s94
	s_cmp_lg_u32 s24, 0
	s_sub_co_ci_u32 s24, s91, s93
	s_wait_alu 0xfffe
	s_cmp_ge_u32 s24, s13
	s_cselect_b32 s91, -1, 0
	s_cmp_ge_u32 s5, s12
	s_cselect_b32 s12, -1, 0
	s_cmp_eq_u32 s24, s13
	s_wait_alu 0xfffe
	s_cselect_b32 s12, s12, s91
	s_wait_alu 0xfffe
	s_cmp_lg_u32 s12, 0
	s_cselect_b32 s13, s87, s24
	s_cselect_b32 s12, s90, s5
	s_wait_alu 0xfffe
	s_xor_b64 s[12:13], s[12:13], s[88:89]
	s_wait_alu 0xfffe
	s_sub_nc_u64 s[12:13], s[12:13], s[88:89]
	s_cbranch_execnz .LBB30_241
.LBB30_240:                             ;   in Loop: Header=BB30_32 Depth=1
	v_cvt_f32_u32_e32 v3, s68
	s_sub_co_i32 s12, 0, s68
	s_delay_alu instid0(VALU_DEP_1) | instskip(NEXT) | instid1(TRANS32_DEP_1)
	v_rcp_iflag_f32_e32 v3, v3
	v_mul_f32_e32 v3, 0x4f7ffffe, v3
	s_delay_alu instid0(VALU_DEP_1) | instskip(NEXT) | instid1(VALU_DEP_1)
	v_cvt_u32_f32_e32 v3, v3
	v_readfirstlane_b32 s5, v3
	s_wait_alu 0xfffe
	s_mul_i32 s12, s12, s5
	s_wait_alu 0xfffe
	s_mul_hi_u32 s12, s5, s12
	s_wait_alu 0xfffe
	s_add_co_i32 s5, s5, s12
	s_wait_alu 0xfffe
	s_mul_hi_u32 s5, s76, s5
	s_wait_alu 0xfffe
	s_mul_i32 s5, s5, s68
	s_wait_alu 0xfffe
	s_sub_co_i32 s5, s76, s5
	s_wait_alu 0xfffe
	s_sub_co_i32 s12, s5, s68
	s_cmp_ge_u32 s5, s68
	s_wait_alu 0xfffe
	s_cselect_b32 s5, s12, s5
	s_wait_alu 0xfffe
	s_sub_co_i32 s12, s5, s68
	s_cmp_ge_u32 s5, s68
	s_wait_alu 0xfffe
	s_cselect_b32 s24, s12, s5
	s_wait_alu 0xfffe
	s_mov_b64 s[12:13], s[24:25]
.LBB30_241:                             ;   in Loop: Header=BB30_32 Depth=1
	s_wait_alu 0xfffe
	s_sub_nc_u64 s[12:13], s[76:77], s[12:13]
	s_mov_b32 s24, 0
	s_mov_b32 s5, 0
	s_mov_b32 s87, exec_lo
                                        ; implicit-def: $vgpr5_vgpr6
	s_wait_alu 0xfffe
	v_cmpx_gt_i64_e64 s[12:13], v[0:1]
	s_cbranch_execz .LBB30_252
; %bb.242:                              ;   in Loop: Header=BB30_32 Depth=1
	v_dual_mov_b32 v7, v15 :: v_dual_mov_b32 v8, v16
	v_dual_mov_b32 v12, v1 :: v_dual_mov_b32 v11, v0
	s_mov_b32 s88, 0
                                        ; implicit-def: $sgpr89
	s_branch .LBB30_245
.LBB30_243:                             ;   in Loop: Header=BB30_245 Depth=2
	s_wait_alu 0xfffe
	s_or_b32 exec_lo, exec_lo, s5
	s_wait_loadcnt_dscnt 0x0
	s_barrier_signal -1
	s_barrier_wait -1
	global_inv scope:SCOPE_SE
	ds_load_b128 v[3:6], v18 offset:3072
	s_mov_b32 s5, -1
	s_mov_b32 s90, -1
	s_wait_loadcnt_dscnt 0x0
	s_barrier_signal -1
	s_barrier_wait -1
	global_inv scope:SCOPE_SE
	v_cmp_ne_u64_e32 vcc_lo, 0, v[3:4]
	s_cbranch_vccz .LBB30_248
.LBB30_244:                             ;   in Loop: Header=BB30_245 Depth=2
	s_wait_alu 0xfffe
	s_and_b32 s5, exec_lo, s5
	s_wait_alu 0xfffe
	s_or_b32 s88, s5, s88
	s_and_not1_b32 s5, s89, exec_lo
	s_and_b32 s89, s90, exec_lo
	s_wait_alu 0xfffe
	s_or_b32 s89, s5, s89
	s_and_not1_b32 exec_lo, exec_lo, s88
	s_cbranch_execz .LBB30_251
.LBB30_245:                             ;   Parent Loop BB30_32 Depth=1
                                        ; =>  This Inner Loop Header: Depth=2
	s_mov_b32 s5, exec_lo
	s_delay_alu instid0(VALU_DEP_1)
	v_cmpx_gt_i64_e64 s[36:37], v[11:12]
	s_cbranch_execz .LBB30_243
; %bb.246:                              ;   in Loop: Header=BB30_245 Depth=2
	global_load_b64 v[4:5], v[7:8], off
	s_wait_loadcnt 0x0
	v_xor_b32_e32 v3, 0x80000000, v5
	v_and_b32_e32 v13, v4, v32
	s_delay_alu instid0(VALU_DEP_2) | instskip(NEXT) | instid1(VALU_DEP_1)
	v_and_b32_e32 v14, v3, v33
	v_cmp_eq_u64_e32 vcc_lo, v[13:14], v[30:31]
	s_and_b32 exec_lo, exec_lo, vcc_lo
	s_cbranch_execz .LBB30_243
; %bb.247:                              ;   in Loop: Header=BB30_245 Depth=2
	v_mov_b32_e32 v3, v18
	ds_store_b128 v18, v[2:5] offset:3072
	s_branch .LBB30_243
.LBB30_248:                             ;   in Loop: Header=BB30_245 Depth=2
	v_add_co_u32 v11, vcc_lo, v11, s68
	s_wait_alu 0xfffd
	v_add_co_ci_u32_e64 v12, null, 0, v12, vcc_lo
	v_add_co_u32 v7, s5, v7, s70
	s_wait_alu 0xf1fe
	v_add_co_ci_u32_e64 v8, null, s71, v8, s5
	s_delay_alu instid0(VALU_DEP_3)
	v_cmp_le_i64_e32 vcc_lo, s[12:13], v[11:12]
	s_mov_b32 s90, 0
	s_or_not1_b32 s5, vcc_lo, exec_lo
	s_branch .LBB30_244
.LBB30_249:                             ;   in Loop: Header=BB30_32 Depth=1
                                        ; implicit-def: $sgpr16_sgpr17
	s_branch .LBB30_195
.LBB30_250:                             ;   in Loop: Header=BB30_32 Depth=1
                                        ; implicit-def: $sgpr18_sgpr19
	s_branch .LBB30_211
.LBB30_251:                             ;   in Loop: Header=BB30_32 Depth=1
	s_or_b32 exec_lo, exec_lo, s88
	s_wait_alu 0xfffe
	s_and_b32 s5, s89, exec_lo
.LBB30_252:                             ;   in Loop: Header=BB30_32 Depth=1
	s_or_b32 exec_lo, exec_lo, s87
.LBB30_253:                             ;   in Loop: Header=BB30_32 Depth=1
	s_delay_alu instid0(SALU_CYCLE_1)
	s_and_b32 vcc_lo, exec_lo, s24
	s_wait_alu 0xfffe
	s_cbranch_vccz .LBB30_267
; %bb.254:                              ;   in Loop: Header=BB30_32 Depth=1
	s_add_nc_u64 s[12:13], s[10:11], s[74:75]
	s_mov_b32 s14, s25
	s_wait_alu 0xfffe
	s_mov_b32 s15, s13
	s_wait_alu 0xfffe
	s_cmp_lg_u64 s[14:15], 0
	s_cbranch_scc0 .LBB30_288
; %bb.255:                              ;   in Loop: Header=BB30_32 Depth=1
	s_add_nc_u64 s[14:15], s[68:69], 0
	s_wait_alu 0xfffe
	s_xor_b64 s[14:15], s[14:15], 0
	s_wait_alu 0xfffe
	s_cvt_f32_u32 s24, s14
	s_cvt_f32_u32 s87, s15
	s_sub_nc_u64 s[90:91], 0, s[14:15]
	s_wait_alu 0xfffe
	s_delay_alu instid0(SALU_CYCLE_1) | instskip(SKIP_1) | instid1(SALU_CYCLE_2)
	s_fmamk_f32 s24, s87, 0x4f800000, s24
	s_wait_alu 0xfffe
	v_s_rcp_f32 s24, s24
	s_delay_alu instid0(TRANS32_DEP_1) | instskip(SKIP_1) | instid1(SALU_CYCLE_2)
	s_mul_f32 s24, s24, 0x5f7ffffc
	s_wait_alu 0xfffe
	s_mul_f32 s87, s24, 0x2f800000
	s_wait_alu 0xfffe
	s_delay_alu instid0(SALU_CYCLE_2) | instskip(SKIP_1) | instid1(SALU_CYCLE_2)
	s_trunc_f32 s87, s87
	s_wait_alu 0xfffe
	s_fmamk_f32 s24, s87, 0xcf800000, s24
	s_cvt_u32_f32 s89, s87
	s_wait_alu 0xfffe
	s_delay_alu instid0(SALU_CYCLE_1) | instskip(SKIP_1) | instid1(SALU_CYCLE_2)
	s_cvt_u32_f32 s88, s24
	s_wait_alu 0xfffe
	s_mul_u64 s[92:93], s[90:91], s[88:89]
	s_wait_alu 0xfffe
	s_mul_hi_u32 s95, s88, s93
	s_mul_i32 s94, s88, s93
	s_mul_hi_u32 s24, s88, s92
	s_mul_i32 s96, s89, s92
	s_wait_alu 0xfffe
	s_add_nc_u64 s[94:95], s[24:25], s[94:95]
	s_mul_hi_u32 s87, s89, s92
	s_mul_hi_u32 s97, s89, s93
	s_wait_alu 0xfffe
	s_add_co_u32 s24, s94, s96
	s_add_co_ci_u32 s24, s95, s87
	s_mul_i32 s92, s89, s93
	s_add_co_ci_u32 s93, s97, 0
	s_wait_alu 0xfffe
	s_add_nc_u64 s[92:93], s[24:25], s[92:93]
	s_wait_alu 0xfffe
	s_add_co_u32 s88, s88, s92
	s_cselect_b32 s24, -1, 0
	s_wait_alu 0xfffe
	s_cmp_lg_u32 s24, 0
	s_add_co_ci_u32 s89, s89, s93
	s_wait_alu 0xfffe
	s_mul_u64 s[90:91], s[90:91], s[88:89]
	s_wait_alu 0xfffe
	s_mul_hi_u32 s93, s88, s91
	s_mul_i32 s92, s88, s91
	s_mul_hi_u32 s24, s88, s90
	s_mul_i32 s94, s89, s90
	s_wait_alu 0xfffe
	s_add_nc_u64 s[92:93], s[24:25], s[92:93]
	s_mul_hi_u32 s87, s89, s90
	s_mul_hi_u32 s95, s89, s91
	s_wait_alu 0xfffe
	s_add_co_u32 s24, s92, s94
	s_add_co_ci_u32 s24, s93, s87
	s_mul_i32 s90, s89, s91
	s_add_co_ci_u32 s91, s95, 0
	s_wait_alu 0xfffe
	s_add_nc_u64 s[90:91], s[24:25], s[90:91]
	s_wait_alu 0xfffe
	s_add_co_u32 s87, s88, s90
	s_cselect_b32 s24, -1, 0
	s_wait_alu 0xfffe
	s_cmp_lg_u32 s24, 0
	s_add_co_ci_u32 s94, s89, s91
	s_ashr_i32 s88, s13, 31
	s_wait_alu 0xfffe
	s_mov_b32 s89, s88
	s_wait_alu 0xfffe
	s_add_nc_u64 s[90:91], s[12:13], s[88:89]
	s_wait_alu 0xfffe
	s_xor_b64 s[90:91], s[90:91], s[88:89]
	s_wait_alu 0xfffe
	s_mul_hi_u32 s93, s90, s94
	s_mul_i32 s92, s90, s94
	s_mul_hi_u32 s24, s90, s87
	s_mul_hi_u32 s96, s91, s87
	s_mul_i32 s87, s91, s87
	s_wait_alu 0xfffe
	s_add_nc_u64 s[92:93], s[24:25], s[92:93]
	s_mul_hi_u32 s95, s91, s94
	s_wait_alu 0xfffe
	s_add_co_u32 s24, s92, s87
	s_add_co_ci_u32 s24, s93, s96
	s_mul_i32 s94, s91, s94
	s_add_co_ci_u32 s95, s95, 0
	s_wait_alu 0xfffe
	s_add_nc_u64 s[92:93], s[24:25], s[94:95]
	s_wait_alu 0xfffe
	s_mul_u64 s[92:93], s[14:15], s[92:93]
	s_wait_alu 0xfffe
	s_sub_co_u32 s24, s90, s92
	s_cselect_b32 s87, -1, 0
	s_sub_co_i32 s90, s91, s93
	s_wait_alu 0xfffe
	s_cmp_lg_u32 s87, 0
	s_sub_co_ci_u32 s90, s90, s15
	s_sub_co_u32 s92, s24, s14
	s_cselect_b32 s94, -1, 0
	s_wait_alu 0xfffe
	s_cmp_lg_u32 s94, 0
	s_sub_co_ci_u32 s95, s90, 0
	s_wait_alu 0xfffe
	s_cmp_ge_u32 s95, s15
	s_cselect_b32 s96, -1, 0
	s_cmp_ge_u32 s92, s14
	s_cselect_b32 s97, -1, 0
	s_cmp_eq_u32 s95, s15
	s_wait_alu 0xfffe
	s_cselect_b32 s96, s97, s96
	s_cmp_lg_u32 s94, 0
	s_sub_co_ci_u32 s90, s90, s15
	s_sub_co_u32 s94, s92, s14
	s_cselect_b32 s97, -1, 0
	s_wait_alu 0xfffe
	s_cmp_lg_u32 s97, 0
	s_sub_co_ci_u32 s90, s90, 0
	s_cmp_lg_u32 s96, 0
	s_cselect_b32 s92, s94, s92
	s_wait_alu 0xfffe
	s_cselect_b32 s90, s90, s95
	s_cmp_lg_u32 s87, 0
	s_sub_co_ci_u32 s87, s91, s93
	s_wait_alu 0xfffe
	s_cmp_ge_u32 s87, s15
	s_cselect_b32 s91, -1, 0
	s_cmp_ge_u32 s24, s14
	s_cselect_b32 s14, -1, 0
	s_cmp_eq_u32 s87, s15
	s_wait_alu 0xfffe
	s_cselect_b32 s14, s14, s91
	s_wait_alu 0xfffe
	s_cmp_lg_u32 s14, 0
	s_cselect_b32 s15, s90, s87
	s_cselect_b32 s14, s92, s24
	s_wait_alu 0xfffe
	s_xor_b64 s[14:15], s[14:15], s[88:89]
	s_wait_alu 0xfffe
	s_sub_nc_u64 s[14:15], s[14:15], s[88:89]
	s_cbranch_execnz .LBB30_257
.LBB30_256:                             ;   in Loop: Header=BB30_32 Depth=1
	v_cvt_f32_u32_e32 v3, s68
	s_sub_co_i32 s15, 0, s68
	s_delay_alu instid0(VALU_DEP_1) | instskip(NEXT) | instid1(TRANS32_DEP_1)
	v_rcp_iflag_f32_e32 v3, v3
	v_mul_f32_e32 v3, 0x4f7ffffe, v3
	s_delay_alu instid0(VALU_DEP_1) | instskip(NEXT) | instid1(VALU_DEP_1)
	v_cvt_u32_f32_e32 v3, v3
	v_readfirstlane_b32 s14, v3
	s_wait_alu 0xfffe
	s_mul_i32 s15, s15, s14
	s_wait_alu 0xfffe
	s_mul_hi_u32 s15, s14, s15
	s_wait_alu 0xfffe
	s_add_co_i32 s14, s14, s15
	s_wait_alu 0xfffe
	s_mul_hi_u32 s14, s12, s14
	s_wait_alu 0xfffe
	s_mul_i32 s14, s14, s68
	s_wait_alu 0xfffe
	s_sub_co_i32 s14, s12, s14
	s_wait_alu 0xfffe
	s_sub_co_i32 s15, s14, s68
	s_cmp_ge_u32 s14, s68
	s_wait_alu 0xfffe
	s_cselect_b32 s14, s15, s14
	s_wait_alu 0xfffe
	s_sub_co_i32 s15, s14, s68
	s_cmp_ge_u32 s14, s68
	s_wait_alu 0xfffe
	s_cselect_b32 s24, s15, s14
	s_wait_alu 0xfffe
	s_mov_b64 s[14:15], s[24:25]
.LBB30_257:                             ;   in Loop: Header=BB30_32 Depth=1
	s_wait_alu 0xfffe
	s_sub_nc_u64 s[12:13], s[12:13], s[14:15]
	s_mov_b32 s14, exec_lo
                                        ; implicit-def: $vgpr5_vgpr6
	s_wait_alu 0xfffe
	v_cmpx_gt_i64_e64 s[12:13], v[0:1]
	s_cbranch_execz .LBB30_266
; %bb.258:                              ;   in Loop: Header=BB30_32 Depth=1
	v_dual_mov_b32 v11, v43 :: v_dual_mov_b32 v8, v1
	v_mov_b32_e32 v7, v0
	s_mov_b32 s15, 0
                                        ; implicit-def: $sgpr24
	s_branch .LBB30_261
.LBB30_259:                             ;   in Loop: Header=BB30_261 Depth=2
	s_wait_alu 0xfffe
	s_or_b32 exec_lo, exec_lo, s87
	s_wait_loadcnt_dscnt 0x0
	s_barrier_signal -1
	s_barrier_wait -1
	global_inv scope:SCOPE_SE
	ds_load_b128 v[3:6], v18 offset:3072
	s_mov_b32 s87, -1
	s_mov_b32 s88, -1
	s_wait_loadcnt_dscnt 0x0
	s_barrier_signal -1
	s_barrier_wait -1
	global_inv scope:SCOPE_SE
	v_cmp_eq_u64_e32 vcc_lo, 0, v[3:4]
	s_cbranch_vccnz .LBB30_264
.LBB30_260:                             ;   in Loop: Header=BB30_261 Depth=2
	s_wait_alu 0xfffe
	s_and_b32 s87, exec_lo, s87
	s_wait_alu 0xfffe
	s_or_b32 s15, s87, s15
	s_and_not1_b32 s24, s24, exec_lo
	s_and_b32 s87, s88, exec_lo
	s_wait_alu 0xfffe
	s_or_b32 s24, s24, s87
	s_and_not1_b32 exec_lo, exec_lo, s15
	s_cbranch_execz .LBB30_265
.LBB30_261:                             ;   Parent Loop BB30_32 Depth=1
                                        ; =>  This Inner Loop Header: Depth=2
	s_mov_b32 s87, exec_lo
	s_delay_alu instid0(VALU_DEP_1)
	v_cmpx_gt_u64_e64 s[10:11], v[7:8]
	s_cbranch_execz .LBB30_259
; %bb.262:                              ;   in Loop: Header=BB30_261 Depth=2
	ds_load_b64 v[4:5], v11
	s_wait_dscnt 0x0
	v_xor_b32_e32 v3, 0x80000000, v5
	v_and_b32_e32 v12, v4, v32
	s_delay_alu instid0(VALU_DEP_2) | instskip(NEXT) | instid1(VALU_DEP_1)
	v_and_b32_e32 v13, v3, v33
	v_cmp_eq_u64_e32 vcc_lo, v[12:13], v[30:31]
	s_and_b32 exec_lo, exec_lo, vcc_lo
	s_cbranch_execz .LBB30_259
; %bb.263:                              ;   in Loop: Header=BB30_261 Depth=2
	v_mov_b32_e32 v3, v18
	ds_store_b128 v18, v[2:5] offset:3072
	s_branch .LBB30_259
.LBB30_264:                             ;   in Loop: Header=BB30_261 Depth=2
	v_add_co_u32 v7, vcc_lo, v7, s68
	s_wait_alu 0xfffd
	v_add_co_ci_u32_e64 v8, null, 0, v8, vcc_lo
	v_add_nc_u32_e32 v11, s58, v11
	s_mov_b32 s88, 0
	s_delay_alu instid0(VALU_DEP_2)
	v_cmp_le_i64_e32 vcc_lo, s[12:13], v[7:8]
	s_or_not1_b32 s87, vcc_lo, exec_lo
	s_branch .LBB30_260
.LBB30_265:                             ;   in Loop: Header=BB30_32 Depth=1
	s_or_b32 exec_lo, exec_lo, s15
	s_delay_alu instid0(SALU_CYCLE_1)
	s_and_not1_b32 s5, s5, exec_lo
	s_wait_alu 0xfffe
	s_and_b32 s10, s24, exec_lo
	s_wait_alu 0xfffe
	s_or_b32 s5, s5, s10
.LBB30_266:                             ;   in Loop: Header=BB30_32 Depth=1
	s_or_b32 exec_lo, exec_lo, s14
	s_mov_b32 s14, 0
	s_mov_b32 s15, -1
.LBB30_267:                             ;   in Loop: Header=BB30_32 Depth=1
	s_wait_alu 0xfffe
	s_or_not1_b32 s10, s5, exec_lo
.LBB30_268:                             ;   in Loop: Header=BB30_32 Depth=1
	s_wait_alu 0xfffe
	s_or_b32 exec_lo, exec_lo, s86
	s_mov_b32 s11, 0
	s_and_saveexec_b32 s5, s10
	s_cbranch_execz .LBB30_279
; %bb.269:                              ;   in Loop: Header=BB30_32 Depth=1
	v_dual_mov_b32 v3, 1 :: v_dual_mov_b32 v36, 1
	v_mov_b32_e32 v4, 0
	s_xor_b32 s11, s85, -1
	s_wait_alu 0xfffe
	s_and_saveexec_b32 s10, s11
	s_cbranch_execz .LBB30_278
; %bb.270:                              ;   in Loop: Header=BB30_32 Depth=1
	s_mov_b32 s11, exec_lo
	v_cmpx_ge_i64_e64 s[6:7], v[9:10]
	s_wait_alu 0xfffe
	s_xor_b32 s11, exec_lo, s11
	s_cbranch_execz .LBB30_275
; %bb.271:                              ;   in Loop: Header=BB30_32 Depth=1
	ds_load_b64 v[3:4], v18 offset:5120
	v_or_b32_e32 v31, s9, v31
	v_or_b32_e32 v30, s8, v30
	;; [unrolled: 1-line block ×4, first 2 shown]
	s_wait_dscnt 0x0
	v_cmp_ne_u64_e32 vcc_lo, 0, v[3:4]
	s_cbranch_vccnz .LBB30_275
; %bb.272:                              ;   in Loop: Header=BB30_32 Depth=1
	s_and_saveexec_b32 s8, s2
; %bb.273:                              ;   in Loop: Header=BB30_32 Depth=1
	v_dual_mov_b32 v3, s6 :: v_dual_mov_b32 v4, s7
	ds_store_b64 v18, v[3:4] offset:5128
; %bb.274:                              ;   in Loop: Header=BB30_32 Depth=1
	s_wait_alu 0xfffe
	s_or_b32 exec_lo, exec_lo, s8
	s_wait_loadcnt_dscnt 0x0
	s_barrier_signal -1
	s_barrier_wait -1
	global_inv scope:SCOPE_SE
.LBB30_275:                             ;   in Loop: Header=BB30_32 Depth=1
	s_wait_alu 0xfffe
	s_and_not1_saveexec_b32 s8, s11
; %bb.276:                              ;   in Loop: Header=BB30_32 Depth=1
	v_sub_co_u32 v9, vcc_lo, v9, s6
	s_wait_alu 0xfffd
	v_subrev_co_ci_u32_e64 v10, null, s7, v10, vcc_lo
; %bb.277:                              ;   in Loop: Header=BB30_32 Depth=1
	s_wait_alu 0xfffe
	s_or_b32 exec_lo, exec_lo, s8
	v_dual_mov_b32 v36, 8 :: v_dual_mov_b32 v3, v9
	s_delay_alu instid0(VALU_DEP_2)
	v_mov_b32_e32 v4, v10
.LBB30_278:                             ;   in Loop: Header=BB30_32 Depth=1
	s_wait_alu 0xfffe
	s_or_b32 exec_lo, exec_lo, s10
	s_delay_alu instid0(VALU_DEP_1)
	v_dual_mov_b32 v10, v4 :: v_dual_mov_b32 v9, v3
	s_mov_b32 s11, exec_lo
.LBB30_279:                             ;   in Loop: Header=BB30_32 Depth=1
	s_wait_alu 0xfffe
	s_or_b32 exec_lo, exec_lo, s5
	s_delay_alu instid0(SALU_CYCLE_1)
	s_or_not1_b32 s5, s11, exec_lo
.LBB30_280:                             ;   in Loop: Header=BB30_32 Depth=1
	s_wait_alu 0xfffe
	s_or_b32 exec_lo, exec_lo, s17
	v_dual_mov_b32 v7, v9 :: v_dual_mov_b32 v8, v10
	s_and_not1_b32 s6, s19, exec_lo
	s_and_b32 s7, s15, exec_lo
	s_and_not1_b32 s8, s18, exec_lo
	s_and_b32 s9, s14, exec_lo
	s_wait_alu 0xfffe
	s_or_b32 s19, s6, s7
	s_or_b32 s18, s8, s9
	s_and_b32 s14, s5, exec_lo
.LBB30_281:                             ;   in Loop: Header=BB30_32 Depth=1
	s_wait_alu 0xfffe
	s_or_b32 exec_lo, exec_lo, s16
	s_delay_alu instid0(SALU_CYCLE_1)
	s_or_not1_b32 s5, s14, exec_lo
.LBB30_282:                             ;   in Loop: Header=BB30_32 Depth=1
	s_wait_alu 0xfffe
	s_or_b32 exec_lo, exec_lo, s84
	v_dual_mov_b32 v12, v8 :: v_dual_mov_b32 v11, v7
	s_and_not1_b32 s6, s50, exec_lo
	s_and_b32 s7, s19, exec_lo
	s_and_not1_b32 s8, s23, exec_lo
	s_and_b32 s9, s18, exec_lo
	s_wait_alu 0xfffe
	s_or_b32 s50, s6, s7
	s_or_b32 s23, s8, s9
	s_and_b32 s14, s5, exec_lo
.LBB30_283:                             ;   in Loop: Header=BB30_32 Depth=1
	s_wait_alu 0xfffe
	s_or_b32 exec_lo, exec_lo, s51
	s_delay_alu instid0(SALU_CYCLE_1)
	s_or_not1_b32 s5, s14, exec_lo
.LBB30_284:                             ;   in Loop: Header=BB30_32 Depth=1
	s_wait_alu 0xfffe
	s_or_b32 exec_lo, exec_lo, s22
	s_mov_b32 s6, 0
	s_and_saveexec_b32 s7, s5
	s_wait_alu 0xfffe
	s_xor_b32 s5, exec_lo, s7
	s_cbranch_execz .LBB30_30
; %bb.285:                              ;   in Loop: Header=BB30_32 Depth=1
	v_and_b32_e32 v3, 7, v36
	s_mov_b32 s7, -1
	s_mov_b32 s6, -1
	s_mov_b32 s8, exec_lo
	s_delay_alu instid0(VALU_DEP_1)
	v_cmpx_eq_u32_e32 0, v3
	s_cbranch_execz .LBB30_29
; %bb.286:                              ;   in Loop: Header=BB30_32 Depth=1
	s_xor_b32 s61, s61, 1
	s_add_co_i32 s9, s59, -2
	s_cmp_eq_u32 s59, 0
	s_wait_alu 0xfffe
	s_mov_b32 s59, s9
	s_cselect_b32 s7, -1, 0
	s_xor_b32 s6, exec_lo, -1
	s_wait_alu 0xfffe
	s_or_not1_b32 s7, s7, exec_lo
	s_branch .LBB30_29
.LBB30_287:                             ;   in Loop: Header=BB30_32 Depth=1
                                        ; implicit-def: $sgpr12_sgpr13
	s_branch .LBB30_240
.LBB30_288:                             ;   in Loop: Header=BB30_32 Depth=1
                                        ; implicit-def: $sgpr14_sgpr15
	s_branch .LBB30_256
.LBB30_289:
	s_or_b32 exec_lo, exec_lo, s60
	s_xor_b32 s5, s49, -1
	s_xor_b32 s1, s67, -1
	;; [unrolled: 1-line block ×3, first 2 shown]
	s_mov_b32 s3, 0
	s_wait_alu 0xfffe
	s_and_saveexec_b32 s6, s1
	s_wait_alu 0xfffe
	s_xor_b32 s1, exec_lo, s6
	s_cbranch_execnz .LBB30_294
; %bb.290:
	s_wait_alu 0xfffe
	s_and_not1_saveexec_b32 s0, s1
	s_cbranch_execnz .LBB30_316
.LBB30_291:
	s_wait_alu 0xfffe
	s_or_b32 exec_lo, exec_lo, s0
	s_and_saveexec_b32 s0, s3
.LBB30_292:
	; divergent unreachable
.LBB30_293:
	s_endpgm
.LBB30_294:
	s_and_saveexec_b32 s3, s5
	s_wait_alu 0xfffe
	s_xor_b32 s3, exec_lo, s3
	s_cbranch_execz .LBB30_314
; %bb.295:
	s_and_saveexec_b32 s5, s4
	s_wait_alu 0xfffe
	s_xor_b32 s4, exec_lo, s5
; %bb.296:
	v_xor_b32_e32 v31, 0x80000000, v31
	s_delay_alu instid0(VALU_DEP_1)
	v_dual_mov_b32 v5, v30 :: v_dual_mov_b32 v6, v31
; %bb.297:
	s_wait_alu 0xfffe
	s_or_b32 exec_lo, exec_lo, s4
	s_and_saveexec_b32 s4, s2
; %bb.298:
	v_dual_mov_b32 v2, 0 :: v_dual_mov_b32 v3, s36
	ds_store_b32 v2, v3 offset:5140
; %bb.299:
	s_wait_alu 0xfffe
	s_or_b32 exec_lo, exec_lo, s4
	s_wait_loadcnt_dscnt 0x0
	s_barrier_signal -1
	s_barrier_wait -1
	global_inv scope:SCOPE_SE
	s_and_saveexec_b32 s4, s0
	s_cbranch_execz .LBB30_311
; %bb.300:
	v_mov_b32_e32 v2, 0
	s_mov_b32 s5, 0
                                        ; implicit-def: $sgpr6
                                        ; implicit-def: $sgpr7
                                        ; implicit-def: $sgpr8
	ds_load_b32 v7, v2 offset:5140
	s_wait_dscnt 0x0
	v_ashrrev_i32_e32 v8, 31, v7
	s_branch .LBB30_303
.LBB30_301:                             ;   in Loop: Header=BB30_303 Depth=1
	s_wait_alu 0xfffe
	s_or_b32 exec_lo, exec_lo, s11
	s_delay_alu instid0(SALU_CYCLE_1)
	s_and_not1_b32 s8, s8, exec_lo
	s_and_b32 s10, s10, exec_lo
	s_and_not1_b32 s7, s7, exec_lo
	s_and_b32 s0, s0, exec_lo
	s_wait_alu 0xfffe
	s_or_b32 s8, s8, s10
	s_or_b32 s7, s7, s0
.LBB30_302:                             ;   in Loop: Header=BB30_303 Depth=1
	s_wait_alu 0xfffe
	s_or_b32 exec_lo, exec_lo, s9
	s_delay_alu instid0(SALU_CYCLE_1)
	s_and_b32 s0, exec_lo, s7
	s_wait_alu 0xfffe
	s_or_b32 s5, s0, s5
	s_and_not1_b32 s0, s6, exec_lo
	s_and_b32 s6, s8, exec_lo
	s_wait_alu 0xfffe
	s_or_b32 s6, s0, s6
	s_and_not1_b32 exec_lo, exec_lo, s5
	s_cbranch_execz .LBB30_306
.LBB30_303:                             ; =>This Inner Loop Header: Depth=1
	v_dual_mov_b32 v3, v1 :: v_dual_mov_b32 v2, v0
	s_or_b32 s8, s8, exec_lo
	s_or_b32 s7, s7, exec_lo
	s_mov_b32 s9, exec_lo
                                        ; implicit-def: $vgpr0_vgpr1
	s_delay_alu instid0(VALU_DEP_1)
	v_cmpx_lt_i64_e64 v[2:3], v[7:8]
	s_cbranch_execz .LBB30_302
; %bb.304:                              ;   in Loop: Header=BB30_303 Depth=1
	global_load_b64 v[0:1], v[15:16], off
	s_mov_b32 s0, -1
	s_mov_b32 s10, 0
	s_wait_loadcnt 0x0
	v_cmp_ne_u64_e32 vcc_lo, v[0:1], v[5:6]
                                        ; implicit-def: $vgpr0_vgpr1
	s_and_saveexec_b32 s11, vcc_lo
	s_cbranch_execz .LBB30_301
; %bb.305:                              ;   in Loop: Header=BB30_303 Depth=1
	v_add_co_u32 v0, vcc_lo, v2, s68
	s_wait_alu 0xfffd
	v_add_co_ci_u32_e64 v1, null, 0, v3, vcc_lo
	v_add_co_u32 v15, s0, v15, s70
	s_wait_alu 0xf1fe
	v_add_co_ci_u32_e64 v16, null, s71, v16, s0
	s_delay_alu instid0(VALU_DEP_3)
	v_cmp_le_i64_e32 vcc_lo, s[36:37], v[0:1]
	s_mov_b32 s10, exec_lo
	s_or_not1_b32 s0, vcc_lo, exec_lo
	s_branch .LBB30_301
.LBB30_306:
	s_or_b32 exec_lo, exec_lo, s5
	s_wait_alu 0xfffe
	s_xor_b32 s0, s6, -1
	s_wait_alu 0xfffe
	s_and_saveexec_b32 s5, s0
	s_wait_alu 0xfffe
	s_xor_b32 s5, exec_lo, s5
	s_cbranch_execz .LBB30_311
; %bb.307:
	s_mov_b32 s5, exec_lo
	s_brev_b32 s0, -2
.LBB30_308:                             ; =>This Inner Loop Header: Depth=1
	s_wait_alu 0xfffe
	s_ctz_i32_b32 s6, s5
	s_wait_alu 0xfffe
	v_readlane_b32 s7, v2, s6
	s_lshl_b32 s6, 1, s6
	s_wait_alu 0xfffe
	s_and_not1_b32 s5, s5, s6
	s_min_i32 s0, s0, s7
	s_wait_alu 0xfffe
	s_cmp_lg_u32 s5, 0
	s_cbranch_scc1 .LBB30_308
; %bb.309:
	v_mbcnt_lo_u32_b32 v0, exec_lo, 0
	s_mov_b32 s5, exec_lo
	s_delay_alu instid0(VALU_DEP_1)
	v_cmpx_eq_u32_e32 0, v0
	s_wait_alu 0xfffe
	s_xor_b32 s5, exec_lo, s5
; %bb.310:
	v_dual_mov_b32 v0, 0 :: v_dual_mov_b32 v1, s0
	ds_min_i32 v0, v1 offset:5140
.LBB30_311:
	s_wait_alu 0xfffe
	s_or_b32 exec_lo, exec_lo, s4
	s_wait_loadcnt_dscnt 0x0
	s_barrier_signal -1
	s_barrier_wait -1
	global_inv scope:SCOPE_SE
	s_and_saveexec_b32 s0, s2
	s_cbranch_execz .LBB30_313
; %bb.312:
	v_readlane_b32 s16, v59, 2
	v_readlane_b32 s17, v59, 3
	v_mov_b32_e32 v2, 0
	s_mul_u64 s[4:5], s[56:57], s[46:47]
	s_mul_u64 s[10:11], s[34:35], s[30:31]
	s_wait_alu 0xfffe
	s_sub_nc_u64 s[4:5], s[26:27], s[4:5]
	s_mul_u64 s[14:15], s[62:63], s[16:17]
	v_readlane_b32 s16, v59, 0
	v_readlane_b32 s17, v59, 1
	ds_load_b32 v0, v2 offset:5140
	s_sub_nc_u64 s[10:11], s[26:27], s[10:11]
	s_mul_u64 s[8:9], s[40:41], s[52:53]
	v_readlane_b32 s18, v59, 4
	s_wait_alu 0xfffe
	s_mul_u64 s[4:5], s[4:5], s[16:17]
	v_readlane_b32 s16, v59, 6
	v_readlane_b32 s17, v59, 7
	s_lshl_b64 s[8:9], s[8:9], 3
	v_readlane_b32 s19, v59, 5
	s_mul_u64 s[12:13], s[62:63], s[44:45]
	s_mul_u64 s[6:7], s[40:41], s[28:29]
	;; [unrolled: 1-line block ×3, first 2 shown]
	v_readlane_b32 s16, v59, 10
	v_readlane_b32 s17, v59, 11
	s_wait_alu 0xfffe
	s_sub_nc_u64 s[12:13], s[56:57], s[12:13]
	s_sub_nc_u64 s[6:7], s[34:35], s[6:7]
	s_lshl_b64 s[14:15], s[14:15], 3
	s_wait_alu 0xfffe
	s_mul_u64 s[12:13], s[12:13], s[18:19]
	s_add_nc_u64 s[8:9], s[16:17], s[8:9]
	v_readlane_b32 s16, v59, 8
	v_readlane_b32 s17, v59, 9
	s_mul_u64 s[6:7], s[6:7], s[54:55]
	s_wait_alu 0xfffe
	s_lshl_b64 s[12:13], s[12:13], 3
	s_lshl_b64 s[6:7], s[6:7], 3
	s_wait_dscnt 0x0
	v_ashrrev_i32_e32 v1, 31, v0
	s_add_nc_u64 s[14:15], s[16:17], s[14:15]
	s_lshl_b64 s[4:5], s[4:5], 3
	s_wait_alu 0xfffe
	s_add_nc_u64 s[12:13], s[14:15], s[12:13]
	s_lshl_b64 s[10:11], s[10:11], 3
	s_add_nc_u64 s[6:7], s[8:9], s[6:7]
	s_wait_alu 0xfffe
	s_add_nc_u64 s[4:5], s[12:13], s[4:5]
	s_add_nc_u64 s[6:7], s[6:7], s[10:11]
	s_clause 0x1
	global_store_b64 v2, v[0:1], s[4:5]
	global_store_b64 v2, v[5:6], s[6:7]
.LBB30_313:
	s_wait_alu 0xfffe
	s_or_b32 exec_lo, exec_lo, s0
.LBB30_314:
	s_wait_alu 0xfffe
	s_or_saveexec_b32 s0, s3
	s_mov_b32 s2, 0
	s_wait_alu 0xfffe
	s_xor_b32 exec_lo, exec_lo, s0
	s_cbranch_execnz .LBB30_317
.LBB30_315:
	s_or_b32 exec_lo, exec_lo, s0
	s_wait_alu 0xfffe
	s_and_b32 s3, s2, exec_lo
	s_and_not1_saveexec_b32 s0, s1
	s_cbranch_execz .LBB30_291
.LBB30_316:
	s_wait_alu 0xfffe
	s_or_b32 s3, s3, exec_lo
	s_trap 2
	s_or_b32 exec_lo, exec_lo, s0
	s_wait_alu 0xfffe
	s_and_saveexec_b32 s0, s3
	s_cbranch_execnz .LBB30_292
	s_branch .LBB30_293
.LBB30_317:
	s_mov_b32 s2, exec_lo
	s_trap 2
	s_branch .LBB30_315
	.section	.rodata,"a",@progbits
	.p2align	6, 0x0
	.amdhsa_kernel _ZN2at6native12_GLOBAL__N_114gatherKthValueIllLi3EEEvNS_4cuda6detail10TensorInfoIKT_T0_EES8_S8_S8_S8_NS5_IS6_S8_EENS5_IlS8_EE
		.amdhsa_group_segment_fixed_size 5144
		.amdhsa_private_segment_fixed_size 0
		.amdhsa_kernarg_size 1536
		.amdhsa_user_sgpr_count 2
		.amdhsa_user_sgpr_dispatch_ptr 0
		.amdhsa_user_sgpr_queue_ptr 0
		.amdhsa_user_sgpr_kernarg_segment_ptr 1
		.amdhsa_user_sgpr_dispatch_id 0
		.amdhsa_user_sgpr_private_segment_size 0
		.amdhsa_wavefront_size32 1
		.amdhsa_uses_dynamic_stack 0
		.amdhsa_enable_private_segment 0
		.amdhsa_system_sgpr_workgroup_id_x 1
		.amdhsa_system_sgpr_workgroup_id_y 1
		.amdhsa_system_sgpr_workgroup_id_z 1
		.amdhsa_system_sgpr_workgroup_info 0
		.amdhsa_system_vgpr_workitem_id 0
		.amdhsa_next_free_vgpr 60
		.amdhsa_next_free_sgpr 105
		.amdhsa_reserve_vcc 1
		.amdhsa_float_round_mode_32 0
		.amdhsa_float_round_mode_16_64 0
		.amdhsa_float_denorm_mode_32 3
		.amdhsa_float_denorm_mode_16_64 3
		.amdhsa_fp16_overflow 0
		.amdhsa_workgroup_processor_mode 1
		.amdhsa_memory_ordered 1
		.amdhsa_forward_progress 1
		.amdhsa_inst_pref_size 185
		.amdhsa_round_robin_scheduling 0
		.amdhsa_exception_fp_ieee_invalid_op 0
		.amdhsa_exception_fp_denorm_src 0
		.amdhsa_exception_fp_ieee_div_zero 0
		.amdhsa_exception_fp_ieee_overflow 0
		.amdhsa_exception_fp_ieee_underflow 0
		.amdhsa_exception_fp_ieee_inexact 0
		.amdhsa_exception_int_div_zero 0
	.end_amdhsa_kernel
	.section	.text._ZN2at6native12_GLOBAL__N_114gatherKthValueIllLi3EEEvNS_4cuda6detail10TensorInfoIKT_T0_EES8_S8_S8_S8_NS5_IS6_S8_EENS5_IlS8_EE,"axG",@progbits,_ZN2at6native12_GLOBAL__N_114gatherKthValueIllLi3EEEvNS_4cuda6detail10TensorInfoIKT_T0_EES8_S8_S8_S8_NS5_IS6_S8_EENS5_IlS8_EE,comdat
.Lfunc_end30:
	.size	_ZN2at6native12_GLOBAL__N_114gatherKthValueIllLi3EEEvNS_4cuda6detail10TensorInfoIKT_T0_EES8_S8_S8_S8_NS5_IS6_S8_EENS5_IlS8_EE, .Lfunc_end30-_ZN2at6native12_GLOBAL__N_114gatherKthValueIllLi3EEEvNS_4cuda6detail10TensorInfoIKT_T0_EES8_S8_S8_S8_NS5_IS6_S8_EENS5_IlS8_EE
                                        ; -- End function
	.set _ZN2at6native12_GLOBAL__N_114gatherKthValueIllLi3EEEvNS_4cuda6detail10TensorInfoIKT_T0_EES8_S8_S8_S8_NS5_IS6_S8_EENS5_IlS8_EE.num_vgpr, 60
	.set _ZN2at6native12_GLOBAL__N_114gatherKthValueIllLi3EEEvNS_4cuda6detail10TensorInfoIKT_T0_EES8_S8_S8_S8_NS5_IS6_S8_EENS5_IlS8_EE.num_agpr, 0
	.set _ZN2at6native12_GLOBAL__N_114gatherKthValueIllLi3EEEvNS_4cuda6detail10TensorInfoIKT_T0_EES8_S8_S8_S8_NS5_IS6_S8_EENS5_IlS8_EE.numbered_sgpr, 105
	.set _ZN2at6native12_GLOBAL__N_114gatherKthValueIllLi3EEEvNS_4cuda6detail10TensorInfoIKT_T0_EES8_S8_S8_S8_NS5_IS6_S8_EENS5_IlS8_EE.num_named_barrier, 0
	.set _ZN2at6native12_GLOBAL__N_114gatherKthValueIllLi3EEEvNS_4cuda6detail10TensorInfoIKT_T0_EES8_S8_S8_S8_NS5_IS6_S8_EENS5_IlS8_EE.private_seg_size, 0
	.set _ZN2at6native12_GLOBAL__N_114gatherKthValueIllLi3EEEvNS_4cuda6detail10TensorInfoIKT_T0_EES8_S8_S8_S8_NS5_IS6_S8_EENS5_IlS8_EE.uses_vcc, 1
	.set _ZN2at6native12_GLOBAL__N_114gatherKthValueIllLi3EEEvNS_4cuda6detail10TensorInfoIKT_T0_EES8_S8_S8_S8_NS5_IS6_S8_EENS5_IlS8_EE.uses_flat_scratch, 0
	.set _ZN2at6native12_GLOBAL__N_114gatherKthValueIllLi3EEEvNS_4cuda6detail10TensorInfoIKT_T0_EES8_S8_S8_S8_NS5_IS6_S8_EENS5_IlS8_EE.has_dyn_sized_stack, 0
	.set _ZN2at6native12_GLOBAL__N_114gatherKthValueIllLi3EEEvNS_4cuda6detail10TensorInfoIKT_T0_EES8_S8_S8_S8_NS5_IS6_S8_EENS5_IlS8_EE.has_recursion, 0
	.set _ZN2at6native12_GLOBAL__N_114gatherKthValueIllLi3EEEvNS_4cuda6detail10TensorInfoIKT_T0_EES8_S8_S8_S8_NS5_IS6_S8_EENS5_IlS8_EE.has_indirect_call, 0
	.section	.AMDGPU.csdata,"",@progbits
; Kernel info:
; codeLenInByte = 23568
; TotalNumSgprs: 107
; NumVgprs: 60
; ScratchSize: 0
; MemoryBound: 0
; FloatMode: 240
; IeeeMode: 1
; LDSByteSize: 5144 bytes/workgroup (compile time only)
; SGPRBlocks: 0
; VGPRBlocks: 7
; NumSGPRsForWavesPerEU: 107
; NumVGPRsForWavesPerEU: 60
; Occupancy: 16
; WaveLimiterHint : 1
; COMPUTE_PGM_RSRC2:SCRATCH_EN: 0
; COMPUTE_PGM_RSRC2:USER_SGPR: 2
; COMPUTE_PGM_RSRC2:TRAP_HANDLER: 0
; COMPUTE_PGM_RSRC2:TGID_X_EN: 1
; COMPUTE_PGM_RSRC2:TGID_Y_EN: 1
; COMPUTE_PGM_RSRC2:TGID_Z_EN: 1
; COMPUTE_PGM_RSRC2:TIDIG_COMP_CNT: 0
	.section	.text._ZN2at6native12_GLOBAL__N_114gatherKthValueIllLin1EEEvNS_4cuda6detail10TensorInfoIKT_T0_EES8_S8_S8_S8_NS5_IS6_S8_EENS5_IlS8_EE,"axG",@progbits,_ZN2at6native12_GLOBAL__N_114gatherKthValueIllLin1EEEvNS_4cuda6detail10TensorInfoIKT_T0_EES8_S8_S8_S8_NS5_IS6_S8_EENS5_IlS8_EE,comdat
	.globl	_ZN2at6native12_GLOBAL__N_114gatherKthValueIllLin1EEEvNS_4cuda6detail10TensorInfoIKT_T0_EES8_S8_S8_S8_NS5_IS6_S8_EENS5_IlS8_EE ; -- Begin function _ZN2at6native12_GLOBAL__N_114gatherKthValueIllLin1EEEvNS_4cuda6detail10TensorInfoIKT_T0_EES8_S8_S8_S8_NS5_IS6_S8_EENS5_IlS8_EE
	.p2align	8
	.type	_ZN2at6native12_GLOBAL__N_114gatherKthValueIllLin1EEEvNS_4cuda6detail10TensorInfoIKT_T0_EES8_S8_S8_S8_NS5_IS6_S8_EENS5_IlS8_EE,@function
_ZN2at6native12_GLOBAL__N_114gatherKthValueIllLin1EEEvNS_4cuda6detail10TensorInfoIKT_T0_EES8_S8_S8_S8_NS5_IS6_S8_EENS5_IlS8_EE: ; @_ZN2at6native12_GLOBAL__N_114gatherKthValueIllLin1EEEvNS_4cuda6detail10TensorInfoIKT_T0_EES8_S8_S8_S8_NS5_IS6_S8_EENS5_IlS8_EE
; %bb.0:
	s_clause 0x1
	s_load_b64 s[6:7], s[0:1], 0x500
	s_load_b256 s[36:43], s[0:1], 0x1a0
	s_lshr_b32 s2, ttmp7, 16
	s_and_b32 s3, ttmp7, 0xffff
	s_wait_kmcnt 0x0
	s_mul_i32 s2, s7, s2
	s_delay_alu instid0(SALU_CYCLE_1) | instskip(SKIP_2) | instid1(SALU_CYCLE_1)
	s_add_co_i32 s2, s2, s3
	s_mov_b32 s3, 0
	s_mul_i32 s2, s2, s6
	s_add_co_i32 s2, s2, ttmp9
	s_delay_alu instid0(SALU_CYCLE_1)
	v_cmp_le_i64_e64 s4, s[40:41], s[2:3]
	s_and_b32 vcc_lo, exec_lo, s4
	s_cbranch_vccnz .LBB31_293
; %bb.1:
	s_load_b32 s7, s[0:1], 0x198
	s_mov_b64 s[4:5], 0
	s_mov_b64 s[10:11], s[2:3]
	s_wait_kmcnt 0x0
	s_cmp_lt_i32 s7, 2
	s_cbranch_scc1 .LBB31_9
; %bb.2:
	s_mov_b32 s8, 0
	s_add_co_i32 s4, s7, -1
	s_mov_b32 s5, s8
	s_add_co_i32 s7, s7, 1
	s_lshl_b64 s[4:5], s[4:5], 3
	s_mov_b64 s[14:15], s[2:3]
	s_add_nc_u64 s[10:11], s[0:1], s[4:5]
	s_mov_b64 s[4:5], 0
	s_add_nc_u64 s[12:13], s[10:11], 8
.LBB31_3:                               ; =>This Inner Loop Header: Depth=1
	s_load_b64 s[16:17], s[12:13], 0x0
	s_wait_kmcnt 0x0
	s_or_b64 s[10:11], s[14:15], s[16:17]
	s_delay_alu instid0(SALU_CYCLE_1)
	s_mov_b32 s9, s11
                                        ; implicit-def: $sgpr10_sgpr11
	s_wait_alu 0xfffe
	s_cmp_lg_u64 s[8:9], 0
	s_mov_b32 s9, -1
	s_cbranch_scc0 .LBB31_5
; %bb.4:                                ;   in Loop: Header=BB31_3 Depth=1
	s_ashr_i32 s10, s17, 31
	s_mov_b32 s25, s8
	s_mov_b32 s11, s10
	;; [unrolled: 1-line block ×3, first 2 shown]
	s_add_nc_u64 s[18:19], s[16:17], s[10:11]
	s_delay_alu instid0(SALU_CYCLE_1) | instskip(NEXT) | instid1(SALU_CYCLE_1)
	s_xor_b64 s[18:19], s[18:19], s[10:11]
	s_cvt_f32_u32 s9, s18
	s_cvt_f32_u32 s20, s19
	s_sub_nc_u64 s[22:23], 0, s[18:19]
	s_wait_alu 0xfffe
	s_delay_alu instid0(SALU_CYCLE_1) | instskip(SKIP_1) | instid1(SALU_CYCLE_2)
	s_fmamk_f32 s9, s20, 0x4f800000, s9
	s_wait_alu 0xfffe
	v_s_rcp_f32 s9, s9
	s_delay_alu instid0(TRANS32_DEP_1) | instskip(SKIP_1) | instid1(SALU_CYCLE_2)
	s_mul_f32 s9, s9, 0x5f7ffffc
	s_wait_alu 0xfffe
	s_mul_f32 s20, s9, 0x2f800000
	s_delay_alu instid0(SALU_CYCLE_3) | instskip(NEXT) | instid1(SALU_CYCLE_3)
	s_trunc_f32 s20, s20
	s_fmamk_f32 s9, s20, 0xcf800000, s9
	s_cvt_u32_f32 s21, s20
	s_wait_alu 0xfffe
	s_delay_alu instid0(SALU_CYCLE_1) | instskip(NEXT) | instid1(SALU_CYCLE_3)
	s_cvt_u32_f32 s20, s9
	s_mul_u64 s[26:27], s[22:23], s[20:21]
	s_delay_alu instid0(SALU_CYCLE_1)
	s_mul_hi_u32 s31, s20, s27
	s_mul_i32 s30, s20, s27
	s_mul_hi_u32 s24, s20, s26
	s_mul_i32 s28, s21, s26
	s_add_nc_u64 s[24:25], s[24:25], s[30:31]
	s_mul_hi_u32 s9, s21, s26
	s_mul_hi_u32 s33, s21, s27
	s_add_co_u32 s24, s24, s28
	s_wait_alu 0xfffe
	s_add_co_ci_u32 s28, s25, s9
	s_mul_i32 s26, s21, s27
	s_add_co_ci_u32 s27, s33, 0
	s_delay_alu instid0(SALU_CYCLE_1)
	s_add_nc_u64 s[24:25], s[28:29], s[26:27]
	s_mov_b32 s27, s8
	s_add_co_u32 s20, s20, s24
	s_cselect_b32 s9, -1, 0
	s_wait_alu 0xfffe
	s_cmp_lg_u32 s9, 0
	s_add_co_ci_u32 s21, s21, s25
	s_mov_b32 s25, s8
	s_mul_u64 s[22:23], s[22:23], s[20:21]
	s_delay_alu instid0(SALU_CYCLE_1)
	s_mul_hi_u32 s29, s20, s23
	s_mul_i32 s28, s20, s23
	s_mul_hi_u32 s24, s20, s22
	s_mul_i32 s26, s21, s22
	s_add_nc_u64 s[24:25], s[24:25], s[28:29]
	s_mul_hi_u32 s9, s21, s22
	s_mul_hi_u32 s30, s21, s23
	s_mul_i32 s22, s21, s23
	s_add_co_u32 s23, s24, s26
	s_wait_alu 0xfffe
	s_add_co_ci_u32 s26, s25, s9
	s_add_co_ci_u32 s23, s30, 0
	s_mov_b32 s25, s8
	s_add_nc_u64 s[22:23], s[26:27], s[22:23]
	s_delay_alu instid0(SALU_CYCLE_1) | instskip(SKIP_1) | instid1(SALU_CYCLE_1)
	s_add_co_u32 s9, s20, s22
	s_cselect_b32 s20, -1, 0
	s_cmp_lg_u32 s20, 0
	s_add_co_ci_u32 s26, s21, s23
	s_ashr_i32 s20, s15, 31
	s_delay_alu instid0(SALU_CYCLE_1) | instskip(NEXT) | instid1(SALU_CYCLE_1)
	s_mov_b32 s21, s20
	s_add_nc_u64 s[22:23], s[14:15], s[20:21]
	s_delay_alu instid0(SALU_CYCLE_1) | instskip(NEXT) | instid1(SALU_CYCLE_1)
	s_xor_b64 s[22:23], s[22:23], s[20:21]
	s_mul_hi_u32 s29, s22, s26
	s_mul_i32 s28, s22, s26
	s_wait_alu 0xfffe
	s_mul_hi_u32 s24, s22, s9
	s_mul_hi_u32 s31, s23, s9
	s_mul_i32 s9, s23, s9
	s_add_nc_u64 s[24:25], s[24:25], s[28:29]
	s_mul_hi_u32 s30, s23, s26
	s_wait_alu 0xfffe
	s_add_co_u32 s9, s24, s9
	s_mul_i32 s28, s23, s26
	s_add_co_ci_u32 s26, s25, s31
	s_add_co_ci_u32 s29, s30, 0
	s_delay_alu instid0(SALU_CYCLE_1) | instskip(NEXT) | instid1(SALU_CYCLE_1)
	s_add_nc_u64 s[24:25], s[26:27], s[28:29]
	s_mul_u64 s[26:27], s[18:19], s[24:25]
	s_delay_alu instid0(SALU_CYCLE_1)
	s_sub_co_u32 s9, s22, s26
	s_cselect_b32 s22, -1, 0
	s_sub_co_i32 s26, s23, s27
	s_cmp_lg_u32 s22, 0
	s_sub_co_ci_u32 s26, s26, s19
	s_wait_alu 0xfffe
	s_sub_co_u32 s28, s9, s18
	s_cselect_b32 s29, -1, 0
	s_delay_alu instid0(SALU_CYCLE_1) | instskip(SKIP_1) | instid1(SALU_CYCLE_1)
	s_cmp_lg_u32 s29, 0
	s_sub_co_ci_u32 s26, s26, 0
	s_cmp_ge_u32 s26, s19
	s_cselect_b32 s30, -1, 0
	s_cmp_ge_u32 s28, s18
	s_add_nc_u64 s[28:29], s[24:25], 1
	s_cselect_b32 s31, -1, 0
	s_cmp_eq_u32 s26, s19
	s_cselect_b32 s26, s31, s30
	s_add_nc_u64 s[30:31], s[24:25], 2
	s_cmp_lg_u32 s26, 0
	s_cselect_b32 s26, s30, s28
	s_cselect_b32 s28, s31, s29
	s_cmp_lg_u32 s22, 0
	s_sub_co_ci_u32 s22, s23, s27
	s_delay_alu instid0(SALU_CYCLE_1)
	s_cmp_ge_u32 s22, s19
	s_cselect_b32 s23, -1, 0
	s_cmp_ge_u32 s9, s18
	s_cselect_b32 s9, -1, 0
	s_cmp_eq_u32 s22, s19
	s_wait_alu 0xfffe
	s_cselect_b32 s9, s9, s23
	s_wait_alu 0xfffe
	s_cmp_lg_u32 s9, 0
	s_mov_b32 s9, 0
	s_cselect_b32 s19, s28, s25
	s_cselect_b32 s18, s26, s24
	s_xor_b64 s[10:11], s[20:21], s[10:11]
	s_delay_alu instid0(SALU_CYCLE_1) | instskip(NEXT) | instid1(SALU_CYCLE_1)
	s_xor_b64 s[18:19], s[18:19], s[10:11]
	s_sub_nc_u64 s[10:11], s[18:19], s[10:11]
.LBB31_5:                               ;   in Loop: Header=BB31_3 Depth=1
	s_wait_alu 0xfffe
	s_and_not1_b32 vcc_lo, exec_lo, s9
	s_cbranch_vccnz .LBB31_7
; %bb.6:                                ;   in Loop: Header=BB31_3 Depth=1
	v_cvt_f32_u32_e32 v1, s16
	s_sub_co_i32 s10, 0, s16
	s_delay_alu instid0(VALU_DEP_1) | instskip(NEXT) | instid1(TRANS32_DEP_1)
	v_rcp_iflag_f32_e32 v1, v1
	v_mul_f32_e32 v1, 0x4f7ffffe, v1
	s_delay_alu instid0(VALU_DEP_1) | instskip(NEXT) | instid1(VALU_DEP_1)
	v_cvt_u32_f32_e32 v1, v1
	v_readfirstlane_b32 s9, v1
	s_mul_i32 s10, s10, s9
	s_delay_alu instid0(SALU_CYCLE_1) | instskip(NEXT) | instid1(SALU_CYCLE_1)
	s_mul_hi_u32 s10, s9, s10
	s_add_co_i32 s9, s9, s10
	s_wait_alu 0xfffe
	s_mul_hi_u32 s9, s14, s9
	s_wait_alu 0xfffe
	s_mul_i32 s10, s9, s16
	s_add_co_i32 s11, s9, 1
	s_sub_co_i32 s10, s14, s10
	s_delay_alu instid0(SALU_CYCLE_1)
	s_sub_co_i32 s18, s10, s16
	s_cmp_ge_u32 s10, s16
	s_cselect_b32 s9, s11, s9
	s_cselect_b32 s10, s18, s10
	s_wait_alu 0xfffe
	s_add_co_i32 s11, s9, 1
	s_cmp_ge_u32 s10, s16
	s_cselect_b32 s10, s11, s9
	s_mov_b32 s11, s8
.LBB31_7:                               ;   in Loop: Header=BB31_3 Depth=1
	s_load_b64 s[18:19], s[12:13], 0xc8
	s_mul_u64 s[16:17], s[10:11], s[16:17]
	s_add_co_i32 s7, s7, -1
	s_wait_alu 0xfffe
	s_sub_nc_u64 s[14:15], s[14:15], s[16:17]
	s_cmp_gt_u32 s7, 2
	s_add_nc_u64 s[12:13], s[12:13], -8
	s_wait_kmcnt 0x0
	s_mul_u64 s[14:15], s[18:19], s[14:15]
	s_delay_alu instid0(SALU_CYCLE_1)
	s_add_nc_u64 s[4:5], s[14:15], s[4:5]
	s_cbranch_scc0 .LBB31_9
; %bb.8:                                ;   in Loop: Header=BB31_3 Depth=1
	s_mov_b64 s[14:15], s[10:11]
	s_branch .LBB31_3
.LBB31_9:
	s_load_b32 s7, s[0:1], 0x358
	s_add_nc_u64 s[8:9], s[0:1], 0x500
	s_add_nc_u64 s[12:13], s[0:1], 0x1c0
	s_mov_b64 s[26:27], 0
	s_mov_b64 s[28:29], s[2:3]
	s_wait_kmcnt 0x0
	s_cmp_lt_i32 s7, 2
	s_cbranch_scc1 .LBB31_17
; %bb.10:
	s_mov_b32 s14, 0
	s_add_co_i32 s16, s7, -1
	s_mov_b32 s17, s14
	s_add_co_i32 s7, s7, 1
	s_wait_alu 0xfffe
	s_lshl_b64 s[16:17], s[16:17], 3
	s_mov_b64 s[18:19], s[2:3]
	s_wait_alu 0xfffe
	s_add_nc_u64 s[16:17], s[12:13], s[16:17]
	s_wait_alu 0xfffe
	s_add_nc_u64 s[16:17], s[16:17], 8
.LBB31_11:                              ; =>This Inner Loop Header: Depth=1
	s_load_b64 s[20:21], s[16:17], 0x0
                                        ; implicit-def: $sgpr28_sgpr29
	s_wait_kmcnt 0x0
	s_or_b64 s[22:23], s[18:19], s[20:21]
	s_delay_alu instid0(SALU_CYCLE_1)
	s_mov_b32 s15, s23
	s_wait_alu 0xfffe
	s_cmp_lg_u64 s[14:15], 0
	s_mov_b32 s15, -1
	s_cbranch_scc0 .LBB31_13
; %bb.12:                               ;   in Loop: Header=BB31_11 Depth=1
	s_ashr_i32 s22, s21, 31
	s_mov_b32 s35, s14
	s_mov_b32 s23, s22
	;; [unrolled: 1-line block ×3, first 2 shown]
	s_add_nc_u64 s[24:25], s[20:21], s[22:23]
	s_delay_alu instid0(SALU_CYCLE_1) | instskip(NEXT) | instid1(SALU_CYCLE_1)
	s_xor_b64 s[24:25], s[24:25], s[22:23]
	s_cvt_f32_u32 s15, s24
	s_cvt_f32_u32 s28, s25
	s_sub_nc_u64 s[30:31], 0, s[24:25]
	s_wait_alu 0xfffe
	s_delay_alu instid0(SALU_CYCLE_1) | instskip(SKIP_1) | instid1(SALU_CYCLE_2)
	s_fmamk_f32 s15, s28, 0x4f800000, s15
	s_wait_alu 0xfffe
	v_s_rcp_f32 s15, s15
	s_delay_alu instid0(TRANS32_DEP_1) | instskip(SKIP_1) | instid1(SALU_CYCLE_2)
	s_mul_f32 s15, s15, 0x5f7ffffc
	s_wait_alu 0xfffe
	s_mul_f32 s28, s15, 0x2f800000
	s_delay_alu instid0(SALU_CYCLE_3) | instskip(NEXT) | instid1(SALU_CYCLE_3)
	s_trunc_f32 s28, s28
	s_fmamk_f32 s15, s28, 0xcf800000, s15
	s_cvt_u32_f32 s29, s28
	s_wait_alu 0xfffe
	s_delay_alu instid0(SALU_CYCLE_1) | instskip(NEXT) | instid1(SALU_CYCLE_3)
	s_cvt_u32_f32 s28, s15
	s_mul_u64 s[40:41], s[30:31], s[28:29]
	s_wait_alu 0xfffe
	s_mul_hi_u32 s47, s28, s41
	s_mul_i32 s46, s28, s41
	s_mul_hi_u32 s34, s28, s40
	s_mul_i32 s33, s29, s40
	s_add_nc_u64 s[34:35], s[34:35], s[46:47]
	s_mul_hi_u32 s15, s29, s40
	s_mul_hi_u32 s48, s29, s41
	s_add_co_u32 s33, s34, s33
	s_wait_alu 0xfffe
	s_add_co_ci_u32 s44, s35, s15
	s_mul_i32 s40, s29, s41
	s_add_co_ci_u32 s41, s48, 0
	s_wait_alu 0xfffe
	s_add_nc_u64 s[34:35], s[44:45], s[40:41]
	s_mov_b32 s41, s14
	s_add_co_u32 s28, s28, s34
	s_cselect_b32 s15, -1, 0
	s_wait_alu 0xfffe
	s_cmp_lg_u32 s15, 0
	s_add_co_ci_u32 s29, s29, s35
	s_mov_b32 s35, s14
	s_mul_u64 s[30:31], s[30:31], s[28:29]
	s_delay_alu instid0(SALU_CYCLE_1)
	s_mul_hi_u32 s45, s28, s31
	s_mul_i32 s44, s28, s31
	s_mul_hi_u32 s34, s28, s30
	s_mul_i32 s33, s29, s30
	s_add_nc_u64 s[34:35], s[34:35], s[44:45]
	s_mul_hi_u32 s15, s29, s30
	s_mul_hi_u32 s46, s29, s31
	s_mul_i32 s30, s29, s31
	s_add_co_u32 s31, s34, s33
	s_wait_alu 0xfffe
	s_add_co_ci_u32 s40, s35, s15
	s_add_co_ci_u32 s31, s46, 0
	s_mov_b32 s35, s14
	s_wait_alu 0xfffe
	s_add_nc_u64 s[30:31], s[40:41], s[30:31]
	s_delay_alu instid0(SALU_CYCLE_1) | instskip(SKIP_1) | instid1(SALU_CYCLE_1)
	s_add_co_u32 s15, s28, s30
	s_cselect_b32 s28, -1, 0
	s_cmp_lg_u32 s28, 0
	s_add_co_ci_u32 s33, s29, s31
	s_ashr_i32 s28, s19, 31
	s_delay_alu instid0(SALU_CYCLE_1) | instskip(NEXT) | instid1(SALU_CYCLE_1)
	s_mov_b32 s29, s28
	s_add_nc_u64 s[30:31], s[18:19], s[28:29]
	s_delay_alu instid0(SALU_CYCLE_1) | instskip(NEXT) | instid1(SALU_CYCLE_1)
	s_xor_b64 s[30:31], s[30:31], s[28:29]
	s_mul_hi_u32 s45, s30, s33
	s_mul_i32 s44, s30, s33
	s_wait_alu 0xfffe
	s_mul_hi_u32 s34, s30, s15
	s_mul_hi_u32 s40, s31, s15
	s_mul_i32 s15, s31, s15
	s_add_nc_u64 s[34:35], s[34:35], s[44:45]
	s_mul_hi_u32 s46, s31, s33
	s_wait_alu 0xfffe
	s_add_co_u32 s15, s34, s15
	s_add_co_ci_u32 s40, s35, s40
	s_mul_i32 s44, s31, s33
	s_add_co_ci_u32 s45, s46, 0
	s_wait_alu 0xfffe
	s_add_nc_u64 s[34:35], s[40:41], s[44:45]
	s_delay_alu instid0(SALU_CYCLE_1)
	s_mul_u64 s[40:41], s[24:25], s[34:35]
	s_wait_alu 0xfffe
	s_sub_co_u32 s15, s30, s40
	s_cselect_b32 s30, -1, 0
	s_sub_co_i32 s33, s31, s41
	s_cmp_lg_u32 s30, 0
	s_sub_co_ci_u32 s33, s33, s25
	s_wait_alu 0xfffe
	s_sub_co_u32 s40, s15, s24
	s_cselect_b32 s44, -1, 0
	s_delay_alu instid0(SALU_CYCLE_1) | instskip(SKIP_2) | instid1(SALU_CYCLE_1)
	s_cmp_lg_u32 s44, 0
	s_add_nc_u64 s[44:45], s[34:35], 1
	s_sub_co_ci_u32 s33, s33, 0
	s_cmp_ge_u32 s33, s25
	s_cselect_b32 s46, -1, 0
	s_wait_alu 0xfffe
	s_cmp_ge_u32 s40, s24
	s_cselect_b32 s40, -1, 0
	s_cmp_eq_u32 s33, s25
	s_wait_alu 0xfffe
	s_cselect_b32 s33, s40, s46
	s_add_nc_u64 s[46:47], s[34:35], 2
	s_cmp_lg_u32 s33, 0
	s_cselect_b32 s33, s46, s44
	s_cselect_b32 s40, s47, s45
	s_cmp_lg_u32 s30, 0
	s_sub_co_ci_u32 s30, s31, s41
	s_delay_alu instid0(SALU_CYCLE_1)
	s_cmp_ge_u32 s30, s25
	s_cselect_b32 s31, -1, 0
	s_cmp_ge_u32 s15, s24
	s_cselect_b32 s15, -1, 0
	s_cmp_eq_u32 s30, s25
	s_wait_alu 0xfffe
	s_cselect_b32 s15, s15, s31
	s_wait_alu 0xfffe
	s_cmp_lg_u32 s15, 0
	s_mov_b32 s15, 0
	s_cselect_b32 s25, s40, s35
	s_cselect_b32 s24, s33, s34
	s_xor_b64 s[22:23], s[28:29], s[22:23]
	s_delay_alu instid0(SALU_CYCLE_1) | instskip(NEXT) | instid1(SALU_CYCLE_1)
	s_xor_b64 s[24:25], s[24:25], s[22:23]
	s_sub_nc_u64 s[28:29], s[24:25], s[22:23]
.LBB31_13:                              ;   in Loop: Header=BB31_11 Depth=1
	s_wait_alu 0xfffe
	s_and_not1_b32 vcc_lo, exec_lo, s15
	s_cbranch_vccnz .LBB31_15
; %bb.14:                               ;   in Loop: Header=BB31_11 Depth=1
	v_cvt_f32_u32_e32 v1, s20
	s_sub_co_i32 s22, 0, s20
	s_mov_b32 s29, s14
	s_delay_alu instid0(VALU_DEP_1) | instskip(NEXT) | instid1(TRANS32_DEP_1)
	v_rcp_iflag_f32_e32 v1, v1
	v_mul_f32_e32 v1, 0x4f7ffffe, v1
	s_delay_alu instid0(VALU_DEP_1) | instskip(NEXT) | instid1(VALU_DEP_1)
	v_cvt_u32_f32_e32 v1, v1
	v_readfirstlane_b32 s15, v1
	s_mul_i32 s22, s22, s15
	s_delay_alu instid0(SALU_CYCLE_1) | instskip(NEXT) | instid1(SALU_CYCLE_1)
	s_mul_hi_u32 s22, s15, s22
	s_add_co_i32 s15, s15, s22
	s_wait_alu 0xfffe
	s_mul_hi_u32 s15, s18, s15
	s_wait_alu 0xfffe
	s_mul_i32 s22, s15, s20
	s_add_co_i32 s23, s15, 1
	s_sub_co_i32 s22, s18, s22
	s_delay_alu instid0(SALU_CYCLE_1)
	s_sub_co_i32 s24, s22, s20
	s_cmp_ge_u32 s22, s20
	s_cselect_b32 s15, s23, s15
	s_cselect_b32 s22, s24, s22
	s_wait_alu 0xfffe
	s_add_co_i32 s23, s15, 1
	s_cmp_ge_u32 s22, s20
	s_cselect_b32 s28, s23, s15
.LBB31_15:                              ;   in Loop: Header=BB31_11 Depth=1
	s_load_b64 s[22:23], s[16:17], 0xc8
	s_mul_u64 s[20:21], s[28:29], s[20:21]
	s_add_co_i32 s7, s7, -1
	s_wait_alu 0xfffe
	s_sub_nc_u64 s[18:19], s[18:19], s[20:21]
	s_cmp_gt_u32 s7, 2
	s_add_nc_u64 s[16:17], s[16:17], -8
	s_wait_kmcnt 0x0
	s_mul_u64 s[18:19], s[22:23], s[18:19]
	s_delay_alu instid0(SALU_CYCLE_1)
	s_add_nc_u64 s[26:27], s[18:19], s[26:27]
	s_cbranch_scc0 .LBB31_17
; %bb.16:                               ;   in Loop: Header=BB31_11 Depth=1
	s_mov_b64 s[18:19], s[28:29]
	s_branch .LBB31_11
.LBB31_17:
	s_clause 0x1
	s_load_b64 s[14:15], s[0:1], 0xd0
	s_load_b32 s7, s[0:1], 0x4f8
	s_mov_b64 s[30:31], 0
	s_wait_kmcnt 0x0
	s_cmp_lt_i32 s7, 2
	s_cbranch_scc1 .LBB31_25
; %bb.18:
	s_mov_b32 s16, 0
	s_add_co_i32 s18, s7, -1
	s_wait_alu 0xfffe
	s_mov_b32 s19, s16
	s_add_nc_u64 s[20:21], s[0:1], 0x360
	s_lshl_b64 s[18:19], s[18:19], 3
	s_add_co_i32 s7, s7, 1
	s_wait_alu 0xfffe
	s_add_nc_u64 s[18:19], s[20:21], s[18:19]
	s_delay_alu instid0(SALU_CYCLE_1)
	s_add_nc_u64 s[18:19], s[18:19], 8
.LBB31_19:                              ; =>This Inner Loop Header: Depth=1
	s_load_b64 s[20:21], s[18:19], 0x0
                                        ; implicit-def: $sgpr34_sgpr35
	s_wait_kmcnt 0x0
	s_or_b64 s[22:23], s[2:3], s[20:21]
	s_delay_alu instid0(SALU_CYCLE_1)
	s_mov_b32 s17, s23
	s_wait_alu 0xfffe
	s_cmp_lg_u64 s[16:17], 0
	s_mov_b32 s17, -1
	s_cbranch_scc0 .LBB31_21
; %bb.20:                               ;   in Loop: Header=BB31_19 Depth=1
	s_ashr_i32 s22, s21, 31
	s_mov_b32 s45, s16
	s_mov_b32 s23, s22
	;; [unrolled: 1-line block ×3, first 2 shown]
	s_add_nc_u64 s[24:25], s[20:21], s[22:23]
	s_delay_alu instid0(SALU_CYCLE_1) | instskip(NEXT) | instid1(SALU_CYCLE_1)
	s_xor_b64 s[24:25], s[24:25], s[22:23]
	s_cvt_f32_u32 s17, s24
	s_cvt_f32_u32 s33, s25
	s_sub_nc_u64 s[40:41], 0, s[24:25]
	s_wait_alu 0xfffe
	s_delay_alu instid0(SALU_CYCLE_1) | instskip(SKIP_1) | instid1(SALU_CYCLE_2)
	s_fmamk_f32 s17, s33, 0x4f800000, s17
	s_wait_alu 0xfffe
	v_s_rcp_f32 s17, s17
	s_delay_alu instid0(TRANS32_DEP_1) | instskip(SKIP_1) | instid1(SALU_CYCLE_2)
	s_mul_f32 s17, s17, 0x5f7ffffc
	s_wait_alu 0xfffe
	s_mul_f32 s33, s17, 0x2f800000
	s_delay_alu instid0(SALU_CYCLE_3) | instskip(NEXT) | instid1(SALU_CYCLE_3)
	s_trunc_f32 s33, s33
	s_fmamk_f32 s17, s33, 0xcf800000, s17
	s_cvt_u32_f32 s35, s33
	s_wait_alu 0xfffe
	s_delay_alu instid0(SALU_CYCLE_1) | instskip(NEXT) | instid1(SALU_CYCLE_3)
	s_cvt_u32_f32 s34, s17
	s_mul_u64 s[46:47], s[40:41], s[34:35]
	s_delay_alu instid0(SALU_CYCLE_1)
	s_mul_hi_u32 s51, s34, s47
	s_mul_i32 s50, s34, s47
	s_mul_hi_u32 s44, s34, s46
	s_mul_i32 s33, s35, s46
	s_add_nc_u64 s[44:45], s[44:45], s[50:51]
	s_mul_hi_u32 s17, s35, s46
	s_mul_hi_u32 s52, s35, s47
	s_add_co_u32 s33, s44, s33
	s_wait_alu 0xfffe
	s_add_co_ci_u32 s48, s45, s17
	s_mul_i32 s46, s35, s47
	s_add_co_ci_u32 s47, s52, 0
	s_delay_alu instid0(SALU_CYCLE_1)
	s_add_nc_u64 s[44:45], s[48:49], s[46:47]
	s_mov_b32 s47, s16
	s_add_co_u32 s34, s34, s44
	s_cselect_b32 s17, -1, 0
	s_wait_alu 0xfffe
	s_cmp_lg_u32 s17, 0
	s_add_co_ci_u32 s35, s35, s45
	s_mov_b32 s45, s16
	s_mul_u64 s[40:41], s[40:41], s[34:35]
	s_wait_alu 0xfffe
	s_mul_hi_u32 s49, s34, s41
	s_mul_i32 s48, s34, s41
	s_mul_hi_u32 s44, s34, s40
	s_mul_i32 s33, s35, s40
	s_add_nc_u64 s[44:45], s[44:45], s[48:49]
	s_mul_hi_u32 s17, s35, s40
	s_mul_hi_u32 s50, s35, s41
	s_add_co_u32 s33, s44, s33
	s_wait_alu 0xfffe
	s_add_co_ci_u32 s46, s45, s17
	s_mul_i32 s40, s35, s41
	s_add_co_ci_u32 s41, s50, 0
	s_mov_b32 s45, s16
	s_wait_alu 0xfffe
	s_add_nc_u64 s[40:41], s[46:47], s[40:41]
	s_wait_alu 0xfffe
	s_add_co_u32 s17, s34, s40
	s_cselect_b32 s33, -1, 0
	s_delay_alu instid0(SALU_CYCLE_1) | instskip(SKIP_2) | instid1(SALU_CYCLE_1)
	s_cmp_lg_u32 s33, 0
	s_add_co_ci_u32 s33, s35, s41
	s_ashr_i32 s34, s3, 31
	s_mov_b32 s35, s34
	s_delay_alu instid0(SALU_CYCLE_1)
	s_add_nc_u64 s[40:41], s[2:3], s[34:35]
	s_wait_alu 0xfffe
	s_xor_b64 s[40:41], s[40:41], s[34:35]
	s_wait_alu 0xfffe
	s_mul_hi_u32 s49, s40, s33
	s_mul_i32 s48, s40, s33
	s_mul_hi_u32 s44, s40, s17
	s_mul_hi_u32 s46, s41, s17
	s_mul_i32 s17, s41, s17
	s_add_nc_u64 s[44:45], s[44:45], s[48:49]
	s_mul_hi_u32 s50, s41, s33
	s_wait_alu 0xfffe
	s_add_co_u32 s17, s44, s17
	s_add_co_ci_u32 s46, s45, s46
	s_mul_i32 s48, s41, s33
	s_add_co_ci_u32 s49, s50, 0
	s_delay_alu instid0(SALU_CYCLE_1) | instskip(NEXT) | instid1(SALU_CYCLE_1)
	s_add_nc_u64 s[44:45], s[46:47], s[48:49]
	s_mul_u64 s[46:47], s[24:25], s[44:45]
	s_delay_alu instid0(SALU_CYCLE_1)
	s_sub_co_u32 s17, s40, s46
	s_cselect_b32 s33, -1, 0
	s_sub_co_i32 s40, s41, s47
	s_cmp_lg_u32 s33, 0
	s_wait_alu 0xfffe
	s_sub_co_ci_u32 s40, s40, s25
	s_sub_co_u32 s46, s17, s24
	s_cselect_b32 s48, -1, 0
	s_delay_alu instid0(SALU_CYCLE_1)
	s_cmp_lg_u32 s48, 0
	s_add_nc_u64 s[48:49], s[44:45], 1
	s_wait_alu 0xfffe
	s_sub_co_ci_u32 s40, s40, 0
	s_wait_alu 0xfffe
	s_cmp_ge_u32 s40, s25
	s_cselect_b32 s50, -1, 0
	s_cmp_ge_u32 s46, s24
	s_cselect_b32 s46, -1, 0
	s_cmp_eq_u32 s40, s25
	s_cselect_b32 s40, s46, s50
	s_add_nc_u64 s[50:51], s[44:45], 2
	s_wait_alu 0xfffe
	s_cmp_lg_u32 s40, 0
	s_cselect_b32 s40, s50, s48
	s_cselect_b32 s46, s51, s49
	s_cmp_lg_u32 s33, 0
	s_sub_co_ci_u32 s33, s41, s47
	s_delay_alu instid0(SALU_CYCLE_1)
	s_cmp_ge_u32 s33, s25
	s_cselect_b32 s41, -1, 0
	s_cmp_ge_u32 s17, s24
	s_cselect_b32 s17, -1, 0
	s_cmp_eq_u32 s33, s25
	s_wait_alu 0xfffe
	s_cselect_b32 s17, s17, s41
	s_wait_alu 0xfffe
	s_cmp_lg_u32 s17, 0
	s_mov_b32 s17, 0
	s_cselect_b32 s25, s46, s45
	s_cselect_b32 s24, s40, s44
	s_xor_b64 s[22:23], s[34:35], s[22:23]
	s_delay_alu instid0(SALU_CYCLE_1) | instskip(NEXT) | instid1(SALU_CYCLE_1)
	s_xor_b64 s[24:25], s[24:25], s[22:23]
	s_sub_nc_u64 s[34:35], s[24:25], s[22:23]
.LBB31_21:                              ;   in Loop: Header=BB31_19 Depth=1
	s_wait_alu 0xfffe
	s_and_not1_b32 vcc_lo, exec_lo, s17
	s_cbranch_vccnz .LBB31_23
; %bb.22:                               ;   in Loop: Header=BB31_19 Depth=1
	v_cvt_f32_u32_e32 v1, s20
	s_sub_co_i32 s22, 0, s20
	s_mov_b32 s35, s16
	s_delay_alu instid0(VALU_DEP_1) | instskip(NEXT) | instid1(TRANS32_DEP_1)
	v_rcp_iflag_f32_e32 v1, v1
	v_mul_f32_e32 v1, 0x4f7ffffe, v1
	s_delay_alu instid0(VALU_DEP_1) | instskip(NEXT) | instid1(VALU_DEP_1)
	v_cvt_u32_f32_e32 v1, v1
	v_readfirstlane_b32 s17, v1
	s_mul_i32 s22, s22, s17
	s_delay_alu instid0(SALU_CYCLE_1) | instskip(NEXT) | instid1(SALU_CYCLE_1)
	s_mul_hi_u32 s22, s17, s22
	s_add_co_i32 s17, s17, s22
	s_wait_alu 0xfffe
	s_mul_hi_u32 s17, s2, s17
	s_wait_alu 0xfffe
	s_mul_i32 s22, s17, s20
	s_add_co_i32 s23, s17, 1
	s_sub_co_i32 s22, s2, s22
	s_delay_alu instid0(SALU_CYCLE_1)
	s_sub_co_i32 s24, s22, s20
	s_cmp_ge_u32 s22, s20
	s_cselect_b32 s17, s23, s17
	s_cselect_b32 s22, s24, s22
	s_wait_alu 0xfffe
	s_add_co_i32 s23, s17, 1
	s_cmp_ge_u32 s22, s20
	s_cselect_b32 s34, s23, s17
.LBB31_23:                              ;   in Loop: Header=BB31_19 Depth=1
	s_load_b64 s[22:23], s[18:19], 0xc8
	s_mul_u64 s[20:21], s[34:35], s[20:21]
	s_add_co_i32 s7, s7, -1
	s_wait_alu 0xfffe
	s_sub_nc_u64 s[2:3], s[2:3], s[20:21]
	s_cmp_gt_u32 s7, 2
	s_add_nc_u64 s[18:19], s[18:19], -8
	s_wait_kmcnt 0x0
	s_wait_alu 0xfffe
	s_mul_u64 s[2:3], s[22:23], s[2:3]
	s_wait_alu 0xfffe
	s_add_nc_u64 s[30:31], s[2:3], s[30:31]
	s_cbranch_scc0 .LBB31_26
; %bb.24:                               ;   in Loop: Header=BB31_19 Depth=1
	s_mov_b64 s[2:3], s[34:35]
	s_branch .LBB31_19
.LBB31_25:
	s_mov_b64 s[34:35], s[2:3]
.LBB31_26:
	s_clause 0x1
	s_load_b64 s[40:41], s[12:13], 0xd0
	s_load_b64 s[12:13], s[0:1], 0x0
	v_cmp_eq_u32_e64 s2, 0, v0
	s_mov_b32 s25, 0
	s_and_saveexec_b32 s3, s2
	s_cbranch_execz .LBB31_28
; %bb.27:
	v_dual_mov_b32 v1, 0 :: v_dual_mov_b32 v4, s37
	s_delay_alu instid0(VALU_DEP_1)
	v_dual_mov_b32 v3, s36 :: v_dual_mov_b32 v2, v1
	ds_store_b32 v1, v1 offset:5136
	ds_store_b128 v1, v[1:4] offset:5120
.LBB31_28:
	s_wait_alu 0xfffe
	s_or_b32 exec_lo, exec_lo, s3
	v_lshlrev_b32_e32 v49, 5, v0
	s_mul_u64 s[10:11], s[14:15], s[10:11]
	s_lshl_b64 s[54:55], s[4:5], 3
	s_lshl_b64 s[10:11], s[10:11], 3
	s_clause 0x2
	s_load_b64 s[48:49], s[0:1], 0x430
	s_load_b64 s[44:45], s[0:1], 0x1c0
	;; [unrolled: 1-line block ×3, first 2 shown]
	v_or_b32_e32 v12, 8, v49
	s_wait_kmcnt 0x0
	s_add_nc_u64 s[14:15], s[12:13], s[10:11]
	s_wait_dscnt 0x0
	s_barrier_signal -1
	s_barrier_wait -1
	s_wait_alu 0xfffe
	v_mad_co_u64_u32 v[27:28], null, s42, v12, s[14:15]
	global_inv scope:SCOPE_SE
	s_load_b32 s5, s[8:9], 0xc
	v_mad_co_u64_u32 v[2:3], null, s42, v0, 0
	v_mbcnt_lo_u32_b32 v45, -1, 0
	v_cmp_gt_u32_e32 vcc_lo, 32, v0
	v_mov_b32_e32 v8, v28
	v_or_b32_e32 v9, 24, v49
	v_or_b32_e32 v11, 16, v49
	v_lshlrev_b64_e64 v[6:7], v45, -1
	v_dual_mov_b32 v1, v3 :: v_dual_mov_b32 v18, 0
	s_delay_alu instid0(VALU_DEP_4) | instskip(NEXT) | instid1(VALU_DEP_4)
	v_mad_co_u64_u32 v[23:24], null, s42, v9, s[14:15]
	v_mad_co_u64_u32 v[25:26], null, s42, v11, s[14:15]
	v_cmp_gt_i32_e64 s0, 4, v45
	v_lshlrev_b32_e32 v21, 2, v0
	v_not_b32_e32 v48, v6
	v_mad_co_u64_u32 v[3:4], null, s43, v0, v[1:2]
	v_dual_mov_b32 v6, v24 :: v_dual_mov_b32 v7, v26
	s_wait_kmcnt 0x0
	s_and_b32 s50, s5, 0xffff
	s_and_b32 s33, vcc_lo, s0
	s_bfe_u32 s5, s5, 0xb0005
	s_cmp_gt_u32 s50, 31
	v_mad_co_u64_u32 v[9:10], null, s43, v9, v[6:7]
	s_cselect_b32 s85, -1, 0
	s_cmp_lt_u32 ttmp9, s6
	v_lshlrev_b64_e32 v[4:5], 3, v[2:3]
	s_cselect_b32 s24, 12, 18
	s_add_co_i32 s6, s5, -1
	s_movk_i32 s7, 0x3e0
	s_and_b32 s6, s6, 0xffff
	v_lshlrev_b64_e32 v[2:3], 5, v[2:3]
	s_bfe_u32 s86, s50, 0x30005
	v_mov_b32_e32 v24, v9
	v_mad_co_u64_u32 v[6:7], null, s43, v11, v[7:8]
	s_add_nc_u64 s[56:57], s[14:15], s[54:55]
	s_cmp_gt_u32 s6, 6
	v_and_or_b32 v50, v0, s7, 0xc00
	s_add_nc_u64 s[6:7], s[10:11], s[54:55]
	v_mad_co_u64_u32 v[7:8], null, s43, v12, v[8:9]
	v_add_co_u32 v19, vcc_lo, s56, v4
	s_cselect_b32 s87, -1, 0
	s_and_b32 s88, s5, 0x7f8
	s_wait_alu 0xfffe
	s_add_nc_u64 s[62:63], s[12:13], s[6:7]
	s_add_nc_u64 s[6:7], s[12:13], s[54:55]
	s_cmp_lg_u32 s86, 0
	v_dual_mov_b32 v1, v18 :: v_dual_lshlrev_b32 v46, 3, v0
	v_add_co_ci_u32_e64 v20, null, s57, v5, vcc_lo
	v_add_co_u32 v29, vcc_lo, s14, v2
	s_wait_alu 0xfffe
	s_add_nc_u64 s[6:7], s[6:7], s[10:11]
	s_cselect_b32 s89, -1, 0
	s_lshl_b64 s[64:65], s[42:43], 3
	s_lshl_b64 s[66:67], s[42:43], 5
	s_wait_alu 0xfffd
	v_add_co_ci_u32_e64 v30, null, s15, v3, vcc_lo
	s_wait_alu 0xfffe
	v_add_co_u32 v15, vcc_lo, s6, v4
	v_mul_lo_u32 v54, 0, s64
	v_mul_lo_u32 v55, 0, s66
	v_mov_b32_e32 v26, v6
	v_dual_mov_b32 v28, v7 :: v_dual_mov_b32 v35, s38
	v_add_co_u32 v51, s5, s36, v0
	s_wait_alu 0xfffd
	v_add_co_ci_u32_e64 v16, null, s7, v5, vcc_lo
	v_mov_b32_e32 v5, 0
	v_cmp_lt_i64_e64 s84, 0x180, s[36:37]
	v_cmp_gt_u64_e64 s4, s[36:37], v[0:1]
	v_cmp_gt_i64_e64 s0, s[36:37], v[0:1]
	s_mov_b32 s51, s25
	v_dual_mov_b32 v6, 0 :: v_dual_mov_b32 v31, 0
	v_dual_mov_b32 v36, s39 :: v_dual_mov_b32 v33, 0
	v_cmp_eq_u32_e64 s1, 0, v45
	v_cmp_gt_u32_e64 s3, 2, v0
	v_dual_mov_b32 v22, v18 :: v_dual_add_nc_u32 v47, 0xc00, v46
	v_add_co_ci_u32_e64 v52, null, s37, 0, s5
	v_lshl_or_b32 v53, v45, 3, 0xc00
	v_mov_b32_e32 v32, 0
	v_mov_b32_e32 v34, 0
	;; [unrolled: 1-line block ×3, first 2 shown]
	s_add_nc_u64 s[58:59], s[50:51], -1
	s_mul_u64 s[10:11], s[42:43], s[50:51]
	s_add_nc_u64 s[60:61], s[58:59], s[36:37]
	s_lshl_b64 s[52:53], s[10:11], 3
	s_lshl_b32 s90, s50, 3
	s_mov_b32 s91, 62
	s_add_nc_u64 s[38:39], s[8:9], s[24:25]
	s_mov_b32 s92, 0
	s_mov_b32 s93, 0
                                        ; implicit-def: $sgpr97
                                        ; implicit-def: $sgpr99
                                        ; implicit-def: $sgpr94
                                        ; implicit-def: $sgpr96
                                        ; implicit-def: $sgpr98
                                        ; implicit-def: $sgpr95
	s_branch .LBB31_32
.LBB31_29:                              ;   in Loop: Header=BB31_32 Depth=1
	s_wait_alu 0xfffe
	s_or_b32 exec_lo, exec_lo, s8
	s_delay_alu instid0(SALU_CYCLE_1)
	s_and_b32 s6, s6, exec_lo
	s_and_not1_b32 s68, s68, exec_lo
	s_and_not1_b32 s23, s23, exec_lo
	s_or_not1_b32 s21, s7, exec_lo
.LBB31_30:                              ;   in Loop: Header=BB31_32 Depth=1
	s_wait_alu 0xfffe
	s_or_b32 exec_lo, exec_lo, s5
	s_delay_alu instid0(SALU_CYCLE_1)
	s_and_not1_b32 s5, s95, exec_lo
	s_and_b32 s6, s6, exec_lo
	s_and_not1_b32 s7, s96, exec_lo
	s_wait_alu 0xfffe
	s_or_b32 s95, s5, s6
	s_and_not1_b32 s5, s98, exec_lo
	s_and_b32 s6, s68, exec_lo
	s_and_b32 s8, s23, exec_lo
	s_wait_alu 0xfffe
	s_or_b32 s98, s5, s6
	s_or_b32 s96, s7, s8
	s_or_not1_b32 s21, s21, exec_lo
.LBB31_31:                              ;   in Loop: Header=BB31_32 Depth=1
	s_wait_alu 0xfffe
	s_or_b32 exec_lo, exec_lo, s20
	s_delay_alu instid0(SALU_CYCLE_1)
	s_and_b32 s5, exec_lo, s21
	v_dual_mov_b32 v36, v12 :: v_dual_mov_b32 v35, v11
	s_wait_alu 0xfffe
	s_or_b32 s92, s5, s92
	s_and_not1_b32 s5, s94, exec_lo
	s_and_b32 s6, s95, exec_lo
	s_and_not1_b32 s7, s99, exec_lo
	s_wait_alu 0xfffe
	s_or_b32 s94, s5, s6
	s_and_b32 s5, s98, exec_lo
	s_and_not1_b32 s6, s97, exec_lo
	s_and_b32 s8, s96, exec_lo
	s_wait_alu 0xfffe
	s_or_b32 s99, s7, s5
	s_or_b32 s97, s6, s8
	s_and_not1_b32 exec_lo, exec_lo, s92
	s_cbranch_execz .LBB31_289
.LBB31_32:                              ; =>This Loop Header: Depth=1
                                        ;     Child Loop BB31_38 Depth 2
                                        ;     Child Loop BB31_51 Depth 2
	;; [unrolled: 1-line block ×16, first 2 shown]
	ds_load_b128 v[7:10], v18 offset:5120
	s_wait_dscnt 0x0
	v_readfirstlane_b32 s69, v8
	v_readfirstlane_b32 s68, v7
	s_wait_alu 0xf1ff
	s_delay_alu instid0(VALU_DEP_1)
	v_cmp_gt_i64_e64 s5, s[68:69], 0
	s_and_b32 vcc_lo, exec_lo, s5
	s_wait_alu 0xfffe
	s_cbranch_vccnz .LBB31_59
; %bb.33:                               ;   in Loop: Header=BB31_32 Depth=1
	s_and_b32 vcc_lo, exec_lo, s84
	s_wait_alu 0xfffe
	s_cbranch_vccz .LBB31_46
; %bb.34:                               ;   in Loop: Header=BB31_32 Depth=1
	v_cmp_gt_i64_e32 vcc_lo, 0x181, v[9:10]
	s_mov_b32 s7, 0
	s_mov_b32 s5, 0
	s_cbranch_vccz .LBB31_47
; %bb.35:                               ;   in Loop: Header=BB31_32 Depth=1
	s_and_saveexec_b32 s8, s4
	s_cbranch_execz .LBB31_93
; %bb.36:                               ;   in Loop: Header=BB31_32 Depth=1
	global_load_u16 v3, v18, s[38:39]
	global_load_b64 v[7:8], v[19:20], off
	s_mov_b32 s9, 0
	s_wait_loadcnt 0x1
	v_and_b32_e32 v13, 0xffff, v3
	s_delay_alu instid0(VALU_DEP_1) | instskip(SKIP_2) | instid1(VALU_DEP_3)
	v_add_nc_u32_e32 v9, v0, v13
	v_mul_lo_u32 v11, v13, s65
	v_mul_hi_u32 v12, v13, s64
	v_mad_co_u64_u32 v[3:4], null, s64, v9, s[62:63]
	s_delay_alu instid0(VALU_DEP_1) | instskip(NEXT) | instid1(VALU_DEP_4)
	v_mad_co_u64_u32 v[9:10], null, s65, v9, v[4:5]
	v_add_nc_u32_e32 v4, v11, v54
	s_delay_alu instid0(VALU_DEP_1)
	v_dual_mov_b32 v4, v9 :: v_dual_add_nc_u32 v17, v4, v12
	v_mul_lo_u32 v14, v13, s64
	v_dual_mov_b32 v10, v1 :: v_dual_mov_b32 v9, v0
	s_branch .LBB31_38
.LBB31_37:                              ;   in Loop: Header=BB31_38 Depth=2
	s_wait_alu 0xfffe
	s_or_b32 exec_lo, exec_lo, s6
	v_add_co_u32 v3, vcc_lo, v3, v14
	s_wait_alu 0xfffd
	v_add_co_ci_u32_e64 v4, null, v4, v17, vcc_lo
	v_dual_mov_b32 v7, v11 :: v_dual_mov_b32 v8, v12
	s_and_not1_b32 exec_lo, exec_lo, s9
	s_cbranch_execz .LBB31_93
.LBB31_38:                              ;   Parent Loop BB31_32 Depth=1
                                        ; =>  This Inner Loop Header: Depth=2
	s_delay_alu instid0(VALU_DEP_1)
	v_add_co_u32 v9, vcc_lo, v9, v13
	v_mov_b32_e32 v11, 0
	s_wait_alu 0xfffd
	v_add_co_ci_u32_e64 v10, null, 0, v10, vcc_lo
	v_mov_b32_e32 v12, 0
	s_mov_b32 s6, exec_lo
	s_delay_alu instid0(VALU_DEP_2)
	v_cmp_le_i64_e32 vcc_lo, s[36:37], v[9:10]
	v_cmpx_gt_i64_e64 s[36:37], v[9:10]
	s_cbranch_execz .LBB31_40
; %bb.39:                               ;   in Loop: Header=BB31_38 Depth=2
	global_load_b64 v[11:12], v[3:4], off
.LBB31_40:                              ;   in Loop: Header=BB31_38 Depth=2
	s_wait_alu 0xfffe
	s_or_b32 exec_lo, exec_lo, s6
	s_wait_loadcnt_dscnt 0x0
	v_xor_b32_e32 v37, 0x80000000, v8
	s_delay_alu instid0(VALU_DEP_1) | instskip(SKIP_1) | instid1(VALU_DEP_1)
	v_and_b32_e32 v38, v37, v34
	v_and_b32_e32 v37, v7, v33
	v_cmp_eq_u64_e64 s5, v[37:38], v[31:32]
	v_mov_b32_e32 v37, 0
	s_cmp_lg_u32 s5, 0
	s_cselect_b32 s6, -1, 0
	s_wait_alu 0xfffe
	s_and_b32 s6, s1, s6
	s_wait_alu 0xfffe
	s_and_saveexec_b32 s10, s6
	s_cbranch_execz .LBB31_44
; %bb.41:                               ;   in Loop: Header=BB31_38 Depth=2
	s_mov_b32 s13, exec_lo
	s_bcnt1_i32_b32 s11, s5
	s_wait_alu 0xfffe
	v_mbcnt_lo_u32_b32 v37, s13, 0
	s_mov_b32 s12, exec_lo
                                        ; implicit-def: $vgpr38
	s_delay_alu instid0(VALU_DEP_1)
	v_cmpx_eq_u32_e32 0, v37
; %bb.42:                               ;   in Loop: Header=BB31_38 Depth=2
	s_bcnt1_i32_b32 s6, s13
	s_wait_alu 0xfffe
	s_mul_i32 s6, s11, s6
	s_wait_alu 0xfffe
	v_mov_b32_e32 v38, s6
	ds_add_rtn_u32 v38, v18, v38 offset:5136
; %bb.43:                               ;   in Loop: Header=BB31_38 Depth=2
	s_or_b32 exec_lo, exec_lo, s12
	s_wait_dscnt 0x0
	v_readfirstlane_b32 s6, v38
	s_wait_alu 0xf1ff
	s_delay_alu instid0(VALU_DEP_1)
	v_mad_u32_u24 v37, s11, v37, s6
.LBB31_44:                              ;   in Loop: Header=BB31_38 Depth=2
	s_wait_alu 0xfffe
	s_or_b32 exec_lo, exec_lo, s10
	ds_bpermute_b32 v37, v18, v37
	s_and_b32 s6, exec_lo, vcc_lo
	s_wait_alu 0xfffe
	s_or_b32 s9, s6, s9
	s_and_saveexec_b32 s6, s5
	s_cbranch_execz .LBB31_37
; %bb.45:                               ;   in Loop: Header=BB31_38 Depth=2
	v_and_b32_e32 v38, s5, v48
	s_delay_alu instid0(VALU_DEP_1) | instskip(NEXT) | instid1(VALU_DEP_1)
	v_bcnt_u32_b32 v38, v38, 0
	v_lshlrev_b32_e32 v38, 3, v38
	s_wait_dscnt 0x0
	s_delay_alu instid0(VALU_DEP_1)
	v_lshl_add_u32 v37, v37, 3, v38
	ds_store_b64 v37, v[7:8]
	s_branch .LBB31_37
.LBB31_46:                              ;   in Loop: Header=BB31_32 Depth=1
	s_mov_b32 s7, -1
	s_mov_b32 s5, 0
.LBB31_47:                              ;   in Loop: Header=BB31_32 Depth=1
	s_wait_alu 0xfffe
	s_and_b32 vcc_lo, exec_lo, s7
	s_wait_alu 0xfffe
	s_cbranch_vccz .LBB31_57
.LBB31_48:                              ;   in Loop: Header=BB31_32 Depth=1
	s_and_saveexec_b32 s6, s0
	s_cbranch_execz .LBB31_54
; %bb.49:                               ;   in Loop: Header=BB31_32 Depth=1
	global_load_u16 v7, v18, s[38:39]
	global_load_b64 v[3:4], v[19:20], off
	s_mov_b32 s7, exec_lo
	s_wait_loadcnt 0x1
	v_and_b32_e32 v37, 0xffff, v7
	v_mov_b32_e32 v7, v0
	s_delay_alu instid0(VALU_DEP_2) | instskip(NEXT) | instid1(VALU_DEP_1)
	v_add_nc_u32_e32 v17, v37, v0
	v_cmpx_gt_i64_e64 s[36:37], v[17:18]
	s_cbranch_execz .LBB31_53
; %bb.50:                               ;   in Loop: Header=BB31_32 Depth=1
	v_mul_lo_u32 v10, v37, s65
	v_mad_co_u64_u32 v[7:8], null, s64, v17, s[62:63]
	v_mul_hi_u32 v11, v37, s64
	v_mul_lo_u32 v38, v37, s64
	v_dual_mov_b32 v14, v1 :: v_dual_mov_b32 v13, v0
	s_mov_b32 s8, 0
	v_add_nc_u32_e32 v12, v10, v54
	v_mad_co_u64_u32 v[8:9], null, s65, v17, v[8:9]
	v_dual_mov_b32 v9, v17 :: v_dual_mov_b32 v10, v18
	s_delay_alu instid0(VALU_DEP_3)
	v_add_nc_u32_e32 v17, v12, v11
.LBB31_51:                              ;   Parent Loop BB31_32 Depth=1
                                        ; =>  This Inner Loop Header: Depth=2
	global_load_b64 v[11:12], v[7:8], off
	v_dual_mov_b32 v40, v10 :: v_dual_mov_b32 v39, v9
	v_lshlrev_b32_e32 v13, 3, v13
	s_delay_alu instid0(VALU_DEP_2) | instskip(SKIP_1) | instid1(VALU_DEP_3)
	v_add_co_u32 v9, vcc_lo, v39, v37
	s_wait_alu 0xfffd
	v_add_co_ci_u32_e64 v10, null, 0, v40, vcc_lo
	v_add_co_u32 v7, vcc_lo, v7, v38
	s_wait_loadcnt 0x1
	ds_store_b64 v13, v[3:4]
	v_cmp_le_i64_e64 s5, s[36:37], v[9:10]
	s_wait_alu 0xfffd
	v_add_co_ci_u32_e64 v8, null, v8, v17, vcc_lo
	v_dual_mov_b32 v13, v39 :: v_dual_mov_b32 v14, v40
	s_wait_alu 0xfffe
	s_delay_alu instid0(VALU_DEP_3)
	s_or_b32 s8, s5, s8
	s_wait_loadcnt 0x0
	v_dual_mov_b32 v3, v11 :: v_dual_mov_b32 v4, v12
	s_wait_alu 0xfffe
	s_and_not1_b32 exec_lo, exec_lo, s8
	s_cbranch_execnz .LBB31_51
; %bb.52:                               ;   in Loop: Header=BB31_32 Depth=1
	s_or_b32 exec_lo, exec_lo, s8
	v_sub_nc_u32_e32 v7, v9, v37
	v_dual_mov_b32 v3, v11 :: v_dual_mov_b32 v4, v12
.LBB31_53:                              ;   in Loop: Header=BB31_32 Depth=1
	s_wait_alu 0xfffe
	s_or_b32 exec_lo, exec_lo, s7
	s_delay_alu instid0(VALU_DEP_2)
	v_lshlrev_b32_e32 v7, 3, v7
	s_wait_loadcnt 0x0
	ds_store_b64 v7, v[3:4]
.LBB31_54:                              ;   in Loop: Header=BB31_32 Depth=1
	s_wait_alu 0xfffe
	s_or_b32 exec_lo, exec_lo, s6
	s_wait_loadcnt_dscnt 0x0
	s_barrier_signal -1
	s_barrier_wait -1
	global_inv scope:SCOPE_SE
	s_and_saveexec_b32 s5, s2
; %bb.55:                               ;   in Loop: Header=BB31_32 Depth=1
	v_dual_mov_b32 v3, s36 :: v_dual_mov_b32 v4, s37
	ds_store_b64 v18, v[3:4] offset:5120
; %bb.56:                               ;   in Loop: Header=BB31_32 Depth=1
	s_wait_alu 0xfffe
	s_or_b32 exec_lo, exec_lo, s5
	s_wait_loadcnt_dscnt 0x0
	s_barrier_signal -1
	s_mov_b32 s5, -1
	s_barrier_wait -1
.LBB31_57:                              ;   in Loop: Header=BB31_32 Depth=1
	s_wait_alu 0xfffe
	s_and_b32 vcc_lo, exec_lo, s5
	s_wait_alu 0xfffe
	s_cbranch_vccz .LBB31_59
; %bb.58:                               ;   in Loop: Header=BB31_32 Depth=1
	s_wait_loadcnt 0x0
	global_inv scope:SCOPE_SE
	ds_load_b64 v[3:4], v18 offset:5120
	s_wait_dscnt 0x0
	v_readfirstlane_b32 s68, v3
.LBB31_59:                              ;   in Loop: Header=BB31_32 Depth=1
	s_delay_alu instid0(VALU_DEP_1)
	s_cmp_lt_i32 s68, 1
	s_mov_b32 s5, -1
                                        ; implicit-def: $vgpr13_vgpr14
                                        ; implicit-def: $vgpr9_vgpr10
	s_cbranch_scc1 .LBB31_69
; %bb.60:                               ;   in Loop: Header=BB31_32 Depth=1
	s_wait_alu 0xfffe
	s_and_b32 vcc_lo, exec_lo, s5
	s_wait_alu 0xfffe
	s_cbranch_vccnz .LBB31_83
.LBB31_61:                              ;   in Loop: Header=BB31_32 Depth=1
	s_lshl_b32 s5, s93, 7
	s_and_saveexec_b32 s6, s1
	s_cbranch_execz .LBB31_63
.LBB31_62:                              ;   in Loop: Header=BB31_32 Depth=1
	s_wait_alu 0xfffe
	v_lshl_add_u32 v3, s5, 3, v50
	ds_store_b128 v3, v[7:10]
	ds_store_b128 v3, v[11:14] offset:16
.LBB31_63:                              ;   in Loop: Header=BB31_32 Depth=1
	s_wait_alu 0xfffe
	s_or_b32 exec_lo, exec_lo, s6
	s_wait_loadcnt_dscnt 0x0
	s_barrier_signal -1
	s_barrier_wait -1
	global_inv scope:SCOPE_SE
	s_and_saveexec_b32 s6, s33
	s_cbranch_execz .LBB31_100
; %bb.64:                               ;   in Loop: Header=BB31_32 Depth=1
	v_mov_b32_e32 v3, 0
	v_mov_b32_e32 v4, 0
	s_and_not1_b32 vcc_lo, exec_lo, s85
	s_wait_alu 0xfffe
	s_cbranch_vccnz .LBB31_99
; %bb.65:                               ;   in Loop: Header=BB31_32 Depth=1
	v_mov_b32_e32 v3, 0
	v_mov_b32_e32 v4, 0
	s_and_not1_b32 vcc_lo, exec_lo, s87
	s_wait_alu 0xfffe
	s_cbranch_vccnz .LBB31_96
; %bb.66:                               ;   in Loop: Header=BB31_32 Depth=1
	v_lshl_add_u32 v7, s93, 10, v53
	s_mov_b32 s7, 0
.LBB31_67:                              ;   Parent Loop BB31_32 Depth=1
                                        ; =>  This Inner Loop Header: Depth=2
	ds_load_2addr_b64 v[8:11], v7 offset1:4
	ds_load_2addr_b64 v[37:40], v7 offset0:8 offset1:12
	ds_load_2addr_b64 v[41:44], v7 offset0:16 offset1:20
	s_wait_alu 0xfffe
	s_add_co_i32 s7, s7, 8
	s_wait_alu 0xfffe
	s_cmp_eq_u32 s88, s7
	s_wait_dscnt 0x2
	v_add_co_u32 v3, vcc_lo, v8, v3
	s_wait_alu 0xfffd
	v_add_co_ci_u32_e64 v4, null, v9, v4, vcc_lo
	s_delay_alu instid0(VALU_DEP_2) | instskip(SKIP_1) | instid1(VALU_DEP_2)
	v_add_co_u32 v3, vcc_lo, v10, v3
	s_wait_alu 0xfffd
	v_add_co_ci_u32_e64 v4, null, v11, v4, vcc_lo
	ds_load_2addr_b64 v[8:11], v7 offset0:24 offset1:28
	s_wait_dscnt 0x2
	v_add_co_u32 v3, vcc_lo, v37, v3
	s_wait_alu 0xfffd
	v_add_co_ci_u32_e64 v4, null, v38, v4, vcc_lo
	v_add_nc_u32_e32 v7, 0x100, v7
	s_delay_alu instid0(VALU_DEP_3) | instskip(SKIP_1) | instid1(VALU_DEP_3)
	v_add_co_u32 v3, vcc_lo, v39, v3
	s_wait_alu 0xfffd
	v_add_co_ci_u32_e64 v4, null, v40, v4, vcc_lo
	s_wait_dscnt 0x1
	s_delay_alu instid0(VALU_DEP_2) | instskip(SKIP_1) | instid1(VALU_DEP_2)
	v_add_co_u32 v3, vcc_lo, v41, v3
	s_wait_alu 0xfffd
	v_add_co_ci_u32_e64 v4, null, v42, v4, vcc_lo
	s_delay_alu instid0(VALU_DEP_2) | instskip(SKIP_1) | instid1(VALU_DEP_2)
	v_add_co_u32 v3, vcc_lo, v43, v3
	s_wait_alu 0xfffd
	v_add_co_ci_u32_e64 v4, null, v44, v4, vcc_lo
	s_wait_dscnt 0x0
	s_delay_alu instid0(VALU_DEP_2) | instskip(SKIP_1) | instid1(VALU_DEP_2)
	v_add_co_u32 v3, vcc_lo, v8, v3
	s_wait_alu 0xfffd
	v_add_co_ci_u32_e64 v4, null, v9, v4, vcc_lo
	s_delay_alu instid0(VALU_DEP_2) | instskip(SKIP_1) | instid1(VALU_DEP_2)
	v_add_co_u32 v3, vcc_lo, v10, v3
	s_wait_alu 0xfffd
	v_add_co_ci_u32_e64 v4, null, v11, v4, vcc_lo
	s_cbranch_scc0 .LBB31_67
; %bb.68:                               ;   in Loop: Header=BB31_32 Depth=1
	s_mov_b32 s7, s88
	s_and_not1_b32 vcc_lo, exec_lo, s89
	s_wait_alu 0xfffe
	s_cbranch_vccz .LBB31_97
	s_branch .LBB31_99
.LBB31_69:                              ;   in Loop: Header=BB31_32 Depth=1
	global_load_u16 v3, v18, s[38:39]
	s_mov_b32 s6, s25
	s_mov_b32 s7, s37
	s_wait_loadcnt 0x0
	v_readfirstlane_b32 s5, v3
	s_wait_alu 0xfffe
	s_and_b32 s5, 0xffff, s5
	s_wait_alu 0xfffe
	s_lshl_b32 s70, s5, 2
	s_cmp_lg_u64 s[6:7], 0
	s_cbranch_scc0 .LBB31_92
; %bb.70:                               ;   in Loop: Header=BB31_32 Depth=1
	s_mov_b32 s71, s25
	s_wait_alu 0xfffe
	s_add_nc_u64 s[6:7], s[70:71], 0
	s_wait_alu 0xfffe
	s_xor_b64 s[6:7], s[6:7], 0
	s_wait_alu 0xfffe
	s_cvt_f32_u32 s5, s6
	s_cvt_f32_u32 s8, s7
	s_sub_nc_u64 s[10:11], 0, s[6:7]
	s_wait_alu 0xfffe
	s_delay_alu instid0(SALU_CYCLE_1) | instskip(SKIP_1) | instid1(SALU_CYCLE_2)
	s_fmamk_f32 s5, s8, 0x4f800000, s5
	s_wait_alu 0xfffe
	v_s_rcp_f32 s5, s5
	s_delay_alu instid0(TRANS32_DEP_1) | instskip(SKIP_1) | instid1(SALU_CYCLE_2)
	s_mul_f32 s5, s5, 0x5f7ffffc
	s_wait_alu 0xfffe
	s_mul_f32 s8, s5, 0x2f800000
	s_wait_alu 0xfffe
	s_delay_alu instid0(SALU_CYCLE_2) | instskip(SKIP_1) | instid1(SALU_CYCLE_2)
	s_trunc_f32 s8, s8
	s_wait_alu 0xfffe
	s_fmamk_f32 s5, s8, 0xcf800000, s5
	s_cvt_u32_f32 s9, s8
	s_wait_alu 0xfffe
	s_delay_alu instid0(SALU_CYCLE_1) | instskip(SKIP_1) | instid1(SALU_CYCLE_2)
	s_cvt_u32_f32 s8, s5
	s_wait_alu 0xfffe
	s_mul_u64 s[12:13], s[10:11], s[8:9]
	s_wait_alu 0xfffe
	s_mul_hi_u32 s15, s8, s13
	s_mul_i32 s14, s8, s13
	s_mul_hi_u32 s24, s8, s12
	s_mul_i32 s16, s9, s12
	s_wait_alu 0xfffe
	s_add_nc_u64 s[14:15], s[24:25], s[14:15]
	s_mul_hi_u32 s5, s9, s12
	s_mul_hi_u32 s17, s9, s13
	s_mul_i32 s12, s9, s13
	s_wait_alu 0xfffe
	s_add_co_u32 s13, s14, s16
	s_add_co_ci_u32 s24, s15, s5
	s_add_co_ci_u32 s13, s17, 0
	s_wait_alu 0xfffe
	s_add_nc_u64 s[12:13], s[24:25], s[12:13]
	s_wait_alu 0xfffe
	s_add_co_u32 s8, s8, s12
	s_cselect_b32 s5, -1, 0
	s_wait_alu 0xfffe
	s_cmp_lg_u32 s5, 0
	s_add_co_ci_u32 s9, s9, s13
	s_wait_alu 0xfffe
	s_mul_u64 s[10:11], s[10:11], s[8:9]
	s_wait_alu 0xfffe
	s_mul_hi_u32 s13, s8, s11
	s_mul_i32 s12, s8, s11
	s_mul_hi_u32 s24, s8, s10
	s_mul_i32 s14, s9, s10
	s_wait_alu 0xfffe
	s_add_nc_u64 s[12:13], s[24:25], s[12:13]
	s_mul_hi_u32 s5, s9, s10
	s_mul_hi_u32 s15, s9, s11
	s_mul_i32 s10, s9, s11
	s_wait_alu 0xfffe
	s_add_co_u32 s11, s12, s14
	s_add_co_ci_u32 s24, s13, s5
	s_add_co_ci_u32 s11, s15, 0
	s_wait_alu 0xfffe
	s_add_nc_u64 s[10:11], s[24:25], s[10:11]
	s_wait_alu 0xfffe
	s_add_co_u32 s5, s8, s10
	s_cselect_b32 s8, -1, 0
	s_wait_alu 0xfffe
	s_cmp_lg_u32 s8, 0
	s_add_co_ci_u32 s14, s9, s11
	s_ashr_i32 s8, s37, 31
	s_wait_alu 0xfffe
	s_mov_b32 s9, s8
	s_wait_alu 0xfffe
	s_add_nc_u64 s[10:11], s[36:37], s[8:9]
	s_wait_alu 0xfffe
	s_xor_b64 s[10:11], s[10:11], s[8:9]
	s_wait_alu 0xfffe
	s_mul_hi_u32 s13, s10, s14
	s_mul_i32 s12, s10, s14
	s_mul_hi_u32 s24, s10, s5
	s_mul_hi_u32 s16, s11, s5
	s_mul_i32 s5, s11, s5
	s_wait_alu 0xfffe
	s_add_nc_u64 s[12:13], s[24:25], s[12:13]
	s_mul_hi_u32 s15, s11, s14
	s_wait_alu 0xfffe
	s_add_co_u32 s5, s12, s5
	s_add_co_ci_u32 s24, s13, s16
	s_mul_i32 s14, s11, s14
	s_add_co_ci_u32 s15, s15, 0
	s_wait_alu 0xfffe
	s_add_nc_u64 s[12:13], s[24:25], s[14:15]
	s_wait_alu 0xfffe
	s_mul_u64 s[12:13], s[6:7], s[12:13]
	s_wait_alu 0xfffe
	s_sub_co_u32 s5, s10, s12
	s_cselect_b32 s10, -1, 0
	s_sub_co_i32 s12, s11, s13
	s_wait_alu 0xfffe
	s_cmp_lg_u32 s10, 0
	s_sub_co_ci_u32 s12, s12, s7
	s_sub_co_u32 s14, s5, s6
	s_cselect_b32 s15, -1, 0
	s_wait_alu 0xfffe
	s_cmp_lg_u32 s15, 0
	s_sub_co_ci_u32 s16, s12, 0
	s_wait_alu 0xfffe
	s_cmp_ge_u32 s16, s7
	s_cselect_b32 s17, -1, 0
	s_cmp_ge_u32 s14, s6
	s_cselect_b32 s18, -1, 0
	s_cmp_eq_u32 s16, s7
	s_wait_alu 0xfffe
	s_cselect_b32 s17, s18, s17
	s_cmp_lg_u32 s15, 0
	s_sub_co_ci_u32 s12, s12, s7
	s_sub_co_u32 s15, s14, s6
	s_cselect_b32 s18, -1, 0
	s_delay_alu instid0(SALU_CYCLE_1)
	s_cmp_lg_u32 s18, 0
	s_wait_alu 0xfffe
	s_sub_co_ci_u32 s12, s12, 0
	s_cmp_lg_u32 s17, 0
	s_cselect_b32 s14, s15, s14
	s_wait_alu 0xfffe
	s_cselect_b32 s12, s12, s16
	s_cmp_lg_u32 s10, 0
	s_sub_co_ci_u32 s10, s11, s13
	s_wait_alu 0xfffe
	s_cmp_ge_u32 s10, s7
	s_cselect_b32 s11, -1, 0
	s_cmp_ge_u32 s5, s6
	s_cselect_b32 s6, -1, 0
	s_cmp_eq_u32 s10, s7
	s_wait_alu 0xfffe
	s_cselect_b32 s6, s6, s11
	s_wait_alu 0xfffe
	s_cmp_lg_u32 s6, 0
	s_cselect_b32 s7, s12, s10
	s_cselect_b32 s6, s14, s5
	s_wait_alu 0xfffe
	s_xor_b64 s[6:7], s[6:7], s[8:9]
	s_wait_alu 0xfffe
	s_sub_nc_u64 s[72:73], s[6:7], s[8:9]
	s_cbranch_execnz .LBB31_72
.LBB31_71:                              ;   in Loop: Header=BB31_32 Depth=1
	s_wait_alu 0xfffe
	v_cvt_f32_u32_e32 v4, s70
	s_sub_co_i32 s6, 0, s70
	s_delay_alu instid0(VALU_DEP_1) | instskip(NEXT) | instid1(TRANS32_DEP_1)
	v_rcp_iflag_f32_e32 v4, v4
	v_mul_f32_e32 v4, 0x4f7ffffe, v4
	s_delay_alu instid0(VALU_DEP_1) | instskip(NEXT) | instid1(VALU_DEP_1)
	v_cvt_u32_f32_e32 v4, v4
	v_readfirstlane_b32 s5, v4
	s_wait_alu 0xfffe
	s_mul_i32 s6, s6, s5
	s_wait_alu 0xfffe
	s_mul_hi_u32 s6, s5, s6
	s_wait_alu 0xfffe
	s_add_co_i32 s5, s5, s6
	s_wait_alu 0xfffe
	s_mul_hi_u32 s5, s36, s5
	s_wait_alu 0xfffe
	s_mul_i32 s5, s5, s70
	s_wait_alu 0xfffe
	s_sub_co_i32 s5, s36, s5
	s_wait_alu 0xfffe
	s_sub_co_i32 s6, s5, s70
	s_cmp_ge_u32 s5, s70
	s_wait_alu 0xfffe
	s_cselect_b32 s5, s6, s5
	s_wait_alu 0xfffe
	s_sub_co_i32 s6, s5, s70
	s_cmp_ge_u32 s5, s70
	s_wait_alu 0xfffe
	s_cselect_b32 s24, s6, s5
	s_wait_alu 0xfffe
	s_mov_b64 s[72:73], s[24:25]
.LBB31_72:                              ;   in Loop: Header=BB31_32 Depth=1
	v_mov_b32_e32 v7, 0
	v_dual_mov_b32 v11, 0 :: v_dual_mov_b32 v8, 0
	v_dual_mov_b32 v9, 0 :: v_dual_mov_b32 v12, 0
	;; [unrolled: 1-line block ×3, first 2 shown]
	v_mov_b32_e32 v14, 0
	v_and_b32_e32 v56, 0xffff, v3
	s_wait_alu 0xfffe
	s_sub_nc_u64 s[74:75], s[36:37], s[72:73]
	s_mov_b32 s69, exec_lo
	s_wait_alu 0xfffe
	v_cmpx_gt_i64_e64 s[74:75], v[21:22]
	s_cbranch_execz .LBB31_76
; %bb.73:                               ;   in Loop: Header=BB31_32 Depth=1
	v_mul_lo_u32 v3, v56, s67
	v_mul_hi_u32 v7, v56, s66
	v_mul_lo_u32 v57, v56, s66
	v_mov_b32_e32 v38, v28
	v_mov_b32_e32 v40, v26
	;; [unrolled: 1-line block ×3, first 2 shown]
	v_dual_mov_b32 v44, v22 :: v_dual_mov_b32 v39, v25
	v_dual_mov_b32 v3, v29 :: v_dual_add_nc_u32 v8, v3, v55
	v_dual_mov_b32 v4, v30 :: v_dual_mov_b32 v37, v27
	s_delay_alu instid0(VALU_DEP_2)
	v_dual_mov_b32 v41, v23 :: v_dual_add_nc_u32 v58, v8, v7
	v_mov_b32_e32 v43, v21
	s_mov_b64 s[76:77], 0
	s_mov_b32 s71, 0
	s_mov_b64 s[78:79], 0
	s_mov_b64 s[80:81], 0
	;; [unrolled: 1-line block ×3, first 2 shown]
.LBB31_74:                              ;   Parent Loop BB31_32 Depth=1
                                        ; =>  This Inner Loop Header: Depth=2
	v_add_co_u32 v7, vcc_lo, v3, s54
	s_wait_alu 0xfffd
	v_add_co_ci_u32_e64 v8, null, s55, v4, vcc_lo
	v_add_co_u32 v9, vcc_lo, v37, s54
	s_wait_alu 0xfffd
	v_add_co_ci_u32_e64 v10, null, s55, v38, vcc_lo
	v_add_co_u32 v11, vcc_lo, v39, s54
	s_wait_alu 0xfffd
	v_add_co_ci_u32_e64 v12, null, s55, v40, vcc_lo
	v_add_co_u32 v13, vcc_lo, v41, s54
	s_wait_alu 0xfffd
	v_add_co_ci_u32_e64 v14, null, s55, v42, vcc_lo
	global_load_b64 v[7:8], v[7:8], off
	global_load_b64 v[9:10], v[9:10], off
	;; [unrolled: 1-line block ×4, first 2 shown]
	v_mov_b32_e32 v60, v18
	v_mov_b32_e32 v62, v18
	;; [unrolled: 1-line block ×3, first 2 shown]
	v_add_co_u32 v43, vcc_lo, v43, s70
	s_wait_alu 0xfffd
	v_add_co_ci_u32_e64 v44, null, 0, v44, vcc_lo
	v_add_co_u32 v41, vcc_lo, v41, v57
	s_wait_alu 0xfffd
	v_add_co_ci_u32_e64 v42, null, v42, v58, vcc_lo
	;; [unrolled: 3-line block ×5, first 2 shown]
	v_cmp_le_i64_e32 vcc_lo, s[74:75], v[43:44]
	s_wait_loadcnt 0x3
	v_xor_b32_e32 v8, 0x80000000, v8
	s_wait_loadcnt 0x2
	v_xor_b32_e32 v10, 0x80000000, v10
	;; [unrolled: 2-line block ×3, first 2 shown]
	v_and_b32_e32 v65, v7, v33
	s_wait_loadcnt 0x0
	v_xor_b32_e32 v14, 0x80000000, v14
	v_and_b32_e32 v66, v8, v34
	v_lshrrev_b64 v[7:8], s91, v[7:8]
	v_and_b32_e32 v67, v9, v33
	v_lshrrev_b64 v[8:9], s91, v[9:10]
	;; [unrolled: 2-line block ×4, first 2 shown]
	v_and_b32_e32 v17, 3, v7
	v_and_b32_e32 v59, 3, v8
	;; [unrolled: 1-line block ×4, first 2 shown]
	v_cmp_eq_u64_e64 s5, v[65:66], v[31:32]
	v_cmp_eq_u64_e64 s9, 0, v[17:18]
	v_and_b32_e32 v71, v13, v33
	v_and_b32_e32 v72, v14, v34
	;; [unrolled: 1-line block ×3, first 2 shown]
	v_cmp_eq_u64_e64 s6, v[67:68], v[31:32]
	v_cmp_eq_u64_e64 s10, 0, v[59:60]
	;; [unrolled: 1-line block ×6, first 2 shown]
	s_and_b32 s9, s5, s9
	v_cmp_eq_u64_e64 s13, 1, v[17:18]
	s_wait_alu 0xfffe
	v_cndmask_b32_e64 v7, 0, 1, s9
	s_and_b32 s9, s6, s10
	v_cmp_eq_u64_e64 s14, 1, v[59:60]
	s_wait_alu 0xfffe
	v_cndmask_b32_e64 v8, 0, 1, s9
	;; [unrolled: 4-line block ×4, first 2 shown]
	s_and_b32 s9, s5, s13
	v_cmp_eq_u64_e64 s17, 2, v[17:18]
	v_cmp_eq_u64_e64 s21, 3, v[17:18]
	s_wait_alu 0xfffe
	v_cndmask_b32_e64 v11, 0, 1, s9
	s_and_b32 s9, s6, s14
	v_cmp_eq_u64_e64 s22, 3, v[59:60]
	s_wait_alu 0xfffe
	v_cndmask_b32_e64 v12, 0, 1, s9
	s_and_b32 s9, s7, s15
	v_cmp_eq_u64_e64 s18, 2, v[59:60]
	v_cmp_eq_u64_e64 s23, 3, v[61:62]
	s_wait_alu 0xfffe
	v_cndmask_b32_e64 v13, 0, 1, s9
	s_and_b32 s9, s8, s16
	v_cmp_eq_u64_e64 s19, 2, v[61:62]
	v_cmp_eq_u64_e64 s24, 3, v[63:64]
	s_wait_alu 0xfffe
	v_cndmask_b32_e64 v14, 0, 1, s9
	s_and_b32 s9, s5, s17
	s_and_b32 s5, s5, s21
	v_cmp_eq_u64_e64 s20, 2, v[63:64]
	s_wait_alu 0xfffe
	v_cndmask_b32_e64 v62, 0, 1, s5
	s_and_b32 s5, s6, s22
	v_cndmask_b32_e64 v17, 0, 1, s9
	s_and_b32 s9, s6, s18
	s_wait_alu 0xfffe
	v_cndmask_b32_e64 v63, 0, 1, s5
	s_and_b32 s5, s7, s23
	v_cndmask_b32_e64 v59, 0, 1, s9
	s_and_b32 s9, s7, s19
	s_wait_alu 0xfffe
	v_cndmask_b32_e64 v64, 0, 1, s5
	s_and_b32 s5, s8, s24
	v_cndmask_b32_e64 v60, 0, 1, s9
	s_and_b32 s9, s8, s20
	s_wait_alu 0xfffe
	v_cndmask_b32_e64 v65, 0, 1, s5
	v_cmp_ne_u32_e64 s5, 0, v7
	v_cmp_ne_u32_e64 s6, 0, v8
	v_cndmask_b32_e64 v61, 0, 1, s9
	v_cmp_ne_u32_e64 s7, 0, v9
	v_cmp_ne_u32_e64 s9, 0, v11
	;; [unrolled: 1-line block ×7, first 2 shown]
	s_bcnt1_i32_b32 s5, s5
	s_bcnt1_i32_b32 s6, s6
	v_cmp_ne_u32_e64 s12, 0, v14
	v_cmp_ne_u32_e64 s15, 0, v60
	;; [unrolled: 1-line block ×4, first 2 shown]
	s_bcnt1_i32_b32 s7, s7
	s_bcnt1_i32_b32 s9, s9
	s_bcnt1_i32_b32 s10, s10
	s_wait_alu 0xfffe
	s_add_co_i32 s5, s6, s5
	v_cmp_ne_u32_e64 s16, 0, v61
	v_cmp_ne_u32_e64 s19, 0, v64
	s_bcnt1_i32_b32 s8, s8
	s_bcnt1_i32_b32 s11, s11
	;; [unrolled: 1-line block ×4, first 2 shown]
	s_add_co_i32 s6, s10, s9
	s_wait_alu 0xfffe
	s_add_co_i32 s5, s5, s7
	v_cmp_ne_u32_e64 s20, 0, v65
	s_bcnt1_i32_b32 s12, s12
	s_bcnt1_i32_b32 s15, s15
	;; [unrolled: 1-line block ×4, first 2 shown]
	s_add_co_i32 s9, s14, s13
	s_add_co_i32 s6, s6, s11
	s_wait_alu 0xfffe
	s_add_co_i32 s24, s5, s8
	s_bcnt1_i32_b32 s16, s16
	s_bcnt1_i32_b32 s19, s19
	s_add_co_i32 s10, s18, s17
	s_add_co_i32 s7, s9, s15
	s_wait_alu 0xfffe
	s_add_nc_u64 s[82:83], s[82:83], s[24:25]
	s_add_co_i32 s24, s6, s12
	s_bcnt1_i32_b32 s20, s20
	s_add_co_i32 s9, s10, s19
	s_wait_alu 0xfffe
	s_add_nc_u64 s[80:81], s[80:81], s[24:25]
	s_add_co_i32 s24, s7, s16
	v_mov_b32_e32 v7, s82
	s_wait_alu 0xfffe
	s_add_nc_u64 s[78:79], s[78:79], s[24:25]
	s_add_co_i32 s24, s9, s20
	v_mov_b32_e32 v9, s80
	s_wait_alu 0xfffe
	s_add_nc_u64 s[76:77], s[76:77], s[24:25]
	v_mov_b32_e32 v11, s78
	s_wait_alu 0xfffe
	v_dual_mov_b32 v13, s76 :: v_dual_mov_b32 v8, s83
	v_mov_b32_e32 v10, s81
	v_mov_b32_e32 v12, s79
	v_mov_b32_e32 v14, s77
	s_or_b32 s71, vcc_lo, s71
	s_wait_alu 0xfffe
	s_and_not1_b32 exec_lo, exec_lo, s71
	s_cbranch_execnz .LBB31_74
; %bb.75:                               ;   in Loop: Header=BB31_32 Depth=1
	s_or_b32 exec_lo, exec_lo, s71
.LBB31_76:                              ;   in Loop: Header=BB31_32 Depth=1
	s_wait_alu 0xfffe
	s_or_b32 exec_lo, exec_lo, s69
	v_add_co_u32 v3, s5, s74, v0
	s_wait_alu 0xf1ff
	v_add_co_ci_u32_e64 v4, null, s75, 0, s5
	s_mov_b32 s9, exec_lo
	v_cmpx_gt_i64_e64 s[36:37], v[3:4]
	s_cbranch_execz .LBB31_82
; %bb.77:                               ;   in Loop: Header=BB31_32 Depth=1
	v_mul_lo_u32 v17, v4, s42
	v_mul_lo_u32 v39, v3, s43
	v_mad_co_u64_u32 v[37:38], null, v3, s42, 0
	v_mul_lo_u32 v43, v56, s64
	s_mov_b32 s10, 0
	s_delay_alu instid0(VALU_DEP_2) | instskip(SKIP_1) | instid1(VALU_DEP_2)
	v_add3_u32 v38, v38, v39, v17
	v_mul_lo_u32 v39, v56, s65
	v_lshlrev_b64_e32 v[37:38], 3, v[37:38]
	s_delay_alu instid0(VALU_DEP_2) | instskip(NEXT) | instid1(VALU_DEP_2)
	v_add_nc_u32_e32 v39, v39, v54
	v_add_co_u32 v37, vcc_lo, s56, v37
	s_wait_alu 0xfffd
	s_delay_alu instid0(VALU_DEP_3)
	v_add_co_ci_u32_e64 v38, null, s57, v38, vcc_lo
	v_add_co_u32 v17, vcc_lo, v51, v56
	global_load_b64 v[41:42], v[37:38], off
	s_wait_alu 0xfffd
	v_add_co_ci_u32_e64 v37, null, 0, v52, vcc_lo
	v_sub_co_u32 v17, vcc_lo, v17, s72
	s_wait_alu 0xfffd
	s_delay_alu instid0(VALU_DEP_2) | instskip(NEXT) | instid1(VALU_DEP_2)
	v_subrev_co_ci_u32_e64 v37, null, s73, v37, vcc_lo
	v_mul_lo_u32 v44, s65, v17
	s_delay_alu instid0(VALU_DEP_2) | instskip(SKIP_2) | instid1(VALU_DEP_2)
	v_mul_lo_u32 v40, s64, v37
	v_mad_co_u64_u32 v[37:38], null, s64, v17, s[62:63]
	v_mul_hi_u32 v17, v56, s64
	v_add3_u32 v38, v44, v38, v40
	s_delay_alu instid0(VALU_DEP_2)
	v_add_nc_u32_e32 v44, v39, v17
	s_branch .LBB31_79
.LBB31_78:                              ;   in Loop: Header=BB31_79 Depth=2
	s_wait_alu 0xfffe
	s_or_b32 exec_lo, exec_lo, s6
	s_wait_loadcnt 0x0
	v_xor_b32_e32 v42, 0x80000000, v42
	s_and_b32 s7, exec_lo, vcc_lo
	s_wait_alu 0xfffe
	s_or_b32 s10, s7, s10
	s_delay_alu instid0(VALU_DEP_1) | instskip(SKIP_2) | instid1(VALU_DEP_3)
	v_lshrrev_b64 v[57:58], s91, v[41:42]
	v_and_b32_e32 v41, v41, v33
	v_and_b32_e32 v42, v42, v34
	;; [unrolled: 1-line block ×3, first 2 shown]
	s_delay_alu instid0(VALU_DEP_2) | instskip(NEXT) | instid1(VALU_DEP_2)
	v_cmp_eq_u64_e64 s5, v[41:42], v[31:32]
	v_cmp_eq_u64_e64 s6, 0, v[17:18]
	v_cmp_eq_u64_e32 vcc_lo, 1, v[17:18]
	v_cmp_eq_u64_e64 s7, 2, v[17:18]
	v_cmp_eq_u64_e64 s8, 3, v[17:18]
	s_and_b32 s6, s5, s6
	s_wait_alu 0xfffe
	v_cndmask_b32_e64 v17, 0, 1, s6
	s_and_b32 s6, s5, vcc_lo
	s_wait_alu 0xfffe
	v_cndmask_b32_e64 v41, 0, 1, s6
	s_and_b32 s6, s5, s7
	s_and_b32 s5, s5, s8
	s_wait_alu 0xfffe
	v_cndmask_b32_e64 v42, 0, 1, s6
	v_cmp_ne_u32_e32 vcc_lo, 0, v17
	v_cndmask_b32_e64 v57, 0, 1, s5
	v_cmp_ne_u32_e64 s5, 0, v41
	s_delay_alu instid0(VALU_DEP_4)
	v_cmp_ne_u32_e64 s6, 0, v42
	s_bcnt1_i32_b32 s8, vcc_lo
	v_cmp_ne_u32_e64 s7, 0, v57
	s_bcnt1_i32_b32 s5, s5
	s_wait_alu 0xfffe
	v_add_co_u32 v7, vcc_lo, v7, s8
	s_bcnt1_i32_b32 s6, s6
	s_wait_alu 0xfffd
	v_add_co_ci_u32_e64 v8, null, 0, v8, vcc_lo
	v_add_co_u32 v9, vcc_lo, v9, s5
	s_wait_alu 0xfffd
	v_add_co_ci_u32_e64 v10, null, 0, v10, vcc_lo
	s_wait_alu 0xfffe
	v_add_co_u32 v11, vcc_lo, v11, s6
	s_bcnt1_i32_b32 s5, s7
	s_wait_alu 0xfffd
	v_add_co_ci_u32_e64 v12, null, 0, v12, vcc_lo
	s_wait_alu 0xfffe
	v_add_co_u32 v13, vcc_lo, v13, s5
	s_wait_alu 0xfffd
	v_add_co_ci_u32_e64 v14, null, 0, v14, vcc_lo
	v_add_co_u32 v37, vcc_lo, v37, v43
	v_mov_b32_e32 v42, v40
	s_wait_alu 0xfffd
	v_add_co_ci_u32_e64 v38, null, v38, v44, vcc_lo
	v_mov_b32_e32 v41, v39
	s_and_not1_b32 exec_lo, exec_lo, s10
	s_cbranch_execz .LBB31_81
.LBB31_79:                              ;   Parent Loop BB31_32 Depth=1
                                        ; =>  This Inner Loop Header: Depth=2
	v_add_co_u32 v3, vcc_lo, v3, v56
	v_mov_b32_e32 v39, 0
	s_wait_alu 0xfffd
	v_add_co_ci_u32_e64 v4, null, 0, v4, vcc_lo
	v_mov_b32_e32 v40, 0
	s_mov_b32 s6, exec_lo
	s_delay_alu instid0(VALU_DEP_2)
	v_cmp_le_i64_e32 vcc_lo, s[36:37], v[3:4]
	v_cmpx_gt_i64_e64 s[36:37], v[3:4]
	s_cbranch_execz .LBB31_78
; %bb.80:                               ;   in Loop: Header=BB31_79 Depth=2
	global_load_b64 v[39:40], v[37:38], off
	s_branch .LBB31_78
.LBB31_81:                              ;   in Loop: Header=BB31_32 Depth=1
	s_or_b32 exec_lo, exec_lo, s10
.LBB31_82:                              ;   in Loop: Header=BB31_32 Depth=1
	s_wait_alu 0xfffe
	s_or_b32 exec_lo, exec_lo, s9
	s_branch .LBB31_61
.LBB31_83:                              ;   in Loop: Header=BB31_32 Depth=1
	global_load_u16 v3, v18, s[38:39]
	v_mov_b32_e32 v7, 0
	v_mov_b32_e32 v9, 0
	;; [unrolled: 1-line block ×3, first 2 shown]
	v_dual_mov_b32 v13, 0 :: v_dual_mov_b32 v10, 0
	v_mov_b32_e32 v12, 0
	v_mov_b32_e32 v14, 0
	s_mov_b32 s80, exec_lo
	s_wait_loadcnt 0x0
	v_dual_mov_b32 v8, 0 :: v_dual_and_b32 v39, 0xffff, v3
	v_readfirstlane_b32 s5, v3
	s_and_b32 s69, 0xffff, s5
	s_wait_alu 0xfffe
	s_lshl_b32 s79, s69, 2
	s_wait_alu 0xfffe
	s_cvt_f32_u32 s5, s79
	s_sub_co_i32 s6, 0, s79
	s_wait_alu 0xfffe
	s_delay_alu instid0(SALU_CYCLE_1) | instskip(NEXT) | instid1(TRANS32_DEP_1)
	v_rcp_iflag_f32_e32 v4, s5
	v_readfirstlane_b32 s5, v4
	s_mul_f32 s5, s5, 0x4f7ffffe
	s_wait_alu 0xfffe
	s_delay_alu instid0(SALU_CYCLE_2) | instskip(SKIP_1) | instid1(SALU_CYCLE_2)
	s_cvt_u32_f32 s5, s5
	s_wait_alu 0xfffe
	s_mul_i32 s6, s6, s5
	s_wait_alu 0xfffe
	s_mul_hi_u32 s6, s5, s6
	s_wait_alu 0xfffe
	s_add_co_i32 s5, s5, s6
	s_wait_alu 0xfffe
	s_mul_hi_u32 s5, s68, s5
	s_wait_alu 0xfffe
	s_mul_i32 s6, s5, s79
	s_add_co_i32 s7, s5, 1
	s_wait_alu 0xfffe
	s_sub_co_i32 s6, s68, s6
	s_wait_alu 0xfffe
	s_sub_co_i32 s8, s6, s79
	s_cmp_ge_u32 s6, s79
	s_cselect_b32 s5, s7, s5
	s_wait_alu 0xfffe
	s_cselect_b32 s6, s8, s6
	s_add_co_i32 s7, s5, 1
	s_wait_alu 0xfffe
	s_cmp_ge_u32 s6, s79
	s_cselect_b32 s78, s7, s5
	s_wait_alu 0xfffe
	v_mul_hi_u32 v4, s78, v39
	v_mul_lo_u32 v3, s78, v39
	s_delay_alu instid0(VALU_DEP_1) | instskip(NEXT) | instid1(VALU_DEP_1)
	v_lshlrev_b64_e32 v[3:4], 2, v[3:4]
	v_cmpx_gt_u64_e64 v[3:4], v[21:22]
	s_cbranch_execz .LBB31_87
; %bb.84:                               ;   in Loop: Header=BB31_32 Depth=1
	v_mov_b32_e32 v38, v22
	v_dual_mov_b32 v40, v49 :: v_dual_mov_b32 v37, v21
	s_lshl_b32 s81, s69, 5
	s_mov_b64 s[70:71], 0
	s_mov_b32 s82, 0
	s_mov_b64 s[72:73], 0
	s_mov_b64 s[74:75], 0
	;; [unrolled: 1-line block ×3, first 2 shown]
.LBB31_85:                              ;   Parent Loop BB31_32 Depth=1
                                        ; =>  This Inner Loop Header: Depth=2
	ds_load_b128 v[7:10], v40
	ds_load_b128 v[11:14], v40 offset:16
	v_dual_mov_b32 v42, v18 :: v_dual_mov_b32 v57, v18
	v_add_co_u32 v37, vcc_lo, v37, s79
	s_wait_alu 0xfffd
	v_add_co_ci_u32_e64 v38, null, 0, v38, vcc_lo
	s_delay_alu instid0(VALU_DEP_1)
	v_cmp_ge_u64_e32 vcc_lo, v[37:38], v[3:4]
	s_wait_dscnt 0x1
	v_xor_b32_e32 v8, 0x80000000, v8
	v_xor_b32_e32 v10, 0x80000000, v10
	s_wait_dscnt 0x0
	v_xor_b32_e32 v12, 0x80000000, v12
	v_mov_b32_e32 v44, v18
	v_and_b32_e32 v58, v7, v33
	v_and_b32_e32 v59, v8, v34
	v_lshrrev_b64 v[7:8], s91, v[7:8]
	v_xor_b32_e32 v14, 0x80000000, v14
	v_and_b32_e32 v60, v9, v33
	v_lshrrev_b64 v[8:9], s91, v[9:10]
	v_and_b32_e32 v61, v10, v34
	v_lshrrev_b64 v[9:10], s91, v[11:12]
	;; [unrolled: 2-line block ×3, first 2 shown]
	v_and_b32_e32 v17, 3, v7
	v_and_b32_e32 v41, 3, v8
	;; [unrolled: 1-line block ×4, first 2 shown]
	v_cmp_eq_u64_e64 s5, v[58:59], v[31:32]
	v_cmp_eq_u64_e64 s9, 0, v[17:18]
	v_and_b32_e32 v64, v13, v33
	v_and_b32_e32 v65, v14, v34
	;; [unrolled: 1-line block ×3, first 2 shown]
	v_cmp_eq_u64_e64 s6, v[60:61], v[31:32]
	v_cmp_eq_u64_e64 s10, 0, v[41:42]
	;; [unrolled: 1-line block ×6, first 2 shown]
	s_and_b32 s9, s5, s9
	v_cmp_eq_u64_e64 s13, 1, v[17:18]
	s_wait_alu 0xfffe
	v_cndmask_b32_e64 v7, 0, 1, s9
	s_and_b32 s9, s6, s10
	v_cmp_eq_u64_e64 s14, 1, v[41:42]
	s_wait_alu 0xfffe
	v_cndmask_b32_e64 v8, 0, 1, s9
	s_and_b32 s9, s7, s11
	v_cmp_eq_u64_e64 s15, 1, v[43:44]
	s_wait_alu 0xfffe
	v_cndmask_b32_e64 v9, 0, 1, s9
	s_and_b32 s9, s8, s12
	v_cmp_eq_u64_e64 s16, 1, v[56:57]
	s_wait_alu 0xfffe
	v_cndmask_b32_e64 v10, 0, 1, s9
	s_and_b32 s9, s5, s13
	v_cmp_eq_u64_e64 s17, 2, v[17:18]
	v_cmp_eq_u64_e64 s21, 3, v[17:18]
	s_wait_alu 0xfffe
	v_cndmask_b32_e64 v11, 0, 1, s9
	s_and_b32 s9, s6, s14
	v_cmp_eq_u64_e64 s22, 3, v[41:42]
	s_wait_alu 0xfffe
	v_cndmask_b32_e64 v12, 0, 1, s9
	s_and_b32 s9, s7, s15
	v_cmp_eq_u64_e64 s18, 2, v[41:42]
	v_cmp_eq_u64_e64 s23, 3, v[43:44]
	s_wait_alu 0xfffe
	v_cndmask_b32_e64 v13, 0, 1, s9
	s_and_b32 s9, s8, s16
	v_cmp_eq_u64_e64 s19, 2, v[43:44]
	v_cmp_eq_u64_e64 s24, 3, v[56:57]
	s_wait_alu 0xfffe
	v_cndmask_b32_e64 v14, 0, 1, s9
	s_and_b32 s9, s5, s17
	s_and_b32 s5, s5, s21
	v_cmp_eq_u64_e64 s20, 2, v[56:57]
	s_wait_alu 0xfffe
	v_cndmask_b32_e64 v44, 0, 1, s5
	s_and_b32 s5, s6, s22
	v_cndmask_b32_e64 v17, 0, 1, s9
	s_and_b32 s9, s6, s18
	s_wait_alu 0xfffe
	v_cndmask_b32_e64 v56, 0, 1, s5
	s_and_b32 s5, s7, s23
	v_cndmask_b32_e64 v41, 0, 1, s9
	s_and_b32 s9, s7, s19
	;; [unrolled: 5-line block ×3, first 2 shown]
	s_wait_alu 0xfffe
	v_cndmask_b32_e64 v58, 0, 1, s5
	v_cmp_ne_u32_e64 s5, 0, v7
	v_cmp_ne_u32_e64 s6, 0, v8
	v_cndmask_b32_e64 v43, 0, 1, s9
	v_cmp_ne_u32_e64 s7, 0, v9
	v_cmp_ne_u32_e64 s9, 0, v11
	;; [unrolled: 1-line block ×7, first 2 shown]
	s_bcnt1_i32_b32 s5, s5
	s_bcnt1_i32_b32 s6, s6
	v_cmp_ne_u32_e64 s12, 0, v14
	v_cmp_ne_u32_e64 s15, 0, v42
	;; [unrolled: 1-line block ×4, first 2 shown]
	s_bcnt1_i32_b32 s7, s7
	s_bcnt1_i32_b32 s9, s9
	;; [unrolled: 1-line block ×3, first 2 shown]
	s_wait_alu 0xfffe
	s_add_co_i32 s5, s6, s5
	v_cmp_ne_u32_e64 s16, 0, v43
	v_cmp_ne_u32_e64 s19, 0, v57
	s_bcnt1_i32_b32 s8, s8
	s_bcnt1_i32_b32 s11, s11
	;; [unrolled: 1-line block ×4, first 2 shown]
	s_add_co_i32 s6, s10, s9
	s_wait_alu 0xfffe
	s_add_co_i32 s5, s5, s7
	v_cmp_ne_u32_e64 s20, 0, v58
	s_bcnt1_i32_b32 s12, s12
	s_bcnt1_i32_b32 s15, s15
	;; [unrolled: 1-line block ×4, first 2 shown]
	s_add_co_i32 s9, s14, s13
	s_add_co_i32 s6, s6, s11
	s_wait_alu 0xfffe
	s_add_co_i32 s24, s5, s8
	s_bcnt1_i32_b32 s16, s16
	s_bcnt1_i32_b32 s19, s19
	s_add_co_i32 s10, s18, s17
	s_add_co_i32 s7, s9, s15
	s_wait_alu 0xfffe
	s_add_nc_u64 s[76:77], s[76:77], s[24:25]
	s_add_co_i32 s24, s6, s12
	s_bcnt1_i32_b32 s20, s20
	s_add_co_i32 s9, s10, s19
	s_wait_alu 0xfffe
	s_add_nc_u64 s[74:75], s[74:75], s[24:25]
	s_add_co_i32 s24, s7, s16
	v_dual_mov_b32 v7, s76 :: v_dual_add_nc_u32 v40, s81, v40
	s_wait_alu 0xfffe
	s_add_nc_u64 s[72:73], s[72:73], s[24:25]
	s_add_co_i32 s24, s9, s20
	v_mov_b32_e32 v9, s74
	s_wait_alu 0xfffe
	s_add_nc_u64 s[70:71], s[70:71], s[24:25]
	v_mov_b32_e32 v11, s72
	s_wait_alu 0xfffe
	v_dual_mov_b32 v13, s70 :: v_dual_mov_b32 v8, s77
	v_mov_b32_e32 v10, s75
	v_mov_b32_e32 v12, s73
	;; [unrolled: 1-line block ×3, first 2 shown]
	s_or_b32 s82, vcc_lo, s82
	s_wait_alu 0xfffe
	s_and_not1_b32 exec_lo, exec_lo, s82
	s_cbranch_execnz .LBB31_85
; %bb.86:                               ;   in Loop: Header=BB31_32 Depth=1
	s_or_b32 exec_lo, exec_lo, s82
.LBB31_87:                              ;   in Loop: Header=BB31_32 Depth=1
	s_delay_alu instid0(SALU_CYCLE_1)
	s_or_b32 exec_lo, exec_lo, s80
	v_add_co_u32 v3, vcc_lo, v3, v0
	s_wait_alu 0xfffd
	v_add_co_ci_u32_e64 v4, null, 0, v4, vcc_lo
	s_and_b32 s24, s68, 0x7fffffff
	s_mov_b32 s10, exec_lo
	s_wait_alu 0xfffe
	v_cmpx_gt_u64_e64 s[24:25], v[3:4]
	s_cbranch_execz .LBB31_91
; %bb.88:                               ;   in Loop: Header=BB31_32 Depth=1
	s_mul_i32 s78, s78, s69
	s_lshl_b32 s12, s69, 3
	s_wait_alu 0xfffe
	v_lshl_add_u32 v37, s78, 5, v46
	s_mov_b32 s11, 0
.LBB31_89:                              ;   Parent Loop BB31_32 Depth=1
                                        ; =>  This Inner Loop Header: Depth=2
	ds_load_b64 v[40:41], v37
	v_add_co_u32 v3, vcc_lo, v3, v39
	s_wait_alu 0xfffd
	v_add_co_ci_u32_e64 v4, null, 0, v4, vcc_lo
	v_add_nc_u32_e32 v37, s12, v37
	s_delay_alu instid0(VALU_DEP_2) | instskip(SKIP_3) | instid1(VALU_DEP_2)
	v_cmp_le_u64_e32 vcc_lo, s[24:25], v[3:4]
	s_wait_dscnt 0x0
	v_xor_b32_e32 v41, 0x80000000, v41
	v_and_b32_e32 v42, v40, v33
	v_and_b32_e32 v43, v41, v34
	v_lshrrev_b64 v[40:41], s91, v[40:41]
	s_delay_alu instid0(VALU_DEP_2) | instskip(NEXT) | instid1(VALU_DEP_2)
	v_cmp_eq_u64_e64 s5, v[42:43], v[31:32]
	v_and_b32_e32 v17, 3, v40
	s_delay_alu instid0(VALU_DEP_1)
	v_cmp_eq_u64_e64 s6, 0, v[17:18]
	v_cmp_eq_u64_e64 s7, 1, v[17:18]
	;; [unrolled: 1-line block ×4, first 2 shown]
	s_and_b32 s6, s5, s6
	s_wait_alu 0xfffe
	v_cndmask_b32_e64 v17, 0, 1, s6
	s_and_b32 s6, s5, s7
	s_wait_alu 0xfffe
	v_cndmask_b32_e64 v38, 0, 1, s6
	s_and_b32 s6, s5, s8
	s_and_b32 s5, s5, s9
	s_wait_alu 0xfffe
	v_cndmask_b32_e64 v40, 0, 1, s6
	v_cndmask_b32_e64 v41, 0, 1, s5
	v_cmp_ne_u32_e64 s5, 0, v17
	v_cmp_ne_u32_e64 s6, 0, v38
	s_delay_alu instid0(VALU_DEP_4) | instskip(NEXT) | instid1(VALU_DEP_4)
	v_cmp_ne_u32_e64 s7, 0, v40
	v_cmp_ne_u32_e64 s8, 0, v41
	s_bcnt1_i32_b32 s5, s5
	s_bcnt1_i32_b32 s6, s6
	s_wait_alu 0xfffe
	v_add_co_u32 v7, s5, v7, s5
	s_bcnt1_i32_b32 s7, s7
	v_add_co_ci_u32_e64 v8, null, 0, v8, s5
	v_add_co_u32 v9, s5, v9, s6
	s_bcnt1_i32_b32 s8, s8
	v_add_co_ci_u32_e64 v10, null, 0, v10, s5
	s_wait_alu 0xfffe
	v_add_co_u32 v11, s5, v11, s7
	s_wait_alu 0xf1ff
	v_add_co_ci_u32_e64 v12, null, 0, v12, s5
	v_add_co_u32 v13, s5, v13, s8
	s_wait_alu 0xf1ff
	v_add_co_ci_u32_e64 v14, null, 0, v14, s5
	s_or_b32 s11, vcc_lo, s11
	s_wait_alu 0xfffe
	s_and_not1_b32 exec_lo, exec_lo, s11
	s_cbranch_execnz .LBB31_89
; %bb.90:                               ;   in Loop: Header=BB31_32 Depth=1
	s_or_b32 exec_lo, exec_lo, s11
.LBB31_91:                              ;   in Loop: Header=BB31_32 Depth=1
	s_wait_alu 0xfffe
	s_or_b32 exec_lo, exec_lo, s10
	s_lshl_b32 s5, s93, 7
	s_and_saveexec_b32 s6, s1
	s_cbranch_execnz .LBB31_62
	s_branch .LBB31_63
.LBB31_92:                              ;   in Loop: Header=BB31_32 Depth=1
                                        ; implicit-def: $sgpr72_sgpr73
	s_branch .LBB31_71
.LBB31_93:                              ;   in Loop: Header=BB31_32 Depth=1
	s_wait_alu 0xfffe
	s_or_b32 exec_lo, exec_lo, s8
	s_wait_loadcnt_dscnt 0x0
	s_barrier_signal -1
	s_barrier_wait -1
	global_inv scope:SCOPE_SE
	s_and_saveexec_b32 s5, s2
	s_cbranch_execz .LBB31_95
; %bb.94:                               ;   in Loop: Header=BB31_32 Depth=1
	ds_load_b32 v3, v18 offset:5136
	s_wait_dscnt 0x0
	v_ashrrev_i32_e32 v4, 31, v3
	ds_store_b64 v18, v[3:4] offset:5120
.LBB31_95:                              ;   in Loop: Header=BB31_32 Depth=1
	s_wait_alu 0xfffe
	s_or_b32 exec_lo, exec_lo, s5
	s_wait_loadcnt_dscnt 0x0
	s_barrier_signal -1
	s_mov_b32 s5, -1
	s_barrier_wait -1
	s_and_b32 vcc_lo, exec_lo, s7
	s_wait_alu 0xfffe
	s_cbranch_vccnz .LBB31_48
	s_branch .LBB31_57
.LBB31_96:                              ;   in Loop: Header=BB31_32 Depth=1
	s_mov_b32 s7, 0
	s_and_not1_b32 vcc_lo, exec_lo, s89
	s_wait_alu 0xfffe
	s_cbranch_vccnz .LBB31_99
.LBB31_97:                              ;   in Loop: Header=BB31_32 Depth=1
	s_lshl_b32 s8, s93, 10
	s_lshl_b32 s7, s7, 5
	s_wait_alu 0xfffe
	v_add3_u32 v7, s8, s7, v53
	s_mov_b32 s7, s86
.LBB31_98:                              ;   Parent Loop BB31_32 Depth=1
                                        ; =>  This Inner Loop Header: Depth=2
	ds_load_b64 v[8:9], v7
	v_add_nc_u32_e32 v7, 32, v7
	s_wait_alu 0xfffe
	s_add_co_i32 s7, s7, -1
	s_wait_alu 0xfffe
	s_cmp_lg_u32 s7, 0
	s_wait_dscnt 0x0
	v_add_co_u32 v3, vcc_lo, v8, v3
	s_wait_alu 0xfffd
	v_add_co_ci_u32_e64 v4, null, v9, v4, vcc_lo
	s_cbranch_scc1 .LBB31_98
.LBB31_99:                              ;   in Loop: Header=BB31_32 Depth=1
	v_add_lshl_u32 v7, s5, v45, 3
	ds_store_b64 v7, v[3:4] offset:3072
.LBB31_100:                             ;   in Loop: Header=BB31_32 Depth=1
	s_wait_alu 0xfffe
	s_or_b32 exec_lo, exec_lo, s6
	s_lshl_b32 s5, s5, 3
	s_wait_loadcnt_dscnt 0x0
	s_wait_alu 0xfffe
	v_mov_b32_e32 v3, s5
	s_barrier_signal -1
	s_barrier_wait -1
	global_inv scope:SCOPE_SE
	v_cmp_eq_u64_e32 vcc_lo, 1, v[35:36]
	ds_load_b128 v[7:10], v3 offset:3072
	ds_load_b128 v[11:14], v3 offset:3088
	s_lshl_b64 s[8:9], 3, s91
	s_mov_b32 s21, -1
	s_wait_alu 0xfffe
	s_not_b64 s[12:13], s[8:9]
                                        ; implicit-def: $sgpr19
                                        ; implicit-def: $sgpr18
	s_wait_dscnt 0x1
	v_cmp_eq_u64_e64 s5, 1, v[7:8]
	s_wait_dscnt 0x0
	v_readfirstlane_b32 s10, v11
	v_readfirstlane_b32 s11, v12
	;; [unrolled: 1-line block ×4, first 2 shown]
	s_and_b32 s22, s5, vcc_lo
	s_mov_b32 s5, -1
	s_wait_alu 0xfffe
	s_and_saveexec_b32 s20, s22
	s_cbranch_execz .LBB31_132
; %bb.101:                              ;   in Loop: Header=BB31_32 Depth=1
	ds_load_b64 v[3:4], v18 offset:5120
	s_wait_loadcnt_dscnt 0x0
	s_barrier_signal -1
	s_barrier_wait -1
	global_inv scope:SCOPE_SE
	v_readfirstlane_b32 s14, v3
	v_readfirstlane_b32 s15, v4
	s_and_saveexec_b32 s5, s3
; %bb.102:                              ;   in Loop: Header=BB31_32 Depth=1
	v_mov_b32_e32 v17, v18
	ds_store_b64 v47, v[17:18]
; %bb.103:                              ;   in Loop: Header=BB31_32 Depth=1
	s_wait_alu 0xfffe
	s_or_b32 exec_lo, exec_lo, s5
	v_cmp_lt_i64_e64 s5, s[14:15], 1
	v_and_b32_e32 v32, s13, v32
	v_and_b32_e32 v31, s12, v31
	v_or_b32_e32 v34, s9, v34
	v_or_b32_e32 v33, s8, v33
	s_mov_b32 s18, -1
	s_mov_b32 s19, 0
	s_and_b32 vcc_lo, exec_lo, s5
	s_mov_b32 s5, 0
	s_mov_b32 s23, -1
	s_wait_loadcnt_dscnt 0x0
	s_barrier_signal -1
	s_barrier_wait -1
	global_inv scope:SCOPE_SE
                                        ; implicit-def: $vgpr5_vgpr6
	s_wait_alu 0xfffe
	s_cbranch_vccz .LBB31_117
; %bb.104:                              ;   in Loop: Header=BB31_32 Depth=1
	s_mov_b32 s16, s25
	s_mov_b32 s17, s61
	s_wait_alu 0xfffe
	s_cmp_lg_u64 s[16:17], 0
	s_cbranch_scc0 .LBB31_158
; %bb.105:                              ;   in Loop: Header=BB31_32 Depth=1
	s_add_nc_u64 s[16:17], s[50:51], 0
	s_wait_alu 0xfffe
	s_xor_b64 s[16:17], s[16:17], 0
	s_wait_alu 0xfffe
	s_cvt_f32_u32 s5, s16
	s_cvt_f32_u32 s23, s17
	s_sub_nc_u64 s[70:71], 0, s[16:17]
	s_wait_alu 0xfffe
	s_delay_alu instid0(SALU_CYCLE_1) | instskip(SKIP_1) | instid1(SALU_CYCLE_2)
	s_fmamk_f32 s5, s23, 0x4f800000, s5
	s_wait_alu 0xfffe
	v_s_rcp_f32 s5, s5
	s_delay_alu instid0(TRANS32_DEP_1) | instskip(SKIP_1) | instid1(SALU_CYCLE_2)
	s_mul_f32 s5, s5, 0x5f7ffffc
	s_wait_alu 0xfffe
	s_mul_f32 s23, s5, 0x2f800000
	s_wait_alu 0xfffe
	s_delay_alu instid0(SALU_CYCLE_2) | instskip(SKIP_1) | instid1(SALU_CYCLE_2)
	s_trunc_f32 s23, s23
	s_wait_alu 0xfffe
	s_fmamk_f32 s5, s23, 0xcf800000, s5
	s_cvt_u32_f32 s69, s23
	s_wait_alu 0xfffe
	s_delay_alu instid0(SALU_CYCLE_1) | instskip(SKIP_1) | instid1(SALU_CYCLE_2)
	s_cvt_u32_f32 s68, s5
	s_wait_alu 0xfffe
	s_mul_u64 s[72:73], s[70:71], s[68:69]
	s_wait_alu 0xfffe
	s_mul_hi_u32 s75, s68, s73
	s_mul_i32 s74, s68, s73
	s_mul_hi_u32 s24, s68, s72
	s_mul_i32 s23, s69, s72
	s_wait_alu 0xfffe
	s_add_nc_u64 s[74:75], s[24:25], s[74:75]
	s_mul_hi_u32 s5, s69, s72
	s_mul_hi_u32 s76, s69, s73
	s_wait_alu 0xfffe
	s_add_co_u32 s23, s74, s23
	s_add_co_ci_u32 s24, s75, s5
	s_mul_i32 s72, s69, s73
	s_add_co_ci_u32 s73, s76, 0
	s_wait_alu 0xfffe
	s_add_nc_u64 s[72:73], s[24:25], s[72:73]
	s_wait_alu 0xfffe
	s_add_co_u32 s68, s68, s72
	s_cselect_b32 s5, -1, 0
	s_wait_alu 0xfffe
	s_cmp_lg_u32 s5, 0
	s_add_co_ci_u32 s69, s69, s73
	s_wait_alu 0xfffe
	s_mul_u64 s[70:71], s[70:71], s[68:69]
	s_wait_alu 0xfffe
	s_mul_hi_u32 s73, s68, s71
	s_mul_i32 s72, s68, s71
	s_mul_hi_u32 s24, s68, s70
	s_mul_i32 s23, s69, s70
	s_wait_alu 0xfffe
	s_add_nc_u64 s[72:73], s[24:25], s[72:73]
	s_mul_hi_u32 s5, s69, s70
	s_mul_hi_u32 s74, s69, s71
	s_wait_alu 0xfffe
	s_add_co_u32 s23, s72, s23
	s_add_co_ci_u32 s24, s73, s5
	s_mul_i32 s70, s69, s71
	s_add_co_ci_u32 s71, s74, 0
	s_wait_alu 0xfffe
	s_add_nc_u64 s[70:71], s[24:25], s[70:71]
	s_wait_alu 0xfffe
	s_add_co_u32 s5, s68, s70
	s_cselect_b32 s23, -1, 0
	s_wait_alu 0xfffe
	s_cmp_lg_u32 s23, 0
	s_add_co_ci_u32 s23, s69, s71
	s_ashr_i32 s68, s61, 31
	s_wait_alu 0xfffe
	s_mov_b32 s69, s68
	s_wait_alu 0xfffe
	s_add_nc_u64 s[70:71], s[60:61], s[68:69]
	s_wait_alu 0xfffe
	s_xor_b64 s[70:71], s[70:71], s[68:69]
	s_wait_alu 0xfffe
	s_mul_hi_u32 s73, s70, s23
	s_mul_i32 s72, s70, s23
	s_mul_hi_u32 s24, s70, s5
	s_mul_hi_u32 s76, s71, s5
	s_mul_i32 s5, s71, s5
	s_wait_alu 0xfffe
	s_add_nc_u64 s[72:73], s[24:25], s[72:73]
	s_mul_hi_u32 s75, s71, s23
	s_wait_alu 0xfffe
	s_add_co_u32 s5, s72, s5
	s_add_co_ci_u32 s24, s73, s76
	s_mul_i32 s74, s71, s23
	s_add_co_ci_u32 s75, s75, 0
	s_wait_alu 0xfffe
	s_add_nc_u64 s[72:73], s[24:25], s[74:75]
	s_wait_alu 0xfffe
	s_mul_u64 s[72:73], s[16:17], s[72:73]
	s_wait_alu 0xfffe
	s_sub_co_u32 s5, s70, s72
	s_cselect_b32 s23, -1, 0
	s_sub_co_i32 s24, s71, s73
	s_wait_alu 0xfffe
	s_cmp_lg_u32 s23, 0
	s_sub_co_ci_u32 s24, s24, s17
	s_sub_co_u32 s70, s5, s16
	s_cselect_b32 s72, -1, 0
	s_wait_alu 0xfffe
	s_cmp_lg_u32 s72, 0
	s_sub_co_ci_u32 s74, s24, 0
	s_wait_alu 0xfffe
	s_cmp_ge_u32 s74, s17
	s_cselect_b32 s75, -1, 0
	s_cmp_ge_u32 s70, s16
	s_cselect_b32 s76, -1, 0
	s_cmp_eq_u32 s74, s17
	s_wait_alu 0xfffe
	s_cselect_b32 s75, s76, s75
	s_cmp_lg_u32 s72, 0
	s_sub_co_ci_u32 s24, s24, s17
	s_sub_co_u32 s72, s70, s16
	s_cselect_b32 s76, -1, 0
	s_wait_alu 0xfffe
	s_cmp_lg_u32 s76, 0
	s_sub_co_ci_u32 s24, s24, 0
	s_cmp_lg_u32 s75, 0
	s_cselect_b32 s70, s72, s70
	s_wait_alu 0xfffe
	s_cselect_b32 s24, s24, s74
	s_cmp_lg_u32 s23, 0
	s_sub_co_ci_u32 s23, s71, s73
	s_wait_alu 0xfffe
	s_cmp_ge_u32 s23, s17
	s_cselect_b32 s71, -1, 0
	s_cmp_ge_u32 s5, s16
	s_cselect_b32 s16, -1, 0
	s_cmp_eq_u32 s23, s17
	s_wait_alu 0xfffe
	s_cselect_b32 s16, s16, s71
	s_wait_alu 0xfffe
	s_cmp_lg_u32 s16, 0
	s_cselect_b32 s17, s24, s23
	s_cselect_b32 s16, s70, s5
	s_wait_alu 0xfffe
	s_xor_b64 s[16:17], s[16:17], s[68:69]
	s_wait_alu 0xfffe
	s_sub_nc_u64 s[16:17], s[16:17], s[68:69]
	s_cbranch_execnz .LBB31_107
.LBB31_106:                             ;   in Loop: Header=BB31_32 Depth=1
	v_cvt_f32_u32_e32 v3, s50
	s_sub_co_i32 s16, 0, s50
	s_delay_alu instid0(VALU_DEP_1) | instskip(NEXT) | instid1(TRANS32_DEP_1)
	v_rcp_iflag_f32_e32 v3, v3
	v_mul_f32_e32 v3, 0x4f7ffffe, v3
	s_delay_alu instid0(VALU_DEP_1) | instskip(NEXT) | instid1(VALU_DEP_1)
	v_cvt_u32_f32_e32 v3, v3
	v_readfirstlane_b32 s5, v3
	s_wait_alu 0xfffe
	s_mul_i32 s16, s16, s5
	s_wait_alu 0xfffe
	s_mul_hi_u32 s16, s5, s16
	s_wait_alu 0xfffe
	s_add_co_i32 s5, s5, s16
	s_wait_alu 0xfffe
	s_mul_hi_u32 s5, s60, s5
	s_wait_alu 0xfffe
	s_mul_i32 s5, s5, s50
	s_wait_alu 0xfffe
	s_sub_co_i32 s5, s60, s5
	s_wait_alu 0xfffe
	s_sub_co_i32 s16, s5, s50
	s_cmp_ge_u32 s5, s50
	s_wait_alu 0xfffe
	s_cselect_b32 s5, s16, s5
	s_wait_alu 0xfffe
	s_sub_co_i32 s16, s5, s50
	s_cmp_ge_u32 s5, s50
	s_wait_alu 0xfffe
	s_cselect_b32 s24, s16, s5
	s_wait_alu 0xfffe
	s_mov_b64 s[16:17], s[24:25]
.LBB31_107:                             ;   in Loop: Header=BB31_32 Depth=1
	s_wait_alu 0xfffe
	s_sub_nc_u64 s[16:17], s[60:61], s[16:17]
	s_mov_b32 s23, 0
	s_mov_b32 s5, 0
	s_mov_b32 s24, exec_lo
                                        ; implicit-def: $vgpr5_vgpr6
	s_wait_alu 0xfffe
	v_cmpx_gt_i64_e64 s[16:17], v[0:1]
	s_cbranch_execz .LBB31_116
; %bb.108:                              ;   in Loop: Header=BB31_32 Depth=1
	v_dual_mov_b32 v11, v15 :: v_dual_mov_b32 v12, v16
	v_dual_mov_b32 v14, v1 :: v_dual_mov_b32 v13, v0
	s_mov_b32 s68, 0
                                        ; implicit-def: $sgpr69
	s_branch .LBB31_111
.LBB31_109:                             ;   in Loop: Header=BB31_111 Depth=2
	s_wait_alu 0xfffe
	s_or_b32 exec_lo, exec_lo, s5
	s_wait_loadcnt_dscnt 0x0
	s_barrier_signal -1
	s_barrier_wait -1
	global_inv scope:SCOPE_SE
	ds_load_b128 v[3:6], v18 offset:3072
	s_mov_b32 s5, -1
	s_mov_b32 s70, -1
	s_wait_loadcnt_dscnt 0x0
	s_barrier_signal -1
	s_barrier_wait -1
	global_inv scope:SCOPE_SE
	v_cmp_ne_u64_e32 vcc_lo, 0, v[3:4]
	s_cbranch_vccz .LBB31_114
.LBB31_110:                             ;   in Loop: Header=BB31_111 Depth=2
	s_wait_alu 0xfffe
	s_and_b32 s5, exec_lo, s5
	s_wait_alu 0xfffe
	s_or_b32 s68, s5, s68
	s_and_not1_b32 s5, s69, exec_lo
	s_and_b32 s69, s70, exec_lo
	s_wait_alu 0xfffe
	s_or_b32 s69, s5, s69
	s_and_not1_b32 exec_lo, exec_lo, s68
	s_cbranch_execz .LBB31_115
.LBB31_111:                             ;   Parent Loop BB31_32 Depth=1
                                        ; =>  This Inner Loop Header: Depth=2
	s_mov_b32 s5, exec_lo
	s_delay_alu instid0(VALU_DEP_1)
	v_cmpx_gt_i64_e64 s[36:37], v[13:14]
	s_cbranch_execz .LBB31_109
; %bb.112:                              ;   in Loop: Header=BB31_111 Depth=2
	global_load_b64 v[4:5], v[11:12], off
	s_wait_loadcnt 0x0
	v_xor_b32_e32 v3, 0x80000000, v5
	v_and_b32_e32 v37, v4, v33
	s_delay_alu instid0(VALU_DEP_2) | instskip(NEXT) | instid1(VALU_DEP_1)
	v_and_b32_e32 v38, v3, v34
	v_cmp_eq_u64_e32 vcc_lo, v[37:38], v[31:32]
	s_and_b32 exec_lo, exec_lo, vcc_lo
	s_cbranch_execz .LBB31_109
; %bb.113:                              ;   in Loop: Header=BB31_111 Depth=2
	v_mov_b32_e32 v3, v18
	ds_store_b128 v18, v[2:5] offset:3072
	s_branch .LBB31_109
.LBB31_114:                             ;   in Loop: Header=BB31_111 Depth=2
	v_add_co_u32 v13, vcc_lo, v13, s50
	s_wait_alu 0xfffd
	v_add_co_ci_u32_e64 v14, null, 0, v14, vcc_lo
	v_add_co_u32 v11, s5, v11, s52
	s_wait_alu 0xf1fe
	v_add_co_ci_u32_e64 v12, null, s53, v12, s5
	s_delay_alu instid0(VALU_DEP_3)
	v_cmp_le_i64_e32 vcc_lo, s[16:17], v[13:14]
	s_mov_b32 s70, 0
	s_or_not1_b32 s5, vcc_lo, exec_lo
	s_branch .LBB31_110
.LBB31_115:                             ;   in Loop: Header=BB31_32 Depth=1
	s_or_b32 exec_lo, exec_lo, s68
	s_wait_alu 0xfffe
	s_and_b32 s5, s69, exec_lo
.LBB31_116:                             ;   in Loop: Header=BB31_32 Depth=1
	s_or_b32 exec_lo, exec_lo, s24
.LBB31_117:                             ;   in Loop: Header=BB31_32 Depth=1
	s_delay_alu instid0(SALU_CYCLE_1)
	s_and_b32 vcc_lo, exec_lo, s23
	s_wait_alu 0xfffe
	s_cbranch_vccz .LBB31_131
; %bb.118:                              ;   in Loop: Header=BB31_32 Depth=1
	s_add_nc_u64 s[16:17], s[14:15], s[58:59]
	s_mov_b32 s18, s25
	s_wait_alu 0xfffe
	s_mov_b32 s19, s17
	s_delay_alu instid0(SALU_CYCLE_1)
	s_cmp_lg_u64 s[18:19], 0
	s_cbranch_scc0 .LBB31_159
; %bb.119:                              ;   in Loop: Header=BB31_32 Depth=1
	s_add_nc_u64 s[18:19], s[50:51], 0
	s_delay_alu instid0(SALU_CYCLE_1) | instskip(NEXT) | instid1(SALU_CYCLE_1)
	s_xor_b64 s[18:19], s[18:19], 0
	s_cvt_f32_u32 s23, s18
	s_cvt_f32_u32 s24, s19
	s_sub_nc_u64 s[70:71], 0, s[18:19]
	s_wait_alu 0xfffe
	s_delay_alu instid0(SALU_CYCLE_1) | instskip(SKIP_1) | instid1(SALU_CYCLE_2)
	s_fmamk_f32 s23, s24, 0x4f800000, s23
	s_wait_alu 0xfffe
	v_s_rcp_f32 s23, s23
	s_delay_alu instid0(TRANS32_DEP_1) | instskip(SKIP_1) | instid1(SALU_CYCLE_2)
	s_mul_f32 s23, s23, 0x5f7ffffc
	s_wait_alu 0xfffe
	s_mul_f32 s24, s23, 0x2f800000
	s_wait_alu 0xfffe
	s_delay_alu instid0(SALU_CYCLE_2) | instskip(SKIP_1) | instid1(SALU_CYCLE_2)
	s_trunc_f32 s24, s24
	s_wait_alu 0xfffe
	s_fmamk_f32 s23, s24, 0xcf800000, s23
	s_cvt_u32_f32 s69, s24
	s_wait_alu 0xfffe
	s_delay_alu instid0(SALU_CYCLE_1) | instskip(SKIP_1) | instid1(SALU_CYCLE_2)
	s_cvt_u32_f32 s68, s23
	s_wait_alu 0xfffe
	s_mul_u64 s[72:73], s[70:71], s[68:69]
	s_wait_alu 0xfffe
	s_mul_hi_u32 s75, s68, s73
	s_mul_i32 s74, s68, s73
	s_mul_hi_u32 s24, s68, s72
	s_mul_i32 s76, s69, s72
	s_wait_alu 0xfffe
	s_add_nc_u64 s[74:75], s[24:25], s[74:75]
	s_mul_hi_u32 s23, s69, s72
	s_mul_hi_u32 s77, s69, s73
	s_wait_alu 0xfffe
	s_add_co_u32 s24, s74, s76
	s_add_co_ci_u32 s24, s75, s23
	s_mul_i32 s72, s69, s73
	s_add_co_ci_u32 s73, s77, 0
	s_wait_alu 0xfffe
	s_add_nc_u64 s[72:73], s[24:25], s[72:73]
	s_wait_alu 0xfffe
	s_add_co_u32 s68, s68, s72
	s_cselect_b32 s23, -1, 0
	s_wait_alu 0xfffe
	s_cmp_lg_u32 s23, 0
	s_add_co_ci_u32 s69, s69, s73
	s_wait_alu 0xfffe
	s_mul_u64 s[70:71], s[70:71], s[68:69]
	s_wait_alu 0xfffe
	s_mul_hi_u32 s73, s68, s71
	s_mul_i32 s72, s68, s71
	s_mul_hi_u32 s24, s68, s70
	s_mul_i32 s74, s69, s70
	s_wait_alu 0xfffe
	s_add_nc_u64 s[72:73], s[24:25], s[72:73]
	s_mul_hi_u32 s23, s69, s70
	s_mul_hi_u32 s75, s69, s71
	s_wait_alu 0xfffe
	s_add_co_u32 s24, s72, s74
	s_add_co_ci_u32 s24, s73, s23
	s_mul_i32 s70, s69, s71
	s_add_co_ci_u32 s71, s75, 0
	s_wait_alu 0xfffe
	s_add_nc_u64 s[70:71], s[24:25], s[70:71]
	s_wait_alu 0xfffe
	s_add_co_u32 s23, s68, s70
	s_cselect_b32 s24, -1, 0
	s_wait_alu 0xfffe
	s_cmp_lg_u32 s24, 0
	s_add_co_ci_u32 s74, s69, s71
	s_ashr_i32 s68, s17, 31
	s_wait_alu 0xfffe
	s_mov_b32 s69, s68
	s_wait_alu 0xfffe
	s_add_nc_u64 s[70:71], s[16:17], s[68:69]
	s_wait_alu 0xfffe
	s_xor_b64 s[70:71], s[70:71], s[68:69]
	s_wait_alu 0xfffe
	s_mul_hi_u32 s73, s70, s74
	s_mul_i32 s72, s70, s74
	s_mul_hi_u32 s24, s70, s23
	s_mul_hi_u32 s76, s71, s23
	s_mul_i32 s23, s71, s23
	s_wait_alu 0xfffe
	s_add_nc_u64 s[72:73], s[24:25], s[72:73]
	s_mul_hi_u32 s75, s71, s74
	s_wait_alu 0xfffe
	s_add_co_u32 s23, s72, s23
	s_add_co_ci_u32 s24, s73, s76
	s_mul_i32 s74, s71, s74
	s_add_co_ci_u32 s75, s75, 0
	s_wait_alu 0xfffe
	s_add_nc_u64 s[72:73], s[24:25], s[74:75]
	s_wait_alu 0xfffe
	s_mul_u64 s[72:73], s[18:19], s[72:73]
	s_wait_alu 0xfffe
	s_sub_co_u32 s23, s70, s72
	s_cselect_b32 s24, -1, 0
	s_sub_co_i32 s70, s71, s73
	s_wait_alu 0xfffe
	s_cmp_lg_u32 s24, 0
	s_sub_co_ci_u32 s70, s70, s19
	s_sub_co_u32 s72, s23, s18
	s_cselect_b32 s74, -1, 0
	s_wait_alu 0xfffe
	s_cmp_lg_u32 s74, 0
	s_sub_co_ci_u32 s75, s70, 0
	s_wait_alu 0xfffe
	s_cmp_ge_u32 s75, s19
	s_cselect_b32 s76, -1, 0
	s_cmp_ge_u32 s72, s18
	s_cselect_b32 s77, -1, 0
	s_cmp_eq_u32 s75, s19
	s_wait_alu 0xfffe
	s_cselect_b32 s76, s77, s76
	s_cmp_lg_u32 s74, 0
	s_sub_co_ci_u32 s70, s70, s19
	s_sub_co_u32 s74, s72, s18
	s_cselect_b32 s77, -1, 0
	s_wait_alu 0xfffe
	s_cmp_lg_u32 s77, 0
	s_sub_co_ci_u32 s70, s70, 0
	s_cmp_lg_u32 s76, 0
	s_cselect_b32 s72, s74, s72
	s_wait_alu 0xfffe
	s_cselect_b32 s70, s70, s75
	s_cmp_lg_u32 s24, 0
	s_sub_co_ci_u32 s24, s71, s73
	s_wait_alu 0xfffe
	s_cmp_ge_u32 s24, s19
	s_cselect_b32 s71, -1, 0
	s_cmp_ge_u32 s23, s18
	s_cselect_b32 s18, -1, 0
	s_cmp_eq_u32 s24, s19
	s_wait_alu 0xfffe
	s_cselect_b32 s18, s18, s71
	s_delay_alu instid0(SALU_CYCLE_1) | instskip(SKIP_2) | instid1(SALU_CYCLE_1)
	s_cmp_lg_u32 s18, 0
	s_cselect_b32 s19, s70, s24
	s_cselect_b32 s18, s72, s23
	s_xor_b64 s[18:19], s[18:19], s[68:69]
	s_delay_alu instid0(SALU_CYCLE_1)
	s_sub_nc_u64 s[18:19], s[18:19], s[68:69]
	s_cbranch_execnz .LBB31_121
.LBB31_120:                             ;   in Loop: Header=BB31_32 Depth=1
	v_cvt_f32_u32_e32 v3, s50
	s_sub_co_i32 s19, 0, s50
	s_delay_alu instid0(VALU_DEP_1) | instskip(NEXT) | instid1(TRANS32_DEP_1)
	v_rcp_iflag_f32_e32 v3, v3
	v_mul_f32_e32 v3, 0x4f7ffffe, v3
	s_delay_alu instid0(VALU_DEP_1) | instskip(NEXT) | instid1(VALU_DEP_1)
	v_cvt_u32_f32_e32 v3, v3
	v_readfirstlane_b32 s18, v3
	s_mul_i32 s19, s19, s18
	s_delay_alu instid0(SALU_CYCLE_1) | instskip(NEXT) | instid1(SALU_CYCLE_1)
	s_mul_hi_u32 s19, s18, s19
	s_add_co_i32 s18, s18, s19
	s_delay_alu instid0(SALU_CYCLE_1) | instskip(NEXT) | instid1(SALU_CYCLE_1)
	s_mul_hi_u32 s18, s16, s18
	s_mul_i32 s18, s18, s50
	s_delay_alu instid0(SALU_CYCLE_1) | instskip(NEXT) | instid1(SALU_CYCLE_1)
	s_sub_co_i32 s18, s16, s18
	s_sub_co_i32 s19, s18, s50
	s_cmp_ge_u32 s18, s50
	s_cselect_b32 s18, s19, s18
	s_delay_alu instid0(SALU_CYCLE_1)
	s_sub_co_i32 s19, s18, s50
	s_cmp_ge_u32 s18, s50
	s_cselect_b32 s24, s19, s18
	s_wait_alu 0xfffe
	s_mov_b64 s[18:19], s[24:25]
.LBB31_121:                             ;   in Loop: Header=BB31_32 Depth=1
	s_delay_alu instid0(SALU_CYCLE_1)
	s_sub_nc_u64 s[16:17], s[16:17], s[18:19]
	s_mov_b32 s18, exec_lo
                                        ; implicit-def: $vgpr5_vgpr6
	s_wait_alu 0xfffe
	v_cmpx_gt_i64_e64 s[16:17], v[0:1]
	s_cbranch_execz .LBB31_130
; %bb.122:                              ;   in Loop: Header=BB31_32 Depth=1
	v_dual_mov_b32 v13, v46 :: v_dual_mov_b32 v12, v1
	v_mov_b32_e32 v11, v0
	s_mov_b32 s23, 0
                                        ; implicit-def: $sgpr19
	s_branch .LBB31_125
.LBB31_123:                             ;   in Loop: Header=BB31_125 Depth=2
	s_wait_alu 0xfffe
	s_or_b32 exec_lo, exec_lo, s24
	s_wait_loadcnt_dscnt 0x0
	s_barrier_signal -1
	s_barrier_wait -1
	global_inv scope:SCOPE_SE
	ds_load_b128 v[3:6], v18 offset:3072
	s_mov_b32 s24, -1
	s_mov_b32 s68, -1
	s_wait_loadcnt_dscnt 0x0
	s_barrier_signal -1
	s_barrier_wait -1
	global_inv scope:SCOPE_SE
	v_cmp_ne_u64_e32 vcc_lo, 0, v[3:4]
	s_cbranch_vccz .LBB31_128
.LBB31_124:                             ;   in Loop: Header=BB31_125 Depth=2
	s_wait_alu 0xfffe
	s_and_b32 s24, exec_lo, s24
	s_wait_alu 0xfffe
	s_or_b32 s23, s24, s23
	s_and_not1_b32 s19, s19, exec_lo
	s_and_b32 s24, s68, exec_lo
	s_wait_alu 0xfffe
	s_or_b32 s19, s19, s24
	s_and_not1_b32 exec_lo, exec_lo, s23
	s_cbranch_execz .LBB31_129
.LBB31_125:                             ;   Parent Loop BB31_32 Depth=1
                                        ; =>  This Inner Loop Header: Depth=2
	s_mov_b32 s24, exec_lo
	s_delay_alu instid0(VALU_DEP_1)
	v_cmpx_gt_u64_e64 s[14:15], v[11:12]
	s_cbranch_execz .LBB31_123
; %bb.126:                              ;   in Loop: Header=BB31_125 Depth=2
	ds_load_b64 v[4:5], v13
	s_wait_dscnt 0x0
	v_xor_b32_e32 v3, 0x80000000, v5
	v_and_b32_e32 v37, v4, v33
	s_delay_alu instid0(VALU_DEP_2) | instskip(NEXT) | instid1(VALU_DEP_1)
	v_and_b32_e32 v38, v3, v34
	v_cmp_eq_u64_e32 vcc_lo, v[37:38], v[31:32]
	s_and_b32 exec_lo, exec_lo, vcc_lo
	s_cbranch_execz .LBB31_123
; %bb.127:                              ;   in Loop: Header=BB31_125 Depth=2
	v_mov_b32_e32 v3, v18
	ds_store_b128 v18, v[2:5] offset:3072
	s_branch .LBB31_123
.LBB31_128:                             ;   in Loop: Header=BB31_125 Depth=2
	v_add_co_u32 v11, vcc_lo, v11, s50
	s_wait_alu 0xfffd
	v_add_co_ci_u32_e64 v12, null, 0, v12, vcc_lo
	v_add_nc_u32_e32 v13, s90, v13
	s_mov_b32 s68, 0
	s_delay_alu instid0(VALU_DEP_2)
	v_cmp_le_i64_e32 vcc_lo, s[16:17], v[11:12]
	s_or_not1_b32 s24, vcc_lo, exec_lo
	s_branch .LBB31_124
.LBB31_129:                             ;   in Loop: Header=BB31_32 Depth=1
	s_or_b32 exec_lo, exec_lo, s23
	s_delay_alu instid0(SALU_CYCLE_1)
	s_and_not1_b32 s5, s5, exec_lo
	s_and_b32 s14, s19, exec_lo
	s_wait_alu 0xfffe
	s_or_b32 s5, s5, s14
.LBB31_130:                             ;   in Loop: Header=BB31_32 Depth=1
	s_or_b32 exec_lo, exec_lo, s18
	s_mov_b32 s18, 0
	s_mov_b32 s19, -1
.LBB31_131:                             ;   in Loop: Header=BB31_32 Depth=1
	s_wait_alu 0xfffe
	s_or_not1_b32 s5, s5, exec_lo
.LBB31_132:                             ;   in Loop: Header=BB31_32 Depth=1
	s_wait_alu 0xfffe
	s_or_b32 exec_lo, exec_lo, s20
	s_delay_alu instid0(SALU_CYCLE_1)
	s_and_not1_b32 s14, s98, exec_lo
	s_and_b32 s15, s19, exec_lo
	s_and_not1_b32 s16, s96, exec_lo
	s_and_b32 s17, s18, exec_lo
	s_and_not1_b32 s95, s95, exec_lo
	s_wait_alu 0xfffe
	s_or_b32 s98, s14, s15
	s_or_b32 s96, s16, s17
                                        ; implicit-def: $vgpr11_vgpr12
	s_and_saveexec_b32 s20, s5
	s_cbranch_execz .LBB31_31
; %bb.133:                              ;   in Loop: Header=BB31_32 Depth=1
	v_mov_b32_e32 v11, 1
	v_dual_mov_b32 v12, 0 :: v_dual_mov_b32 v37, 1
	s_xor_b32 s15, s22, -1
	s_mov_b32 s14, 0
	s_wait_alu 0xfffe
	s_and_saveexec_b32 s5, s15
	s_cbranch_execz .LBB31_142
; %bb.134:                              ;   in Loop: Header=BB31_32 Depth=1
	s_mov_b32 s14, exec_lo
	v_cmpx_le_i64_e64 v[35:36], v[7:8]
	s_wait_alu 0xfffe
	s_xor_b32 s14, exec_lo, s14
	s_cbranch_execz .LBB31_139
; %bb.135:                              ;   in Loop: Header=BB31_32 Depth=1
	ds_load_b64 v[3:4], v18 offset:5120
	v_and_b32_e32 v32, s13, v32
	v_and_b32_e32 v31, s12, v31
	v_or_b32_e32 v34, s9, v34
	v_or_b32_e32 v33, s8, v33
	s_wait_dscnt 0x0
	v_cmp_ne_u64_e32 vcc_lo, 0, v[3:4]
	s_cbranch_vccnz .LBB31_139
; %bb.136:                              ;   in Loop: Header=BB31_32 Depth=1
	s_and_saveexec_b32 s15, s2
; %bb.137:                              ;   in Loop: Header=BB31_32 Depth=1
	ds_store_b64 v18, v[7:8] offset:5128
; %bb.138:                              ;   in Loop: Header=BB31_32 Depth=1
	s_wait_alu 0xfffe
	s_or_b32 exec_lo, exec_lo, s15
	s_wait_loadcnt_dscnt 0x0
	s_barrier_signal -1
	s_barrier_wait -1
	global_inv scope:SCOPE_SE
.LBB31_139:                             ;   in Loop: Header=BB31_32 Depth=1
	s_wait_alu 0xfffe
	s_or_saveexec_b32 s14, s14
	v_mov_b32_e32 v37, 8
	s_mov_b32 s15, 0
	s_wait_alu 0xfffe
	s_xor_b32 exec_lo, exec_lo, s14
; %bb.140:                              ;   in Loop: Header=BB31_32 Depth=1
	v_sub_co_u32 v35, vcc_lo, v35, v7
	s_wait_alu 0xfffd
	v_sub_co_ci_u32_e64 v36, null, v36, v8, vcc_lo
	v_mov_b32_e32 v37, 0
	s_mov_b32 s15, exec_lo
; %bb.141:                              ;   in Loop: Header=BB31_32 Depth=1
	s_or_b32 exec_lo, exec_lo, s14
	s_delay_alu instid0(VALU_DEP_2)
	v_dual_mov_b32 v11, v35 :: v_dual_mov_b32 v12, v36
	s_wait_alu 0xfffe
	s_and_b32 s14, s15, exec_lo
.LBB31_142:                             ;   in Loop: Header=BB31_32 Depth=1
	s_wait_alu 0xfffe
	s_or_b32 exec_lo, exec_lo, s5
	s_mov_b32 s21, -1
	s_mov_b32 s5, -1
                                        ; implicit-def: $sgpr23
                                        ; implicit-def: $sgpr68
	s_and_saveexec_b32 s15, s14
	s_wait_alu 0xfffe
	s_xor_b32 s22, exec_lo, s15
	s_cbranch_execz .LBB31_284
; %bb.143:                              ;   in Loop: Header=BB31_32 Depth=1
	v_cmp_eq_u64_e32 vcc_lo, 1, v[9:10]
	v_cmp_eq_u64_e64 s5, 1, v[11:12]
                                        ; implicit-def: $sgpr68
                                        ; implicit-def: $sgpr23
	s_and_b32 s70, vcc_lo, s5
	s_mov_b32 s5, -1
	s_wait_alu 0xfffe
	s_and_saveexec_b32 s69, s70
	s_cbranch_execz .LBB31_177
; %bb.144:                              ;   in Loop: Header=BB31_32 Depth=1
	ds_load_b64 v[3:4], v18 offset:5120
	s_wait_loadcnt_dscnt 0x0
	s_barrier_signal -1
	s_barrier_wait -1
	global_inv scope:SCOPE_SE
	v_readfirstlane_b32 s14, v3
	v_readfirstlane_b32 s15, v4
	s_and_saveexec_b32 s5, s3
; %bb.145:                              ;   in Loop: Header=BB31_32 Depth=1
	v_mov_b32_e32 v17, v18
	ds_store_b64 v47, v[17:18]
; %bb.146:                              ;   in Loop: Header=BB31_32 Depth=1
	s_wait_alu 0xfffe
	s_or_b32 exec_lo, exec_lo, s5
	v_and_b32_e32 v3, s13, v32
	v_and_b32_e32 v4, s12, v31
	v_cmp_gt_i64_e64 s5, s[14:15], 0
	s_lshl_b64 s[16:17], 1, s91
	v_or_b32_e32 v34, s9, v34
	s_wait_alu 0xfffe
	v_or_b32_e32 v32, s17, v3
	v_or_b32_e32 v31, s16, v4
	;; [unrolled: 1-line block ×3, first 2 shown]
	s_mov_b32 s23, -1
	s_mov_b32 s68, 0
	s_and_b32 vcc_lo, exec_lo, s5
	s_mov_b32 s5, 0
	s_mov_b32 s18, -1
	s_wait_loadcnt_dscnt 0x0
	s_barrier_signal -1
	s_barrier_wait -1
	global_inv scope:SCOPE_SE
                                        ; implicit-def: $vgpr5_vgpr6
	s_wait_alu 0xfffe
	s_cbranch_vccnz .LBB31_162
; %bb.147:                              ;   in Loop: Header=BB31_32 Depth=1
	s_mov_b32 s16, s25
	s_mov_b32 s17, s61
	s_wait_alu 0xfffe
	s_cmp_lg_u64 s[16:17], 0
	s_cbranch_scc0 .LBB31_204
; %bb.148:                              ;   in Loop: Header=BB31_32 Depth=1
	s_add_nc_u64 s[16:17], s[50:51], 0
	s_wait_alu 0xfffe
	s_xor_b64 s[16:17], s[16:17], 0
	s_wait_alu 0xfffe
	s_cvt_f32_u32 s5, s16
	s_cvt_f32_u32 s18, s17
	s_sub_nc_u64 s[72:73], 0, s[16:17]
	s_wait_alu 0xfffe
	s_delay_alu instid0(SALU_CYCLE_1) | instskip(SKIP_1) | instid1(SALU_CYCLE_2)
	s_fmamk_f32 s5, s18, 0x4f800000, s5
	s_wait_alu 0xfffe
	v_s_rcp_f32 s5, s5
	s_delay_alu instid0(TRANS32_DEP_1) | instskip(SKIP_1) | instid1(SALU_CYCLE_2)
	s_mul_f32 s5, s5, 0x5f7ffffc
	s_wait_alu 0xfffe
	s_mul_f32 s18, s5, 0x2f800000
	s_delay_alu instid0(SALU_CYCLE_3) | instskip(NEXT) | instid1(SALU_CYCLE_3)
	s_trunc_f32 s18, s18
	s_fmamk_f32 s5, s18, 0xcf800000, s5
	s_cvt_u32_f32 s19, s18
	s_wait_alu 0xfffe
	s_delay_alu instid0(SALU_CYCLE_1) | instskip(NEXT) | instid1(SALU_CYCLE_3)
	s_cvt_u32_f32 s18, s5
	s_mul_u64 s[74:75], s[72:73], s[18:19]
	s_wait_alu 0xfffe
	s_mul_hi_u32 s77, s18, s75
	s_mul_i32 s76, s18, s75
	s_mul_hi_u32 s24, s18, s74
	s_mul_i32 s71, s19, s74
	s_wait_alu 0xfffe
	s_add_nc_u64 s[76:77], s[24:25], s[76:77]
	s_mul_hi_u32 s5, s19, s74
	s_mul_hi_u32 s78, s19, s75
	s_wait_alu 0xfffe
	s_add_co_u32 s24, s76, s71
	s_add_co_ci_u32 s24, s77, s5
	s_mul_i32 s74, s19, s75
	s_add_co_ci_u32 s75, s78, 0
	s_wait_alu 0xfffe
	s_add_nc_u64 s[74:75], s[24:25], s[74:75]
	s_wait_alu 0xfffe
	s_add_co_u32 s18, s18, s74
	s_cselect_b32 s5, -1, 0
	s_wait_alu 0xfffe
	s_cmp_lg_u32 s5, 0
	s_add_co_ci_u32 s19, s19, s75
	s_delay_alu instid0(SALU_CYCLE_1)
	s_mul_u64 s[72:73], s[72:73], s[18:19]
	s_wait_alu 0xfffe
	s_mul_hi_u32 s75, s18, s73
	s_mul_i32 s74, s18, s73
	s_mul_hi_u32 s24, s18, s72
	s_mul_i32 s71, s19, s72
	s_wait_alu 0xfffe
	s_add_nc_u64 s[74:75], s[24:25], s[74:75]
	s_mul_hi_u32 s5, s19, s72
	s_mul_hi_u32 s76, s19, s73
	s_wait_alu 0xfffe
	s_add_co_u32 s24, s74, s71
	s_add_co_ci_u32 s24, s75, s5
	s_mul_i32 s72, s19, s73
	s_add_co_ci_u32 s73, s76, 0
	s_wait_alu 0xfffe
	s_add_nc_u64 s[72:73], s[24:25], s[72:73]
	s_wait_alu 0xfffe
	s_add_co_u32 s5, s18, s72
	s_cselect_b32 s18, -1, 0
	s_delay_alu instid0(SALU_CYCLE_1) | instskip(SKIP_2) | instid1(SALU_CYCLE_1)
	s_cmp_lg_u32 s18, 0
	s_add_co_ci_u32 s71, s19, s73
	s_ashr_i32 s18, s61, 31
	s_mov_b32 s19, s18
	s_delay_alu instid0(SALU_CYCLE_1)
	s_add_nc_u64 s[72:73], s[60:61], s[18:19]
	s_wait_alu 0xfffe
	s_xor_b64 s[72:73], s[72:73], s[18:19]
	s_wait_alu 0xfffe
	s_mul_hi_u32 s75, s72, s71
	s_mul_i32 s74, s72, s71
	s_mul_hi_u32 s24, s72, s5
	s_mul_hi_u32 s78, s73, s5
	s_mul_i32 s5, s73, s5
	s_wait_alu 0xfffe
	s_add_nc_u64 s[74:75], s[24:25], s[74:75]
	s_mul_hi_u32 s77, s73, s71
	s_wait_alu 0xfffe
	s_add_co_u32 s5, s74, s5
	s_add_co_ci_u32 s24, s75, s78
	s_mul_i32 s76, s73, s71
	s_add_co_ci_u32 s77, s77, 0
	s_wait_alu 0xfffe
	s_add_nc_u64 s[74:75], s[24:25], s[76:77]
	s_wait_alu 0xfffe
	s_mul_u64 s[74:75], s[16:17], s[74:75]
	s_wait_alu 0xfffe
	s_sub_co_u32 s5, s72, s74
	s_cselect_b32 s24, -1, 0
	s_sub_co_i32 s71, s73, s75
	s_wait_alu 0xfffe
	s_cmp_lg_u32 s24, 0
	s_sub_co_ci_u32 s71, s71, s17
	s_sub_co_u32 s72, s5, s16
	s_cselect_b32 s74, -1, 0
	s_wait_alu 0xfffe
	s_cmp_lg_u32 s74, 0
	s_sub_co_ci_u32 s76, s71, 0
	s_wait_alu 0xfffe
	s_cmp_ge_u32 s76, s17
	s_cselect_b32 s77, -1, 0
	s_cmp_ge_u32 s72, s16
	s_cselect_b32 s78, -1, 0
	s_cmp_eq_u32 s76, s17
	s_wait_alu 0xfffe
	s_cselect_b32 s77, s78, s77
	s_cmp_lg_u32 s74, 0
	s_sub_co_ci_u32 s71, s71, s17
	s_sub_co_u32 s74, s72, s16
	s_cselect_b32 s78, -1, 0
	s_wait_alu 0xfffe
	s_cmp_lg_u32 s78, 0
	s_sub_co_ci_u32 s71, s71, 0
	s_cmp_lg_u32 s77, 0
	s_cselect_b32 s72, s74, s72
	s_wait_alu 0xfffe
	s_cselect_b32 s71, s71, s76
	s_cmp_lg_u32 s24, 0
	s_sub_co_ci_u32 s24, s73, s75
	s_wait_alu 0xfffe
	s_cmp_ge_u32 s24, s17
	s_cselect_b32 s73, -1, 0
	s_cmp_ge_u32 s5, s16
	s_cselect_b32 s16, -1, 0
	s_cmp_eq_u32 s24, s17
	s_wait_alu 0xfffe
	s_cselect_b32 s16, s16, s73
	s_wait_alu 0xfffe
	s_cmp_lg_u32 s16, 0
	s_cselect_b32 s17, s71, s24
	s_cselect_b32 s16, s72, s5
	s_wait_alu 0xfffe
	s_xor_b64 s[16:17], s[16:17], s[18:19]
	s_wait_alu 0xfffe
	s_sub_nc_u64 s[16:17], s[16:17], s[18:19]
	s_cbranch_execnz .LBB31_150
.LBB31_149:                             ;   in Loop: Header=BB31_32 Depth=1
	v_cvt_f32_u32_e32 v3, s50
	s_sub_co_i32 s16, 0, s50
	s_delay_alu instid0(VALU_DEP_1) | instskip(NEXT) | instid1(TRANS32_DEP_1)
	v_rcp_iflag_f32_e32 v3, v3
	v_mul_f32_e32 v3, 0x4f7ffffe, v3
	s_delay_alu instid0(VALU_DEP_1) | instskip(NEXT) | instid1(VALU_DEP_1)
	v_cvt_u32_f32_e32 v3, v3
	v_readfirstlane_b32 s5, v3
	s_wait_alu 0xfffe
	s_mul_i32 s16, s16, s5
	s_wait_alu 0xfffe
	s_mul_hi_u32 s16, s5, s16
	s_wait_alu 0xfffe
	s_add_co_i32 s5, s5, s16
	s_wait_alu 0xfffe
	s_mul_hi_u32 s5, s60, s5
	s_wait_alu 0xfffe
	s_mul_i32 s5, s5, s50
	s_wait_alu 0xfffe
	s_sub_co_i32 s5, s60, s5
	s_wait_alu 0xfffe
	s_sub_co_i32 s16, s5, s50
	s_cmp_ge_u32 s5, s50
	s_wait_alu 0xfffe
	s_cselect_b32 s5, s16, s5
	s_wait_alu 0xfffe
	s_sub_co_i32 s16, s5, s50
	s_cmp_ge_u32 s5, s50
	s_wait_alu 0xfffe
	s_cselect_b32 s24, s16, s5
	s_wait_alu 0xfffe
	s_mov_b64 s[16:17], s[24:25]
.LBB31_150:                             ;   in Loop: Header=BB31_32 Depth=1
	s_wait_alu 0xfffe
	s_sub_nc_u64 s[16:17], s[60:61], s[16:17]
	s_mov_b32 s18, 0
	s_mov_b32 s5, 0
	s_mov_b32 s19, exec_lo
                                        ; implicit-def: $vgpr5_vgpr6
	s_wait_alu 0xfffe
	v_cmpx_gt_i64_e64 s[16:17], v[0:1]
	s_cbranch_execz .LBB31_161
; %bb.151:                              ;   in Loop: Header=BB31_32 Depth=1
	v_dual_mov_b32 v7, v15 :: v_dual_mov_b32 v8, v16
	v_dual_mov_b32 v14, v1 :: v_dual_mov_b32 v13, v0
	s_mov_b32 s24, 0
                                        ; implicit-def: $sgpr71
	s_branch .LBB31_154
.LBB31_152:                             ;   in Loop: Header=BB31_154 Depth=2
	s_wait_alu 0xfffe
	s_or_b32 exec_lo, exec_lo, s5
	s_wait_loadcnt_dscnt 0x0
	s_barrier_signal -1
	s_barrier_wait -1
	global_inv scope:SCOPE_SE
	ds_load_b128 v[3:6], v18 offset:3072
	s_mov_b32 s5, -1
	s_mov_b32 s72, -1
	s_wait_loadcnt_dscnt 0x0
	s_barrier_signal -1
	s_barrier_wait -1
	global_inv scope:SCOPE_SE
	v_cmp_ne_u64_e32 vcc_lo, 0, v[3:4]
	s_cbranch_vccz .LBB31_157
.LBB31_153:                             ;   in Loop: Header=BB31_154 Depth=2
	s_wait_alu 0xfffe
	s_and_b32 s5, exec_lo, s5
	s_wait_alu 0xfffe
	s_or_b32 s24, s5, s24
	s_and_not1_b32 s5, s71, exec_lo
	s_and_b32 s71, s72, exec_lo
	s_wait_alu 0xfffe
	s_or_b32 s71, s5, s71
	s_and_not1_b32 exec_lo, exec_lo, s24
	s_cbranch_execz .LBB31_160
.LBB31_154:                             ;   Parent Loop BB31_32 Depth=1
                                        ; =>  This Inner Loop Header: Depth=2
	s_mov_b32 s5, exec_lo
	s_delay_alu instid0(VALU_DEP_1)
	v_cmpx_gt_i64_e64 s[36:37], v[13:14]
	s_cbranch_execz .LBB31_152
; %bb.155:                              ;   in Loop: Header=BB31_154 Depth=2
	global_load_b64 v[4:5], v[7:8], off
	s_wait_loadcnt 0x0
	v_xor_b32_e32 v3, 0x80000000, v5
	v_and_b32_e32 v35, v4, v33
	s_delay_alu instid0(VALU_DEP_2) | instskip(NEXT) | instid1(VALU_DEP_1)
	v_and_b32_e32 v36, v3, v34
	v_cmp_eq_u64_e32 vcc_lo, v[35:36], v[31:32]
	s_and_b32 exec_lo, exec_lo, vcc_lo
	s_cbranch_execz .LBB31_152
; %bb.156:                              ;   in Loop: Header=BB31_154 Depth=2
	v_mov_b32_e32 v3, v18
	ds_store_b128 v18, v[2:5] offset:3072
	s_branch .LBB31_152
.LBB31_157:                             ;   in Loop: Header=BB31_154 Depth=2
	v_add_co_u32 v13, vcc_lo, v13, s50
	s_wait_alu 0xfffd
	v_add_co_ci_u32_e64 v14, null, 0, v14, vcc_lo
	v_add_co_u32 v7, s5, v7, s52
	s_wait_alu 0xf1fe
	v_add_co_ci_u32_e64 v8, null, s53, v8, s5
	s_delay_alu instid0(VALU_DEP_3)
	v_cmp_le_i64_e32 vcc_lo, s[16:17], v[13:14]
	s_mov_b32 s72, 0
	s_or_not1_b32 s5, vcc_lo, exec_lo
	s_branch .LBB31_153
.LBB31_158:                             ;   in Loop: Header=BB31_32 Depth=1
                                        ; implicit-def: $sgpr16_sgpr17
	s_branch .LBB31_106
.LBB31_159:                             ;   in Loop: Header=BB31_32 Depth=1
                                        ; implicit-def: $sgpr18_sgpr19
	s_branch .LBB31_120
.LBB31_160:                             ;   in Loop: Header=BB31_32 Depth=1
	s_or_b32 exec_lo, exec_lo, s24
	s_wait_alu 0xfffe
	s_and_b32 s5, s71, exec_lo
.LBB31_161:                             ;   in Loop: Header=BB31_32 Depth=1
	s_or_b32 exec_lo, exec_lo, s19
.LBB31_162:                             ;   in Loop: Header=BB31_32 Depth=1
	s_delay_alu instid0(SALU_CYCLE_1)
	s_and_b32 vcc_lo, exec_lo, s18
	s_wait_alu 0xfffe
	s_cbranch_vccz .LBB31_176
; %bb.163:                              ;   in Loop: Header=BB31_32 Depth=1
	s_add_nc_u64 s[16:17], s[14:15], s[58:59]
	s_mov_b32 s18, s25
	s_wait_alu 0xfffe
	s_mov_b32 s19, s17
	s_delay_alu instid0(SALU_CYCLE_1)
	s_cmp_lg_u64 s[18:19], 0
	s_cbranch_scc0 .LBB31_205
; %bb.164:                              ;   in Loop: Header=BB31_32 Depth=1
	s_add_nc_u64 s[18:19], s[50:51], 0
	s_delay_alu instid0(SALU_CYCLE_1) | instskip(NEXT) | instid1(SALU_CYCLE_1)
	s_xor_b64 s[18:19], s[18:19], 0
	s_cvt_f32_u32 s23, s18
	s_cvt_f32_u32 s24, s19
	s_sub_nc_u64 s[74:75], 0, s[18:19]
	s_wait_alu 0xfffe
	s_delay_alu instid0(SALU_CYCLE_1) | instskip(SKIP_1) | instid1(SALU_CYCLE_2)
	s_fmamk_f32 s23, s24, 0x4f800000, s23
	s_wait_alu 0xfffe
	v_s_rcp_f32 s23, s23
	s_delay_alu instid0(TRANS32_DEP_1) | instskip(SKIP_1) | instid1(SALU_CYCLE_2)
	s_mul_f32 s23, s23, 0x5f7ffffc
	s_wait_alu 0xfffe
	s_mul_f32 s24, s23, 0x2f800000
	s_wait_alu 0xfffe
	s_delay_alu instid0(SALU_CYCLE_2) | instskip(SKIP_1) | instid1(SALU_CYCLE_2)
	s_trunc_f32 s24, s24
	s_wait_alu 0xfffe
	s_fmamk_f32 s23, s24, 0xcf800000, s23
	s_cvt_u32_f32 s73, s24
	s_wait_alu 0xfffe
	s_delay_alu instid0(SALU_CYCLE_1) | instskip(SKIP_1) | instid1(SALU_CYCLE_2)
	s_cvt_u32_f32 s72, s23
	s_wait_alu 0xfffe
	s_mul_u64 s[76:77], s[74:75], s[72:73]
	s_wait_alu 0xfffe
	s_mul_hi_u32 s79, s72, s77
	s_mul_i32 s78, s72, s77
	s_mul_hi_u32 s24, s72, s76
	s_mul_i32 s68, s73, s76
	s_wait_alu 0xfffe
	s_add_nc_u64 s[78:79], s[24:25], s[78:79]
	s_mul_hi_u32 s23, s73, s76
	s_mul_hi_u32 s71, s73, s77
	s_wait_alu 0xfffe
	s_add_co_u32 s24, s78, s68
	s_add_co_ci_u32 s24, s79, s23
	s_mul_i32 s76, s73, s77
	s_add_co_ci_u32 s77, s71, 0
	s_wait_alu 0xfffe
	s_add_nc_u64 s[76:77], s[24:25], s[76:77]
	s_wait_alu 0xfffe
	s_add_co_u32 s72, s72, s76
	s_cselect_b32 s23, -1, 0
	s_wait_alu 0xfffe
	s_cmp_lg_u32 s23, 0
	s_add_co_ci_u32 s73, s73, s77
	s_wait_alu 0xfffe
	s_mul_u64 s[74:75], s[74:75], s[72:73]
	s_wait_alu 0xfffe
	s_mul_hi_u32 s77, s72, s75
	s_mul_i32 s76, s72, s75
	s_mul_hi_u32 s24, s72, s74
	s_mul_i32 s68, s73, s74
	s_wait_alu 0xfffe
	s_add_nc_u64 s[76:77], s[24:25], s[76:77]
	s_mul_hi_u32 s23, s73, s74
	s_mul_hi_u32 s71, s73, s75
	s_wait_alu 0xfffe
	s_add_co_u32 s24, s76, s68
	s_add_co_ci_u32 s24, s77, s23
	s_mul_i32 s74, s73, s75
	s_add_co_ci_u32 s75, s71, 0
	s_wait_alu 0xfffe
	s_add_nc_u64 s[74:75], s[24:25], s[74:75]
	s_wait_alu 0xfffe
	s_add_co_u32 s23, s72, s74
	s_cselect_b32 s24, -1, 0
	s_wait_alu 0xfffe
	s_cmp_lg_u32 s24, 0
	s_add_co_ci_u32 s68, s73, s75
	s_ashr_i32 s72, s17, 31
	s_wait_alu 0xfffe
	s_mov_b32 s73, s72
	s_wait_alu 0xfffe
	s_add_nc_u64 s[74:75], s[16:17], s[72:73]
	s_wait_alu 0xfffe
	s_xor_b64 s[74:75], s[74:75], s[72:73]
	s_wait_alu 0xfffe
	s_mul_hi_u32 s77, s74, s68
	s_mul_i32 s76, s74, s68
	s_mul_hi_u32 s24, s74, s23
	s_mul_hi_u32 s79, s75, s23
	s_mul_i32 s23, s75, s23
	s_wait_alu 0xfffe
	s_add_nc_u64 s[76:77], s[24:25], s[76:77]
	s_mul_hi_u32 s71, s75, s68
	s_wait_alu 0xfffe
	s_add_co_u32 s23, s76, s23
	s_add_co_ci_u32 s24, s77, s79
	s_mul_i32 s78, s75, s68
	s_add_co_ci_u32 s79, s71, 0
	s_wait_alu 0xfffe
	s_add_nc_u64 s[76:77], s[24:25], s[78:79]
	s_wait_alu 0xfffe
	s_mul_u64 s[76:77], s[18:19], s[76:77]
	s_wait_alu 0xfffe
	s_sub_co_u32 s23, s74, s76
	s_cselect_b32 s24, -1, 0
	s_sub_co_i32 s68, s75, s77
	s_wait_alu 0xfffe
	s_cmp_lg_u32 s24, 0
	s_sub_co_ci_u32 s68, s68, s19
	s_sub_co_u32 s71, s23, s18
	s_cselect_b32 s74, -1, 0
	s_wait_alu 0xfffe
	s_cmp_lg_u32 s74, 0
	s_sub_co_ci_u32 s76, s68, 0
	s_wait_alu 0xfffe
	s_cmp_ge_u32 s76, s19
	s_cselect_b32 s78, -1, 0
	s_cmp_ge_u32 s71, s18
	s_cselect_b32 s79, -1, 0
	s_cmp_eq_u32 s76, s19
	s_wait_alu 0xfffe
	s_cselect_b32 s78, s79, s78
	s_cmp_lg_u32 s74, 0
	s_sub_co_ci_u32 s68, s68, s19
	s_sub_co_u32 s74, s71, s18
	s_cselect_b32 s79, -1, 0
	s_wait_alu 0xfffe
	s_cmp_lg_u32 s79, 0
	s_sub_co_ci_u32 s68, s68, 0
	s_cmp_lg_u32 s78, 0
	s_cselect_b32 s71, s74, s71
	s_wait_alu 0xfffe
	s_cselect_b32 s68, s68, s76
	s_cmp_lg_u32 s24, 0
	s_sub_co_ci_u32 s24, s75, s77
	s_wait_alu 0xfffe
	s_cmp_ge_u32 s24, s19
	s_cselect_b32 s74, -1, 0
	s_cmp_ge_u32 s23, s18
	s_cselect_b32 s18, -1, 0
	s_cmp_eq_u32 s24, s19
	s_wait_alu 0xfffe
	s_cselect_b32 s18, s18, s74
	s_delay_alu instid0(SALU_CYCLE_1) | instskip(SKIP_2) | instid1(SALU_CYCLE_1)
	s_cmp_lg_u32 s18, 0
	s_cselect_b32 s19, s68, s24
	s_cselect_b32 s18, s71, s23
	s_xor_b64 s[18:19], s[18:19], s[72:73]
	s_delay_alu instid0(SALU_CYCLE_1)
	s_sub_nc_u64 s[18:19], s[18:19], s[72:73]
	s_cbranch_execnz .LBB31_166
.LBB31_165:                             ;   in Loop: Header=BB31_32 Depth=1
	v_cvt_f32_u32_e32 v3, s50
	s_sub_co_i32 s19, 0, s50
	s_delay_alu instid0(VALU_DEP_1) | instskip(NEXT) | instid1(TRANS32_DEP_1)
	v_rcp_iflag_f32_e32 v3, v3
	v_mul_f32_e32 v3, 0x4f7ffffe, v3
	s_delay_alu instid0(VALU_DEP_1) | instskip(NEXT) | instid1(VALU_DEP_1)
	v_cvt_u32_f32_e32 v3, v3
	v_readfirstlane_b32 s18, v3
	s_mul_i32 s19, s19, s18
	s_delay_alu instid0(SALU_CYCLE_1) | instskip(NEXT) | instid1(SALU_CYCLE_1)
	s_mul_hi_u32 s19, s18, s19
	s_add_co_i32 s18, s18, s19
	s_delay_alu instid0(SALU_CYCLE_1) | instskip(NEXT) | instid1(SALU_CYCLE_1)
	s_mul_hi_u32 s18, s16, s18
	s_mul_i32 s18, s18, s50
	s_delay_alu instid0(SALU_CYCLE_1) | instskip(NEXT) | instid1(SALU_CYCLE_1)
	s_sub_co_i32 s18, s16, s18
	s_sub_co_i32 s19, s18, s50
	s_cmp_ge_u32 s18, s50
	s_cselect_b32 s18, s19, s18
	s_delay_alu instid0(SALU_CYCLE_1)
	s_sub_co_i32 s19, s18, s50
	s_cmp_ge_u32 s18, s50
	s_cselect_b32 s24, s19, s18
	s_wait_alu 0xfffe
	s_mov_b64 s[18:19], s[24:25]
.LBB31_166:                             ;   in Loop: Header=BB31_32 Depth=1
	s_delay_alu instid0(SALU_CYCLE_1)
	s_sub_nc_u64 s[16:17], s[16:17], s[18:19]
	s_mov_b32 s18, exec_lo
                                        ; implicit-def: $vgpr5_vgpr6
	s_wait_alu 0xfffe
	v_cmpx_gt_i64_e64 s[16:17], v[0:1]
	s_cbranch_execz .LBB31_175
; %bb.167:                              ;   in Loop: Header=BB31_32 Depth=1
	v_dual_mov_b32 v13, v46 :: v_dual_mov_b32 v8, v1
	v_mov_b32_e32 v7, v0
	s_mov_b32 s19, 0
                                        ; implicit-def: $sgpr23
	s_branch .LBB31_170
.LBB31_168:                             ;   in Loop: Header=BB31_170 Depth=2
	s_wait_alu 0xfffe
	s_or_b32 exec_lo, exec_lo, s24
	s_wait_loadcnt_dscnt 0x0
	s_barrier_signal -1
	s_barrier_wait -1
	global_inv scope:SCOPE_SE
	ds_load_b128 v[3:6], v18 offset:3072
	s_mov_b32 s24, -1
	s_mov_b32 s68, -1
	s_wait_loadcnt_dscnt 0x0
	s_barrier_signal -1
	s_barrier_wait -1
	global_inv scope:SCOPE_SE
	v_cmp_eq_u64_e32 vcc_lo, 0, v[3:4]
	s_cbranch_vccnz .LBB31_173
.LBB31_169:                             ;   in Loop: Header=BB31_170 Depth=2
	s_wait_alu 0xfffe
	s_and_b32 s24, exec_lo, s24
	s_wait_alu 0xfffe
	s_or_b32 s19, s24, s19
	s_and_not1_b32 s23, s23, exec_lo
	s_and_b32 s24, s68, exec_lo
	s_wait_alu 0xfffe
	s_or_b32 s23, s23, s24
	s_and_not1_b32 exec_lo, exec_lo, s19
	s_cbranch_execz .LBB31_174
.LBB31_170:                             ;   Parent Loop BB31_32 Depth=1
                                        ; =>  This Inner Loop Header: Depth=2
	s_mov_b32 s24, exec_lo
	s_delay_alu instid0(VALU_DEP_1)
	v_cmpx_gt_u64_e64 s[14:15], v[7:8]
	s_cbranch_execz .LBB31_168
; %bb.171:                              ;   in Loop: Header=BB31_170 Depth=2
	ds_load_b64 v[4:5], v13
	s_wait_dscnt 0x0
	v_xor_b32_e32 v3, 0x80000000, v5
	v_and_b32_e32 v35, v4, v33
	s_delay_alu instid0(VALU_DEP_2) | instskip(NEXT) | instid1(VALU_DEP_1)
	v_and_b32_e32 v36, v3, v34
	v_cmp_eq_u64_e32 vcc_lo, v[35:36], v[31:32]
	s_and_b32 exec_lo, exec_lo, vcc_lo
	s_cbranch_execz .LBB31_168
; %bb.172:                              ;   in Loop: Header=BB31_170 Depth=2
	v_mov_b32_e32 v3, v18
	ds_store_b128 v18, v[2:5] offset:3072
	s_branch .LBB31_168
.LBB31_173:                             ;   in Loop: Header=BB31_170 Depth=2
	v_add_co_u32 v7, vcc_lo, v7, s50
	s_wait_alu 0xfffd
	v_add_co_ci_u32_e64 v8, null, 0, v8, vcc_lo
	v_add_nc_u32_e32 v13, s90, v13
	s_mov_b32 s68, 0
	s_delay_alu instid0(VALU_DEP_2)
	v_cmp_le_i64_e32 vcc_lo, s[16:17], v[7:8]
	s_or_not1_b32 s24, vcc_lo, exec_lo
	s_branch .LBB31_169
.LBB31_174:                             ;   in Loop: Header=BB31_32 Depth=1
	s_or_b32 exec_lo, exec_lo, s19
	s_delay_alu instid0(SALU_CYCLE_1)
	s_and_not1_b32 s5, s5, exec_lo
	s_wait_alu 0xfffe
	s_and_b32 s14, s23, exec_lo
	s_wait_alu 0xfffe
	s_or_b32 s5, s5, s14
.LBB31_175:                             ;   in Loop: Header=BB31_32 Depth=1
	s_or_b32 exec_lo, exec_lo, s18
	s_mov_b32 s23, 0
	s_mov_b32 s68, -1
.LBB31_176:                             ;   in Loop: Header=BB31_32 Depth=1
	s_wait_alu 0xfffe
	s_or_not1_b32 s5, s5, exec_lo
.LBB31_177:                             ;   in Loop: Header=BB31_32 Depth=1
	s_wait_alu 0xfffe
	s_or_b32 exec_lo, exec_lo, s69
	s_mov_b32 s14, 0
	s_and_saveexec_b32 s69, s5
	s_cbranch_execz .LBB31_283
; %bb.178:                              ;   in Loop: Header=BB31_32 Depth=1
	v_mov_b32_e32 v7, 1
	v_dual_mov_b32 v8, 0 :: v_dual_mov_b32 v37, 1
	s_xor_b32 s15, s70, -1
	s_wait_alu 0xfffe
	s_and_saveexec_b32 s5, s15
	s_cbranch_execz .LBB31_188
; %bb.179:                              ;   in Loop: Header=BB31_32 Depth=1
	s_mov_b32 s14, exec_lo
	v_cmpx_le_i64_e64 v[11:12], v[9:10]
	s_wait_alu 0xfffe
	s_xor_b32 s14, exec_lo, s14
	s_cbranch_execz .LBB31_185
; %bb.180:                              ;   in Loop: Header=BB31_32 Depth=1
	ds_load_b64 v[3:4], v18 offset:5120
	v_and_b32_e32 v7, s13, v32
	v_and_b32_e32 v8, s12, v31
	s_lshl_b64 s[16:17], 1, s91
	v_or_b32_e32 v34, s9, v34
	v_or_b32_e32 v33, s8, v33
	s_wait_alu 0xfffe
	v_or_b32_e32 v32, s17, v7
	v_or_b32_e32 v31, s16, v8
	s_wait_dscnt 0x0
	v_cmp_ne_u64_e32 vcc_lo, 0, v[3:4]
	s_cbranch_vccnz .LBB31_184
; %bb.181:                              ;   in Loop: Header=BB31_32 Depth=1
	s_and_saveexec_b32 s15, s2
; %bb.182:                              ;   in Loop: Header=BB31_32 Depth=1
	ds_store_b64 v18, v[9:10] offset:5128
; %bb.183:                              ;   in Loop: Header=BB31_32 Depth=1
	s_wait_alu 0xfffe
	s_or_b32 exec_lo, exec_lo, s15
	s_wait_loadcnt_dscnt 0x0
	s_barrier_signal -1
	s_barrier_wait -1
	global_inv scope:SCOPE_SE
.LBB31_184:                             ;   in Loop: Header=BB31_32 Depth=1
                                        ; implicit-def: $vgpr7_vgpr8_vgpr9_vgpr10
.LBB31_185:                             ;   in Loop: Header=BB31_32 Depth=1
	s_wait_alu 0xfffe
	s_or_saveexec_b32 s14, s14
	v_mov_b32_e32 v37, 8
	s_mov_b32 s15, 0
	s_wait_alu 0xfffe
	s_xor_b32 exec_lo, exec_lo, s14
; %bb.186:                              ;   in Loop: Header=BB31_32 Depth=1
	v_sub_co_u32 v11, vcc_lo, v11, v9
	s_wait_alu 0xfffd
	v_sub_co_ci_u32_e64 v12, null, v12, v10, vcc_lo
	v_mov_b32_e32 v37, 0
	s_mov_b32 s15, exec_lo
; %bb.187:                              ;   in Loop: Header=BB31_32 Depth=1
	s_or_b32 exec_lo, exec_lo, s14
	s_delay_alu instid0(VALU_DEP_2)
	v_dual_mov_b32 v7, v11 :: v_dual_mov_b32 v8, v12
	s_wait_alu 0xfffe
	s_and_b32 s14, s15, exec_lo
.LBB31_188:                             ;   in Loop: Header=BB31_32 Depth=1
	s_wait_alu 0xfffe
	s_or_b32 exec_lo, exec_lo, s5
	s_mov_b32 s5, -1
                                        ; implicit-def: $sgpr18
                                        ; implicit-def: $sgpr19
	s_and_saveexec_b32 s70, s14
	s_cbranch_execz .LBB31_282
; %bb.189:                              ;   in Loop: Header=BB31_32 Depth=1
	v_cmp_eq_u64_e32 vcc_lo, 1, v[7:8]
	s_cmp_eq_u64 s[10:11], 1
                                        ; implicit-def: $sgpr19
                                        ; implicit-def: $sgpr18
	s_cselect_b32 s5, -1, 0
	s_wait_alu 0xfffe
	s_and_b32 s71, s5, vcc_lo
	s_mov_b32 s5, -1
	s_wait_alu 0xfffe
	s_and_saveexec_b32 s72, s71
	s_cbranch_execz .LBB31_223
; %bb.190:                              ;   in Loop: Header=BB31_32 Depth=1
	ds_load_b64 v[3:4], v18 offset:5120
	s_wait_loadcnt_dscnt 0x0
	s_barrier_signal -1
	s_barrier_wait -1
	global_inv scope:SCOPE_SE
	v_readfirstlane_b32 s14, v3
	v_readfirstlane_b32 s15, v4
	s_and_saveexec_b32 s5, s3
; %bb.191:                              ;   in Loop: Header=BB31_32 Depth=1
	v_mov_b32_e32 v17, v18
	ds_store_b64 v47, v[17:18]
; %bb.192:                              ;   in Loop: Header=BB31_32 Depth=1
	s_wait_alu 0xfffe
	s_or_b32 exec_lo, exec_lo, s5
	v_and_b32_e32 v3, s13, v32
	v_and_b32_e32 v4, s12, v31
	v_cmp_gt_i64_e64 s5, s[14:15], 0
	s_lshl_b64 s[16:17], 2, s91
	v_or_b32_e32 v34, s9, v34
	s_wait_alu 0xfffe
	v_or_b32_e32 v32, s17, v3
	v_or_b32_e32 v31, s16, v4
	;; [unrolled: 1-line block ×3, first 2 shown]
	s_mov_b32 s18, -1
	s_mov_b32 s19, 0
	s_and_b32 vcc_lo, exec_lo, s5
	s_mov_b32 s5, 0
	s_mov_b32 s24, -1
	s_wait_loadcnt_dscnt 0x0
	s_barrier_signal -1
	s_barrier_wait -1
	global_inv scope:SCOPE_SE
                                        ; implicit-def: $vgpr5_vgpr6
	s_wait_alu 0xfffe
	s_cbranch_vccnz .LBB31_208
; %bb.193:                              ;   in Loop: Header=BB31_32 Depth=1
	s_mov_b32 s16, s25
	s_mov_b32 s17, s61
	s_wait_alu 0xfffe
	s_cmp_lg_u64 s[16:17], 0
	s_cbranch_scc0 .LBB31_249
; %bb.194:                              ;   in Loop: Header=BB31_32 Depth=1
	s_add_nc_u64 s[16:17], s[50:51], 0
	s_wait_alu 0xfffe
	s_xor_b64 s[16:17], s[16:17], 0
	s_wait_alu 0xfffe
	s_cvt_f32_u32 s5, s16
	s_cvt_f32_u32 s24, s17
	s_sub_nc_u64 s[76:77], 0, s[16:17]
	s_wait_alu 0xfffe
	s_delay_alu instid0(SALU_CYCLE_1) | instskip(SKIP_1) | instid1(SALU_CYCLE_2)
	s_fmamk_f32 s5, s24, 0x4f800000, s5
	s_wait_alu 0xfffe
	v_s_rcp_f32 s5, s5
	s_delay_alu instid0(TRANS32_DEP_1) | instskip(SKIP_1) | instid1(SALU_CYCLE_2)
	s_mul_f32 s5, s5, 0x5f7ffffc
	s_wait_alu 0xfffe
	s_mul_f32 s24, s5, 0x2f800000
	s_wait_alu 0xfffe
	s_delay_alu instid0(SALU_CYCLE_2) | instskip(SKIP_1) | instid1(SALU_CYCLE_2)
	s_trunc_f32 s24, s24
	s_wait_alu 0xfffe
	s_fmamk_f32 s5, s24, 0xcf800000, s5
	s_cvt_u32_f32 s75, s24
	s_wait_alu 0xfffe
	s_delay_alu instid0(SALU_CYCLE_1) | instskip(SKIP_1) | instid1(SALU_CYCLE_2)
	s_cvt_u32_f32 s74, s5
	s_wait_alu 0xfffe
	s_mul_u64 s[78:79], s[76:77], s[74:75]
	s_wait_alu 0xfffe
	s_mul_hi_u32 s81, s74, s79
	s_mul_i32 s80, s74, s79
	s_mul_hi_u32 s24, s74, s78
	s_mul_i32 s73, s75, s78
	s_wait_alu 0xfffe
	s_add_nc_u64 s[80:81], s[24:25], s[80:81]
	s_mul_hi_u32 s5, s75, s78
	s_mul_hi_u32 s82, s75, s79
	s_wait_alu 0xfffe
	s_add_co_u32 s24, s80, s73
	s_add_co_ci_u32 s24, s81, s5
	s_mul_i32 s78, s75, s79
	s_add_co_ci_u32 s79, s82, 0
	s_wait_alu 0xfffe
	s_add_nc_u64 s[78:79], s[24:25], s[78:79]
	s_wait_alu 0xfffe
	s_add_co_u32 s74, s74, s78
	s_cselect_b32 s5, -1, 0
	s_wait_alu 0xfffe
	s_cmp_lg_u32 s5, 0
	s_add_co_ci_u32 s75, s75, s79
	s_wait_alu 0xfffe
	s_mul_u64 s[76:77], s[76:77], s[74:75]
	s_wait_alu 0xfffe
	s_mul_hi_u32 s79, s74, s77
	s_mul_i32 s78, s74, s77
	s_mul_hi_u32 s24, s74, s76
	s_mul_i32 s73, s75, s76
	s_wait_alu 0xfffe
	s_add_nc_u64 s[78:79], s[24:25], s[78:79]
	s_mul_hi_u32 s5, s75, s76
	s_mul_hi_u32 s80, s75, s77
	s_wait_alu 0xfffe
	s_add_co_u32 s24, s78, s73
	s_add_co_ci_u32 s24, s79, s5
	s_mul_i32 s76, s75, s77
	s_add_co_ci_u32 s77, s80, 0
	s_wait_alu 0xfffe
	s_add_nc_u64 s[76:77], s[24:25], s[76:77]
	s_wait_alu 0xfffe
	s_add_co_u32 s5, s74, s76
	s_cselect_b32 s24, -1, 0
	s_wait_alu 0xfffe
	s_cmp_lg_u32 s24, 0
	s_add_co_ci_u32 s73, s75, s77
	s_ashr_i32 s74, s61, 31
	s_wait_alu 0xfffe
	s_mov_b32 s75, s74
	s_wait_alu 0xfffe
	s_add_nc_u64 s[76:77], s[60:61], s[74:75]
	s_wait_alu 0xfffe
	s_xor_b64 s[76:77], s[76:77], s[74:75]
	s_wait_alu 0xfffe
	s_mul_hi_u32 s79, s76, s73
	s_mul_i32 s78, s76, s73
	s_mul_hi_u32 s24, s76, s5
	s_mul_hi_u32 s82, s77, s5
	s_mul_i32 s5, s77, s5
	s_wait_alu 0xfffe
	s_add_nc_u64 s[78:79], s[24:25], s[78:79]
	s_mul_hi_u32 s81, s77, s73
	s_wait_alu 0xfffe
	s_add_co_u32 s5, s78, s5
	s_add_co_ci_u32 s24, s79, s82
	s_mul_i32 s80, s77, s73
	s_add_co_ci_u32 s81, s81, 0
	s_wait_alu 0xfffe
	s_add_nc_u64 s[78:79], s[24:25], s[80:81]
	s_wait_alu 0xfffe
	s_mul_u64 s[78:79], s[16:17], s[78:79]
	s_wait_alu 0xfffe
	s_sub_co_u32 s5, s76, s78
	s_cselect_b32 s24, -1, 0
	s_sub_co_i32 s73, s77, s79
	s_wait_alu 0xfffe
	s_cmp_lg_u32 s24, 0
	s_sub_co_ci_u32 s73, s73, s17
	s_sub_co_u32 s76, s5, s16
	s_cselect_b32 s78, -1, 0
	s_wait_alu 0xfffe
	s_cmp_lg_u32 s78, 0
	s_sub_co_ci_u32 s80, s73, 0
	s_wait_alu 0xfffe
	s_cmp_ge_u32 s80, s17
	s_cselect_b32 s81, -1, 0
	s_cmp_ge_u32 s76, s16
	s_cselect_b32 s82, -1, 0
	s_cmp_eq_u32 s80, s17
	s_wait_alu 0xfffe
	s_cselect_b32 s81, s82, s81
	s_cmp_lg_u32 s78, 0
	s_sub_co_ci_u32 s73, s73, s17
	s_sub_co_u32 s78, s76, s16
	s_cselect_b32 s82, -1, 0
	s_wait_alu 0xfffe
	s_cmp_lg_u32 s82, 0
	s_sub_co_ci_u32 s73, s73, 0
	s_cmp_lg_u32 s81, 0
	s_cselect_b32 s76, s78, s76
	s_wait_alu 0xfffe
	s_cselect_b32 s73, s73, s80
	s_cmp_lg_u32 s24, 0
	s_sub_co_ci_u32 s24, s77, s79
	s_wait_alu 0xfffe
	s_cmp_ge_u32 s24, s17
	s_cselect_b32 s77, -1, 0
	s_cmp_ge_u32 s5, s16
	s_cselect_b32 s16, -1, 0
	s_cmp_eq_u32 s24, s17
	s_wait_alu 0xfffe
	s_cselect_b32 s16, s16, s77
	s_wait_alu 0xfffe
	s_cmp_lg_u32 s16, 0
	s_cselect_b32 s17, s73, s24
	s_cselect_b32 s16, s76, s5
	s_wait_alu 0xfffe
	s_xor_b64 s[16:17], s[16:17], s[74:75]
	s_wait_alu 0xfffe
	s_sub_nc_u64 s[16:17], s[16:17], s[74:75]
	s_cbranch_execnz .LBB31_196
.LBB31_195:                             ;   in Loop: Header=BB31_32 Depth=1
	v_cvt_f32_u32_e32 v3, s50
	s_sub_co_i32 s16, 0, s50
	s_delay_alu instid0(VALU_DEP_1) | instskip(NEXT) | instid1(TRANS32_DEP_1)
	v_rcp_iflag_f32_e32 v3, v3
	v_mul_f32_e32 v3, 0x4f7ffffe, v3
	s_delay_alu instid0(VALU_DEP_1) | instskip(NEXT) | instid1(VALU_DEP_1)
	v_cvt_u32_f32_e32 v3, v3
	v_readfirstlane_b32 s5, v3
	s_wait_alu 0xfffe
	s_mul_i32 s16, s16, s5
	s_wait_alu 0xfffe
	s_mul_hi_u32 s16, s5, s16
	s_wait_alu 0xfffe
	s_add_co_i32 s5, s5, s16
	s_wait_alu 0xfffe
	s_mul_hi_u32 s5, s60, s5
	s_wait_alu 0xfffe
	s_mul_i32 s5, s5, s50
	s_wait_alu 0xfffe
	s_sub_co_i32 s5, s60, s5
	s_wait_alu 0xfffe
	s_sub_co_i32 s16, s5, s50
	s_cmp_ge_u32 s5, s50
	s_wait_alu 0xfffe
	s_cselect_b32 s5, s16, s5
	s_wait_alu 0xfffe
	s_sub_co_i32 s16, s5, s50
	s_cmp_ge_u32 s5, s50
	s_wait_alu 0xfffe
	s_cselect_b32 s24, s16, s5
	s_wait_alu 0xfffe
	s_mov_b64 s[16:17], s[24:25]
.LBB31_196:                             ;   in Loop: Header=BB31_32 Depth=1
	s_wait_alu 0xfffe
	s_sub_nc_u64 s[16:17], s[60:61], s[16:17]
	s_mov_b32 s24, 0
	s_mov_b32 s5, 0
	s_mov_b32 s73, exec_lo
                                        ; implicit-def: $vgpr5_vgpr6
	s_wait_alu 0xfffe
	v_cmpx_gt_i64_e64 s[16:17], v[0:1]
	s_cbranch_execz .LBB31_207
; %bb.197:                              ;   in Loop: Header=BB31_32 Depth=1
	v_dual_mov_b32 v9, v15 :: v_dual_mov_b32 v10, v16
	v_dual_mov_b32 v12, v1 :: v_dual_mov_b32 v11, v0
	s_mov_b32 s74, 0
                                        ; implicit-def: $sgpr75
	s_branch .LBB31_200
.LBB31_198:                             ;   in Loop: Header=BB31_200 Depth=2
	s_wait_alu 0xfffe
	s_or_b32 exec_lo, exec_lo, s5
	s_wait_loadcnt_dscnt 0x0
	s_barrier_signal -1
	s_barrier_wait -1
	global_inv scope:SCOPE_SE
	ds_load_b128 v[3:6], v18 offset:3072
	s_mov_b32 s5, -1
	s_mov_b32 s76, -1
	s_wait_loadcnt_dscnt 0x0
	s_barrier_signal -1
	s_barrier_wait -1
	global_inv scope:SCOPE_SE
	v_cmp_ne_u64_e32 vcc_lo, 0, v[3:4]
	s_cbranch_vccz .LBB31_203
.LBB31_199:                             ;   in Loop: Header=BB31_200 Depth=2
	s_wait_alu 0xfffe
	s_and_b32 s5, exec_lo, s5
	s_wait_alu 0xfffe
	s_or_b32 s74, s5, s74
	s_and_not1_b32 s5, s75, exec_lo
	s_and_b32 s75, s76, exec_lo
	s_wait_alu 0xfffe
	s_or_b32 s75, s5, s75
	s_and_not1_b32 exec_lo, exec_lo, s74
	s_cbranch_execz .LBB31_206
.LBB31_200:                             ;   Parent Loop BB31_32 Depth=1
                                        ; =>  This Inner Loop Header: Depth=2
	s_mov_b32 s5, exec_lo
	s_delay_alu instid0(VALU_DEP_1)
	v_cmpx_gt_i64_e64 s[36:37], v[11:12]
	s_cbranch_execz .LBB31_198
; %bb.201:                              ;   in Loop: Header=BB31_200 Depth=2
	global_load_b64 v[4:5], v[9:10], off
	s_wait_loadcnt 0x0
	v_xor_b32_e32 v3, 0x80000000, v5
	v_and_b32_e32 v13, v4, v33
	s_delay_alu instid0(VALU_DEP_2) | instskip(NEXT) | instid1(VALU_DEP_1)
	v_and_b32_e32 v14, v3, v34
	v_cmp_eq_u64_e32 vcc_lo, v[13:14], v[31:32]
	s_and_b32 exec_lo, exec_lo, vcc_lo
	s_cbranch_execz .LBB31_198
; %bb.202:                              ;   in Loop: Header=BB31_200 Depth=2
	v_mov_b32_e32 v3, v18
	ds_store_b128 v18, v[2:5] offset:3072
	s_branch .LBB31_198
.LBB31_203:                             ;   in Loop: Header=BB31_200 Depth=2
	v_add_co_u32 v11, vcc_lo, v11, s50
	s_wait_alu 0xfffd
	v_add_co_ci_u32_e64 v12, null, 0, v12, vcc_lo
	v_add_co_u32 v9, s5, v9, s52
	s_wait_alu 0xf1fe
	v_add_co_ci_u32_e64 v10, null, s53, v10, s5
	s_delay_alu instid0(VALU_DEP_3)
	v_cmp_le_i64_e32 vcc_lo, s[16:17], v[11:12]
	s_mov_b32 s76, 0
	s_or_not1_b32 s5, vcc_lo, exec_lo
	s_branch .LBB31_199
.LBB31_204:                             ;   in Loop: Header=BB31_32 Depth=1
                                        ; implicit-def: $sgpr16_sgpr17
	s_branch .LBB31_149
.LBB31_205:                             ;   in Loop: Header=BB31_32 Depth=1
                                        ; implicit-def: $sgpr18_sgpr19
	s_branch .LBB31_165
.LBB31_206:                             ;   in Loop: Header=BB31_32 Depth=1
	s_or_b32 exec_lo, exec_lo, s74
	s_wait_alu 0xfffe
	s_and_b32 s5, s75, exec_lo
.LBB31_207:                             ;   in Loop: Header=BB31_32 Depth=1
	s_or_b32 exec_lo, exec_lo, s73
.LBB31_208:                             ;   in Loop: Header=BB31_32 Depth=1
	s_delay_alu instid0(SALU_CYCLE_1)
	s_and_b32 vcc_lo, exec_lo, s24
	s_wait_alu 0xfffe
	s_cbranch_vccz .LBB31_222
; %bb.209:                              ;   in Loop: Header=BB31_32 Depth=1
	s_add_nc_u64 s[16:17], s[14:15], s[58:59]
	s_mov_b32 s18, s25
	s_wait_alu 0xfffe
	s_mov_b32 s19, s17
	s_delay_alu instid0(SALU_CYCLE_1)
	s_cmp_lg_u64 s[18:19], 0
	s_cbranch_scc0 .LBB31_250
; %bb.210:                              ;   in Loop: Header=BB31_32 Depth=1
	s_add_nc_u64 s[18:19], s[50:51], 0
	s_delay_alu instid0(SALU_CYCLE_1) | instskip(NEXT) | instid1(SALU_CYCLE_1)
	s_xor_b64 s[18:19], s[18:19], 0
	s_cvt_f32_u32 s24, s18
	s_cvt_f32_u32 s73, s19
	s_sub_nc_u64 s[76:77], 0, s[18:19]
	s_wait_alu 0xfffe
	s_delay_alu instid0(SALU_CYCLE_1) | instskip(SKIP_1) | instid1(SALU_CYCLE_2)
	s_fmamk_f32 s24, s73, 0x4f800000, s24
	s_wait_alu 0xfffe
	v_s_rcp_f32 s24, s24
	s_delay_alu instid0(TRANS32_DEP_1) | instskip(SKIP_1) | instid1(SALU_CYCLE_2)
	s_mul_f32 s24, s24, 0x5f7ffffc
	s_wait_alu 0xfffe
	s_mul_f32 s73, s24, 0x2f800000
	s_wait_alu 0xfffe
	s_delay_alu instid0(SALU_CYCLE_2) | instskip(SKIP_1) | instid1(SALU_CYCLE_2)
	s_trunc_f32 s73, s73
	s_wait_alu 0xfffe
	s_fmamk_f32 s24, s73, 0xcf800000, s24
	s_cvt_u32_f32 s75, s73
	s_wait_alu 0xfffe
	s_delay_alu instid0(SALU_CYCLE_1) | instskip(SKIP_1) | instid1(SALU_CYCLE_2)
	s_cvt_u32_f32 s74, s24
	s_wait_alu 0xfffe
	s_mul_u64 s[78:79], s[76:77], s[74:75]
	s_wait_alu 0xfffe
	s_mul_hi_u32 s81, s74, s79
	s_mul_i32 s80, s74, s79
	s_mul_hi_u32 s24, s74, s78
	s_mul_i32 s82, s75, s78
	s_wait_alu 0xfffe
	s_add_nc_u64 s[80:81], s[24:25], s[80:81]
	s_mul_hi_u32 s73, s75, s78
	s_mul_hi_u32 s83, s75, s79
	s_wait_alu 0xfffe
	s_add_co_u32 s24, s80, s82
	s_add_co_ci_u32 s24, s81, s73
	s_mul_i32 s78, s75, s79
	s_add_co_ci_u32 s79, s83, 0
	s_wait_alu 0xfffe
	s_add_nc_u64 s[78:79], s[24:25], s[78:79]
	s_wait_alu 0xfffe
	s_add_co_u32 s74, s74, s78
	s_cselect_b32 s24, -1, 0
	s_wait_alu 0xfffe
	s_cmp_lg_u32 s24, 0
	s_add_co_ci_u32 s75, s75, s79
	s_wait_alu 0xfffe
	s_mul_u64 s[76:77], s[76:77], s[74:75]
	s_wait_alu 0xfffe
	s_mul_hi_u32 s79, s74, s77
	s_mul_i32 s78, s74, s77
	s_mul_hi_u32 s24, s74, s76
	s_mul_i32 s80, s75, s76
	s_wait_alu 0xfffe
	s_add_nc_u64 s[78:79], s[24:25], s[78:79]
	s_mul_hi_u32 s73, s75, s76
	s_mul_hi_u32 s81, s75, s77
	s_wait_alu 0xfffe
	s_add_co_u32 s24, s78, s80
	s_add_co_ci_u32 s24, s79, s73
	s_mul_i32 s76, s75, s77
	s_add_co_ci_u32 s77, s81, 0
	s_wait_alu 0xfffe
	s_add_nc_u64 s[76:77], s[24:25], s[76:77]
	s_wait_alu 0xfffe
	s_add_co_u32 s73, s74, s76
	s_cselect_b32 s24, -1, 0
	s_wait_alu 0xfffe
	s_cmp_lg_u32 s24, 0
	s_add_co_ci_u32 s80, s75, s77
	s_ashr_i32 s74, s17, 31
	s_wait_alu 0xfffe
	s_mov_b32 s75, s74
	s_wait_alu 0xfffe
	s_add_nc_u64 s[76:77], s[16:17], s[74:75]
	s_wait_alu 0xfffe
	s_xor_b64 s[76:77], s[76:77], s[74:75]
	s_wait_alu 0xfffe
	s_mul_hi_u32 s79, s76, s80
	s_mul_i32 s78, s76, s80
	s_mul_hi_u32 s24, s76, s73
	s_mul_hi_u32 s82, s77, s73
	s_mul_i32 s73, s77, s73
	s_wait_alu 0xfffe
	s_add_nc_u64 s[78:79], s[24:25], s[78:79]
	s_mul_hi_u32 s81, s77, s80
	s_wait_alu 0xfffe
	s_add_co_u32 s24, s78, s73
	s_add_co_ci_u32 s24, s79, s82
	s_mul_i32 s80, s77, s80
	s_add_co_ci_u32 s81, s81, 0
	s_wait_alu 0xfffe
	s_add_nc_u64 s[78:79], s[24:25], s[80:81]
	s_wait_alu 0xfffe
	s_mul_u64 s[78:79], s[18:19], s[78:79]
	s_wait_alu 0xfffe
	s_sub_co_u32 s24, s76, s78
	s_cselect_b32 s73, -1, 0
	s_sub_co_i32 s76, s77, s79
	s_wait_alu 0xfffe
	s_cmp_lg_u32 s73, 0
	s_sub_co_ci_u32 s76, s76, s19
	s_sub_co_u32 s78, s24, s18
	s_cselect_b32 s80, -1, 0
	s_wait_alu 0xfffe
	s_cmp_lg_u32 s80, 0
	s_sub_co_ci_u32 s81, s76, 0
	s_wait_alu 0xfffe
	s_cmp_ge_u32 s81, s19
	s_cselect_b32 s82, -1, 0
	s_cmp_ge_u32 s78, s18
	s_cselect_b32 s83, -1, 0
	s_cmp_eq_u32 s81, s19
	s_wait_alu 0xfffe
	s_cselect_b32 s82, s83, s82
	s_cmp_lg_u32 s80, 0
	s_sub_co_ci_u32 s76, s76, s19
	s_sub_co_u32 s80, s78, s18
	s_cselect_b32 s83, -1, 0
	s_wait_alu 0xfffe
	s_cmp_lg_u32 s83, 0
	s_sub_co_ci_u32 s76, s76, 0
	s_cmp_lg_u32 s82, 0
	s_cselect_b32 s78, s80, s78
	s_wait_alu 0xfffe
	s_cselect_b32 s76, s76, s81
	s_cmp_lg_u32 s73, 0
	s_sub_co_ci_u32 s73, s77, s79
	s_wait_alu 0xfffe
	s_cmp_ge_u32 s73, s19
	s_cselect_b32 s77, -1, 0
	s_cmp_ge_u32 s24, s18
	s_cselect_b32 s18, -1, 0
	s_cmp_eq_u32 s73, s19
	s_wait_alu 0xfffe
	s_cselect_b32 s18, s18, s77
	s_delay_alu instid0(SALU_CYCLE_1) | instskip(SKIP_2) | instid1(SALU_CYCLE_1)
	s_cmp_lg_u32 s18, 0
	s_cselect_b32 s19, s76, s73
	s_cselect_b32 s18, s78, s24
	s_xor_b64 s[18:19], s[18:19], s[74:75]
	s_delay_alu instid0(SALU_CYCLE_1)
	s_sub_nc_u64 s[18:19], s[18:19], s[74:75]
	s_cbranch_execnz .LBB31_212
.LBB31_211:                             ;   in Loop: Header=BB31_32 Depth=1
	v_cvt_f32_u32_e32 v3, s50
	s_sub_co_i32 s19, 0, s50
	s_delay_alu instid0(VALU_DEP_1) | instskip(NEXT) | instid1(TRANS32_DEP_1)
	v_rcp_iflag_f32_e32 v3, v3
	v_mul_f32_e32 v3, 0x4f7ffffe, v3
	s_delay_alu instid0(VALU_DEP_1) | instskip(NEXT) | instid1(VALU_DEP_1)
	v_cvt_u32_f32_e32 v3, v3
	v_readfirstlane_b32 s18, v3
	s_mul_i32 s19, s19, s18
	s_delay_alu instid0(SALU_CYCLE_1) | instskip(NEXT) | instid1(SALU_CYCLE_1)
	s_mul_hi_u32 s19, s18, s19
	s_add_co_i32 s18, s18, s19
	s_delay_alu instid0(SALU_CYCLE_1) | instskip(NEXT) | instid1(SALU_CYCLE_1)
	s_mul_hi_u32 s18, s16, s18
	s_mul_i32 s18, s18, s50
	s_delay_alu instid0(SALU_CYCLE_1) | instskip(NEXT) | instid1(SALU_CYCLE_1)
	s_sub_co_i32 s18, s16, s18
	s_sub_co_i32 s19, s18, s50
	s_cmp_ge_u32 s18, s50
	s_cselect_b32 s18, s19, s18
	s_delay_alu instid0(SALU_CYCLE_1)
	s_sub_co_i32 s19, s18, s50
	s_cmp_ge_u32 s18, s50
	s_cselect_b32 s24, s19, s18
	s_wait_alu 0xfffe
	s_mov_b64 s[18:19], s[24:25]
.LBB31_212:                             ;   in Loop: Header=BB31_32 Depth=1
	s_delay_alu instid0(SALU_CYCLE_1)
	s_sub_nc_u64 s[16:17], s[16:17], s[18:19]
	s_mov_b32 s18, exec_lo
                                        ; implicit-def: $vgpr5_vgpr6
	s_wait_alu 0xfffe
	v_cmpx_gt_i64_e64 s[16:17], v[0:1]
	s_cbranch_execz .LBB31_221
; %bb.213:                              ;   in Loop: Header=BB31_32 Depth=1
	v_dual_mov_b32 v11, v46 :: v_dual_mov_b32 v10, v1
	v_mov_b32_e32 v9, v0
	s_mov_b32 s19, 0
                                        ; implicit-def: $sgpr24
	s_branch .LBB31_216
.LBB31_214:                             ;   in Loop: Header=BB31_216 Depth=2
	s_wait_alu 0xfffe
	s_or_b32 exec_lo, exec_lo, s73
	s_wait_loadcnt_dscnt 0x0
	s_barrier_signal -1
	s_barrier_wait -1
	global_inv scope:SCOPE_SE
	ds_load_b128 v[3:6], v18 offset:3072
	s_mov_b32 s73, -1
	s_mov_b32 s74, -1
	s_wait_loadcnt_dscnt 0x0
	s_barrier_signal -1
	s_barrier_wait -1
	global_inv scope:SCOPE_SE
	v_cmp_eq_u64_e32 vcc_lo, 0, v[3:4]
	s_cbranch_vccnz .LBB31_219
.LBB31_215:                             ;   in Loop: Header=BB31_216 Depth=2
	s_wait_alu 0xfffe
	s_and_b32 s73, exec_lo, s73
	s_wait_alu 0xfffe
	s_or_b32 s19, s73, s19
	s_and_not1_b32 s24, s24, exec_lo
	s_and_b32 s73, s74, exec_lo
	s_wait_alu 0xfffe
	s_or_b32 s24, s24, s73
	s_and_not1_b32 exec_lo, exec_lo, s19
	s_cbranch_execz .LBB31_220
.LBB31_216:                             ;   Parent Loop BB31_32 Depth=1
                                        ; =>  This Inner Loop Header: Depth=2
	s_mov_b32 s73, exec_lo
	s_delay_alu instid0(VALU_DEP_1)
	v_cmpx_gt_u64_e64 s[14:15], v[9:10]
	s_cbranch_execz .LBB31_214
; %bb.217:                              ;   in Loop: Header=BB31_216 Depth=2
	ds_load_b64 v[4:5], v11
	s_wait_dscnt 0x0
	v_xor_b32_e32 v3, 0x80000000, v5
	v_and_b32_e32 v12, v4, v33
	s_delay_alu instid0(VALU_DEP_2) | instskip(NEXT) | instid1(VALU_DEP_1)
	v_and_b32_e32 v13, v3, v34
	v_cmp_eq_u64_e32 vcc_lo, v[12:13], v[31:32]
	s_and_b32 exec_lo, exec_lo, vcc_lo
	s_cbranch_execz .LBB31_214
; %bb.218:                              ;   in Loop: Header=BB31_216 Depth=2
	v_mov_b32_e32 v3, v18
	ds_store_b128 v18, v[2:5] offset:3072
	s_branch .LBB31_214
.LBB31_219:                             ;   in Loop: Header=BB31_216 Depth=2
	v_add_co_u32 v9, vcc_lo, v9, s50
	s_wait_alu 0xfffd
	v_add_co_ci_u32_e64 v10, null, 0, v10, vcc_lo
	v_add_nc_u32_e32 v11, s90, v11
	s_mov_b32 s74, 0
	s_delay_alu instid0(VALU_DEP_2)
	v_cmp_le_i64_e32 vcc_lo, s[16:17], v[9:10]
	s_or_not1_b32 s73, vcc_lo, exec_lo
	s_branch .LBB31_215
.LBB31_220:                             ;   in Loop: Header=BB31_32 Depth=1
	s_or_b32 exec_lo, exec_lo, s19
	s_delay_alu instid0(SALU_CYCLE_1)
	s_and_not1_b32 s5, s5, exec_lo
	s_wait_alu 0xfffe
	s_and_b32 s14, s24, exec_lo
	s_wait_alu 0xfffe
	s_or_b32 s5, s5, s14
.LBB31_221:                             ;   in Loop: Header=BB31_32 Depth=1
	s_or_b32 exec_lo, exec_lo, s18
	s_mov_b32 s18, 0
	s_mov_b32 s19, -1
.LBB31_222:                             ;   in Loop: Header=BB31_32 Depth=1
	s_wait_alu 0xfffe
	s_or_not1_b32 s5, s5, exec_lo
.LBB31_223:                             ;   in Loop: Header=BB31_32 Depth=1
	s_wait_alu 0xfffe
	s_or_b32 exec_lo, exec_lo, s72
	s_mov_b32 s14, 0
	s_and_saveexec_b32 s16, s5
	s_cbranch_execz .LBB31_281
; %bb.224:                              ;   in Loop: Header=BB31_32 Depth=1
	v_mov_b32_e32 v9, 1
	v_dual_mov_b32 v10, 0 :: v_dual_mov_b32 v37, 1
	s_xor_b32 s14, s71, -1
	s_mov_b32 s24, 0
	s_wait_alu 0xfffe
	s_and_saveexec_b32 s5, s14
	s_cbranch_execz .LBB31_233
; %bb.225:                              ;   in Loop: Header=BB31_32 Depth=1
	s_mov_b32 s14, exec_lo
	v_cmpx_ge_i64_e64 s[10:11], v[7:8]
	s_wait_alu 0xfffe
	s_xor_b32 s14, exec_lo, s14
	s_cbranch_execz .LBB31_230
; %bb.226:                              ;   in Loop: Header=BB31_32 Depth=1
	ds_load_b64 v[3:4], v18 offset:5120
	v_and_b32_e32 v9, s13, v32
	v_and_b32_e32 v10, s12, v31
	s_lshl_b64 s[12:13], 2, s91
	v_or_b32_e32 v34, s9, v34
	v_or_b32_e32 v33, s8, v33
	s_wait_alu 0xfffe
	v_or_b32_e32 v32, s13, v9
	v_or_b32_e32 v31, s12, v10
	s_wait_dscnt 0x0
	v_cmp_ne_u64_e32 vcc_lo, 0, v[3:4]
	s_cbranch_vccnz .LBB31_230
; %bb.227:                              ;   in Loop: Header=BB31_32 Depth=1
	s_and_saveexec_b32 s12, s2
; %bb.228:                              ;   in Loop: Header=BB31_32 Depth=1
	v_dual_mov_b32 v3, s10 :: v_dual_mov_b32 v4, s11
	ds_store_b64 v18, v[3:4] offset:5128
; %bb.229:                              ;   in Loop: Header=BB31_32 Depth=1
	s_wait_alu 0xfffe
	s_or_b32 exec_lo, exec_lo, s12
	s_wait_loadcnt_dscnt 0x0
	s_barrier_signal -1
	s_barrier_wait -1
	global_inv scope:SCOPE_SE
.LBB31_230:                             ;   in Loop: Header=BB31_32 Depth=1
	s_wait_alu 0xfffe
	s_or_saveexec_b32 s12, s14
	v_mov_b32_e32 v37, 8
	s_mov_b32 s13, 0
	s_wait_alu 0xfffe
	s_xor_b32 exec_lo, exec_lo, s12
; %bb.231:                              ;   in Loop: Header=BB31_32 Depth=1
	v_sub_co_u32 v7, vcc_lo, v7, s10
	s_wait_alu 0xfffd
	v_subrev_co_ci_u32_e64 v8, null, s11, v8, vcc_lo
	v_mov_b32_e32 v37, 0
	s_mov_b32 s13, exec_lo
; %bb.232:                              ;   in Loop: Header=BB31_32 Depth=1
	s_or_b32 exec_lo, exec_lo, s12
	s_delay_alu instid0(VALU_DEP_2)
	v_dual_mov_b32 v10, v8 :: v_dual_mov_b32 v9, v7
	s_wait_alu 0xfffe
	s_and_b32 s24, s13, exec_lo
.LBB31_233:                             ;   in Loop: Header=BB31_32 Depth=1
	s_wait_alu 0xfffe
	s_or_b32 exec_lo, exec_lo, s5
	s_mov_b32 s5, -1
                                        ; implicit-def: $sgpr15
                                        ; implicit-def: $sgpr14
	s_and_saveexec_b32 s17, s24
	s_cbranch_execz .LBB31_280
; %bb.234:                              ;   in Loop: Header=BB31_32 Depth=1
	v_cmp_eq_u64_e32 vcc_lo, 1, v[9:10]
	s_cmp_eq_u64 s[6:7], 1
	s_mov_b32 s10, -1
	s_cselect_b32 s5, -1, 0
                                        ; implicit-def: $sgpr15
                                        ; implicit-def: $sgpr14
	s_wait_alu 0xfffe
	s_and_b32 s71, s5, vcc_lo
	s_wait_alu 0xfffe
	s_and_saveexec_b32 s72, s71
	s_cbranch_execz .LBB31_268
; %bb.235:                              ;   in Loop: Header=BB31_32 Depth=1
	ds_load_b64 v[3:4], v18 offset:5120
	s_wait_loadcnt_dscnt 0x0
	s_barrier_signal -1
	s_barrier_wait -1
	global_inv scope:SCOPE_SE
	v_readfirstlane_b32 s10, v3
	v_readfirstlane_b32 s11, v4
	s_and_saveexec_b32 s5, s3
; %bb.236:                              ;   in Loop: Header=BB31_32 Depth=1
	v_mov_b32_e32 v17, v18
	ds_store_b64 v47, v[17:18]
; %bb.237:                              ;   in Loop: Header=BB31_32 Depth=1
	s_wait_alu 0xfffe
	s_or_b32 exec_lo, exec_lo, s5
	v_cmp_gt_i64_e64 s5, s[10:11], 0
	v_or_b32_e32 v32, s9, v32
	v_or_b32_e32 v31, s8, v31
	;; [unrolled: 1-line block ×4, first 2 shown]
	s_mov_b32 s14, -1
	s_mov_b32 s15, 0
	s_and_b32 vcc_lo, exec_lo, s5
	s_mov_b32 s5, 0
	s_mov_b32 s24, -1
	s_wait_loadcnt_dscnt 0x0
	s_barrier_signal -1
	s_barrier_wait -1
	global_inv scope:SCOPE_SE
                                        ; implicit-def: $vgpr5_vgpr6
	s_wait_alu 0xfffe
	s_cbranch_vccnz .LBB31_253
; %bb.238:                              ;   in Loop: Header=BB31_32 Depth=1
	s_mov_b32 s12, s25
	s_mov_b32 s13, s61
	s_wait_alu 0xfffe
	s_cmp_lg_u64 s[12:13], 0
	s_cbranch_scc0 .LBB31_287
; %bb.239:                              ;   in Loop: Header=BB31_32 Depth=1
	s_add_nc_u64 s[12:13], s[50:51], 0
	s_wait_alu 0xfffe
	s_xor_b64 s[12:13], s[12:13], 0
	s_wait_alu 0xfffe
	s_cvt_f32_u32 s5, s12
	s_cvt_f32_u32 s24, s13
	s_sub_nc_u64 s[76:77], 0, s[12:13]
	s_wait_alu 0xfffe
	s_delay_alu instid0(SALU_CYCLE_1) | instskip(SKIP_1) | instid1(SALU_CYCLE_2)
	s_fmamk_f32 s5, s24, 0x4f800000, s5
	s_wait_alu 0xfffe
	v_s_rcp_f32 s5, s5
	s_delay_alu instid0(TRANS32_DEP_1) | instskip(SKIP_1) | instid1(SALU_CYCLE_2)
	s_mul_f32 s5, s5, 0x5f7ffffc
	s_wait_alu 0xfffe
	s_mul_f32 s24, s5, 0x2f800000
	s_wait_alu 0xfffe
	s_delay_alu instid0(SALU_CYCLE_2) | instskip(SKIP_1) | instid1(SALU_CYCLE_2)
	s_trunc_f32 s24, s24
	s_wait_alu 0xfffe
	s_fmamk_f32 s5, s24, 0xcf800000, s5
	s_cvt_u32_f32 s75, s24
	s_wait_alu 0xfffe
	s_delay_alu instid0(SALU_CYCLE_1) | instskip(SKIP_1) | instid1(SALU_CYCLE_2)
	s_cvt_u32_f32 s74, s5
	s_wait_alu 0xfffe
	s_mul_u64 s[78:79], s[76:77], s[74:75]
	s_wait_alu 0xfffe
	s_mul_hi_u32 s81, s74, s79
	s_mul_i32 s80, s74, s79
	s_mul_hi_u32 s24, s74, s78
	s_mul_i32 s73, s75, s78
	s_wait_alu 0xfffe
	s_add_nc_u64 s[80:81], s[24:25], s[80:81]
	s_mul_hi_u32 s5, s75, s78
	s_mul_hi_u32 s82, s75, s79
	s_wait_alu 0xfffe
	s_add_co_u32 s24, s80, s73
	s_add_co_ci_u32 s24, s81, s5
	s_mul_i32 s78, s75, s79
	s_add_co_ci_u32 s79, s82, 0
	s_wait_alu 0xfffe
	s_add_nc_u64 s[78:79], s[24:25], s[78:79]
	s_wait_alu 0xfffe
	s_add_co_u32 s74, s74, s78
	s_cselect_b32 s5, -1, 0
	s_wait_alu 0xfffe
	s_cmp_lg_u32 s5, 0
	s_add_co_ci_u32 s75, s75, s79
	s_wait_alu 0xfffe
	s_mul_u64 s[76:77], s[76:77], s[74:75]
	s_wait_alu 0xfffe
	s_mul_hi_u32 s79, s74, s77
	s_mul_i32 s78, s74, s77
	s_mul_hi_u32 s24, s74, s76
	s_mul_i32 s73, s75, s76
	s_wait_alu 0xfffe
	s_add_nc_u64 s[78:79], s[24:25], s[78:79]
	s_mul_hi_u32 s5, s75, s76
	s_mul_hi_u32 s80, s75, s77
	s_wait_alu 0xfffe
	s_add_co_u32 s24, s78, s73
	s_add_co_ci_u32 s24, s79, s5
	s_mul_i32 s76, s75, s77
	s_add_co_ci_u32 s77, s80, 0
	s_wait_alu 0xfffe
	s_add_nc_u64 s[76:77], s[24:25], s[76:77]
	s_wait_alu 0xfffe
	s_add_co_u32 s5, s74, s76
	s_cselect_b32 s24, -1, 0
	s_wait_alu 0xfffe
	s_cmp_lg_u32 s24, 0
	s_add_co_ci_u32 s73, s75, s77
	s_ashr_i32 s74, s61, 31
	s_wait_alu 0xfffe
	s_mov_b32 s75, s74
	s_wait_alu 0xfffe
	s_add_nc_u64 s[76:77], s[60:61], s[74:75]
	s_wait_alu 0xfffe
	s_xor_b64 s[76:77], s[76:77], s[74:75]
	s_wait_alu 0xfffe
	s_mul_hi_u32 s79, s76, s73
	s_mul_i32 s78, s76, s73
	s_mul_hi_u32 s24, s76, s5
	s_mul_hi_u32 s82, s77, s5
	s_mul_i32 s5, s77, s5
	s_wait_alu 0xfffe
	s_add_nc_u64 s[78:79], s[24:25], s[78:79]
	s_mul_hi_u32 s81, s77, s73
	s_wait_alu 0xfffe
	s_add_co_u32 s5, s78, s5
	s_add_co_ci_u32 s24, s79, s82
	s_mul_i32 s80, s77, s73
	s_add_co_ci_u32 s81, s81, 0
	s_wait_alu 0xfffe
	s_add_nc_u64 s[78:79], s[24:25], s[80:81]
	s_wait_alu 0xfffe
	s_mul_u64 s[78:79], s[12:13], s[78:79]
	s_wait_alu 0xfffe
	s_sub_co_u32 s5, s76, s78
	s_cselect_b32 s24, -1, 0
	s_sub_co_i32 s73, s77, s79
	s_wait_alu 0xfffe
	s_cmp_lg_u32 s24, 0
	s_sub_co_ci_u32 s73, s73, s13
	s_sub_co_u32 s76, s5, s12
	s_cselect_b32 s78, -1, 0
	s_wait_alu 0xfffe
	s_cmp_lg_u32 s78, 0
	s_sub_co_ci_u32 s80, s73, 0
	s_wait_alu 0xfffe
	s_cmp_ge_u32 s80, s13
	s_cselect_b32 s81, -1, 0
	s_cmp_ge_u32 s76, s12
	s_cselect_b32 s82, -1, 0
	s_cmp_eq_u32 s80, s13
	s_wait_alu 0xfffe
	s_cselect_b32 s81, s82, s81
	s_cmp_lg_u32 s78, 0
	s_sub_co_ci_u32 s73, s73, s13
	s_sub_co_u32 s78, s76, s12
	s_cselect_b32 s82, -1, 0
	s_wait_alu 0xfffe
	s_cmp_lg_u32 s82, 0
	s_sub_co_ci_u32 s73, s73, 0
	s_cmp_lg_u32 s81, 0
	s_cselect_b32 s76, s78, s76
	s_wait_alu 0xfffe
	s_cselect_b32 s73, s73, s80
	s_cmp_lg_u32 s24, 0
	s_sub_co_ci_u32 s24, s77, s79
	s_wait_alu 0xfffe
	s_cmp_ge_u32 s24, s13
	s_cselect_b32 s77, -1, 0
	s_cmp_ge_u32 s5, s12
	s_cselect_b32 s12, -1, 0
	s_cmp_eq_u32 s24, s13
	s_wait_alu 0xfffe
	s_cselect_b32 s12, s12, s77
	s_wait_alu 0xfffe
	s_cmp_lg_u32 s12, 0
	s_cselect_b32 s13, s73, s24
	s_cselect_b32 s12, s76, s5
	s_wait_alu 0xfffe
	s_xor_b64 s[12:13], s[12:13], s[74:75]
	s_wait_alu 0xfffe
	s_sub_nc_u64 s[12:13], s[12:13], s[74:75]
	s_cbranch_execnz .LBB31_241
.LBB31_240:                             ;   in Loop: Header=BB31_32 Depth=1
	v_cvt_f32_u32_e32 v3, s50
	s_sub_co_i32 s12, 0, s50
	s_delay_alu instid0(VALU_DEP_1) | instskip(NEXT) | instid1(TRANS32_DEP_1)
	v_rcp_iflag_f32_e32 v3, v3
	v_mul_f32_e32 v3, 0x4f7ffffe, v3
	s_delay_alu instid0(VALU_DEP_1) | instskip(NEXT) | instid1(VALU_DEP_1)
	v_cvt_u32_f32_e32 v3, v3
	v_readfirstlane_b32 s5, v3
	s_wait_alu 0xfffe
	s_mul_i32 s12, s12, s5
	s_wait_alu 0xfffe
	s_mul_hi_u32 s12, s5, s12
	s_wait_alu 0xfffe
	s_add_co_i32 s5, s5, s12
	s_wait_alu 0xfffe
	s_mul_hi_u32 s5, s60, s5
	s_wait_alu 0xfffe
	s_mul_i32 s5, s5, s50
	s_wait_alu 0xfffe
	s_sub_co_i32 s5, s60, s5
	s_wait_alu 0xfffe
	s_sub_co_i32 s12, s5, s50
	s_cmp_ge_u32 s5, s50
	s_wait_alu 0xfffe
	s_cselect_b32 s5, s12, s5
	s_wait_alu 0xfffe
	s_sub_co_i32 s12, s5, s50
	s_cmp_ge_u32 s5, s50
	s_wait_alu 0xfffe
	s_cselect_b32 s24, s12, s5
	s_wait_alu 0xfffe
	s_mov_b64 s[12:13], s[24:25]
.LBB31_241:                             ;   in Loop: Header=BB31_32 Depth=1
	s_wait_alu 0xfffe
	s_sub_nc_u64 s[12:13], s[60:61], s[12:13]
	s_mov_b32 s24, 0
	s_mov_b32 s5, 0
	s_mov_b32 s73, exec_lo
                                        ; implicit-def: $vgpr5_vgpr6
	s_wait_alu 0xfffe
	v_cmpx_gt_i64_e64 s[12:13], v[0:1]
	s_cbranch_execz .LBB31_252
; %bb.242:                              ;   in Loop: Header=BB31_32 Depth=1
	v_dual_mov_b32 v7, v15 :: v_dual_mov_b32 v8, v16
	v_dual_mov_b32 v12, v1 :: v_dual_mov_b32 v11, v0
	s_mov_b32 s74, 0
                                        ; implicit-def: $sgpr75
	s_branch .LBB31_245
.LBB31_243:                             ;   in Loop: Header=BB31_245 Depth=2
	s_wait_alu 0xfffe
	s_or_b32 exec_lo, exec_lo, s5
	s_wait_loadcnt_dscnt 0x0
	s_barrier_signal -1
	s_barrier_wait -1
	global_inv scope:SCOPE_SE
	ds_load_b128 v[3:6], v18 offset:3072
	s_mov_b32 s5, -1
	s_mov_b32 s76, -1
	s_wait_loadcnt_dscnt 0x0
	s_barrier_signal -1
	s_barrier_wait -1
	global_inv scope:SCOPE_SE
	v_cmp_ne_u64_e32 vcc_lo, 0, v[3:4]
	s_cbranch_vccz .LBB31_248
.LBB31_244:                             ;   in Loop: Header=BB31_245 Depth=2
	s_wait_alu 0xfffe
	s_and_b32 s5, exec_lo, s5
	s_wait_alu 0xfffe
	s_or_b32 s74, s5, s74
	s_and_not1_b32 s5, s75, exec_lo
	s_and_b32 s75, s76, exec_lo
	s_wait_alu 0xfffe
	s_or_b32 s75, s5, s75
	s_and_not1_b32 exec_lo, exec_lo, s74
	s_cbranch_execz .LBB31_251
.LBB31_245:                             ;   Parent Loop BB31_32 Depth=1
                                        ; =>  This Inner Loop Header: Depth=2
	s_mov_b32 s5, exec_lo
	s_delay_alu instid0(VALU_DEP_1)
	v_cmpx_gt_i64_e64 s[36:37], v[11:12]
	s_cbranch_execz .LBB31_243
; %bb.246:                              ;   in Loop: Header=BB31_245 Depth=2
	global_load_b64 v[4:5], v[7:8], off
	s_wait_loadcnt 0x0
	v_xor_b32_e32 v3, 0x80000000, v5
	v_and_b32_e32 v13, v4, v33
	s_delay_alu instid0(VALU_DEP_2) | instskip(NEXT) | instid1(VALU_DEP_1)
	v_and_b32_e32 v14, v3, v34
	v_cmp_eq_u64_e32 vcc_lo, v[13:14], v[31:32]
	s_and_b32 exec_lo, exec_lo, vcc_lo
	s_cbranch_execz .LBB31_243
; %bb.247:                              ;   in Loop: Header=BB31_245 Depth=2
	v_mov_b32_e32 v3, v18
	ds_store_b128 v18, v[2:5] offset:3072
	s_branch .LBB31_243
.LBB31_248:                             ;   in Loop: Header=BB31_245 Depth=2
	v_add_co_u32 v11, vcc_lo, v11, s50
	s_wait_alu 0xfffd
	v_add_co_ci_u32_e64 v12, null, 0, v12, vcc_lo
	v_add_co_u32 v7, s5, v7, s52
	s_wait_alu 0xf1fe
	v_add_co_ci_u32_e64 v8, null, s53, v8, s5
	s_delay_alu instid0(VALU_DEP_3)
	v_cmp_le_i64_e32 vcc_lo, s[12:13], v[11:12]
	s_mov_b32 s76, 0
	s_or_not1_b32 s5, vcc_lo, exec_lo
	s_branch .LBB31_244
.LBB31_249:                             ;   in Loop: Header=BB31_32 Depth=1
                                        ; implicit-def: $sgpr16_sgpr17
	s_branch .LBB31_195
.LBB31_250:                             ;   in Loop: Header=BB31_32 Depth=1
                                        ; implicit-def: $sgpr18_sgpr19
	s_branch .LBB31_211
.LBB31_251:                             ;   in Loop: Header=BB31_32 Depth=1
	s_or_b32 exec_lo, exec_lo, s74
	s_wait_alu 0xfffe
	s_and_b32 s5, s75, exec_lo
.LBB31_252:                             ;   in Loop: Header=BB31_32 Depth=1
	s_or_b32 exec_lo, exec_lo, s73
.LBB31_253:                             ;   in Loop: Header=BB31_32 Depth=1
	s_delay_alu instid0(SALU_CYCLE_1)
	s_and_b32 vcc_lo, exec_lo, s24
	s_wait_alu 0xfffe
	s_cbranch_vccz .LBB31_267
; %bb.254:                              ;   in Loop: Header=BB31_32 Depth=1
	s_add_nc_u64 s[12:13], s[10:11], s[58:59]
	s_mov_b32 s14, s25
	s_wait_alu 0xfffe
	s_mov_b32 s15, s13
	s_wait_alu 0xfffe
	s_cmp_lg_u64 s[14:15], 0
	s_cbranch_scc0 .LBB31_288
; %bb.255:                              ;   in Loop: Header=BB31_32 Depth=1
	s_add_nc_u64 s[14:15], s[50:51], 0
	s_wait_alu 0xfffe
	s_xor_b64 s[14:15], s[14:15], 0
	s_wait_alu 0xfffe
	s_cvt_f32_u32 s24, s14
	s_cvt_f32_u32 s73, s15
	s_sub_nc_u64 s[76:77], 0, s[14:15]
	s_wait_alu 0xfffe
	s_delay_alu instid0(SALU_CYCLE_1) | instskip(SKIP_1) | instid1(SALU_CYCLE_2)
	s_fmamk_f32 s24, s73, 0x4f800000, s24
	s_wait_alu 0xfffe
	v_s_rcp_f32 s24, s24
	s_delay_alu instid0(TRANS32_DEP_1) | instskip(SKIP_1) | instid1(SALU_CYCLE_2)
	s_mul_f32 s24, s24, 0x5f7ffffc
	s_wait_alu 0xfffe
	s_mul_f32 s73, s24, 0x2f800000
	s_wait_alu 0xfffe
	s_delay_alu instid0(SALU_CYCLE_2) | instskip(SKIP_1) | instid1(SALU_CYCLE_2)
	s_trunc_f32 s73, s73
	s_wait_alu 0xfffe
	s_fmamk_f32 s24, s73, 0xcf800000, s24
	s_cvt_u32_f32 s75, s73
	s_wait_alu 0xfffe
	s_delay_alu instid0(SALU_CYCLE_1) | instskip(SKIP_1) | instid1(SALU_CYCLE_2)
	s_cvt_u32_f32 s74, s24
	s_wait_alu 0xfffe
	s_mul_u64 s[78:79], s[76:77], s[74:75]
	s_wait_alu 0xfffe
	s_mul_hi_u32 s81, s74, s79
	s_mul_i32 s80, s74, s79
	s_mul_hi_u32 s24, s74, s78
	s_mul_i32 s82, s75, s78
	s_wait_alu 0xfffe
	s_add_nc_u64 s[80:81], s[24:25], s[80:81]
	s_mul_hi_u32 s73, s75, s78
	s_mul_hi_u32 s83, s75, s79
	s_wait_alu 0xfffe
	s_add_co_u32 s24, s80, s82
	s_add_co_ci_u32 s24, s81, s73
	s_mul_i32 s78, s75, s79
	s_add_co_ci_u32 s79, s83, 0
	s_wait_alu 0xfffe
	s_add_nc_u64 s[78:79], s[24:25], s[78:79]
	s_wait_alu 0xfffe
	s_add_co_u32 s74, s74, s78
	s_cselect_b32 s24, -1, 0
	s_wait_alu 0xfffe
	s_cmp_lg_u32 s24, 0
	s_add_co_ci_u32 s75, s75, s79
	s_wait_alu 0xfffe
	s_mul_u64 s[76:77], s[76:77], s[74:75]
	s_wait_alu 0xfffe
	s_mul_hi_u32 s79, s74, s77
	s_mul_i32 s78, s74, s77
	s_mul_hi_u32 s24, s74, s76
	s_mul_i32 s80, s75, s76
	s_wait_alu 0xfffe
	s_add_nc_u64 s[78:79], s[24:25], s[78:79]
	s_mul_hi_u32 s73, s75, s76
	s_mul_hi_u32 s81, s75, s77
	s_wait_alu 0xfffe
	s_add_co_u32 s24, s78, s80
	s_add_co_ci_u32 s24, s79, s73
	s_mul_i32 s76, s75, s77
	s_add_co_ci_u32 s77, s81, 0
	s_wait_alu 0xfffe
	s_add_nc_u64 s[76:77], s[24:25], s[76:77]
	s_wait_alu 0xfffe
	s_add_co_u32 s73, s74, s76
	s_cselect_b32 s24, -1, 0
	s_wait_alu 0xfffe
	s_cmp_lg_u32 s24, 0
	s_add_co_ci_u32 s80, s75, s77
	s_ashr_i32 s74, s13, 31
	s_wait_alu 0xfffe
	s_mov_b32 s75, s74
	s_wait_alu 0xfffe
	s_add_nc_u64 s[76:77], s[12:13], s[74:75]
	s_wait_alu 0xfffe
	s_xor_b64 s[76:77], s[76:77], s[74:75]
	s_wait_alu 0xfffe
	s_mul_hi_u32 s79, s76, s80
	s_mul_i32 s78, s76, s80
	s_mul_hi_u32 s24, s76, s73
	s_mul_hi_u32 s82, s77, s73
	s_mul_i32 s73, s77, s73
	s_wait_alu 0xfffe
	s_add_nc_u64 s[78:79], s[24:25], s[78:79]
	s_mul_hi_u32 s81, s77, s80
	s_wait_alu 0xfffe
	s_add_co_u32 s24, s78, s73
	s_add_co_ci_u32 s24, s79, s82
	s_mul_i32 s80, s77, s80
	s_add_co_ci_u32 s81, s81, 0
	s_wait_alu 0xfffe
	s_add_nc_u64 s[78:79], s[24:25], s[80:81]
	s_wait_alu 0xfffe
	s_mul_u64 s[78:79], s[14:15], s[78:79]
	s_wait_alu 0xfffe
	s_sub_co_u32 s24, s76, s78
	s_cselect_b32 s73, -1, 0
	s_sub_co_i32 s76, s77, s79
	s_wait_alu 0xfffe
	s_cmp_lg_u32 s73, 0
	s_sub_co_ci_u32 s76, s76, s15
	s_sub_co_u32 s78, s24, s14
	s_cselect_b32 s80, -1, 0
	s_wait_alu 0xfffe
	s_cmp_lg_u32 s80, 0
	s_sub_co_ci_u32 s81, s76, 0
	s_wait_alu 0xfffe
	s_cmp_ge_u32 s81, s15
	s_cselect_b32 s82, -1, 0
	s_cmp_ge_u32 s78, s14
	s_cselect_b32 s83, -1, 0
	s_cmp_eq_u32 s81, s15
	s_wait_alu 0xfffe
	s_cselect_b32 s82, s83, s82
	s_cmp_lg_u32 s80, 0
	s_sub_co_ci_u32 s76, s76, s15
	s_sub_co_u32 s80, s78, s14
	s_cselect_b32 s83, -1, 0
	s_wait_alu 0xfffe
	s_cmp_lg_u32 s83, 0
	s_sub_co_ci_u32 s76, s76, 0
	s_cmp_lg_u32 s82, 0
	s_cselect_b32 s78, s80, s78
	s_wait_alu 0xfffe
	s_cselect_b32 s76, s76, s81
	s_cmp_lg_u32 s73, 0
	s_sub_co_ci_u32 s73, s77, s79
	s_wait_alu 0xfffe
	s_cmp_ge_u32 s73, s15
	s_cselect_b32 s77, -1, 0
	s_cmp_ge_u32 s24, s14
	s_cselect_b32 s14, -1, 0
	s_cmp_eq_u32 s73, s15
	s_wait_alu 0xfffe
	s_cselect_b32 s14, s14, s77
	s_wait_alu 0xfffe
	s_cmp_lg_u32 s14, 0
	s_cselect_b32 s15, s76, s73
	s_cselect_b32 s14, s78, s24
	s_wait_alu 0xfffe
	s_xor_b64 s[14:15], s[14:15], s[74:75]
	s_wait_alu 0xfffe
	s_sub_nc_u64 s[14:15], s[14:15], s[74:75]
	s_cbranch_execnz .LBB31_257
.LBB31_256:                             ;   in Loop: Header=BB31_32 Depth=1
	v_cvt_f32_u32_e32 v3, s50
	s_sub_co_i32 s15, 0, s50
	s_delay_alu instid0(VALU_DEP_1) | instskip(NEXT) | instid1(TRANS32_DEP_1)
	v_rcp_iflag_f32_e32 v3, v3
	v_mul_f32_e32 v3, 0x4f7ffffe, v3
	s_delay_alu instid0(VALU_DEP_1) | instskip(NEXT) | instid1(VALU_DEP_1)
	v_cvt_u32_f32_e32 v3, v3
	v_readfirstlane_b32 s14, v3
	s_wait_alu 0xfffe
	s_mul_i32 s15, s15, s14
	s_wait_alu 0xfffe
	s_mul_hi_u32 s15, s14, s15
	s_wait_alu 0xfffe
	s_add_co_i32 s14, s14, s15
	s_wait_alu 0xfffe
	s_mul_hi_u32 s14, s12, s14
	s_wait_alu 0xfffe
	s_mul_i32 s14, s14, s50
	s_wait_alu 0xfffe
	s_sub_co_i32 s14, s12, s14
	s_wait_alu 0xfffe
	s_sub_co_i32 s15, s14, s50
	s_cmp_ge_u32 s14, s50
	s_wait_alu 0xfffe
	s_cselect_b32 s14, s15, s14
	s_wait_alu 0xfffe
	s_sub_co_i32 s15, s14, s50
	s_cmp_ge_u32 s14, s50
	s_wait_alu 0xfffe
	s_cselect_b32 s24, s15, s14
	s_wait_alu 0xfffe
	s_mov_b64 s[14:15], s[24:25]
.LBB31_257:                             ;   in Loop: Header=BB31_32 Depth=1
	s_wait_alu 0xfffe
	s_sub_nc_u64 s[12:13], s[12:13], s[14:15]
	s_mov_b32 s14, exec_lo
                                        ; implicit-def: $vgpr5_vgpr6
	s_wait_alu 0xfffe
	v_cmpx_gt_i64_e64 s[12:13], v[0:1]
	s_cbranch_execz .LBB31_266
; %bb.258:                              ;   in Loop: Header=BB31_32 Depth=1
	v_dual_mov_b32 v11, v46 :: v_dual_mov_b32 v8, v1
	v_mov_b32_e32 v7, v0
	s_mov_b32 s15, 0
                                        ; implicit-def: $sgpr24
	s_branch .LBB31_261
.LBB31_259:                             ;   in Loop: Header=BB31_261 Depth=2
	s_wait_alu 0xfffe
	s_or_b32 exec_lo, exec_lo, s73
	s_wait_loadcnt_dscnt 0x0
	s_barrier_signal -1
	s_barrier_wait -1
	global_inv scope:SCOPE_SE
	ds_load_b128 v[3:6], v18 offset:3072
	s_mov_b32 s73, -1
	s_mov_b32 s74, -1
	s_wait_loadcnt_dscnt 0x0
	s_barrier_signal -1
	s_barrier_wait -1
	global_inv scope:SCOPE_SE
	v_cmp_eq_u64_e32 vcc_lo, 0, v[3:4]
	s_cbranch_vccnz .LBB31_264
.LBB31_260:                             ;   in Loop: Header=BB31_261 Depth=2
	s_wait_alu 0xfffe
	s_and_b32 s73, exec_lo, s73
	s_wait_alu 0xfffe
	s_or_b32 s15, s73, s15
	s_and_not1_b32 s24, s24, exec_lo
	s_and_b32 s73, s74, exec_lo
	s_wait_alu 0xfffe
	s_or_b32 s24, s24, s73
	s_and_not1_b32 exec_lo, exec_lo, s15
	s_cbranch_execz .LBB31_265
.LBB31_261:                             ;   Parent Loop BB31_32 Depth=1
                                        ; =>  This Inner Loop Header: Depth=2
	s_mov_b32 s73, exec_lo
	s_delay_alu instid0(VALU_DEP_1)
	v_cmpx_gt_u64_e64 s[10:11], v[7:8]
	s_cbranch_execz .LBB31_259
; %bb.262:                              ;   in Loop: Header=BB31_261 Depth=2
	ds_load_b64 v[4:5], v11
	s_wait_dscnt 0x0
	v_xor_b32_e32 v3, 0x80000000, v5
	v_and_b32_e32 v12, v4, v33
	s_delay_alu instid0(VALU_DEP_2) | instskip(NEXT) | instid1(VALU_DEP_1)
	v_and_b32_e32 v13, v3, v34
	v_cmp_eq_u64_e32 vcc_lo, v[12:13], v[31:32]
	s_and_b32 exec_lo, exec_lo, vcc_lo
	s_cbranch_execz .LBB31_259
; %bb.263:                              ;   in Loop: Header=BB31_261 Depth=2
	v_mov_b32_e32 v3, v18
	ds_store_b128 v18, v[2:5] offset:3072
	s_branch .LBB31_259
.LBB31_264:                             ;   in Loop: Header=BB31_261 Depth=2
	v_add_co_u32 v7, vcc_lo, v7, s50
	s_wait_alu 0xfffd
	v_add_co_ci_u32_e64 v8, null, 0, v8, vcc_lo
	v_add_nc_u32_e32 v11, s90, v11
	s_mov_b32 s74, 0
	s_delay_alu instid0(VALU_DEP_2)
	v_cmp_le_i64_e32 vcc_lo, s[12:13], v[7:8]
	s_or_not1_b32 s73, vcc_lo, exec_lo
	s_branch .LBB31_260
.LBB31_265:                             ;   in Loop: Header=BB31_32 Depth=1
	s_or_b32 exec_lo, exec_lo, s15
	s_delay_alu instid0(SALU_CYCLE_1)
	s_and_not1_b32 s5, s5, exec_lo
	s_wait_alu 0xfffe
	s_and_b32 s10, s24, exec_lo
	s_wait_alu 0xfffe
	s_or_b32 s5, s5, s10
.LBB31_266:                             ;   in Loop: Header=BB31_32 Depth=1
	s_or_b32 exec_lo, exec_lo, s14
	s_mov_b32 s14, 0
	s_mov_b32 s15, -1
.LBB31_267:                             ;   in Loop: Header=BB31_32 Depth=1
	s_wait_alu 0xfffe
	s_or_not1_b32 s10, s5, exec_lo
.LBB31_268:                             ;   in Loop: Header=BB31_32 Depth=1
	s_wait_alu 0xfffe
	s_or_b32 exec_lo, exec_lo, s72
	s_mov_b32 s11, 0
	s_and_saveexec_b32 s5, s10
	s_cbranch_execz .LBB31_279
; %bb.269:                              ;   in Loop: Header=BB31_32 Depth=1
	v_mov_b32_e32 v3, 1
	v_dual_mov_b32 v4, 0 :: v_dual_mov_b32 v37, 1
	s_xor_b32 s11, s71, -1
	s_wait_alu 0xfffe
	s_and_saveexec_b32 s10, s11
	s_cbranch_execz .LBB31_278
; %bb.270:                              ;   in Loop: Header=BB31_32 Depth=1
	s_mov_b32 s11, exec_lo
	v_cmpx_ge_i64_e64 s[6:7], v[9:10]
	s_wait_alu 0xfffe
	s_xor_b32 s11, exec_lo, s11
	s_cbranch_execz .LBB31_275
; %bb.271:                              ;   in Loop: Header=BB31_32 Depth=1
	ds_load_b64 v[3:4], v18 offset:5120
	v_or_b32_e32 v32, s9, v32
	v_or_b32_e32 v31, s8, v31
	;; [unrolled: 1-line block ×4, first 2 shown]
	s_wait_dscnt 0x0
	v_cmp_ne_u64_e32 vcc_lo, 0, v[3:4]
	s_cbranch_vccnz .LBB31_275
; %bb.272:                              ;   in Loop: Header=BB31_32 Depth=1
	s_and_saveexec_b32 s8, s2
; %bb.273:                              ;   in Loop: Header=BB31_32 Depth=1
	v_dual_mov_b32 v3, s6 :: v_dual_mov_b32 v4, s7
	ds_store_b64 v18, v[3:4] offset:5128
; %bb.274:                              ;   in Loop: Header=BB31_32 Depth=1
	s_wait_alu 0xfffe
	s_or_b32 exec_lo, exec_lo, s8
	s_wait_loadcnt_dscnt 0x0
	s_barrier_signal -1
	s_barrier_wait -1
	global_inv scope:SCOPE_SE
.LBB31_275:                             ;   in Loop: Header=BB31_32 Depth=1
	s_wait_alu 0xfffe
	s_and_not1_saveexec_b32 s8, s11
; %bb.276:                              ;   in Loop: Header=BB31_32 Depth=1
	v_sub_co_u32 v9, vcc_lo, v9, s6
	s_wait_alu 0xfffd
	v_subrev_co_ci_u32_e64 v10, null, s7, v10, vcc_lo
; %bb.277:                              ;   in Loop: Header=BB31_32 Depth=1
	s_wait_alu 0xfffe
	s_or_b32 exec_lo, exec_lo, s8
	v_mov_b32_e32 v3, v9
	s_delay_alu instid0(VALU_DEP_2)
	v_dual_mov_b32 v37, 8 :: v_dual_mov_b32 v4, v10
.LBB31_278:                             ;   in Loop: Header=BB31_32 Depth=1
	s_wait_alu 0xfffe
	s_or_b32 exec_lo, exec_lo, s10
	s_delay_alu instid0(VALU_DEP_1)
	v_dual_mov_b32 v10, v4 :: v_dual_mov_b32 v9, v3
	s_mov_b32 s11, exec_lo
.LBB31_279:                             ;   in Loop: Header=BB31_32 Depth=1
	s_wait_alu 0xfffe
	s_or_b32 exec_lo, exec_lo, s5
	s_delay_alu instid0(SALU_CYCLE_1)
	s_or_not1_b32 s5, s11, exec_lo
.LBB31_280:                             ;   in Loop: Header=BB31_32 Depth=1
	s_wait_alu 0xfffe
	s_or_b32 exec_lo, exec_lo, s17
	v_dual_mov_b32 v7, v9 :: v_dual_mov_b32 v8, v10
	s_and_not1_b32 s6, s19, exec_lo
	s_and_b32 s7, s15, exec_lo
	s_and_not1_b32 s8, s18, exec_lo
	s_and_b32 s9, s14, exec_lo
	s_wait_alu 0xfffe
	s_or_b32 s19, s6, s7
	s_or_b32 s18, s8, s9
	s_and_b32 s14, s5, exec_lo
.LBB31_281:                             ;   in Loop: Header=BB31_32 Depth=1
	s_wait_alu 0xfffe
	s_or_b32 exec_lo, exec_lo, s16
	s_delay_alu instid0(SALU_CYCLE_1)
	s_or_not1_b32 s5, s14, exec_lo
.LBB31_282:                             ;   in Loop: Header=BB31_32 Depth=1
	s_wait_alu 0xfffe
	s_or_b32 exec_lo, exec_lo, s70
	v_dual_mov_b32 v12, v8 :: v_dual_mov_b32 v11, v7
	s_and_not1_b32 s6, s68, exec_lo
	s_and_b32 s7, s19, exec_lo
	s_and_not1_b32 s8, s23, exec_lo
	s_and_b32 s9, s18, exec_lo
	s_wait_alu 0xfffe
	s_or_b32 s68, s6, s7
	s_or_b32 s23, s8, s9
	s_and_b32 s14, s5, exec_lo
.LBB31_283:                             ;   in Loop: Header=BB31_32 Depth=1
	s_wait_alu 0xfffe
	s_or_b32 exec_lo, exec_lo, s69
	s_delay_alu instid0(SALU_CYCLE_1)
	s_or_not1_b32 s5, s14, exec_lo
.LBB31_284:                             ;   in Loop: Header=BB31_32 Depth=1
	s_wait_alu 0xfffe
	s_or_b32 exec_lo, exec_lo, s22
	s_mov_b32 s6, 0
	s_and_saveexec_b32 s7, s5
	s_wait_alu 0xfffe
	s_xor_b32 s5, exec_lo, s7
	s_cbranch_execz .LBB31_30
; %bb.285:                              ;   in Loop: Header=BB31_32 Depth=1
	v_and_b32_e32 v3, 7, v37
	s_mov_b32 s7, -1
	s_mov_b32 s6, -1
	s_mov_b32 s8, exec_lo
	s_delay_alu instid0(VALU_DEP_1)
	v_cmpx_eq_u32_e32 0, v3
	s_cbranch_execz .LBB31_29
; %bb.286:                              ;   in Loop: Header=BB31_32 Depth=1
	s_xor_b32 s93, s93, 1
	s_add_co_i32 s9, s91, -2
	s_cmp_eq_u32 s91, 0
	s_wait_alu 0xfffe
	s_mov_b32 s91, s9
	s_cselect_b32 s7, -1, 0
	s_xor_b32 s6, exec_lo, -1
	s_wait_alu 0xfffe
	s_or_not1_b32 s7, s7, exec_lo
	s_branch .LBB31_29
.LBB31_287:                             ;   in Loop: Header=BB31_32 Depth=1
                                        ; implicit-def: $sgpr12_sgpr13
	s_branch .LBB31_240
.LBB31_288:                             ;   in Loop: Header=BB31_32 Depth=1
                                        ; implicit-def: $sgpr14_sgpr15
	s_branch .LBB31_256
.LBB31_289:
	s_or_b32 exec_lo, exec_lo, s92
	s_xor_b32 s5, s99, -1
	s_xor_b32 s1, s97, -1
	;; [unrolled: 1-line block ×3, first 2 shown]
	s_mov_b32 s3, 0
	s_and_saveexec_b32 s6, s1
	s_wait_alu 0xfffe
	s_xor_b32 s1, exec_lo, s6
	s_cbranch_execnz .LBB31_294
; %bb.290:
	s_and_not1_saveexec_b32 s0, s1
	s_cbranch_execnz .LBB31_316
.LBB31_291:
	s_wait_alu 0xfffe
	s_or_b32 exec_lo, exec_lo, s0
	s_and_saveexec_b32 s0, s3
.LBB31_292:
	; divergent unreachable
.LBB31_293:
	s_endpgm
.LBB31_294:
	s_and_saveexec_b32 s3, s5
	s_wait_alu 0xfffe
	s_xor_b32 s3, exec_lo, s3
	s_cbranch_execz .LBB31_314
; %bb.295:
	s_and_saveexec_b32 s5, s4
	s_wait_alu 0xfffe
	s_xor_b32 s4, exec_lo, s5
; %bb.296:
	v_xor_b32_e32 v32, 0x80000000, v32
	s_delay_alu instid0(VALU_DEP_1)
	v_dual_mov_b32 v5, v31 :: v_dual_mov_b32 v6, v32
; %bb.297:
	s_wait_alu 0xfffe
	s_or_b32 exec_lo, exec_lo, s4
	s_and_saveexec_b32 s4, s2
; %bb.298:
	v_dual_mov_b32 v2, 0 :: v_dual_mov_b32 v3, s36
	ds_store_b32 v2, v3 offset:5140
; %bb.299:
	s_wait_alu 0xfffe
	s_or_b32 exec_lo, exec_lo, s4
	s_wait_loadcnt_dscnt 0x0
	s_barrier_signal -1
	s_barrier_wait -1
	global_inv scope:SCOPE_SE
	s_and_saveexec_b32 s4, s0
	s_cbranch_execz .LBB31_311
; %bb.300:
	v_mov_b32_e32 v2, 0
	s_mov_b32 s5, 0
                                        ; implicit-def: $sgpr6
                                        ; implicit-def: $sgpr7
                                        ; implicit-def: $sgpr8
	ds_load_b32 v7, v2 offset:5140
	s_wait_dscnt 0x0
	v_ashrrev_i32_e32 v8, 31, v7
	s_branch .LBB31_303
.LBB31_301:                             ;   in Loop: Header=BB31_303 Depth=1
	s_wait_alu 0xfffe
	s_or_b32 exec_lo, exec_lo, s11
	s_delay_alu instid0(SALU_CYCLE_1)
	s_and_not1_b32 s8, s8, exec_lo
	s_and_b32 s10, s10, exec_lo
	s_and_not1_b32 s7, s7, exec_lo
	s_and_b32 s0, s0, exec_lo
	s_wait_alu 0xfffe
	s_or_b32 s8, s8, s10
	s_or_b32 s7, s7, s0
.LBB31_302:                             ;   in Loop: Header=BB31_303 Depth=1
	s_wait_alu 0xfffe
	s_or_b32 exec_lo, exec_lo, s9
	s_delay_alu instid0(SALU_CYCLE_1)
	s_and_b32 s0, exec_lo, s7
	s_wait_alu 0xfffe
	s_or_b32 s5, s0, s5
	s_and_not1_b32 s0, s6, exec_lo
	s_and_b32 s6, s8, exec_lo
	s_wait_alu 0xfffe
	s_or_b32 s6, s0, s6
	s_and_not1_b32 exec_lo, exec_lo, s5
	s_cbranch_execz .LBB31_306
.LBB31_303:                             ; =>This Inner Loop Header: Depth=1
	v_dual_mov_b32 v3, v1 :: v_dual_mov_b32 v2, v0
	s_or_b32 s8, s8, exec_lo
	s_or_b32 s7, s7, exec_lo
	s_mov_b32 s9, exec_lo
                                        ; implicit-def: $vgpr0_vgpr1
	s_delay_alu instid0(VALU_DEP_1)
	v_cmpx_lt_i64_e64 v[2:3], v[7:8]
	s_cbranch_execz .LBB31_302
; %bb.304:                              ;   in Loop: Header=BB31_303 Depth=1
	global_load_b64 v[0:1], v[15:16], off
	s_mov_b32 s0, -1
	s_mov_b32 s10, 0
	s_wait_loadcnt 0x0
	v_cmp_ne_u64_e32 vcc_lo, v[0:1], v[5:6]
                                        ; implicit-def: $vgpr0_vgpr1
	s_and_saveexec_b32 s11, vcc_lo
	s_cbranch_execz .LBB31_301
; %bb.305:                              ;   in Loop: Header=BB31_303 Depth=1
	v_add_co_u32 v0, vcc_lo, v2, s50
	s_wait_alu 0xfffd
	v_add_co_ci_u32_e64 v1, null, 0, v3, vcc_lo
	v_add_co_u32 v15, s0, v15, s52
	s_wait_alu 0xf1fe
	v_add_co_ci_u32_e64 v16, null, s53, v16, s0
	s_delay_alu instid0(VALU_DEP_3)
	v_cmp_le_i64_e32 vcc_lo, s[36:37], v[0:1]
	s_mov_b32 s10, exec_lo
	s_or_not1_b32 s0, vcc_lo, exec_lo
	s_branch .LBB31_301
.LBB31_306:
	s_or_b32 exec_lo, exec_lo, s5
	s_wait_alu 0xfffe
	s_xor_b32 s0, s6, -1
	s_wait_alu 0xfffe
	s_and_saveexec_b32 s5, s0
	s_wait_alu 0xfffe
	s_xor_b32 s5, exec_lo, s5
	s_cbranch_execz .LBB31_311
; %bb.307:
	s_mov_b32 s5, exec_lo
	s_brev_b32 s0, -2
.LBB31_308:                             ; =>This Inner Loop Header: Depth=1
	s_wait_alu 0xfffe
	s_ctz_i32_b32 s6, s5
	s_wait_alu 0xfffe
	v_readlane_b32 s7, v2, s6
	s_lshl_b32 s6, 1, s6
	s_wait_alu 0xfffe
	s_and_not1_b32 s5, s5, s6
	s_min_i32 s0, s0, s7
	s_wait_alu 0xfffe
	s_cmp_lg_u32 s5, 0
	s_cbranch_scc1 .LBB31_308
; %bb.309:
	v_mbcnt_lo_u32_b32 v0, exec_lo, 0
	s_mov_b32 s5, exec_lo
	s_delay_alu instid0(VALU_DEP_1)
	v_cmpx_eq_u32_e32 0, v0
	s_wait_alu 0xfffe
	s_xor_b32 s5, exec_lo, s5
; %bb.310:
	v_dual_mov_b32 v0, 0 :: v_dual_mov_b32 v1, s0
	ds_min_i32 v0, v1 offset:5140
.LBB31_311:
	s_wait_alu 0xfffe
	s_or_b32 exec_lo, exec_lo, s4
	s_wait_loadcnt_dscnt 0x0
	s_barrier_signal -1
	s_barrier_wait -1
	global_inv scope:SCOPE_SE
	s_and_saveexec_b32 s0, s2
	s_cbranch_execz .LBB31_313
; %bb.312:
	v_mov_b32_e32 v2, 0
	s_mul_u64 s[6:7], s[48:49], s[34:35]
	s_mul_u64 s[4:5], s[40:41], s[28:29]
	s_wait_alu 0xfffe
	s_lshl_b64 s[6:7], s[6:7], 3
	s_lshl_b64 s[4:5], s[4:5], 3
	ds_load_b32 v0, v2 offset:5140
	s_lshl_b64 s[10:11], s[30:31], 3
	s_wait_alu 0xfffe
	s_add_nc_u64 s[6:7], s[46:47], s[6:7]
	s_lshl_b64 s[8:9], s[26:27], 3
	s_add_nc_u64 s[4:5], s[44:45], s[4:5]
	s_wait_alu 0xfffe
	s_add_nc_u64 s[6:7], s[6:7], s[10:11]
	s_add_nc_u64 s[4:5], s[4:5], s[8:9]
	s_wait_dscnt 0x0
	v_ashrrev_i32_e32 v1, 31, v0
	s_clause 0x1
	global_store_b64 v2, v[0:1], s[6:7]
	global_store_b64 v2, v[5:6], s[4:5]
.LBB31_313:
	s_wait_alu 0xfffe
	s_or_b32 exec_lo, exec_lo, s0
.LBB31_314:
	s_wait_alu 0xfffe
	s_or_saveexec_b32 s0, s3
	s_mov_b32 s2, 0
	s_wait_alu 0xfffe
	s_xor_b32 exec_lo, exec_lo, s0
	s_cbranch_execnz .LBB31_317
.LBB31_315:
	s_or_b32 exec_lo, exec_lo, s0
	s_wait_alu 0xfffe
	s_and_b32 s3, s2, exec_lo
	s_and_not1_saveexec_b32 s0, s1
	s_cbranch_execz .LBB31_291
.LBB31_316:
	s_wait_alu 0xfffe
	s_or_b32 s3, s3, exec_lo
	s_trap 2
	s_or_b32 exec_lo, exec_lo, s0
	s_wait_alu 0xfffe
	s_and_saveexec_b32 s0, s3
	s_cbranch_execnz .LBB31_292
	s_branch .LBB31_293
.LBB31_317:
	s_mov_b32 s2, exec_lo
	s_trap 2
	s_branch .LBB31_315
	.section	.rodata,"a",@progbits
	.p2align	6, 0x0
	.amdhsa_kernel _ZN2at6native12_GLOBAL__N_114gatherKthValueIllLin1EEEvNS_4cuda6detail10TensorInfoIKT_T0_EES8_S8_S8_S8_NS5_IS6_S8_EENS5_IlS8_EE
		.amdhsa_group_segment_fixed_size 5144
		.amdhsa_private_segment_fixed_size 0
		.amdhsa_kernarg_size 1536
		.amdhsa_user_sgpr_count 2
		.amdhsa_user_sgpr_dispatch_ptr 0
		.amdhsa_user_sgpr_queue_ptr 0
		.amdhsa_user_sgpr_kernarg_segment_ptr 1
		.amdhsa_user_sgpr_dispatch_id 0
		.amdhsa_user_sgpr_private_segment_size 0
		.amdhsa_wavefront_size32 1
		.amdhsa_uses_dynamic_stack 0
		.amdhsa_enable_private_segment 0
		.amdhsa_system_sgpr_workgroup_id_x 1
		.amdhsa_system_sgpr_workgroup_id_y 1
		.amdhsa_system_sgpr_workgroup_id_z 1
		.amdhsa_system_sgpr_workgroup_info 0
		.amdhsa_system_vgpr_workitem_id 0
		.amdhsa_next_free_vgpr 73
		.amdhsa_next_free_sgpr 100
		.amdhsa_reserve_vcc 1
		.amdhsa_float_round_mode_32 0
		.amdhsa_float_round_mode_16_64 0
		.amdhsa_float_denorm_mode_32 3
		.amdhsa_float_denorm_mode_16_64 3
		.amdhsa_fp16_overflow 0
		.amdhsa_workgroup_processor_mode 1
		.amdhsa_memory_ordered 1
		.amdhsa_forward_progress 1
		.amdhsa_inst_pref_size 168
		.amdhsa_round_robin_scheduling 0
		.amdhsa_exception_fp_ieee_invalid_op 0
		.amdhsa_exception_fp_denorm_src 0
		.amdhsa_exception_fp_ieee_div_zero 0
		.amdhsa_exception_fp_ieee_overflow 0
		.amdhsa_exception_fp_ieee_underflow 0
		.amdhsa_exception_fp_ieee_inexact 0
		.amdhsa_exception_int_div_zero 0
	.end_amdhsa_kernel
	.section	.text._ZN2at6native12_GLOBAL__N_114gatherKthValueIllLin1EEEvNS_4cuda6detail10TensorInfoIKT_T0_EES8_S8_S8_S8_NS5_IS6_S8_EENS5_IlS8_EE,"axG",@progbits,_ZN2at6native12_GLOBAL__N_114gatherKthValueIllLin1EEEvNS_4cuda6detail10TensorInfoIKT_T0_EES8_S8_S8_S8_NS5_IS6_S8_EENS5_IlS8_EE,comdat
.Lfunc_end31:
	.size	_ZN2at6native12_GLOBAL__N_114gatherKthValueIllLin1EEEvNS_4cuda6detail10TensorInfoIKT_T0_EES8_S8_S8_S8_NS5_IS6_S8_EENS5_IlS8_EE, .Lfunc_end31-_ZN2at6native12_GLOBAL__N_114gatherKthValueIllLin1EEEvNS_4cuda6detail10TensorInfoIKT_T0_EES8_S8_S8_S8_NS5_IS6_S8_EENS5_IlS8_EE
                                        ; -- End function
	.set _ZN2at6native12_GLOBAL__N_114gatherKthValueIllLin1EEEvNS_4cuda6detail10TensorInfoIKT_T0_EES8_S8_S8_S8_NS5_IS6_S8_EENS5_IlS8_EE.num_vgpr, 73
	.set _ZN2at6native12_GLOBAL__N_114gatherKthValueIllLin1EEEvNS_4cuda6detail10TensorInfoIKT_T0_EES8_S8_S8_S8_NS5_IS6_S8_EENS5_IlS8_EE.num_agpr, 0
	.set _ZN2at6native12_GLOBAL__N_114gatherKthValueIllLin1EEEvNS_4cuda6detail10TensorInfoIKT_T0_EES8_S8_S8_S8_NS5_IS6_S8_EENS5_IlS8_EE.numbered_sgpr, 100
	.set _ZN2at6native12_GLOBAL__N_114gatherKthValueIllLin1EEEvNS_4cuda6detail10TensorInfoIKT_T0_EES8_S8_S8_S8_NS5_IS6_S8_EENS5_IlS8_EE.num_named_barrier, 0
	.set _ZN2at6native12_GLOBAL__N_114gatherKthValueIllLin1EEEvNS_4cuda6detail10TensorInfoIKT_T0_EES8_S8_S8_S8_NS5_IS6_S8_EENS5_IlS8_EE.private_seg_size, 0
	.set _ZN2at6native12_GLOBAL__N_114gatherKthValueIllLin1EEEvNS_4cuda6detail10TensorInfoIKT_T0_EES8_S8_S8_S8_NS5_IS6_S8_EENS5_IlS8_EE.uses_vcc, 1
	.set _ZN2at6native12_GLOBAL__N_114gatherKthValueIllLin1EEEvNS_4cuda6detail10TensorInfoIKT_T0_EES8_S8_S8_S8_NS5_IS6_S8_EENS5_IlS8_EE.uses_flat_scratch, 0
	.set _ZN2at6native12_GLOBAL__N_114gatherKthValueIllLin1EEEvNS_4cuda6detail10TensorInfoIKT_T0_EES8_S8_S8_S8_NS5_IS6_S8_EENS5_IlS8_EE.has_dyn_sized_stack, 0
	.set _ZN2at6native12_GLOBAL__N_114gatherKthValueIllLin1EEEvNS_4cuda6detail10TensorInfoIKT_T0_EES8_S8_S8_S8_NS5_IS6_S8_EENS5_IlS8_EE.has_recursion, 0
	.set _ZN2at6native12_GLOBAL__N_114gatherKthValueIllLin1EEEvNS_4cuda6detail10TensorInfoIKT_T0_EES8_S8_S8_S8_NS5_IS6_S8_EENS5_IlS8_EE.has_indirect_call, 0
	.section	.AMDGPU.csdata,"",@progbits
; Kernel info:
; codeLenInByte = 21476
; TotalNumSgprs: 102
; NumVgprs: 73
; ScratchSize: 0
; MemoryBound: 0
; FloatMode: 240
; IeeeMode: 1
; LDSByteSize: 5144 bytes/workgroup (compile time only)
; SGPRBlocks: 0
; VGPRBlocks: 9
; NumSGPRsForWavesPerEU: 102
; NumVGPRsForWavesPerEU: 73
; Occupancy: 16
; WaveLimiterHint : 1
; COMPUTE_PGM_RSRC2:SCRATCH_EN: 0
; COMPUTE_PGM_RSRC2:USER_SGPR: 2
; COMPUTE_PGM_RSRC2:TRAP_HANDLER: 0
; COMPUTE_PGM_RSRC2:TGID_X_EN: 1
; COMPUTE_PGM_RSRC2:TGID_Y_EN: 1
; COMPUTE_PGM_RSRC2:TGID_Z_EN: 1
; COMPUTE_PGM_RSRC2:TIDIG_COMP_CNT: 0
	.section	.text._ZN2at6native12_GLOBAL__N_114gatherKthValueIsiLi1EEEvNS_4cuda6detail10TensorInfoIKT_T0_EES8_S8_S8_S8_NS5_IS6_S8_EENS5_IlS8_EE,"axG",@progbits,_ZN2at6native12_GLOBAL__N_114gatherKthValueIsiLi1EEEvNS_4cuda6detail10TensorInfoIKT_T0_EES8_S8_S8_S8_NS5_IS6_S8_EENS5_IlS8_EE,comdat
	.globl	_ZN2at6native12_GLOBAL__N_114gatherKthValueIsiLi1EEEvNS_4cuda6detail10TensorInfoIKT_T0_EES8_S8_S8_S8_NS5_IS6_S8_EENS5_IlS8_EE ; -- Begin function _ZN2at6native12_GLOBAL__N_114gatherKthValueIsiLi1EEEvNS_4cuda6detail10TensorInfoIKT_T0_EES8_S8_S8_S8_NS5_IS6_S8_EENS5_IlS8_EE
	.p2align	8
	.type	_ZN2at6native12_GLOBAL__N_114gatherKthValueIsiLi1EEEvNS_4cuda6detail10TensorInfoIKT_T0_EES8_S8_S8_S8_NS5_IS6_S8_EENS5_IlS8_EE,@function
_ZN2at6native12_GLOBAL__N_114gatherKthValueIsiLi1EEEvNS_4cuda6detail10TensorInfoIKT_T0_EES8_S8_S8_S8_NS5_IS6_S8_EENS5_IlS8_EE: ; @_ZN2at6native12_GLOBAL__N_114gatherKthValueIsiLi1EEEvNS_4cuda6detail10TensorInfoIKT_T0_EES8_S8_S8_S8_NS5_IS6_S8_EENS5_IlS8_EE
; %bb.0:
	s_clause 0x1
	s_load_b64 s[4:5], s[0:1], 0x298
	s_load_b128 s[36:39], s[0:1], 0xd8
	s_lshr_b32 s2, ttmp7, 16
	s_and_b32 s3, ttmp7, 0xffff
	s_wait_kmcnt 0x0
	s_mul_i32 s2, s5, s2
	s_delay_alu instid0(SALU_CYCLE_1) | instskip(NEXT) | instid1(SALU_CYCLE_1)
	s_add_co_i32 s2, s2, s3
	s_mul_i32 s29, s2, s4
	s_delay_alu instid0(SALU_CYCLE_1) | instskip(NEXT) | instid1(SALU_CYCLE_1)
	s_add_co_i32 s29, s29, ttmp9
	s_cmp_ge_i32 s29, s38
	s_cbranch_scc1 .LBB32_233
; %bb.1:
	s_clause 0x1
	s_load_b32 s3, s[0:1], 0x6c
	s_load_b64 s[6:7], s[0:1], 0x0
	v_cmp_eq_u32_e64 s2, 0, v0
	s_add_nc_u64 s[10:11], s[0:1], 0x298
	s_mov_b32 s41, 0
	s_and_saveexec_b32 s5, s2
; %bb.2:
	v_dual_mov_b32 v1, 0 :: v_dual_mov_b32 v2, s36
	s_delay_alu instid0(VALU_DEP_1)
	v_mov_b32_e32 v3, v1
	ds_store_b96 v1, v[1:3] offset:4096
; %bb.3:
	s_or_b32 exec_lo, exec_lo, s5
	s_wait_dscnt 0x0
	s_barrier_signal -1
	s_barrier_wait -1
	global_inv scope:SCOPE_SE
	s_load_b32 s5, s[10:11], 0xc
	v_mbcnt_lo_u32_b32 v15, -1, 0
	s_clause 0x3
	s_load_b32 s33, s[0:1], 0x22c
	s_load_b64 s[30:31], s[0:1], 0x1c0
	s_load_b32 s38, s[0:1], 0x154
	s_load_b64 s[34:35], s[0:1], 0xe8
	v_cmp_gt_u32_e32 vcc_lo, 32, v0
	s_wait_kmcnt 0x0
	s_mul_i32 s8, s3, s29
	v_dual_mov_b32 v7, 0 :: v_dual_lshlrev_b32 v16, 2, v0
	v_cmp_gt_i32_e64 s1, 4, v15
	s_ashr_i32 s9, s8, 31
	v_mul_lo_u32 v5, s39, v0
	s_lshl_b64 s[8:9], s[8:9], 1
	v_dual_mov_b32 v6, v7 :: v_dual_lshlrev_b32 v17, 1, v0
	s_and_b32 s51, vcc_lo, s1
	s_add_nc_u64 s[42:43], s[6:7], s[8:9]
	v_cmp_gt_u32_e64 s0, 2, v0
	s_delay_alu instid0(VALU_DEP_2) | instskip(NEXT) | instid1(VALU_DEP_4)
	v_dual_mov_b32 v31, 0 :: v_dual_add_nc_u32 v18, 0xc00, v17
	v_dual_mov_b32 v22, 0 :: v_dual_lshlrev_b32 v25, 2, v5
	s_and_b32 s50, s5, 0xffff
	s_bfe_u32 s3, s5, 0xb0005
	s_lshl_b32 s52, s50, 2
	s_add_co_i32 s53, s50, -1
	s_cvt_f32_u32 s1, s52
	s_add_co_i32 s62, s53, s36
	s_cmp_gt_i32 s36, 0x600
	s_cvt_f32_u32 s12, s50
	v_rcp_iflag_f32_e32 v1, s1
	s_cselect_b32 s55, -1, 0
	s_cmp_gt_u32 s50, 31
	v_rcp_iflag_f32_e32 v4, s12
	s_cselect_b32 s56, -1, 0
	s_cmp_lt_u32 ttmp9, s4
	v_cmp_gt_u32_e64 s1, s36, v0
	s_cselect_b32 s40, 12, 18
	s_add_co_i32 s4, s3, -1
	s_bfe_u32 s57, s50, 0x30005
	v_readfirstlane_b32 s5, v1
	s_and_b32 s4, s4, 0xffff
	v_lshlrev_b64_e64 v[1:2], v15, -1
	s_cmp_gt_u32 s4, 6
	v_lshlrev_b64_e32 v[2:3], 1, v[5:6]
	s_mul_f32 s4, s5, 0x4f7ffffe
	s_cselect_b32 s58, -1, 0
	s_and_b32 s59, s3, 0x7f8
	s_cmp_lg_u32 s57, 0
	s_cvt_u32_f32 s5, s4
	s_cselect_b32 s60, -1, 0
	s_sub_co_i32 s4, 0, s52
	v_not_b32_e32 v20, v1
	s_mul_i32 s4, s4, s5
	v_add_co_u32 v8, vcc_lo, s42, v2
	s_mul_hi_u32 s13, s5, s4
	v_lshrrev_b32_e32 v2, 1, v0
	s_wait_alu 0xfffe
	s_add_co_i32 s44, s5, s13
	v_add_co_ci_u32_e64 v9, null, s43, v3, vcc_lo
	s_mul_hi_u32 s5, s36, s44
	v_or_b32_e32 v3, 3, v16
	s_mul_i32 s5, s5, s52
	v_cmp_gt_i32_e64 s3, s36, v0
	s_sub_co_i32 s5, s36, s5
	v_cmp_eq_u32_e64 s4, 0, v15
	s_sub_co_i32 s12, s5, s52
	s_cmp_ge_u32 s5, s52
	v_mul_lo_u32 v24, s39, v3
	s_wait_alu 0xfffe
	s_cselect_b32 s5, s12, s5
	v_readfirstlane_b32 s12, v4
	s_sub_co_i32 s13, s5, s52
	s_cmp_ge_u32 s5, s52
	v_mov_b32_e32 v32, s37
	s_wait_alu 0xfffe
	s_cselect_b32 s9, s13, s5
	s_mul_f32 s5, s12, 0x4f7ffffe
	s_sub_co_i32 s61, s36, s9
	s_sub_co_i32 s6, 0, s50
	v_add_nc_u32_e32 v19, s61, v0
	s_cvt_u32_f32 s5, s5
	s_abs_i32 s7, s62
	s_mov_b32 s12, s39
	v_dual_mov_b32 v30, 0 :: v_dual_lshlrev_b32 v27, 3, v0
	v_mul_lo_u32 v1, v19, s39
	s_mul_i32 s6, s6, s5
	s_wait_alu 0xfffe
	v_mad_co_u64_u32 v[12:13], null, s39, v16, s[12:13]
	s_mul_hi_u32 s6, s5, s6
	v_lshl_or_b32 v28, v15, 2, 0xc00
	s_add_co_i32 s46, s5, s6
	s_movk_i32 s5, 0x1f0
	s_mul_hi_u32 s6, s7, s46
	v_and_or_b32 v21, v2, s5, 0xc00
	v_ashrrev_i32_e32 v2, 31, v1
	s_mul_i32 s6, s6, s50
	v_mov_b32_e32 v29, 0
	s_sub_co_i32 s5, s7, s6
	s_ashr_i32 s7, s62, 31
	v_lshlrev_b64_e32 v[1:2], 1, v[1:2]
	s_wait_alu 0xfffe
	s_sub_co_i32 s6, s5, s50
	s_cmp_ge_u32 s5, s50
	s_mul_i32 s54, s39, s50
	s_cselect_b32 s6, s6, s5
	v_cmp_gt_i32_e64 s5, s61, v16
	v_add_co_u32 v10, vcc_lo, s42, v1
	v_add3_u32 v1, s50, s36, v0
	s_sub_co_i32 s8, s6, s50
	s_cmp_ge_u32 s6, s50
	s_wait_alu 0xfffd
	v_add_co_ci_u32_e64 v11, null, s43, v2, vcc_lo
	s_cselect_b32 s8, s8, s6
	v_or_b32_e32 v2, 2, v16
	v_subrev_nc_u32_e32 v1, s9, v1
	s_xor_b32 s8, s8, s7
	v_cmp_gt_u32_e64 s6, s36, v19
	s_wait_alu 0xfffe
	s_sub_co_i32 s8, s7, s8
	v_mul_lo_u32 v23, s39, v2
	v_mul_lo_u32 v26, s39, v1
	s_wait_alu 0xfffe
	s_add_co_i32 s62, s62, s8
	v_cmp_gt_i32_e64 s7, s36, v19
	v_cmp_gt_i32_e64 s8, s62, v0
	s_mov_b32 s45, s41
	s_mov_b32 s47, s41
	s_lshl_b32 s63, s54, 2
	s_lshl_b32 s64, s50, 3
	;; [unrolled: 1-line block ×3, first 2 shown]
	s_mov_b32 s72, 14
	s_add_nc_u64 s[48:49], s[10:11], s[40:41]
	s_mov_b32 s37, 0
                                        ; implicit-def: $sgpr69
                                        ; implicit-def: $sgpr71
                                        ; implicit-def: $sgpr66
                                        ; implicit-def: $sgpr68
                                        ; implicit-def: $sgpr70
                                        ; implicit-def: $sgpr67
	s_branch .LBB32_7
.LBB32_4:                               ;   in Loop: Header=BB32_7 Depth=1
	s_wait_alu 0xfffe
	s_or_b32 exec_lo, exec_lo, s13
	s_delay_alu instid0(SALU_CYCLE_1)
	s_and_b32 s10, s10, exec_lo
	s_and_not1_b32 s15, s15, exec_lo
	s_and_not1_b32 s14, s14, exec_lo
	s_or_not1_b32 s12, s12, exec_lo
.LBB32_5:                               ;   in Loop: Header=BB32_7 Depth=1
	s_wait_alu 0xfffe
	s_or_b32 exec_lo, exec_lo, s9
	s_delay_alu instid0(SALU_CYCLE_1)
	s_and_not1_b32 s9, s67, exec_lo
	s_and_b32 s10, s10, exec_lo
	s_and_not1_b32 s13, s68, exec_lo
	s_wait_alu 0xfffe
	s_or_b32 s67, s9, s10
	s_and_not1_b32 s9, s70, exec_lo
	s_and_b32 s10, s15, exec_lo
	s_and_b32 s14, s14, exec_lo
	s_wait_alu 0xfffe
	s_or_b32 s70, s9, s10
	s_or_b32 s68, s13, s14
	s_or_not1_b32 s13, s12, exec_lo
.LBB32_6:                               ;   in Loop: Header=BB32_7 Depth=1
	s_wait_alu 0xfffe
	s_or_b32 exec_lo, exec_lo, s11
	s_delay_alu instid0(SALU_CYCLE_1)
	s_and_b32 s9, exec_lo, s13
	v_mov_b32_e32 v32, v4
	s_wait_alu 0xfffe
	s_or_b32 s37, s9, s37
	s_and_not1_b32 s9, s66, exec_lo
	s_and_b32 s10, s67, exec_lo
	s_and_not1_b32 s11, s71, exec_lo
	s_wait_alu 0xfffe
	s_or_b32 s66, s9, s10
	s_and_b32 s9, s70, exec_lo
	s_and_not1_b32 s10, s69, exec_lo
	s_and_b32 s12, s68, exec_lo
	s_wait_alu 0xfffe
	s_or_b32 s71, s11, s9
	s_or_b32 s69, s10, s12
	s_mov_b32 s72, s21
	s_and_not1_b32 exec_lo, exec_lo, s37
	s_cbranch_execz .LBB32_229
.LBB32_7:                               ; =>This Loop Header: Depth=1
                                        ;     Child Loop BB32_12 Depth 2
                                        ;     Child Loop BB32_27 Depth 2
	;; [unrolled: 1-line block ×16, first 2 shown]
	ds_load_b64 v[1:2], v7 offset:4096
	s_wait_dscnt 0x0
	v_readfirstlane_b32 s40, v1
	s_cmp_gt_i32 s40, 0
	s_cbranch_scc1 .LBB32_34
; %bb.8:                                ;   in Loop: Header=BB32_7 Depth=1
	s_and_b32 vcc_lo, exec_lo, s55
	s_wait_alu 0xfffe
	s_cbranch_vccz .LBB32_20
; %bb.9:                                ;   in Loop: Header=BB32_7 Depth=1
	v_cmp_gt_i32_e32 vcc_lo, 0x601, v2
	s_mov_b32 s10, 0
	s_mov_b32 s9, 0
	s_cbranch_vccz .LBB32_21
; %bb.10:                               ;   in Loop: Header=BB32_7 Depth=1
	global_load_u16 v1, v[8:9], off
	s_load_u16 s11, s[48:49], 0x0
	s_mov_b32 s12, 0
	s_wait_kmcnt 0x0
	v_add_nc_u32_e32 v2, s11, v0
	s_mul_i32 s13, s39, s11
	s_delay_alu instid0(VALU_DEP_1)
	v_mul_lo_u32 v6, s39, v2
	v_mov_b32_e32 v2, v0
	s_branch .LBB32_12
.LBB32_11:                              ;   in Loop: Header=BB32_12 Depth=2
	s_wait_alu 0xfffe
	s_or_b32 exec_lo, exec_lo, s9
	v_cmp_le_i32_e32 vcc_lo, s36, v2
	v_dual_mov_b32 v1, v3 :: v_dual_add_nc_u32 v6, s13, v6
	s_or_b32 s12, vcc_lo, s12
	s_wait_alu 0xfffe
	s_and_not1_b32 exec_lo, exec_lo, s12
	s_cbranch_execz .LBB32_66
.LBB32_12:                              ;   Parent Loop BB32_7 Depth=1
                                        ; =>  This Inner Loop Header: Depth=2
	s_delay_alu instid0(VALU_DEP_1) | instskip(SKIP_3) | instid1(VALU_DEP_2)
	v_dual_mov_b32 v3, 0 :: v_dual_add_nc_u32 v2, s11, v2
	s_wait_dscnt 0x0
	v_mov_b32_e32 v4, 0
	s_mov_b32 s9, exec_lo
	v_cmpx_gt_u32_e64 s36, v2
	s_cbranch_execz .LBB32_14
; %bb.13:                               ;   in Loop: Header=BB32_12 Depth=2
	v_lshlrev_b64_e32 v[13:14], 1, v[6:7]
	s_delay_alu instid0(VALU_DEP_1) | instskip(SKIP_1) | instid1(VALU_DEP_2)
	v_add_co_u32 v13, vcc_lo, s42, v13
	s_wait_alu 0xfffd
	v_add_co_ci_u32_e64 v14, null, s43, v14, vcc_lo
	global_load_u16 v3, v[13:14], off
.LBB32_14:                              ;   in Loop: Header=BB32_12 Depth=2
	s_wait_alu 0xfffe
	s_or_b32 exec_lo, exec_lo, s9
	s_wait_loadcnt 0x0
	v_bfe_i32 v13, v1, 0, 16
	s_delay_alu instid0(VALU_DEP_1) | instskip(NEXT) | instid1(VALU_DEP_1)
	v_add_nc_u32_e32 v13, 0x8000, v13
	v_and_b32_e32 v13, v13, v30
	s_delay_alu instid0(VALU_DEP_1)
	v_cmp_eq_u32_e32 vcc_lo, v13, v22
	s_cmp_lg_u32 vcc_lo, 0
	s_cselect_b32 s9, -1, 0
	s_wait_alu 0xfffe
	s_and_b32 s9, s4, s9
	s_wait_alu 0xfffe
	s_and_saveexec_b32 s14, s9
	s_cbranch_execz .LBB32_18
; %bb.15:                               ;   in Loop: Header=BB32_12 Depth=2
	s_mov_b32 s17, exec_lo
	s_bcnt1_i32_b32 s15, vcc_lo
	s_wait_alu 0xfffe
	v_mbcnt_lo_u32_b32 v4, s17, 0
	s_mov_b32 s16, exec_lo
                                        ; implicit-def: $vgpr13
	s_delay_alu instid0(VALU_DEP_1)
	v_cmpx_eq_u32_e32 0, v4
; %bb.16:                               ;   in Loop: Header=BB32_12 Depth=2
	s_bcnt1_i32_b32 s9, s17
	s_wait_alu 0xfffe
	s_mul_i32 s9, s15, s9
	s_wait_alu 0xfffe
	v_mov_b32_e32 v13, s9
	ds_add_rtn_u32 v13, v7, v13 offset:4104
; %bb.17:                               ;   in Loop: Header=BB32_12 Depth=2
	s_or_b32 exec_lo, exec_lo, s16
	s_wait_dscnt 0x0
	v_readfirstlane_b32 s9, v13
	s_wait_alu 0xf1ff
	s_delay_alu instid0(VALU_DEP_1)
	v_mad_u32_u24 v4, s15, v4, s9
.LBB32_18:                              ;   in Loop: Header=BB32_12 Depth=2
	s_wait_alu 0xfffe
	s_or_b32 exec_lo, exec_lo, s14
	ds_bpermute_b32 v4, v7, v4
	s_and_saveexec_b32 s9, vcc_lo
	s_cbranch_execz .LBB32_11
; %bb.19:                               ;   in Loop: Header=BB32_12 Depth=2
	v_and_b32_e32 v13, vcc_lo, v20
	s_delay_alu instid0(VALU_DEP_1) | instskip(NEXT) | instid1(VALU_DEP_1)
	v_bcnt_u32_b32 v13, v13, 0
	v_lshlrev_b32_e32 v13, 1, v13
	s_wait_dscnt 0x0
	s_delay_alu instid0(VALU_DEP_1)
	v_lshl_add_u32 v4, v4, 1, v13
	ds_store_b16 v4, v1
	s_branch .LBB32_11
.LBB32_20:                              ;   in Loop: Header=BB32_7 Depth=1
	s_mov_b32 s10, -1
	s_mov_b32 s9, 0
.LBB32_21:                              ;   in Loop: Header=BB32_7 Depth=1
	s_wait_alu 0xfffe
	s_and_b32 vcc_lo, exec_lo, s10
	s_wait_alu 0xfffe
	s_cbranch_vccz .LBB32_32
.LBB32_22:                              ;   in Loop: Header=BB32_7 Depth=1
	v_mov_b32_e32 v1, 0
	s_and_saveexec_b32 s9, s1
	s_cbranch_execz .LBB32_24
; %bb.23:                               ;   in Loop: Header=BB32_7 Depth=1
	global_load_u16 v1, v[8:9], off
.LBB32_24:                              ;   in Loop: Header=BB32_7 Depth=1
	s_wait_alu 0xfffe
	s_or_b32 exec_lo, exec_lo, s9
	s_and_saveexec_b32 s9, s3
	s_cbranch_execz .LBB32_29
; %bb.25:                               ;   in Loop: Header=BB32_7 Depth=1
	s_load_u16 s10, s[48:49], 0x0
	s_mov_b32 s13, 0
	s_wait_kmcnt 0x0
	v_dual_mov_b32 v3, v0 :: v_dual_add_nc_u32 v2, s10, v0
	s_lshl_b32 s11, s10, 1
	s_mul_i32 s12, s39, s10
	s_delay_alu instid0(VALU_DEP_1)
	v_mul_lo_u32 v6, s39, v2
	v_mov_b32_e32 v2, v17
	s_branch .LBB32_27
.LBB32_26:                              ;   in Loop: Header=BB32_27 Depth=2
	s_wait_alu 0xfffe
	s_or_b32 exec_lo, exec_lo, s14
	v_cmp_le_i32_e32 vcc_lo, s36, v3
	s_wait_loadcnt 0x0
	ds_store_b16 v2, v1
	v_dual_mov_b32 v1, v4 :: v_dual_add_nc_u32 v2, s11, v2
	v_add_nc_u32_e32 v6, s12, v6
	s_or_b32 s13, vcc_lo, s13
	s_wait_alu 0xfffe
	s_and_not1_b32 exec_lo, exec_lo, s13
	s_cbranch_execz .LBB32_29
.LBB32_27:                              ;   Parent Loop BB32_7 Depth=1
                                        ; =>  This Inner Loop Header: Depth=2
	v_dual_mov_b32 v4, 0 :: v_dual_add_nc_u32 v3, s10, v3
	s_mov_b32 s14, exec_lo
	s_delay_alu instid0(VALU_DEP_1)
	v_cmpx_gt_u32_e64 s36, v3
	s_cbranch_execz .LBB32_26
; %bb.28:                               ;   in Loop: Header=BB32_27 Depth=2
	s_delay_alu instid0(VALU_DEP_4) | instskip(NEXT) | instid1(VALU_DEP_1)
	v_lshlrev_b64_e32 v[13:14], 1, v[6:7]
	v_add_co_u32 v13, vcc_lo, s42, v13
	s_wait_alu 0xfffd
	s_delay_alu instid0(VALU_DEP_2)
	v_add_co_ci_u32_e64 v14, null, s43, v14, vcc_lo
	global_load_u16 v4, v[13:14], off
	s_branch .LBB32_26
.LBB32_29:                              ;   in Loop: Header=BB32_7 Depth=1
	s_wait_alu 0xfffe
	s_or_b32 exec_lo, exec_lo, s9
	s_wait_loadcnt_dscnt 0x0
	s_barrier_signal -1
	s_barrier_wait -1
	global_inv scope:SCOPE_SE
	s_and_saveexec_b32 s9, s2
; %bb.30:                               ;   in Loop: Header=BB32_7 Depth=1
	v_mov_b32_e32 v1, s36
	ds_store_b32 v7, v1 offset:4096
; %bb.31:                               ;   in Loop: Header=BB32_7 Depth=1
	s_wait_alu 0xfffe
	s_or_b32 exec_lo, exec_lo, s9
	s_mov_b32 s9, -1
	s_wait_loadcnt_dscnt 0x0
	s_barrier_signal -1
	s_barrier_wait -1
.LBB32_32:                              ;   in Loop: Header=BB32_7 Depth=1
	s_wait_alu 0xfffe
	s_and_b32 vcc_lo, exec_lo, s9
	s_wait_alu 0xfffe
	s_cbranch_vccz .LBB32_34
; %bb.33:                               ;   in Loop: Header=BB32_7 Depth=1
	s_wait_loadcnt 0x0
	global_inv scope:SCOPE_SE
	ds_load_b32 v1, v7 offset:4096
	s_wait_dscnt 0x0
	v_readfirstlane_b32 s40, v1
.LBB32_34:                              ;   in Loop: Header=BB32_7 Depth=1
	s_delay_alu instid0(VALU_DEP_1)
	s_cmp_lt_i32 s40, 1
	s_mov_b32 s9, -1
                                        ; implicit-def: $vgpr1
	s_cbranch_scc1 .LBB32_44
; %bb.35:                               ;   in Loop: Header=BB32_7 Depth=1
	s_wait_alu 0xfffe
	s_and_b32 vcc_lo, exec_lo, s9
	s_wait_alu 0xfffe
	s_cbranch_vccnz .LBB32_57
.LBB32_36:                              ;   in Loop: Header=BB32_7 Depth=1
	v_lshlrev_b32_e32 v6, 7, v29
	s_and_saveexec_b32 s9, s4
.LBB32_37:                              ;   in Loop: Header=BB32_7 Depth=1
	s_delay_alu instid0(VALU_DEP_1)
	v_lshl_add_u32 v13, v6, 2, v21
	ds_store_b128 v13, v[1:4]
.LBB32_38:                              ;   in Loop: Header=BB32_7 Depth=1
	s_wait_alu 0xfffe
	s_or_b32 exec_lo, exec_lo, s9
	s_wait_loadcnt_dscnt 0x0
	s_barrier_signal -1
	s_barrier_wait -1
	global_inv scope:SCOPE_SE
	s_and_saveexec_b32 s9, s51
	s_cbranch_execz .LBB32_73
; %bb.39:                               ;   in Loop: Header=BB32_7 Depth=1
	v_mov_b32_e32 v1, 0
	s_and_not1_b32 vcc_lo, exec_lo, s56
	s_wait_alu 0xfffe
	s_cbranch_vccnz .LBB32_72
; %bb.40:                               ;   in Loop: Header=BB32_7 Depth=1
	s_and_not1_b32 vcc_lo, exec_lo, s58
	s_wait_alu 0xfffe
	s_cbranch_vccnz .LBB32_69
; %bb.41:                               ;   in Loop: Header=BB32_7 Depth=1
	v_lshl_add_u32 v2, v29, 9, v28
	v_mov_b32_e32 v1, 0
	s_mov_b32 s10, 0
.LBB32_42:                              ;   Parent Loop BB32_7 Depth=1
                                        ; =>  This Inner Loop Header: Depth=2
	ds_load_2addr_b32 v[3:4], v2 offset1:4
	ds_load_2addr_b32 v[13:14], v2 offset0:8 offset1:12
	ds_load_2addr_b32 v[33:34], v2 offset0:16 offset1:20
	;; [unrolled: 1-line block ×3, first 2 shown]
	v_add_nc_u32_e32 v2, 0x80, v2
	s_wait_alu 0xfffe
	s_add_co_i32 s10, s10, 8
	s_wait_alu 0xfffe
	s_cmp_eq_u32 s59, s10
	s_wait_dscnt 0x3
	v_add3_u32 v1, v3, v1, v4
	s_wait_dscnt 0x2
	s_delay_alu instid0(VALU_DEP_1) | instskip(SKIP_1) | instid1(VALU_DEP_1)
	v_add3_u32 v1, v13, v1, v14
	s_wait_dscnt 0x1
	v_add3_u32 v1, v33, v1, v34
	s_wait_dscnt 0x0
	s_delay_alu instid0(VALU_DEP_1)
	v_add3_u32 v1, v35, v1, v36
	s_cbranch_scc0 .LBB32_42
; %bb.43:                               ;   in Loop: Header=BB32_7 Depth=1
	s_mov_b32 s10, s59
	s_and_not1_b32 vcc_lo, exec_lo, s60
	s_wait_alu 0xfffe
	s_cbranch_vccz .LBB32_70
	s_branch .LBB32_72
.LBB32_44:                              ;   in Loop: Header=BB32_7 Depth=1
	v_dual_mov_b32 v1, 0 :: v_dual_mov_b32 v2, 0
	v_dual_mov_b32 v3, 0 :: v_dual_mov_b32 v4, 0
	s_and_saveexec_b32 s73, s5
	s_cbranch_execnz .LBB32_47
; %bb.45:                               ;   in Loop: Header=BB32_7 Depth=1
	s_wait_alu 0xfffe
	s_or_b32 exec_lo, exec_lo, s73
	v_mov_b32_e32 v33, 0
	s_and_saveexec_b32 s9, s6
	s_cbranch_execnz .LBB32_50
.LBB32_46:                              ;   in Loop: Header=BB32_7 Depth=1
	s_wait_alu 0xfffe
	s_or_b32 exec_lo, exec_lo, s9
	s_and_saveexec_b32 s13, s7
	s_cbranch_execnz .LBB32_51
	s_branch .LBB32_56
.LBB32_47:                              ;   in Loop: Header=BB32_7 Depth=1
	v_mov_b32_e32 v6, v16
	s_mov_b32 s74, 0
	s_mov_b32 s75, 0
	s_mov_b32 s76, 0
	s_mov_b32 s77, 0
	s_mov_b32 s78, 0
	s_mov_b32 s79, 0
.LBB32_48:                              ;   Parent Loop BB32_7 Depth=1
                                        ; =>  This Inner Loop Header: Depth=2
	s_wait_alu 0xfffe
	v_add_nc_u32_e32 v1, s75, v25
	v_add_nc_u32_e32 v3, s75, v12
	v_add_nc_u32_e32 v13, s75, v23
	v_add_nc_u32_e32 v33, s75, v24
	s_add_co_i32 s75, s75, s63
	v_ashrrev_i32_e32 v2, 31, v1
	v_ashrrev_i32_e32 v4, 31, v3
	;; [unrolled: 1-line block ×4, first 2 shown]
	s_delay_alu instid0(VALU_DEP_4) | instskip(NEXT) | instid1(VALU_DEP_4)
	v_lshlrev_b64_e32 v[1:2], 1, v[1:2]
	v_lshlrev_b64_e32 v[3:4], 1, v[3:4]
	s_delay_alu instid0(VALU_DEP_4) | instskip(NEXT) | instid1(VALU_DEP_4)
	v_lshlrev_b64_e32 v[13:14], 1, v[13:14]
	v_lshlrev_b64_e32 v[33:34], 1, v[33:34]
	s_delay_alu instid0(VALU_DEP_4)
	v_add_co_u32 v1, vcc_lo, s42, v1
	s_wait_alu 0xfffd
	v_add_co_ci_u32_e64 v2, null, s43, v2, vcc_lo
	v_add_co_u32 v3, vcc_lo, s42, v3
	s_wait_alu 0xfffd
	v_add_co_ci_u32_e64 v4, null, s43, v4, vcc_lo
	;; [unrolled: 3-line block ×4, first 2 shown]
	s_clause 0x3
	global_load_i16 v1, v[1:2], off
	global_load_i16 v2, v[3:4], off
	;; [unrolled: 1-line block ×4, first 2 shown]
	s_wait_loadcnt 0x3
	v_add_nc_u32_e32 v1, 0x8000, v1
	s_wait_loadcnt 0x2
	v_add_nc_u32_e32 v2, 0x8000, v2
	;; [unrolled: 2-line block ×4, first 2 shown]
	v_and_b32_e32 v13, v1, v30
	v_bfe_u32 v1, v1, s72, 2
	v_and_b32_e32 v14, v2, v30
	v_bfe_u32 v2, v2, s72, 2
	;; [unrolled: 2-line block ×3, first 2 shown]
	v_cmp_eq_u32_e64 s9, v13, v22
	v_cmp_eq_u32_e64 s13, 0, v1
	v_and_b32_e32 v34, v4, v30
	v_bfe_u32 v4, v4, s72, 2
	v_cmp_eq_u32_e64 s10, v14, v22
	v_cmp_eq_u32_e64 s14, 0, v2
	;; [unrolled: 1-line block ×4, first 2 shown]
	s_and_b32 s13, s9, s13
	v_cmp_eq_u32_e64 s12, v34, v22
	v_cmp_eq_u32_e64 s16, 0, v4
	v_cmp_eq_u32_e64 s17, 1, v1
	v_cmp_eq_u32_e64 s21, 2, v1
	v_cmp_eq_u32_e64 s25, 3, v1
	s_wait_alu 0xfffe
	v_cndmask_b32_e64 v1, 0, 1, s13
	s_and_b32 s13, s10, s14
	v_cmp_eq_u32_e64 s18, 1, v2
	v_cmp_eq_u32_e64 s22, 2, v2
	v_cmp_eq_u32_e64 s26, 3, v2
	s_wait_alu 0xfffe
	v_cndmask_b32_e64 v2, 0, 1, s13
	s_and_b32 s13, s11, s15
	v_cmp_eq_u32_e64 s19, 1, v3
	v_cmp_eq_u32_e64 s23, 2, v3
	v_cmp_eq_u32_e64 s27, 3, v3
	;; [unrolled: 6-line block ×3, first 2 shown]
	s_wait_alu 0xfffe
	v_cndmask_b32_e64 v4, 0, 1, s13
	s_and_b32 s13, s9, s17
	s_wait_alu 0xfffe
	v_cndmask_b32_e64 v13, 0, 1, s13
	s_and_b32 s13, s10, s18
	;; [unrolled: 3-line block ×4, first 2 shown]
	v_cmp_ne_u32_e64 s14, 0, v14
	s_wait_alu 0xfffe
	v_cndmask_b32_e64 v34, 0, 1, s13
	s_and_b32 s13, s9, s21
	s_and_b32 s9, s9, s25
	s_wait_alu 0xfffe
	v_cndmask_b32_e64 v35, 0, 1, s13
	v_cndmask_b32_e64 v39, 0, 1, s9
	s_and_b32 s9, s10, s26
	s_and_b32 s13, s10, s22
	s_wait_alu 0xfffe
	v_cndmask_b32_e64 v40, 0, 1, s9
	s_and_b32 s9, s11, s27
	v_cndmask_b32_e64 v36, 0, 1, s13
	s_wait_alu 0xfffe
	v_cndmask_b32_e64 v41, 0, 1, s9
	s_and_b32 s9, s12, s28
	s_and_b32 s13, s11, s23
	s_wait_alu 0xfffe
	v_cndmask_b32_e64 v42, 0, 1, s9
	v_cmp_ne_u32_e64 s9, 0, v1
	v_cmp_ne_u32_e64 s10, 0, v2
	v_cndmask_b32_e64 v37, 0, 1, s13
	s_and_b32 s13, s12, s24
	v_cmp_ne_u32_e64 s11, 0, v3
	s_wait_alu 0xfffe
	v_cndmask_b32_e64 v38, 0, 1, s13
	v_cmp_ne_u32_e64 s13, 0, v13
	v_cmp_ne_u32_e64 s17, 0, v35
	;; [unrolled: 1-line block ×3, first 2 shown]
	s_bcnt1_i32_b32 s9, s9
	v_cmp_ne_u32_e64 s12, 0, v4
	v_cmp_ne_u32_e64 s18, 0, v36
	;; [unrolled: 1-line block ×3, first 2 shown]
	s_bcnt1_i32_b32 s10, s10
	s_wait_alu 0xfffe
	s_add_co_i32 s9, s9, s79
	v_cmp_ne_u32_e64 s15, 0, v33
	v_cmp_ne_u32_e64 s19, 0, v37
	;; [unrolled: 1-line block ×3, first 2 shown]
	s_bcnt1_i32_b32 s11, s11
	s_wait_alu 0xfffe
	s_add_co_i32 s9, s9, s10
	s_bcnt1_i32_b32 s13, s13
	s_bcnt1_i32_b32 s17, s17
	;; [unrolled: 1-line block ×3, first 2 shown]
	v_cmp_ne_u32_e64 s16, 0, v34
	v_cmp_ne_u32_e64 s20, 0, v38
	;; [unrolled: 1-line block ×3, first 2 shown]
	s_bcnt1_i32_b32 s12, s12
	s_wait_alu 0xfffe
	s_add_co_i32 s9, s9, s11
	s_bcnt1_i32_b32 s14, s14
	s_bcnt1_i32_b32 s18, s18
	s_bcnt1_i32_b32 s22, s22
	s_add_co_i32 s13, s13, s78
	s_add_co_i32 s17, s17, s77
	s_add_co_i32 s21, s21, s76
	s_wait_alu 0xfffe
	s_add_co_i32 s79, s9, s12
	s_wait_alu 0xfffe
	v_dual_mov_b32 v1, s79 :: v_dual_add_nc_u32 v6, s52, v6
	s_bcnt1_i32_b32 s15, s15
	s_bcnt1_i32_b32 s19, s19
	;; [unrolled: 1-line block ×3, first 2 shown]
	s_add_co_i32 s10, s13, s14
	s_add_co_i32 s13, s17, s18
	;; [unrolled: 1-line block ×3, first 2 shown]
	s_bcnt1_i32_b32 s16, s16
	s_bcnt1_i32_b32 s20, s20
	;; [unrolled: 1-line block ×3, first 2 shown]
	s_wait_alu 0xfffe
	s_add_co_i32 s10, s10, s15
	s_add_co_i32 s11, s13, s19
	;; [unrolled: 1-line block ×3, first 2 shown]
	v_cmp_le_i32_e32 vcc_lo, s61, v6
	s_wait_alu 0xfffe
	s_add_co_i32 s78, s10, s16
	s_add_co_i32 s77, s11, s20
	;; [unrolled: 1-line block ×3, first 2 shown]
	s_wait_alu 0xfffe
	v_dual_mov_b32 v2, s78 :: v_dual_mov_b32 v3, s77
	v_mov_b32_e32 v4, s76
	s_or_b32 s74, vcc_lo, s74
	s_wait_alu 0xfffe
	s_and_not1_b32 exec_lo, exec_lo, s74
	s_cbranch_execnz .LBB32_48
; %bb.49:                               ;   in Loop: Header=BB32_7 Depth=1
	s_or_b32 exec_lo, exec_lo, s74
	s_delay_alu instid0(SALU_CYCLE_1)
	s_or_b32 exec_lo, exec_lo, s73
	v_mov_b32_e32 v33, 0
	s_and_saveexec_b32 s9, s6
	s_cbranch_execz .LBB32_46
.LBB32_50:                              ;   in Loop: Header=BB32_7 Depth=1
	global_load_u16 v33, v[10:11], off
	s_wait_alu 0xfffe
	s_or_b32 exec_lo, exec_lo, s9
	s_and_saveexec_b32 s13, s7
	s_cbranch_execz .LBB32_56
.LBB32_51:                              ;   in Loop: Header=BB32_7 Depth=1
	v_dual_mov_b32 v13, v26 :: v_dual_mov_b32 v6, v19
	s_mov_b32 s14, 0
	s_branch .LBB32_53
.LBB32_52:                              ;   in Loop: Header=BB32_53 Depth=2
	s_wait_alu 0xfffe
	s_or_b32 exec_lo, exec_lo, s9
	s_wait_loadcnt 0x0
	v_bfe_i32 v33, v33, 0, 16
	v_add_nc_u32_e32 v13, s54, v13
	s_delay_alu instid0(VALU_DEP_2) | instskip(NEXT) | instid1(VALU_DEP_1)
	v_add_nc_u32_e32 v33, 0x8000, v33
	v_and_b32_e32 v34, v33, v30
	v_bfe_u32 v33, v33, s72, 2
	s_delay_alu instid0(VALU_DEP_2) | instskip(NEXT) | instid1(VALU_DEP_2)
	v_cmp_eq_u32_e32 vcc_lo, v34, v22
	v_cmp_eq_u32_e64 s9, 0, v33
	v_cmp_eq_u32_e64 s10, 1, v33
	;; [unrolled: 1-line block ×4, first 2 shown]
	s_and_b32 s9, vcc_lo, s9
	s_wait_alu 0xfffe
	v_cndmask_b32_e64 v33, 0, 1, s9
	s_and_b32 s9, vcc_lo, s10
	s_wait_alu 0xfffe
	v_cndmask_b32_e64 v34, 0, 1, s9
	;; [unrolled: 3-line block ×3, first 2 shown]
	s_and_b32 s9, vcc_lo, s12
	v_cmp_ne_u32_e32 vcc_lo, 0, v33
	s_wait_alu 0xfffe
	v_cndmask_b32_e64 v36, 0, 1, s9
	v_cmp_ne_u32_e64 s9, 0, v34
	v_cmp_ne_u32_e64 s10, 0, v35
	v_cmp_le_i32_e64 s12, s36, v6
	s_bcnt1_i32_b32 s15, vcc_lo
	v_cmp_ne_u32_e64 s11, 0, v36
	s_bcnt1_i32_b32 s9, s9
	s_bcnt1_i32_b32 s10, s10
	s_wait_alu 0xfffe
	v_add_nc_u32_e32 v1, s15, v1
	v_add_nc_u32_e32 v2, s9, v2
	s_bcnt1_i32_b32 s11, s11
	v_add_nc_u32_e32 v3, s10, v3
	s_wait_alu 0xfffe
	v_dual_mov_b32 v33, v14 :: v_dual_add_nc_u32 v4, s11, v4
	s_or_b32 s14, s12, s14
	s_wait_alu 0xfffe
	s_and_not1_b32 exec_lo, exec_lo, s14
	s_cbranch_execz .LBB32_55
.LBB32_53:                              ;   Parent Loop BB32_7 Depth=1
                                        ; =>  This Inner Loop Header: Depth=2
	s_delay_alu instid0(VALU_DEP_1) | instskip(SKIP_2) | instid1(VALU_DEP_2)
	v_add_nc_u32_e32 v6, s50, v6
	v_mov_b32_e32 v14, 0
	s_mov_b32 s9, exec_lo
	v_cmpx_gt_u32_e64 s36, v6
	s_cbranch_execz .LBB32_52
; %bb.54:                               ;   in Loop: Header=BB32_53 Depth=2
	v_ashrrev_i32_e32 v14, 31, v13
	s_delay_alu instid0(VALU_DEP_1) | instskip(NEXT) | instid1(VALU_DEP_1)
	v_lshlrev_b64_e32 v[34:35], 1, v[13:14]
	v_add_co_u32 v34, vcc_lo, s42, v34
	s_wait_alu 0xfffd
	s_delay_alu instid0(VALU_DEP_2)
	v_add_co_ci_u32_e64 v35, null, s43, v35, vcc_lo
	global_load_u16 v14, v[34:35], off
	s_branch .LBB32_52
.LBB32_55:                              ;   in Loop: Header=BB32_7 Depth=1
	s_or_b32 exec_lo, exec_lo, s14
.LBB32_56:                              ;   in Loop: Header=BB32_7 Depth=1
	s_wait_alu 0xfffe
	s_or_b32 exec_lo, exec_lo, s13
	s_branch .LBB32_36
.LBB32_57:                              ;   in Loop: Header=BB32_7 Depth=1
	s_mul_u64 s[10:11], s[40:41], s[44:45]
	v_dual_mov_b32 v1, 0 :: v_dual_mov_b32 v2, 0
	s_wait_alu 0xfffe
	s_mul_i32 s9, s11, s52
	v_dual_mov_b32 v3, 0 :: v_dual_mov_b32 v4, 0
	s_wait_alu 0xfffe
	s_sub_co_i32 s9, s40, s9
	s_mov_b32 s74, exec_lo
	s_wait_alu 0xfffe
	s_sub_co_i32 s10, s9, s52
	s_cmp_ge_u32 s9, s52
	s_wait_alu 0xfffe
	s_cselect_b32 s9, s10, s9
	s_wait_alu 0xfffe
	s_sub_co_i32 s10, s9, s52
	s_cmp_ge_u32 s9, s52
	s_wait_alu 0xfffe
	s_cselect_b32 s9, s10, s9
	s_wait_alu 0xfffe
	s_sub_co_i32 s73, s40, s9
	s_wait_alu 0xfffe
	v_cmpx_gt_u32_e64 s73, v16
	s_cbranch_execz .LBB32_61
; %bb.58:                               ;   in Loop: Header=BB32_7 Depth=1
	v_dual_mov_b32 v6, v27 :: v_dual_mov_b32 v13, v16
	s_mov_b32 s75, 0
	s_mov_b32 s76, 0
	;; [unrolled: 1-line block ×5, first 2 shown]
.LBB32_59:                              ;   Parent Loop BB32_7 Depth=1
                                        ; =>  This Inner Loop Header: Depth=2
	ds_load_b64 v[1:2], v6
	s_wait_dscnt 0x0
	v_bfe_i32 v3, v1, 0, 16
	v_ashrrev_i32_e32 v1, 16, v1
	v_bfe_i32 v4, v2, 0, 16
	v_ashrrev_i32_e32 v2, 16, v2
	s_delay_alu instid0(VALU_DEP_4) | instskip(NEXT) | instid1(VALU_DEP_4)
	v_add_nc_u32_e32 v3, 0x8000, v3
	v_add_nc_u32_e32 v1, 0x8000, v1
	s_delay_alu instid0(VALU_DEP_4) | instskip(NEXT) | instid1(VALU_DEP_4)
	v_add_nc_u32_e32 v4, 0x8000, v4
	v_add_nc_u32_e32 v2, 0x8000, v2
	s_delay_alu instid0(VALU_DEP_4)
	v_and_b32_e32 v14, v3, v30
	v_bfe_u32 v3, v3, s72, 2
	s_wait_loadcnt 0x0
	v_and_b32_e32 v33, v1, v30
	v_bfe_u32 v1, v1, s72, 2
	v_and_b32_e32 v34, v4, v30
	v_bfe_u32 v4, v4, s72, 2
	v_cmp_eq_u32_e64 s9, v14, v22
	v_cmp_eq_u32_e64 s13, 0, v3
	v_and_b32_e32 v35, v2, v30
	v_bfe_u32 v2, v2, s72, 2
	v_cmp_eq_u32_e64 s10, v33, v22
	v_cmp_eq_u32_e64 s14, 0, v1
	;; [unrolled: 1-line block ×4, first 2 shown]
	s_and_b32 s13, s9, s13
	v_cmp_eq_u32_e64 s12, v35, v22
	v_cmp_eq_u32_e64 s16, 0, v2
	;; [unrolled: 1-line block ×5, first 2 shown]
	s_wait_alu 0xfffe
	v_cndmask_b32_e64 v1, 0, 1, s13
	s_and_b32 s13, s10, s14
	v_cmp_eq_u32_e64 s17, 1, v3
	v_cmp_eq_u32_e64 s20, 1, v2
	;; [unrolled: 1-line block ×4, first 2 shown]
	s_wait_alu 0xfffe
	v_cndmask_b32_e64 v2, 0, 1, s13
	s_and_b32 s13, s11, s15
	v_cmp_eq_u32_e64 s21, 2, v3
	v_cmp_eq_u32_e64 s25, 3, v3
	s_wait_alu 0xfffe
	v_cndmask_b32_e64 v3, 0, 1, s13
	s_and_b32 s13, s12, s16
	v_cmp_eq_u32_e64 s19, 1, v4
	v_cmp_eq_u32_e64 s23, 2, v4
	;; [unrolled: 1-line block ×3, first 2 shown]
	s_wait_alu 0xfffe
	v_cndmask_b32_e64 v4, 0, 1, s13
	s_and_b32 s13, s9, s17
	s_wait_alu 0xfffe
	v_cndmask_b32_e64 v14, 0, 1, s13
	s_and_b32 s13, s10, s18
	;; [unrolled: 3-line block ×4, first 2 shown]
	v_cmp_ne_u32_e64 s14, 0, v33
	s_wait_alu 0xfffe
	v_cndmask_b32_e64 v35, 0, 1, s13
	s_and_b32 s13, s9, s21
	s_and_b32 s9, s9, s25
	s_wait_alu 0xfffe
	v_cndmask_b32_e64 v36, 0, 1, s13
	s_and_b32 s13, s10, s22
	v_cndmask_b32_e64 v40, 0, 1, s9
	s_and_b32 s9, s10, s26
	s_wait_alu 0xfffe
	v_cndmask_b32_e64 v37, 0, 1, s13
	s_and_b32 s13, s11, s23
	v_cndmask_b32_e64 v41, 0, 1, s9
	;; [unrolled: 5-line block ×3, first 2 shown]
	s_and_b32 s9, s12, s28
	s_wait_alu 0xfffe
	v_cndmask_b32_e64 v39, 0, 1, s13
	v_cndmask_b32_e64 v43, 0, 1, s9
	v_cmp_ne_u32_e64 s9, 0, v1
	v_cmp_ne_u32_e64 s13, 0, v14
	;; [unrolled: 1-line block ×6, first 2 shown]
	s_bcnt1_i32_b32 s9, s9
	s_bcnt1_i32_b32 s13, s13
	v_cmp_ne_u32_e64 s16, 0, v35
	v_cmp_ne_u32_e64 s18, 0, v37
	;; [unrolled: 1-line block ×3, first 2 shown]
	s_bcnt1_i32_b32 s10, s10
	s_bcnt1_i32_b32 s14, s14
	s_wait_alu 0xfffe
	s_add_co_i32 s9, s9, s79
	s_add_co_i32 s13, s13, s78
	v_cmp_ne_u32_e64 s11, 0, v3
	v_cmp_ne_u32_e64 s19, 0, v38
	;; [unrolled: 1-line block ×3, first 2 shown]
	s_bcnt1_i32_b32 s15, s15
	s_wait_alu 0xfffe
	s_add_co_i32 s9, s9, s10
	s_add_co_i32 s10, s13, s14
	s_bcnt1_i32_b32 s17, s17
	s_bcnt1_i32_b32 s21, s21
	v_cmp_ne_u32_e64 s12, 0, v4
	v_cmp_ne_u32_e64 s20, 0, v39
	v_cmp_ne_u32_e64 s24, 0, v43
	s_bcnt1_i32_b32 s16, s16
	s_wait_alu 0xfffe
	s_add_co_i32 s10, s10, s15
	s_bcnt1_i32_b32 s18, s18
	s_bcnt1_i32_b32 s22, s22
	s_add_co_i32 s17, s17, s77
	s_add_co_i32 s21, s21, s76
	s_wait_alu 0xfffe
	s_add_co_i32 s78, s10, s16
	s_wait_alu 0xfffe
	v_dual_mov_b32 v2, s78 :: v_dual_add_nc_u32 v13, s52, v13
	s_bcnt1_i32_b32 s11, s11
	s_bcnt1_i32_b32 s19, s19
	;; [unrolled: 1-line block ×3, first 2 shown]
	s_add_co_i32 s13, s17, s18
	s_add_co_i32 s14, s21, s22
	s_bcnt1_i32_b32 s12, s12
	s_bcnt1_i32_b32 s20, s20
	;; [unrolled: 1-line block ×3, first 2 shown]
	s_wait_alu 0xfffe
	s_add_co_i32 s9, s9, s11
	s_add_co_i32 s11, s13, s19
	;; [unrolled: 1-line block ×3, first 2 shown]
	v_cmp_le_i32_e32 vcc_lo, s73, v13
	s_wait_alu 0xfffe
	s_add_co_i32 s79, s9, s12
	s_add_co_i32 s77, s11, s20
	;; [unrolled: 1-line block ×3, first 2 shown]
	s_wait_alu 0xfffe
	v_dual_mov_b32 v1, s79 :: v_dual_add_nc_u32 v6, s64, v6
	v_dual_mov_b32 v3, s77 :: v_dual_mov_b32 v4, s76
	s_or_b32 s75, vcc_lo, s75
	s_wait_alu 0xfffe
	s_and_not1_b32 exec_lo, exec_lo, s75
	s_cbranch_execnz .LBB32_59
; %bb.60:                               ;   in Loop: Header=BB32_7 Depth=1
	s_or_b32 exec_lo, exec_lo, s75
.LBB32_61:                              ;   in Loop: Header=BB32_7 Depth=1
	s_delay_alu instid0(SALU_CYCLE_1) | instskip(SKIP_2) | instid1(VALU_DEP_1)
	s_or_b32 exec_lo, exec_lo, s74
	v_add_nc_u32_e32 v6, s73, v0
	s_mov_b32 s14, exec_lo
	v_cmpx_gt_i32_e64 s40, v6
	s_cbranch_execz .LBB32_65
; %bb.62:                               ;   in Loop: Header=BB32_7 Depth=1
	v_lshlrev_b32_e32 v13, 1, v6
	s_mov_b32 s15, 0
.LBB32_63:                              ;   Parent Loop BB32_7 Depth=1
                                        ; =>  This Inner Loop Header: Depth=2
	ds_load_i16 v14, v13
	v_add_nc_u32_e32 v6, s50, v6
	v_add_nc_u32_e32 v13, s65, v13
	s_delay_alu instid0(VALU_DEP_2) | instskip(SKIP_3) | instid1(VALU_DEP_1)
	v_cmp_le_i32_e32 vcc_lo, s40, v6
	s_wait_dscnt 0x0
	v_add_nc_u32_e32 v14, 0x8000, v14
	s_wait_loadcnt 0x0
	v_and_b32_e32 v33, v14, v30
	v_bfe_u32 v14, v14, s72, 2
	s_delay_alu instid0(VALU_DEP_2) | instskip(NEXT) | instid1(VALU_DEP_2)
	v_cmp_eq_u32_e64 s9, v33, v22
	v_cmp_eq_u32_e64 s10, 0, v14
	;; [unrolled: 1-line block ×5, first 2 shown]
	s_and_b32 s10, s9, s10
	s_wait_alu 0xfffe
	v_cndmask_b32_e64 v14, 0, 1, s10
	s_and_b32 s10, s9, s11
	s_wait_alu 0xfffe
	v_cndmask_b32_e64 v33, 0, 1, s10
	s_and_b32 s10, s9, s12
	s_and_b32 s9, s9, s13
	s_wait_alu 0xfffe
	v_cndmask_b32_e64 v34, 0, 1, s10
	v_cndmask_b32_e64 v35, 0, 1, s9
	v_cmp_ne_u32_e64 s9, 0, v14
	v_cmp_ne_u32_e64 s10, 0, v33
	s_delay_alu instid0(VALU_DEP_4) | instskip(NEXT) | instid1(VALU_DEP_4)
	v_cmp_ne_u32_e64 s11, 0, v34
	v_cmp_ne_u32_e64 s12, 0, v35
	s_bcnt1_i32_b32 s9, s9
	s_bcnt1_i32_b32 s10, s10
	s_wait_alu 0xfffe
	v_add_nc_u32_e32 v1, s9, v1
	s_bcnt1_i32_b32 s11, s11
	s_bcnt1_i32_b32 s12, s12
	v_add_nc_u32_e32 v2, s10, v2
	s_wait_alu 0xfffe
	v_add_nc_u32_e32 v3, s11, v3
	v_add_nc_u32_e32 v4, s12, v4
	s_or_b32 s15, vcc_lo, s15
	s_wait_alu 0xfffe
	s_and_not1_b32 exec_lo, exec_lo, s15
	s_cbranch_execnz .LBB32_63
; %bb.64:                               ;   in Loop: Header=BB32_7 Depth=1
	s_or_b32 exec_lo, exec_lo, s15
.LBB32_65:                              ;   in Loop: Header=BB32_7 Depth=1
	s_wait_alu 0xfffe
	s_or_b32 exec_lo, exec_lo, s14
	v_lshlrev_b32_e32 v6, 7, v29
	s_and_saveexec_b32 s9, s4
	s_cbranch_execnz .LBB32_37
	s_branch .LBB32_38
.LBB32_66:                              ;   in Loop: Header=BB32_7 Depth=1
	s_or_b32 exec_lo, exec_lo, s12
	s_wait_dscnt 0x0
	s_barrier_signal -1
	s_barrier_wait -1
	global_inv scope:SCOPE_SE
	s_and_saveexec_b32 s9, s2
	s_cbranch_execz .LBB32_68
; %bb.67:                               ;   in Loop: Header=BB32_7 Depth=1
	ds_load_b32 v1, v7 offset:4104
	s_wait_dscnt 0x0
	ds_store_b32 v7, v1 offset:4096
.LBB32_68:                              ;   in Loop: Header=BB32_7 Depth=1
	s_wait_alu 0xfffe
	s_or_b32 exec_lo, exec_lo, s9
	s_wait_loadcnt_dscnt 0x0
	s_barrier_signal -1
	s_mov_b32 s9, -1
	s_barrier_wait -1
	s_and_b32 vcc_lo, exec_lo, s10
	s_wait_alu 0xfffe
	s_cbranch_vccnz .LBB32_22
	s_branch .LBB32_32
.LBB32_69:                              ;   in Loop: Header=BB32_7 Depth=1
	v_mov_b32_e32 v1, 0
	s_mov_b32 s10, 0
	s_and_not1_b32 vcc_lo, exec_lo, s60
	s_wait_alu 0xfffe
	s_cbranch_vccnz .LBB32_72
.LBB32_70:                              ;   in Loop: Header=BB32_7 Depth=1
	v_lshlrev_b32_e32 v2, 9, v29
	s_lshl_b32 s10, s10, 4
	s_wait_alu 0xfffe
	s_delay_alu instid0(VALU_DEP_1)
	v_add3_u32 v2, v2, s10, v28
	s_mov_b32 s10, s57
.LBB32_71:                              ;   Parent Loop BB32_7 Depth=1
                                        ; =>  This Inner Loop Header: Depth=2
	ds_load_b32 v3, v2
	v_add_nc_u32_e32 v2, 16, v2
	s_wait_alu 0xfffe
	s_add_co_i32 s10, s10, -1
	s_wait_alu 0xfffe
	s_cmp_lg_u32 s10, 0
	s_wait_dscnt 0x0
	v_add_nc_u32_e32 v1, v3, v1
	s_cbranch_scc1 .LBB32_71
.LBB32_72:                              ;   in Loop: Header=BB32_7 Depth=1
	v_add_lshl_u32 v2, v6, v15, 2
	ds_store_b32 v2, v1 offset:3072
.LBB32_73:                              ;   in Loop: Header=BB32_7 Depth=1
	s_wait_alu 0xfffe
	s_or_b32 exec_lo, exec_lo, s9
	v_lshlrev_b32_e32 v1, 2, v6
	s_wait_loadcnt_dscnt 0x0
	s_barrier_signal -1
	s_barrier_wait -1
	global_inv scope:SCOPE_SE
	ds_load_b128 v[1:4], v1 offset:3072
	s_lshl_b32 s10, 3, s72
	v_cmp_eq_u32_e32 vcc_lo, 1, v32
	s_wait_alu 0xfffe
	s_not_b32 s17, s10
	s_mov_b32 s13, -1
	s_mov_b32 s15, -1
                                        ; implicit-def: $sgpr20
                                        ; implicit-def: $sgpr18
	s_wait_dscnt 0x0
	v_readfirstlane_b32 s12, v1
	v_readfirstlane_b32 s19, v2
	;; [unrolled: 1-line block ×4, first 2 shown]
	s_cmp_eq_u32 s12, 1
	s_cselect_b32 s11, -1, 0
	s_wait_alu 0xfffe
	s_and_b32 s14, s11, vcc_lo
	s_wait_alu 0xfffe
	s_and_saveexec_b32 s11, s14
	s_cbranch_execz .LBB32_99
; %bb.74:                               ;   in Loop: Header=BB32_7 Depth=1
	ds_load_b32 v1, v7 offset:4096
	s_wait_loadcnt_dscnt 0x0
	s_barrier_signal -1
	s_barrier_wait -1
	global_inv scope:SCOPE_SE
	v_readfirstlane_b32 s15, v1
	s_and_saveexec_b32 s18, s0
; %bb.75:                               ;   in Loop: Header=BB32_7 Depth=1
	ds_store_b16 v18, v7
; %bb.76:                               ;   in Loop: Header=BB32_7 Depth=1
	s_wait_alu 0xfffe
	s_or_b32 exec_lo, exec_lo, s18
	v_and_b32_e32 v22, s17, v22
	v_or_b32_e32 v30, s10, v30
	s_mov_b32 s18, -1
	s_mov_b32 s20, 0
	s_cmp_lt_i32 s15, 1
	s_mov_b32 s21, 0
	s_mov_b32 s22, -1
	s_wait_loadcnt_dscnt 0x0
	s_barrier_signal -1
	s_barrier_wait -1
	global_inv scope:SCOPE_SE
                                        ; implicit-def: $vgpr31
	s_cbranch_scc0 .LBB32_87
; %bb.77:                               ;   in Loop: Header=BB32_7 Depth=1
	s_mov_b32 s22, 0
                                        ; implicit-def: $vgpr31
	s_and_saveexec_b32 s23, s8
	s_cbranch_execz .LBB32_86
; %bb.78:                               ;   in Loop: Header=BB32_7 Depth=1
	v_mov_b32_e32 v1, v5
	v_mov_b32_e32 v3, v0
                                        ; implicit-def: $sgpr24
	s_branch .LBB32_81
.LBB32_79:                              ;   in Loop: Header=BB32_81 Depth=2
	s_wait_alu 0xfffe
	s_or_b32 exec_lo, exec_lo, s25
	s_wait_loadcnt_dscnt 0x0
	s_barrier_signal -1
	s_barrier_wait -1
	global_inv scope:SCOPE_SE
	ds_load_b32 v2, v7 offset:3072
	s_mov_b32 s25, -1
	s_mov_b32 s26, -1
	s_wait_loadcnt_dscnt 0x0
	s_barrier_signal -1
	s_barrier_wait -1
	global_inv scope:SCOPE_SE
	v_and_b32_e32 v4, 0xffff, v2
	s_delay_alu instid0(VALU_DEP_1)
	v_cmp_ne_u32_e32 vcc_lo, 0, v4
	s_cbranch_vccz .LBB32_84
.LBB32_80:                              ;   in Loop: Header=BB32_81 Depth=2
	s_wait_alu 0xfffe
	s_and_b32 s25, exec_lo, s25
	s_wait_alu 0xfffe
	s_or_b32 s21, s25, s21
	s_and_not1_b32 s24, s24, exec_lo
	s_and_b32 s25, s26, exec_lo
	s_wait_alu 0xfffe
	s_or_b32 s24, s24, s25
	s_and_not1_b32 exec_lo, exec_lo, s21
	s_cbranch_execz .LBB32_85
.LBB32_81:                              ;   Parent Loop BB32_7 Depth=1
                                        ; =>  This Inner Loop Header: Depth=2
	s_mov_b32 s25, exec_lo
	s_delay_alu instid0(VALU_DEP_1)
	v_cmpx_gt_i32_e64 s36, v3
	s_cbranch_execz .LBB32_79
; %bb.82:                               ;   in Loop: Header=BB32_81 Depth=2
	v_ashrrev_i32_e32 v2, 31, v1
	s_delay_alu instid0(VALU_DEP_1) | instskip(NEXT) | instid1(VALU_DEP_1)
	v_lshlrev_b64_e32 v[13:14], 1, v[1:2]
	v_add_co_u32 v13, vcc_lo, s42, v13
	s_wait_alu 0xfffd
	s_delay_alu instid0(VALU_DEP_2) | instskip(SKIP_3) | instid1(VALU_DEP_1)
	v_add_co_ci_u32_e64 v14, null, s43, v14, vcc_lo
	global_load_u16 v2, v[13:14], off
	s_wait_loadcnt 0x0
	v_bfe_i32 v4, v2, 0, 16
	v_add_nc_u32_e32 v4, 0x8000, v4
	s_delay_alu instid0(VALU_DEP_1) | instskip(NEXT) | instid1(VALU_DEP_1)
	v_and_b32_e32 v4, v4, v30
	v_cmp_eq_u32_e32 vcc_lo, v4, v22
	s_and_b32 exec_lo, exec_lo, vcc_lo
	s_cbranch_execz .LBB32_79
; %bb.83:                               ;   in Loop: Header=BB32_81 Depth=2
	v_perm_b32 v2, v2, 1, 0x5040100
	ds_store_b32 v7, v2 offset:3072
	s_branch .LBB32_79
.LBB32_84:                              ;   in Loop: Header=BB32_81 Depth=2
	v_add_nc_u32_e32 v3, s50, v3
	v_add_nc_u32_e32 v1, s54, v1
	s_mov_b32 s26, 0
	s_delay_alu instid0(VALU_DEP_2)
	v_cmp_le_i32_e32 vcc_lo, s62, v3
	s_or_not1_b32 s25, vcc_lo, exec_lo
	s_branch .LBB32_80
.LBB32_85:                              ;   in Loop: Header=BB32_7 Depth=1
	s_or_b32 exec_lo, exec_lo, s21
	v_lshrrev_b32_e32 v31, 16, v2
	s_wait_alu 0xfffe
	s_and_b32 s21, s24, exec_lo
.LBB32_86:                              ;   in Loop: Header=BB32_7 Depth=1
	s_wait_alu 0xfffe
	s_or_b32 exec_lo, exec_lo, s23
.LBB32_87:                              ;   in Loop: Header=BB32_7 Depth=1
	s_wait_alu 0xfffe
	s_and_b32 vcc_lo, exec_lo, s22
	s_wait_alu 0xfffe
	s_cbranch_vccz .LBB32_98
; %bb.88:                               ;   in Loop: Header=BB32_7 Depth=1
	s_add_co_i32 s20, s15, s53
                                        ; implicit-def: $vgpr31
	s_wait_alu 0xfffe
	s_abs_i32 s40, s20
	s_wait_alu 0xfffe
	s_mul_u64 s[22:23], s[40:41], s[46:47]
	s_ashr_i32 s22, s20, 31
	s_wait_alu 0xfffe
	s_mul_i32 s18, s23, s50
	s_wait_alu 0xfffe
	s_sub_co_i32 s18, s40, s18
	s_wait_alu 0xfffe
	s_sub_co_i32 s23, s18, s50
	s_cmp_ge_u32 s18, s50
	s_wait_alu 0xfffe
	s_cselect_b32 s18, s23, s18
	s_wait_alu 0xfffe
	s_sub_co_i32 s23, s18, s50
	s_cmp_ge_u32 s18, s50
	s_wait_alu 0xfffe
	s_cselect_b32 s18, s23, s18
	s_wait_alu 0xfffe
	s_xor_b32 s18, s18, s22
	s_wait_alu 0xfffe
	s_sub_co_i32 s18, s22, s18
	s_wait_alu 0xfffe
	s_add_co_i32 s20, s20, s18
	s_mov_b32 s18, exec_lo
	s_wait_alu 0xfffe
	v_cmpx_gt_i32_e64 s20, v0
	s_cbranch_execz .LBB32_97
; %bb.89:                               ;   in Loop: Header=BB32_7 Depth=1
	v_dual_mov_b32 v1, v17 :: v_dual_mov_b32 v2, v0
	s_mov_b32 s22, 0
                                        ; implicit-def: $sgpr23
	s_branch .LBB32_92
.LBB32_90:                              ;   in Loop: Header=BB32_92 Depth=2
	s_wait_alu 0xfffe
	s_or_b32 exec_lo, exec_lo, s24
	s_wait_loadcnt_dscnt 0x0
	s_barrier_signal -1
	s_barrier_wait -1
	global_inv scope:SCOPE_SE
	ds_load_b32 v3, v7 offset:3072
	s_mov_b32 s24, -1
	s_mov_b32 s25, -1
	s_wait_loadcnt_dscnt 0x0
	s_barrier_signal -1
	s_barrier_wait -1
	global_inv scope:SCOPE_SE
	v_and_b32_e32 v4, 0xffff, v3
	s_delay_alu instid0(VALU_DEP_1)
	v_cmp_ne_u32_e32 vcc_lo, 0, v4
	s_cbranch_vccz .LBB32_95
.LBB32_91:                              ;   in Loop: Header=BB32_92 Depth=2
	s_wait_alu 0xfffe
	s_and_b32 s24, exec_lo, s24
	s_wait_alu 0xfffe
	s_or_b32 s22, s24, s22
	s_and_not1_b32 s23, s23, exec_lo
	s_and_b32 s24, s25, exec_lo
	s_wait_alu 0xfffe
	s_or_b32 s23, s23, s24
	s_and_not1_b32 exec_lo, exec_lo, s22
	s_cbranch_execz .LBB32_96
.LBB32_92:                              ;   Parent Loop BB32_7 Depth=1
                                        ; =>  This Inner Loop Header: Depth=2
	s_mov_b32 s24, exec_lo
	s_delay_alu instid0(VALU_DEP_1)
	v_cmpx_gt_i32_e64 s15, v2
	s_cbranch_execz .LBB32_90
; %bb.93:                               ;   in Loop: Header=BB32_92 Depth=2
	ds_load_u16 v3, v1
	s_wait_dscnt 0x0
	v_bfe_i32 v4, v3, 0, 16
	s_delay_alu instid0(VALU_DEP_1) | instskip(NEXT) | instid1(VALU_DEP_1)
	v_add_nc_u32_e32 v4, 0x8000, v4
	v_and_b32_e32 v4, v4, v30
	s_delay_alu instid0(VALU_DEP_1)
	v_cmp_eq_u32_e32 vcc_lo, v4, v22
	s_and_b32 exec_lo, exec_lo, vcc_lo
	s_cbranch_execz .LBB32_90
; %bb.94:                               ;   in Loop: Header=BB32_92 Depth=2
	v_perm_b32 v3, v3, 1, 0x5040100
	ds_store_b32 v7, v3 offset:3072
	s_branch .LBB32_90
.LBB32_95:                              ;   in Loop: Header=BB32_92 Depth=2
	v_add_nc_u32_e32 v2, s50, v2
	v_add_nc_u32_e32 v1, s65, v1
	s_mov_b32 s25, 0
	s_delay_alu instid0(VALU_DEP_2)
	v_cmp_le_i32_e32 vcc_lo, s20, v2
	s_or_not1_b32 s24, vcc_lo, exec_lo
	s_branch .LBB32_91
.LBB32_96:                              ;   in Loop: Header=BB32_7 Depth=1
	s_or_b32 exec_lo, exec_lo, s22
	s_delay_alu instid0(SALU_CYCLE_1)
	s_and_not1_b32 s15, s21, exec_lo
	s_wait_alu 0xfffe
	s_and_b32 s20, s23, exec_lo
	v_lshrrev_b32_e32 v31, 16, v3
	s_wait_alu 0xfffe
	s_or_b32 s21, s15, s20
.LBB32_97:                              ;   in Loop: Header=BB32_7 Depth=1
	s_or_b32 exec_lo, exec_lo, s18
	s_mov_b32 s18, 0
	s_mov_b32 s20, -1
.LBB32_98:                              ;   in Loop: Header=BB32_7 Depth=1
	s_wait_alu 0xfffe
	s_or_not1_b32 s15, s21, exec_lo
.LBB32_99:                              ;   in Loop: Header=BB32_7 Depth=1
	s_wait_alu 0xfffe
	s_or_b32 exec_lo, exec_lo, s11
	v_readfirstlane_b32 s21, v0
	s_and_not1_b32 s11, s70, exec_lo
	s_and_b32 s20, s20, exec_lo
	s_and_not1_b32 s22, s68, exec_lo
	s_and_b32 s18, s18, exec_lo
	s_and_not1_b32 s67, s67, exec_lo
	s_wait_alu 0xfffe
	s_or_b32 s70, s11, s20
	s_or_b32 s68, s22, s18
                                        ; implicit-def: $vgpr4
	s_and_saveexec_b32 s11, s15
	s_cbranch_execz .LBB32_6
; %bb.100:                              ;   in Loop: Header=BB32_7 Depth=1
	v_dual_mov_b32 v4, 1 :: v_dual_mov_b32 v3, 1
	s_xor_b32 s14, s14, -1
	s_mov_b32 s20, 0
	s_wait_alu 0xfffe
	s_and_saveexec_b32 s13, s14
	s_cbranch_execz .LBB32_109
; %bb.101:                              ;   in Loop: Header=BB32_7 Depth=1
	s_mov_b32 s14, exec_lo
	v_cmpx_ge_i32_e64 s12, v32
	s_wait_alu 0xfffe
	s_xor_b32 s14, exec_lo, s14
	s_cbranch_execz .LBB32_106
; %bb.102:                              ;   in Loop: Header=BB32_7 Depth=1
	ds_load_b32 v1, v7 offset:4096
	v_and_b32_e32 v22, s17, v22
	v_or_b32_e32 v30, s10, v30
	s_wait_dscnt 0x0
	v_cmp_ne_u32_e32 vcc_lo, 0, v1
	s_cbranch_vccnz .LBB32_106
; %bb.103:                              ;   in Loop: Header=BB32_7 Depth=1
	s_and_saveexec_b32 s15, s2
; %bb.104:                              ;   in Loop: Header=BB32_7 Depth=1
	v_mov_b32_e32 v1, s12
	ds_store_b32 v7, v1 offset:4100
; %bb.105:                              ;   in Loop: Header=BB32_7 Depth=1
	s_wait_alu 0xfffe
	s_or_b32 exec_lo, exec_lo, s15
	s_wait_loadcnt_dscnt 0x0
	s_barrier_signal -1
	s_barrier_wait -1
	global_inv scope:SCOPE_SE
.LBB32_106:                             ;   in Loop: Header=BB32_7 Depth=1
	s_wait_alu 0xfffe
	s_or_saveexec_b32 s14, s14
	v_mov_b32_e32 v3, 8
	s_mov_b32 s15, 0
	s_wait_alu 0xfffe
	s_xor_b32 exec_lo, exec_lo, s14
; %bb.107:                              ;   in Loop: Header=BB32_7 Depth=1
	v_subrev_nc_u32_e32 v32, s12, v32
	v_mov_b32_e32 v3, 0
	s_mov_b32 s15, exec_lo
; %bb.108:                              ;   in Loop: Header=BB32_7 Depth=1
	s_or_b32 exec_lo, exec_lo, s14
	s_delay_alu instid0(VALU_DEP_2)
	v_mov_b32_e32 v4, v32
	s_wait_alu 0xfffe
	s_and_b32 s20, s15, exec_lo
.LBB32_109:                             ;   in Loop: Header=BB32_7 Depth=1
	s_wait_alu 0xfffe
	s_or_b32 exec_lo, exec_lo, s13
	s_mov_b32 s12, -1
	s_mov_b32 s18, -1
                                        ; implicit-def: $sgpr14
                                        ; implicit-def: $sgpr15
	s_and_saveexec_b32 s13, s20
	s_wait_alu 0xfffe
	s_xor_b32 s13, exec_lo, s13
	s_cbranch_execz .LBB32_226
; %bb.110:                              ;   in Loop: Header=BB32_7 Depth=1
	v_cmp_eq_u32_e32 vcc_lo, 1, v4
	s_cmp_eq_u32 s19, 1
	s_mov_b32 s21, -1
	s_cselect_b32 s14, -1, 0
                                        ; implicit-def: $sgpr15
	s_wait_alu 0xfffe
	s_and_b32 s20, s14, vcc_lo
                                        ; implicit-def: $sgpr14
	s_wait_alu 0xfffe
	s_and_saveexec_b32 s18, s20
	s_cbranch_execz .LBB32_136
; %bb.111:                              ;   in Loop: Header=BB32_7 Depth=1
	ds_load_b32 v1, v7 offset:4096
	s_wait_loadcnt_dscnt 0x0
	s_barrier_signal -1
	s_barrier_wait -1
	global_inv scope:SCOPE_SE
	v_readfirstlane_b32 s21, v1
	s_and_saveexec_b32 s14, s0
; %bb.112:                              ;   in Loop: Header=BB32_7 Depth=1
	ds_store_b16 v18, v7
; %bb.113:                              ;   in Loop: Header=BB32_7 Depth=1
	s_wait_alu 0xfffe
	s_or_b32 exec_lo, exec_lo, s14
	s_lshl_b32 s14, 1, s72
	v_or_b32_e32 v30, s10, v30
	s_wait_alu 0xfffe
	v_and_or_b32 v22, v22, s17, s14
	s_mov_b32 s14, -1
	s_mov_b32 s15, 0
	s_cmp_gt_i32 s21, 0
	s_mov_b32 s22, 0
	s_mov_b32 s23, -1
	s_wait_loadcnt_dscnt 0x0
	s_barrier_signal -1
	s_barrier_wait -1
	global_inv scope:SCOPE_SE
                                        ; implicit-def: $vgpr31
	s_cbranch_scc1 .LBB32_124
; %bb.114:                              ;   in Loop: Header=BB32_7 Depth=1
	s_mov_b32 s23, 0
                                        ; implicit-def: $vgpr31
	s_and_saveexec_b32 s24, s8
	s_cbranch_execz .LBB32_123
; %bb.115:                              ;   in Loop: Header=BB32_7 Depth=1
	v_dual_mov_b32 v1, v5 :: v_dual_mov_b32 v6, v0
                                        ; implicit-def: $sgpr25
	s_branch .LBB32_118
.LBB32_116:                             ;   in Loop: Header=BB32_118 Depth=2
	s_wait_alu 0xfffe
	s_or_b32 exec_lo, exec_lo, s26
	s_wait_loadcnt_dscnt 0x0
	s_barrier_signal -1
	s_barrier_wait -1
	global_inv scope:SCOPE_SE
	ds_load_b32 v2, v7 offset:3072
	s_mov_b32 s26, -1
	s_mov_b32 s27, -1
	s_wait_loadcnt_dscnt 0x0
	s_barrier_signal -1
	s_barrier_wait -1
	global_inv scope:SCOPE_SE
	v_and_b32_e32 v13, 0xffff, v2
	s_delay_alu instid0(VALU_DEP_1)
	v_cmp_ne_u32_e32 vcc_lo, 0, v13
	s_cbranch_vccz .LBB32_121
.LBB32_117:                             ;   in Loop: Header=BB32_118 Depth=2
	s_wait_alu 0xfffe
	s_and_b32 s26, exec_lo, s26
	s_wait_alu 0xfffe
	s_or_b32 s22, s26, s22
	s_and_not1_b32 s25, s25, exec_lo
	s_and_b32 s26, s27, exec_lo
	s_wait_alu 0xfffe
	s_or_b32 s25, s25, s26
	s_and_not1_b32 exec_lo, exec_lo, s22
	s_cbranch_execz .LBB32_122
.LBB32_118:                             ;   Parent Loop BB32_7 Depth=1
                                        ; =>  This Inner Loop Header: Depth=2
	s_mov_b32 s26, exec_lo
	s_delay_alu instid0(VALU_DEP_1)
	v_cmpx_gt_i32_e64 s36, v6
	s_cbranch_execz .LBB32_116
; %bb.119:                              ;   in Loop: Header=BB32_118 Depth=2
	v_ashrrev_i32_e32 v2, 31, v1
	s_delay_alu instid0(VALU_DEP_1) | instskip(NEXT) | instid1(VALU_DEP_1)
	v_lshlrev_b64_e32 v[13:14], 1, v[1:2]
	v_add_co_u32 v13, vcc_lo, s42, v13
	s_wait_alu 0xfffd
	s_delay_alu instid0(VALU_DEP_2) | instskip(SKIP_3) | instid1(VALU_DEP_1)
	v_add_co_ci_u32_e64 v14, null, s43, v14, vcc_lo
	global_load_u16 v2, v[13:14], off
	s_wait_loadcnt 0x0
	v_bfe_i32 v13, v2, 0, 16
	v_add_nc_u32_e32 v13, 0x8000, v13
	s_delay_alu instid0(VALU_DEP_1) | instskip(NEXT) | instid1(VALU_DEP_1)
	v_and_b32_e32 v13, v13, v30
	v_cmp_eq_u32_e32 vcc_lo, v13, v22
	s_and_b32 exec_lo, exec_lo, vcc_lo
	s_cbranch_execz .LBB32_116
; %bb.120:                              ;   in Loop: Header=BB32_118 Depth=2
	v_perm_b32 v2, v2, 1, 0x5040100
	ds_store_b32 v7, v2 offset:3072
	s_branch .LBB32_116
.LBB32_121:                             ;   in Loop: Header=BB32_118 Depth=2
	v_add_nc_u32_e32 v6, s50, v6
	v_add_nc_u32_e32 v1, s54, v1
	s_mov_b32 s27, 0
	s_delay_alu instid0(VALU_DEP_2)
	v_cmp_le_i32_e32 vcc_lo, s62, v6
	s_or_not1_b32 s26, vcc_lo, exec_lo
	s_branch .LBB32_117
.LBB32_122:                             ;   in Loop: Header=BB32_7 Depth=1
	s_or_b32 exec_lo, exec_lo, s22
	v_lshrrev_b32_e32 v31, 16, v2
	s_wait_alu 0xfffe
	s_and_b32 s22, s25, exec_lo
.LBB32_123:                             ;   in Loop: Header=BB32_7 Depth=1
	s_wait_alu 0xfffe
	s_or_b32 exec_lo, exec_lo, s24
.LBB32_124:                             ;   in Loop: Header=BB32_7 Depth=1
	s_wait_alu 0xfffe
	s_and_b32 vcc_lo, exec_lo, s23
	s_wait_alu 0xfffe
	s_cbranch_vccz .LBB32_135
; %bb.125:                              ;   in Loop: Header=BB32_7 Depth=1
	s_add_co_i32 s23, s21, s53
                                        ; implicit-def: $vgpr31
	s_wait_alu 0xfffe
	s_abs_i32 s40, s23
	s_wait_alu 0xfffe
	s_mul_u64 s[14:15], s[40:41], s[46:47]
	s_wait_alu 0xfffe
	s_mul_i32 s14, s15, s50
	s_ashr_i32 s15, s23, 31
	s_wait_alu 0xfffe
	s_sub_co_i32 s14, s40, s14
	s_wait_alu 0xfffe
	s_sub_co_i32 s24, s14, s50
	s_cmp_ge_u32 s14, s50
	s_wait_alu 0xfffe
	s_cselect_b32 s14, s24, s14
	s_wait_alu 0xfffe
	s_sub_co_i32 s24, s14, s50
	s_cmp_ge_u32 s14, s50
	s_wait_alu 0xfffe
	s_cselect_b32 s14, s24, s14
	s_wait_alu 0xfffe
	s_xor_b32 s14, s14, s15
	s_wait_alu 0xfffe
	s_sub_co_i32 s14, s15, s14
	s_wait_alu 0xfffe
	s_add_co_i32 s15, s23, s14
	s_mov_b32 s14, exec_lo
	s_wait_alu 0xfffe
	v_cmpx_gt_i32_e64 s15, v0
	s_cbranch_execz .LBB32_134
; %bb.126:                              ;   in Loop: Header=BB32_7 Depth=1
	v_dual_mov_b32 v1, v17 :: v_dual_mov_b32 v2, v0
	s_mov_b32 s23, 0
                                        ; implicit-def: $sgpr24
	s_branch .LBB32_129
.LBB32_127:                             ;   in Loop: Header=BB32_129 Depth=2
	s_wait_alu 0xfffe
	s_or_b32 exec_lo, exec_lo, s25
	s_wait_loadcnt_dscnt 0x0
	s_barrier_signal -1
	s_barrier_wait -1
	global_inv scope:SCOPE_SE
	ds_load_b32 v6, v7 offset:3072
	s_mov_b32 s25, -1
	s_mov_b32 s26, -1
	s_wait_loadcnt_dscnt 0x0
	s_barrier_signal -1
	s_barrier_wait -1
	global_inv scope:SCOPE_SE
	v_and_b32_e32 v13, 0xffff, v6
	s_delay_alu instid0(VALU_DEP_1)
	v_cmp_eq_u32_e32 vcc_lo, 0, v13
	s_cbranch_vccnz .LBB32_132
.LBB32_128:                             ;   in Loop: Header=BB32_129 Depth=2
	s_wait_alu 0xfffe
	s_and_b32 s25, exec_lo, s25
	s_wait_alu 0xfffe
	s_or_b32 s23, s25, s23
	s_and_not1_b32 s24, s24, exec_lo
	s_and_b32 s25, s26, exec_lo
	s_wait_alu 0xfffe
	s_or_b32 s24, s24, s25
	s_and_not1_b32 exec_lo, exec_lo, s23
	s_cbranch_execz .LBB32_133
.LBB32_129:                             ;   Parent Loop BB32_7 Depth=1
                                        ; =>  This Inner Loop Header: Depth=2
	s_mov_b32 s25, exec_lo
	s_delay_alu instid0(VALU_DEP_1)
	v_cmpx_gt_i32_e64 s21, v2
	s_cbranch_execz .LBB32_127
; %bb.130:                              ;   in Loop: Header=BB32_129 Depth=2
	ds_load_u16 v6, v1
	s_wait_dscnt 0x0
	v_bfe_i32 v13, v6, 0, 16
	s_delay_alu instid0(VALU_DEP_1) | instskip(NEXT) | instid1(VALU_DEP_1)
	v_add_nc_u32_e32 v13, 0x8000, v13
	v_and_b32_e32 v13, v13, v30
	s_delay_alu instid0(VALU_DEP_1)
	v_cmp_eq_u32_e32 vcc_lo, v13, v22
	s_and_b32 exec_lo, exec_lo, vcc_lo
	s_cbranch_execz .LBB32_127
; %bb.131:                              ;   in Loop: Header=BB32_129 Depth=2
	v_perm_b32 v6, v6, 1, 0x5040100
	ds_store_b32 v7, v6 offset:3072
	s_branch .LBB32_127
.LBB32_132:                             ;   in Loop: Header=BB32_129 Depth=2
	v_add_nc_u32_e32 v2, s50, v2
	v_add_nc_u32_e32 v1, s65, v1
	s_mov_b32 s26, 0
	s_delay_alu instid0(VALU_DEP_2)
	v_cmp_le_i32_e32 vcc_lo, s15, v2
	s_or_not1_b32 s25, vcc_lo, exec_lo
	s_branch .LBB32_128
.LBB32_133:                             ;   in Loop: Header=BB32_7 Depth=1
	s_or_b32 exec_lo, exec_lo, s23
	v_lshrrev_b32_e32 v31, 16, v6
	s_and_not1_b32 s15, s22, exec_lo
	s_wait_alu 0xfffe
	s_and_b32 s21, s24, exec_lo
	s_wait_alu 0xfffe
	s_or_b32 s22, s15, s21
.LBB32_134:                             ;   in Loop: Header=BB32_7 Depth=1
	s_or_b32 exec_lo, exec_lo, s14
	s_mov_b32 s14, 0
	s_mov_b32 s15, -1
.LBB32_135:                             ;   in Loop: Header=BB32_7 Depth=1
	s_wait_alu 0xfffe
	s_or_not1_b32 s21, s22, exec_lo
.LBB32_136:                             ;   in Loop: Header=BB32_7 Depth=1
	s_wait_alu 0xfffe
	s_or_b32 exec_lo, exec_lo, s18
	s_mov_b32 s22, 0
	s_and_saveexec_b32 s18, s21
	s_cbranch_execz .LBB32_225
; %bb.137:                              ;   in Loop: Header=BB32_7 Depth=1
	v_dual_mov_b32 v6, 1 :: v_dual_mov_b32 v3, 1
	s_xor_b32 s21, s20, -1
	s_mov_b32 s23, 0
	s_wait_alu 0xfffe
	s_and_saveexec_b32 s20, s21
	s_cbranch_execz .LBB32_146
; %bb.138:                              ;   in Loop: Header=BB32_7 Depth=1
	s_mov_b32 s21, exec_lo
	v_cmpx_ge_i32_e64 s19, v4
	s_wait_alu 0xfffe
	s_xor_b32 s21, exec_lo, s21
	s_cbranch_execz .LBB32_143
; %bb.139:                              ;   in Loop: Header=BB32_7 Depth=1
	ds_load_b32 v1, v7 offset:4096
	s_lshl_b32 s22, 1, s72
	v_or_b32_e32 v30, s10, v30
	s_wait_alu 0xfffe
	v_and_or_b32 v22, v22, s17, s22
	s_wait_dscnt 0x0
	v_cmp_ne_u32_e32 vcc_lo, 0, v1
	s_cbranch_vccnz .LBB32_143
; %bb.140:                              ;   in Loop: Header=BB32_7 Depth=1
	s_and_saveexec_b32 s22, s2
; %bb.141:                              ;   in Loop: Header=BB32_7 Depth=1
	v_mov_b32_e32 v1, s19
	ds_store_b32 v7, v1 offset:4100
; %bb.142:                              ;   in Loop: Header=BB32_7 Depth=1
	s_wait_alu 0xfffe
	s_or_b32 exec_lo, exec_lo, s22
	s_wait_loadcnt_dscnt 0x0
	s_barrier_signal -1
	s_barrier_wait -1
	global_inv scope:SCOPE_SE
.LBB32_143:                             ;   in Loop: Header=BB32_7 Depth=1
	s_wait_alu 0xfffe
	s_or_saveexec_b32 s21, s21
	v_mov_b32_e32 v3, 8
	s_mov_b32 s22, 0
	s_wait_alu 0xfffe
	s_xor_b32 exec_lo, exec_lo, s21
; %bb.144:                              ;   in Loop: Header=BB32_7 Depth=1
	v_subrev_nc_u32_e32 v4, s19, v4
	v_mov_b32_e32 v3, 0
	s_mov_b32 s22, exec_lo
; %bb.145:                              ;   in Loop: Header=BB32_7 Depth=1
	s_or_b32 exec_lo, exec_lo, s21
	s_delay_alu instid0(VALU_DEP_2)
	v_mov_b32_e32 v6, v4
	s_wait_alu 0xfffe
	s_and_b32 s23, s22, exec_lo
.LBB32_146:                             ;   in Loop: Header=BB32_7 Depth=1
	s_wait_alu 0xfffe
	s_or_b32 exec_lo, exec_lo, s20
	s_mov_b32 s22, -1
                                        ; implicit-def: $sgpr20
                                        ; implicit-def: $sgpr21
	s_and_saveexec_b32 s19, s23
	s_cbranch_execz .LBB32_224
; %bb.147:                              ;   in Loop: Header=BB32_7 Depth=1
	v_cmp_eq_u32_e32 vcc_lo, 1, v6
	s_cmp_eq_u32 s16, 1
	s_mov_b32 s24, -1
	s_cselect_b32 s20, -1, 0
                                        ; implicit-def: $sgpr21
	s_wait_alu 0xfffe
	s_and_b32 s23, s20, vcc_lo
                                        ; implicit-def: $sgpr20
	s_wait_alu 0xfffe
	s_and_saveexec_b32 s22, s23
	s_cbranch_execz .LBB32_173
; %bb.148:                              ;   in Loop: Header=BB32_7 Depth=1
	ds_load_b32 v1, v7 offset:4096
	s_wait_loadcnt_dscnt 0x0
	s_barrier_signal -1
	s_barrier_wait -1
	global_inv scope:SCOPE_SE
	v_readfirstlane_b32 s24, v1
	s_and_saveexec_b32 s20, s0
; %bb.149:                              ;   in Loop: Header=BB32_7 Depth=1
	ds_store_b16 v18, v7
; %bb.150:                              ;   in Loop: Header=BB32_7 Depth=1
	s_wait_alu 0xfffe
	s_or_b32 exec_lo, exec_lo, s20
	s_lshl_b32 s20, 2, s72
	v_or_b32_e32 v30, s10, v30
	s_wait_alu 0xfffe
	v_and_or_b32 v22, v22, s17, s20
	s_mov_b32 s20, -1
	s_mov_b32 s21, 0
	s_cmp_gt_i32 s24, 0
	s_mov_b32 s25, 0
	s_mov_b32 s26, -1
	s_wait_loadcnt_dscnt 0x0
	s_barrier_signal -1
	s_barrier_wait -1
	global_inv scope:SCOPE_SE
                                        ; implicit-def: $vgpr31
	s_cbranch_scc1 .LBB32_161
; %bb.151:                              ;   in Loop: Header=BB32_7 Depth=1
	s_mov_b32 s26, 0
                                        ; implicit-def: $vgpr31
	s_and_saveexec_b32 s27, s8
	s_cbranch_execz .LBB32_160
; %bb.152:                              ;   in Loop: Header=BB32_7 Depth=1
	v_dual_mov_b32 v1, v5 :: v_dual_mov_b32 v4, v0
                                        ; implicit-def: $sgpr28
	s_branch .LBB32_155
.LBB32_153:                             ;   in Loop: Header=BB32_155 Depth=2
	s_wait_alu 0xfffe
	s_or_b32 exec_lo, exec_lo, s40
	s_wait_loadcnt_dscnt 0x0
	s_barrier_signal -1
	s_barrier_wait -1
	global_inv scope:SCOPE_SE
	ds_load_b32 v2, v7 offset:3072
	s_mov_b32 s40, -1
	s_mov_b32 s73, -1
	s_wait_loadcnt_dscnt 0x0
	s_barrier_signal -1
	s_barrier_wait -1
	global_inv scope:SCOPE_SE
	v_and_b32_e32 v13, 0xffff, v2
	s_delay_alu instid0(VALU_DEP_1)
	v_cmp_ne_u32_e32 vcc_lo, 0, v13
	s_cbranch_vccz .LBB32_158
.LBB32_154:                             ;   in Loop: Header=BB32_155 Depth=2
	s_wait_alu 0xfffe
	s_and_b32 s40, exec_lo, s40
	s_wait_alu 0xfffe
	s_or_b32 s25, s40, s25
	s_and_not1_b32 s28, s28, exec_lo
	s_and_b32 s40, s73, exec_lo
	s_wait_alu 0xfffe
	s_or_b32 s28, s28, s40
	s_and_not1_b32 exec_lo, exec_lo, s25
	s_cbranch_execz .LBB32_159
.LBB32_155:                             ;   Parent Loop BB32_7 Depth=1
                                        ; =>  This Inner Loop Header: Depth=2
	s_mov_b32 s40, exec_lo
	s_delay_alu instid0(VALU_DEP_1)
	v_cmpx_gt_i32_e64 s36, v4
	s_cbranch_execz .LBB32_153
; %bb.156:                              ;   in Loop: Header=BB32_155 Depth=2
	v_ashrrev_i32_e32 v2, 31, v1
	s_delay_alu instid0(VALU_DEP_1) | instskip(NEXT) | instid1(VALU_DEP_1)
	v_lshlrev_b64_e32 v[13:14], 1, v[1:2]
	v_add_co_u32 v13, vcc_lo, s42, v13
	s_wait_alu 0xfffd
	s_delay_alu instid0(VALU_DEP_2) | instskip(SKIP_3) | instid1(VALU_DEP_1)
	v_add_co_ci_u32_e64 v14, null, s43, v14, vcc_lo
	global_load_u16 v2, v[13:14], off
	s_wait_loadcnt 0x0
	v_bfe_i32 v13, v2, 0, 16
	v_add_nc_u32_e32 v13, 0x8000, v13
	s_delay_alu instid0(VALU_DEP_1) | instskip(NEXT) | instid1(VALU_DEP_1)
	v_and_b32_e32 v13, v13, v30
	v_cmp_eq_u32_e32 vcc_lo, v13, v22
	s_and_b32 exec_lo, exec_lo, vcc_lo
	s_cbranch_execz .LBB32_153
; %bb.157:                              ;   in Loop: Header=BB32_155 Depth=2
	v_perm_b32 v2, v2, 1, 0x5040100
	ds_store_b32 v7, v2 offset:3072
	s_branch .LBB32_153
.LBB32_158:                             ;   in Loop: Header=BB32_155 Depth=2
	v_add_nc_u32_e32 v4, s50, v4
	v_add_nc_u32_e32 v1, s54, v1
	s_mov_b32 s73, 0
	s_delay_alu instid0(VALU_DEP_2)
	v_cmp_le_i32_e32 vcc_lo, s62, v4
	s_or_not1_b32 s40, vcc_lo, exec_lo
	s_branch .LBB32_154
.LBB32_159:                             ;   in Loop: Header=BB32_7 Depth=1
	s_or_b32 exec_lo, exec_lo, s25
	v_lshrrev_b32_e32 v31, 16, v2
	s_and_b32 s25, s28, exec_lo
.LBB32_160:                             ;   in Loop: Header=BB32_7 Depth=1
	s_wait_alu 0xfffe
	s_or_b32 exec_lo, exec_lo, s27
.LBB32_161:                             ;   in Loop: Header=BB32_7 Depth=1
	s_wait_alu 0xfffe
	s_and_b32 vcc_lo, exec_lo, s26
	s_wait_alu 0xfffe
	s_cbranch_vccz .LBB32_172
; %bb.162:                              ;   in Loop: Header=BB32_7 Depth=1
	s_add_co_i32 s26, s24, s53
                                        ; implicit-def: $vgpr31
	s_wait_alu 0xfffe
	s_abs_i32 s40, s26
	s_wait_alu 0xfffe
	s_mul_u64 s[20:21], s[40:41], s[46:47]
	s_wait_alu 0xfffe
	s_mul_i32 s20, s21, s50
	s_ashr_i32 s21, s26, 31
	s_wait_alu 0xfffe
	s_sub_co_i32 s20, s40, s20
	s_wait_alu 0xfffe
	s_sub_co_i32 s27, s20, s50
	s_cmp_ge_u32 s20, s50
	s_wait_alu 0xfffe
	s_cselect_b32 s20, s27, s20
	s_wait_alu 0xfffe
	s_sub_co_i32 s27, s20, s50
	s_cmp_ge_u32 s20, s50
	s_wait_alu 0xfffe
	s_cselect_b32 s20, s27, s20
	s_wait_alu 0xfffe
	s_xor_b32 s20, s20, s21
	s_wait_alu 0xfffe
	s_sub_co_i32 s20, s21, s20
	s_wait_alu 0xfffe
	s_add_co_i32 s21, s26, s20
	s_mov_b32 s20, exec_lo
	s_wait_alu 0xfffe
	v_cmpx_gt_i32_e64 s21, v0
	s_cbranch_execz .LBB32_171
; %bb.163:                              ;   in Loop: Header=BB32_7 Depth=1
	v_dual_mov_b32 v1, v17 :: v_dual_mov_b32 v2, v0
	s_mov_b32 s26, 0
                                        ; implicit-def: $sgpr27
	s_branch .LBB32_166
.LBB32_164:                             ;   in Loop: Header=BB32_166 Depth=2
	s_or_b32 exec_lo, exec_lo, s28
	s_wait_loadcnt_dscnt 0x0
	s_barrier_signal -1
	s_barrier_wait -1
	global_inv scope:SCOPE_SE
	ds_load_b32 v4, v7 offset:3072
	s_mov_b32 s28, -1
	s_mov_b32 s40, -1
	s_wait_loadcnt_dscnt 0x0
	s_barrier_signal -1
	s_barrier_wait -1
	global_inv scope:SCOPE_SE
	v_and_b32_e32 v13, 0xffff, v4
	s_delay_alu instid0(VALU_DEP_1)
	v_cmp_eq_u32_e32 vcc_lo, 0, v13
	s_cbranch_vccnz .LBB32_169
.LBB32_165:                             ;   in Loop: Header=BB32_166 Depth=2
	s_and_b32 s28, exec_lo, s28
	s_wait_alu 0xfffe
	s_or_b32 s26, s28, s26
	s_and_not1_b32 s27, s27, exec_lo
	s_and_b32 s28, s40, exec_lo
	s_wait_alu 0xfffe
	s_or_b32 s27, s27, s28
	s_and_not1_b32 exec_lo, exec_lo, s26
	s_cbranch_execz .LBB32_170
.LBB32_166:                             ;   Parent Loop BB32_7 Depth=1
                                        ; =>  This Inner Loop Header: Depth=2
	s_mov_b32 s28, exec_lo
	s_delay_alu instid0(VALU_DEP_1)
	v_cmpx_gt_i32_e64 s24, v2
	s_cbranch_execz .LBB32_164
; %bb.167:                              ;   in Loop: Header=BB32_166 Depth=2
	ds_load_u16 v4, v1
	s_wait_dscnt 0x0
	v_bfe_i32 v13, v4, 0, 16
	s_delay_alu instid0(VALU_DEP_1) | instskip(NEXT) | instid1(VALU_DEP_1)
	v_add_nc_u32_e32 v13, 0x8000, v13
	v_and_b32_e32 v13, v13, v30
	s_delay_alu instid0(VALU_DEP_1)
	v_cmp_eq_u32_e32 vcc_lo, v13, v22
	s_and_b32 exec_lo, exec_lo, vcc_lo
	s_cbranch_execz .LBB32_164
; %bb.168:                              ;   in Loop: Header=BB32_166 Depth=2
	v_perm_b32 v4, v4, 1, 0x5040100
	ds_store_b32 v7, v4 offset:3072
	s_branch .LBB32_164
.LBB32_169:                             ;   in Loop: Header=BB32_166 Depth=2
	v_add_nc_u32_e32 v2, s50, v2
	v_add_nc_u32_e32 v1, s65, v1
	s_mov_b32 s40, 0
	s_delay_alu instid0(VALU_DEP_2)
	v_cmp_le_i32_e32 vcc_lo, s21, v2
	s_or_not1_b32 s28, vcc_lo, exec_lo
	s_branch .LBB32_165
.LBB32_170:                             ;   in Loop: Header=BB32_7 Depth=1
	s_or_b32 exec_lo, exec_lo, s26
	v_lshrrev_b32_e32 v31, 16, v4
	s_and_not1_b32 s21, s25, exec_lo
	s_wait_alu 0xfffe
	s_and_b32 s24, s27, exec_lo
	s_wait_alu 0xfffe
	s_or_b32 s25, s21, s24
.LBB32_171:                             ;   in Loop: Header=BB32_7 Depth=1
	s_or_b32 exec_lo, exec_lo, s20
	s_mov_b32 s20, 0
	s_mov_b32 s21, -1
.LBB32_172:                             ;   in Loop: Header=BB32_7 Depth=1
	s_wait_alu 0xfffe
	s_or_not1_b32 s24, s25, exec_lo
.LBB32_173:                             ;   in Loop: Header=BB32_7 Depth=1
	s_wait_alu 0xfffe
	s_or_b32 exec_lo, exec_lo, s22
	s_mov_b32 s25, 0
	s_and_saveexec_b32 s22, s24
	s_cbranch_execz .LBB32_223
; %bb.174:                              ;   in Loop: Header=BB32_7 Depth=1
	v_dual_mov_b32 v4, 1 :: v_dual_mov_b32 v3, 1
	s_xor_b32 s24, s23, -1
	s_wait_alu 0xfffe
	s_and_saveexec_b32 s23, s24
	s_cbranch_execz .LBB32_183
; %bb.175:                              ;   in Loop: Header=BB32_7 Depth=1
	s_mov_b32 s24, exec_lo
	v_cmpx_ge_i32_e64 s16, v6
	s_wait_alu 0xfffe
	s_xor_b32 s24, exec_lo, s24
	s_cbranch_execz .LBB32_180
; %bb.176:                              ;   in Loop: Header=BB32_7 Depth=1
	ds_load_b32 v1, v7 offset:4096
	s_lshl_b32 s25, 2, s72
	v_or_b32_e32 v30, s10, v30
	s_wait_alu 0xfffe
	v_and_or_b32 v22, v22, s17, s25
	s_wait_dscnt 0x0
	v_cmp_ne_u32_e32 vcc_lo, 0, v1
	s_cbranch_vccnz .LBB32_180
; %bb.177:                              ;   in Loop: Header=BB32_7 Depth=1
	s_and_saveexec_b32 s17, s2
; %bb.178:                              ;   in Loop: Header=BB32_7 Depth=1
	v_mov_b32_e32 v1, s16
	ds_store_b32 v7, v1 offset:4100
; %bb.179:                              ;   in Loop: Header=BB32_7 Depth=1
	s_wait_alu 0xfffe
	s_or_b32 exec_lo, exec_lo, s17
	s_wait_loadcnt_dscnt 0x0
	s_barrier_signal -1
	s_barrier_wait -1
	global_inv scope:SCOPE_SE
.LBB32_180:                             ;   in Loop: Header=BB32_7 Depth=1
	s_wait_alu 0xfffe
	s_or_saveexec_b32 s17, s24
	v_mov_b32_e32 v3, 8
	s_mov_b32 s24, 0
	s_wait_alu 0xfffe
	s_xor_b32 exec_lo, exec_lo, s17
; %bb.181:                              ;   in Loop: Header=BB32_7 Depth=1
	v_subrev_nc_u32_e32 v6, s16, v6
	v_mov_b32_e32 v3, 0
	s_mov_b32 s24, exec_lo
; %bb.182:                              ;   in Loop: Header=BB32_7 Depth=1
	s_or_b32 exec_lo, exec_lo, s17
	s_delay_alu instid0(VALU_DEP_2)
	v_mov_b32_e32 v4, v6
	s_wait_alu 0xfffe
	s_and_b32 s25, s24, exec_lo
.LBB32_183:                             ;   in Loop: Header=BB32_7 Depth=1
	s_wait_alu 0xfffe
	s_or_b32 exec_lo, exec_lo, s23
	s_mov_b32 s17, -1
                                        ; implicit-def: $sgpr24
                                        ; implicit-def: $sgpr23
	s_and_saveexec_b32 s16, s25
	s_cbranch_execz .LBB32_222
; %bb.184:                              ;   in Loop: Header=BB32_7 Depth=1
	v_cmp_eq_u32_e32 vcc_lo, 1, v4
	s_cmp_eq_u32 s9, 1
	s_mov_b32 s26, -1
	s_cselect_b32 s17, -1, 0
                                        ; implicit-def: $sgpr24
                                        ; implicit-def: $sgpr23
	s_wait_alu 0xfffe
	s_and_b32 s17, s17, vcc_lo
	s_wait_alu 0xfffe
	s_and_saveexec_b32 s25, s17
	s_cbranch_execz .LBB32_210
; %bb.185:                              ;   in Loop: Header=BB32_7 Depth=1
	ds_load_b32 v1, v7 offset:4096
	s_wait_loadcnt_dscnt 0x0
	s_barrier_signal -1
	s_barrier_wait -1
	global_inv scope:SCOPE_SE
	v_readfirstlane_b32 s26, v1
	s_and_saveexec_b32 s23, s0
; %bb.186:                              ;   in Loop: Header=BB32_7 Depth=1
	ds_store_b16 v18, v7
; %bb.187:                              ;   in Loop: Header=BB32_7 Depth=1
	s_wait_alu 0xfffe
	s_or_b32 exec_lo, exec_lo, s23
	v_or_b32_e32 v22, s10, v22
	v_or_b32_e32 v30, s10, v30
	s_mov_b32 s23, -1
	s_mov_b32 s24, 0
	s_cmp_gt_i32 s26, 0
	s_mov_b32 s27, 0
	s_mov_b32 s28, -1
	s_wait_loadcnt_dscnt 0x0
	s_barrier_signal -1
	s_barrier_wait -1
	global_inv scope:SCOPE_SE
                                        ; implicit-def: $vgpr31
	s_cbranch_scc1 .LBB32_198
; %bb.188:                              ;   in Loop: Header=BB32_7 Depth=1
	s_mov_b32 s28, 0
                                        ; implicit-def: $vgpr31
	s_and_saveexec_b32 s40, s8
	s_cbranch_execz .LBB32_197
; %bb.189:                              ;   in Loop: Header=BB32_7 Depth=1
	v_dual_mov_b32 v1, v5 :: v_dual_mov_b32 v6, v0
                                        ; implicit-def: $sgpr73
	s_branch .LBB32_192
.LBB32_190:                             ;   in Loop: Header=BB32_192 Depth=2
	s_wait_alu 0xfffe
	s_or_b32 exec_lo, exec_lo, s74
	s_wait_loadcnt_dscnt 0x0
	s_barrier_signal -1
	s_barrier_wait -1
	global_inv scope:SCOPE_SE
	ds_load_b32 v2, v7 offset:3072
	s_mov_b32 s74, -1
	s_mov_b32 s75, -1
	s_wait_loadcnt_dscnt 0x0
	s_barrier_signal -1
	s_barrier_wait -1
	global_inv scope:SCOPE_SE
	v_and_b32_e32 v13, 0xffff, v2
	s_delay_alu instid0(VALU_DEP_1)
	v_cmp_ne_u32_e32 vcc_lo, 0, v13
	s_cbranch_vccz .LBB32_195
.LBB32_191:                             ;   in Loop: Header=BB32_192 Depth=2
	s_wait_alu 0xfffe
	s_and_b32 s74, exec_lo, s74
	s_wait_alu 0xfffe
	s_or_b32 s27, s74, s27
	s_and_not1_b32 s73, s73, exec_lo
	s_and_b32 s74, s75, exec_lo
	s_wait_alu 0xfffe
	s_or_b32 s73, s73, s74
	s_and_not1_b32 exec_lo, exec_lo, s27
	s_cbranch_execz .LBB32_196
.LBB32_192:                             ;   Parent Loop BB32_7 Depth=1
                                        ; =>  This Inner Loop Header: Depth=2
	s_mov_b32 s74, exec_lo
	s_delay_alu instid0(VALU_DEP_1)
	v_cmpx_gt_i32_e64 s36, v6
	s_cbranch_execz .LBB32_190
; %bb.193:                              ;   in Loop: Header=BB32_192 Depth=2
	v_ashrrev_i32_e32 v2, 31, v1
	s_delay_alu instid0(VALU_DEP_1) | instskip(NEXT) | instid1(VALU_DEP_1)
	v_lshlrev_b64_e32 v[13:14], 1, v[1:2]
	v_add_co_u32 v13, vcc_lo, s42, v13
	s_wait_alu 0xfffd
	s_delay_alu instid0(VALU_DEP_2) | instskip(SKIP_3) | instid1(VALU_DEP_1)
	v_add_co_ci_u32_e64 v14, null, s43, v14, vcc_lo
	global_load_u16 v2, v[13:14], off
	s_wait_loadcnt 0x0
	v_bfe_i32 v13, v2, 0, 16
	v_add_nc_u32_e32 v13, 0x8000, v13
	s_delay_alu instid0(VALU_DEP_1) | instskip(NEXT) | instid1(VALU_DEP_1)
	v_and_b32_e32 v13, v13, v30
	v_cmp_eq_u32_e32 vcc_lo, v13, v22
	s_and_b32 exec_lo, exec_lo, vcc_lo
	s_cbranch_execz .LBB32_190
; %bb.194:                              ;   in Loop: Header=BB32_192 Depth=2
	v_perm_b32 v2, v2, 1, 0x5040100
	ds_store_b32 v7, v2 offset:3072
	s_branch .LBB32_190
.LBB32_195:                             ;   in Loop: Header=BB32_192 Depth=2
	v_add_nc_u32_e32 v6, s50, v6
	v_add_nc_u32_e32 v1, s54, v1
	s_mov_b32 s75, 0
	s_delay_alu instid0(VALU_DEP_2)
	v_cmp_le_i32_e32 vcc_lo, s62, v6
	s_or_not1_b32 s74, vcc_lo, exec_lo
	s_branch .LBB32_191
.LBB32_196:                             ;   in Loop: Header=BB32_7 Depth=1
	s_or_b32 exec_lo, exec_lo, s27
	v_lshrrev_b32_e32 v31, 16, v2
	s_wait_alu 0xfffe
	s_and_b32 s27, s73, exec_lo
.LBB32_197:                             ;   in Loop: Header=BB32_7 Depth=1
	s_wait_alu 0xfffe
	s_or_b32 exec_lo, exec_lo, s40
.LBB32_198:                             ;   in Loop: Header=BB32_7 Depth=1
	s_delay_alu instid0(SALU_CYCLE_1)
	s_and_b32 vcc_lo, exec_lo, s28
	s_wait_alu 0xfffe
	s_cbranch_vccz .LBB32_209
; %bb.199:                              ;   in Loop: Header=BB32_7 Depth=1
	s_add_co_i32 s24, s26, s53
                                        ; implicit-def: $vgpr31
	s_wait_alu 0xfffe
	s_abs_i32 s40, s24
	s_ashr_i32 s28, s24, 31
	s_wait_alu 0xfffe
	s_mul_u64 s[74:75], s[40:41], s[46:47]
	s_wait_alu 0xfffe
	s_mul_i32 s23, s75, s50
	s_wait_alu 0xfffe
	s_sub_co_i32 s23, s40, s23
	s_wait_alu 0xfffe
	s_sub_co_i32 s40, s23, s50
	s_cmp_ge_u32 s23, s50
	s_wait_alu 0xfffe
	s_cselect_b32 s23, s40, s23
	s_wait_alu 0xfffe
	s_sub_co_i32 s40, s23, s50
	s_cmp_ge_u32 s23, s50
	s_wait_alu 0xfffe
	s_cselect_b32 s23, s40, s23
	s_wait_alu 0xfffe
	s_xor_b32 s23, s23, s28
	s_wait_alu 0xfffe
	s_sub_co_i32 s23, s28, s23
	s_wait_alu 0xfffe
	s_add_co_i32 s24, s24, s23
	s_mov_b32 s23, exec_lo
	s_wait_alu 0xfffe
	v_cmpx_gt_i32_e64 s24, v0
	s_cbranch_execz .LBB32_208
; %bb.200:                              ;   in Loop: Header=BB32_7 Depth=1
	v_dual_mov_b32 v1, v17 :: v_dual_mov_b32 v2, v0
	s_mov_b32 s28, 0
                                        ; implicit-def: $sgpr40
	s_branch .LBB32_203
.LBB32_201:                             ;   in Loop: Header=BB32_203 Depth=2
	s_wait_alu 0xfffe
	s_or_b32 exec_lo, exec_lo, s73
	s_wait_loadcnt_dscnt 0x0
	s_barrier_signal -1
	s_barrier_wait -1
	global_inv scope:SCOPE_SE
	ds_load_b32 v6, v7 offset:3072
	s_mov_b32 s73, -1
	s_mov_b32 s74, -1
	s_wait_loadcnt_dscnt 0x0
	s_barrier_signal -1
	s_barrier_wait -1
	global_inv scope:SCOPE_SE
	v_and_b32_e32 v13, 0xffff, v6
	s_delay_alu instid0(VALU_DEP_1)
	v_cmp_eq_u32_e32 vcc_lo, 0, v13
	s_cbranch_vccnz .LBB32_206
.LBB32_202:                             ;   in Loop: Header=BB32_203 Depth=2
	s_wait_alu 0xfffe
	s_and_b32 s73, exec_lo, s73
	s_wait_alu 0xfffe
	s_or_b32 s28, s73, s28
	s_and_not1_b32 s40, s40, exec_lo
	s_and_b32 s73, s74, exec_lo
	s_wait_alu 0xfffe
	s_or_b32 s40, s40, s73
	s_and_not1_b32 exec_lo, exec_lo, s28
	s_cbranch_execz .LBB32_207
.LBB32_203:                             ;   Parent Loop BB32_7 Depth=1
                                        ; =>  This Inner Loop Header: Depth=2
	s_mov_b32 s73, exec_lo
	s_delay_alu instid0(VALU_DEP_1)
	v_cmpx_gt_i32_e64 s26, v2
	s_cbranch_execz .LBB32_201
; %bb.204:                              ;   in Loop: Header=BB32_203 Depth=2
	ds_load_u16 v6, v1
	s_wait_dscnt 0x0
	v_bfe_i32 v13, v6, 0, 16
	s_delay_alu instid0(VALU_DEP_1) | instskip(NEXT) | instid1(VALU_DEP_1)
	v_add_nc_u32_e32 v13, 0x8000, v13
	v_and_b32_e32 v13, v13, v30
	s_delay_alu instid0(VALU_DEP_1)
	v_cmp_eq_u32_e32 vcc_lo, v13, v22
	s_and_b32 exec_lo, exec_lo, vcc_lo
	s_cbranch_execz .LBB32_201
; %bb.205:                              ;   in Loop: Header=BB32_203 Depth=2
	v_perm_b32 v6, v6, 1, 0x5040100
	ds_store_b32 v7, v6 offset:3072
	s_branch .LBB32_201
.LBB32_206:                             ;   in Loop: Header=BB32_203 Depth=2
	v_add_nc_u32_e32 v2, s50, v2
	v_add_nc_u32_e32 v1, s65, v1
	s_mov_b32 s74, 0
	s_delay_alu instid0(VALU_DEP_2)
	v_cmp_le_i32_e32 vcc_lo, s24, v2
	s_or_not1_b32 s73, vcc_lo, exec_lo
	s_branch .LBB32_202
.LBB32_207:                             ;   in Loop: Header=BB32_7 Depth=1
	s_or_b32 exec_lo, exec_lo, s28
	v_lshrrev_b32_e32 v31, 16, v6
	s_and_not1_b32 s24, s27, exec_lo
	s_wait_alu 0xfffe
	s_and_b32 s26, s40, exec_lo
	s_wait_alu 0xfffe
	s_or_b32 s27, s24, s26
.LBB32_208:                             ;   in Loop: Header=BB32_7 Depth=1
	s_or_b32 exec_lo, exec_lo, s23
	s_mov_b32 s23, 0
	s_mov_b32 s24, -1
.LBB32_209:                             ;   in Loop: Header=BB32_7 Depth=1
	s_wait_alu 0xfffe
	s_or_not1_b32 s26, s27, exec_lo
.LBB32_210:                             ;   in Loop: Header=BB32_7 Depth=1
	s_wait_alu 0xfffe
	s_or_b32 exec_lo, exec_lo, s25
	s_mov_b32 s27, 0
	s_and_saveexec_b32 s25, s26
	s_cbranch_execz .LBB32_221
; %bb.211:                              ;   in Loop: Header=BB32_7 Depth=1
	v_mov_b32_e32 v3, 1
	v_mov_b32_e32 v1, 1
	s_xor_b32 s26, s17, -1
	s_wait_alu 0xfffe
	s_and_saveexec_b32 s17, s26
	s_cbranch_execz .LBB32_220
; %bb.212:                              ;   in Loop: Header=BB32_7 Depth=1
	s_mov_b32 s26, exec_lo
	v_cmpx_ge_i32_e64 s9, v4
	s_wait_alu 0xfffe
	s_xor_b32 s26, exec_lo, s26
	s_cbranch_execz .LBB32_217
; %bb.213:                              ;   in Loop: Header=BB32_7 Depth=1
	ds_load_b32 v1, v7 offset:4096
	v_or_b32_e32 v22, s10, v22
	v_or_b32_e32 v30, s10, v30
	s_wait_dscnt 0x0
	v_cmp_ne_u32_e32 vcc_lo, 0, v1
	s_cbranch_vccnz .LBB32_217
; %bb.214:                              ;   in Loop: Header=BB32_7 Depth=1
	s_and_saveexec_b32 s10, s2
; %bb.215:                              ;   in Loop: Header=BB32_7 Depth=1
	v_mov_b32_e32 v1, s9
	ds_store_b32 v7, v1 offset:4100
; %bb.216:                              ;   in Loop: Header=BB32_7 Depth=1
	s_wait_alu 0xfffe
	s_or_b32 exec_lo, exec_lo, s10
	s_wait_loadcnt_dscnt 0x0
	s_barrier_signal -1
	s_barrier_wait -1
	global_inv scope:SCOPE_SE
.LBB32_217:                             ;   in Loop: Header=BB32_7 Depth=1
	s_wait_alu 0xfffe
	s_and_not1_saveexec_b32 s10, s26
; %bb.218:                              ;   in Loop: Header=BB32_7 Depth=1
	v_subrev_nc_u32_e32 v4, s9, v4
; %bb.219:                              ;   in Loop: Header=BB32_7 Depth=1
	s_wait_alu 0xfffe
	s_or_b32 exec_lo, exec_lo, s10
	v_mov_b32_e32 v3, 8
	s_delay_alu instid0(VALU_DEP_2)
	v_mov_b32_e32 v1, v4
.LBB32_220:                             ;   in Loop: Header=BB32_7 Depth=1
	s_wait_alu 0xfffe
	s_or_b32 exec_lo, exec_lo, s17
	s_delay_alu instid0(VALU_DEP_1)
	v_mov_b32_e32 v4, v1
	s_mov_b32 s27, exec_lo
.LBB32_221:                             ;   in Loop: Header=BB32_7 Depth=1
	s_wait_alu 0xfffe
	s_or_b32 exec_lo, exec_lo, s25
	s_delay_alu instid0(SALU_CYCLE_1)
	s_or_not1_b32 s17, s27, exec_lo
.LBB32_222:                             ;   in Loop: Header=BB32_7 Depth=1
	s_wait_alu 0xfffe
	s_or_b32 exec_lo, exec_lo, s16
	v_mov_b32_e32 v6, v4
	s_and_not1_b32 s9, s21, exec_lo
	s_and_b32 s10, s24, exec_lo
	s_and_not1_b32 s16, s20, exec_lo
	s_and_b32 s20, s23, exec_lo
	s_wait_alu 0xfffe
	s_or_b32 s21, s9, s10
	s_or_b32 s20, s16, s20
	s_and_b32 s25, s17, exec_lo
.LBB32_223:                             ;   in Loop: Header=BB32_7 Depth=1
	s_wait_alu 0xfffe
	s_or_b32 exec_lo, exec_lo, s22
	s_delay_alu instid0(SALU_CYCLE_1)
	s_or_not1_b32 s22, s25, exec_lo
.LBB32_224:                             ;   in Loop: Header=BB32_7 Depth=1
	s_wait_alu 0xfffe
	s_or_b32 exec_lo, exec_lo, s19
	v_mov_b32_e32 v4, v6
	s_and_not1_b32 s9, s15, exec_lo
	s_and_b32 s10, s21, exec_lo
	s_and_not1_b32 s14, s14, exec_lo
	s_and_b32 s16, s20, exec_lo
	s_wait_alu 0xfffe
	s_or_b32 s15, s9, s10
	s_or_b32 s14, s14, s16
	s_and_b32 s22, s22, exec_lo
.LBB32_225:                             ;   in Loop: Header=BB32_7 Depth=1
	s_wait_alu 0xfffe
	s_or_b32 exec_lo, exec_lo, s18
	s_delay_alu instid0(SALU_CYCLE_1)
	s_or_not1_b32 s18, s22, exec_lo
.LBB32_226:                             ;   in Loop: Header=BB32_7 Depth=1
	s_wait_alu 0xfffe
	s_or_b32 exec_lo, exec_lo, s13
	s_mov_b32 s10, 0
                                        ; implicit-def: $sgpr21
	s_and_saveexec_b32 s9, s18
	s_wait_alu 0xfffe
	s_xor_b32 s9, exec_lo, s9
	s_cbranch_execz .LBB32_5
; %bb.227:                              ;   in Loop: Header=BB32_7 Depth=1
	v_and_b32_e32 v1, 7, v3
	s_mov_b32 s12, -1
	s_mov_b32 s10, -1
	s_mov_b32 s13, exec_lo
                                        ; implicit-def: $sgpr21
	s_delay_alu instid0(VALU_DEP_1)
	v_cmpx_eq_u32_e32 0, v1
	s_cbranch_execz .LBB32_4
; %bb.228:                              ;   in Loop: Header=BB32_7 Depth=1
	s_add_co_i32 s21, s72, -2
	s_cmp_eq_u32 s72, 0
	v_xor_b32_e32 v29, 1, v29
	s_cselect_b32 s12, -1, 0
	s_xor_b32 s10, exec_lo, -1
	s_wait_alu 0xfffe
	s_or_not1_b32 s12, s12, exec_lo
	s_branch .LBB32_4
.LBB32_229:
	s_or_b32 exec_lo, exec_lo, s37
	s_xor_b32 s4, s71, -1
	s_xor_b32 s0, s69, -1
	;; [unrolled: 1-line block ×3, first 2 shown]
	s_mov_b32 s1, 0
	s_wait_alu 0xfffe
	s_and_saveexec_b32 s5, s0
	s_wait_alu 0xfffe
	s_xor_b32 s0, exec_lo, s5
	s_cbranch_execnz .LBB32_234
; %bb.230:
	s_wait_alu 0xfffe
	s_and_not1_saveexec_b32 s0, s0
	s_cbranch_execnz .LBB32_254
.LBB32_231:
	s_wait_alu 0xfffe
	s_or_b32 exec_lo, exec_lo, s0
	s_and_saveexec_b32 s0, s1
.LBB32_232:
	; divergent unreachable
.LBB32_233:
	s_endpgm
.LBB32_234:
	s_and_saveexec_b32 s1, s4
	s_wait_alu 0xfffe
	s_xor_b32 s1, exec_lo, s1
	s_cbranch_execz .LBB32_252
; %bb.235:
	s_and_saveexec_b32 s4, s3
	s_wait_alu 0xfffe
	s_xor_b32 s3, exec_lo, s4
; %bb.236:
	v_xor_b32_e32 v31, 0xffff8000, v22
; %bb.237:
	s_or_b32 exec_lo, exec_lo, s3
	s_and_saveexec_b32 s3, s2
; %bb.238:
	v_dual_mov_b32 v1, 0 :: v_dual_mov_b32 v2, s36
	ds_store_b32 v1, v2 offset:4108
; %bb.239:
	s_or_b32 exec_lo, exec_lo, s3
	v_mov_b32_e32 v1, 0
	s_wait_loadcnt_dscnt 0x0
	s_barrier_signal -1
	s_barrier_wait -1
	global_inv scope:SCOPE_SE
	ds_load_b32 v1, v1 offset:4108
	s_mov_b32 s3, exec_lo
	s_wait_dscnt 0x0
	v_min_i32_e32 v1, s36, v1
	s_delay_alu instid0(VALU_DEP_1)
	v_cmpx_lt_i32_e64 v0, v1
	s_cbranch_execz .LBB32_249
; %bb.240:
	s_mov_b32 s4, 0
                                        ; implicit-def: $sgpr5
                                        ; implicit-def: $sgpr7
                                        ; implicit-def: $sgpr6
	s_branch .LBB32_242
.LBB32_241:                             ;   in Loop: Header=BB32_242 Depth=1
	s_wait_alu 0xfffe
	s_or_b32 exec_lo, exec_lo, s8
	s_delay_alu instid0(SALU_CYCLE_1)
	s_and_b32 s8, exec_lo, s7
	s_wait_alu 0xfffe
	s_or_b32 s4, s8, s4
	s_and_not1_b32 s5, s5, exec_lo
	s_and_b32 s8, s6, exec_lo
	s_wait_alu 0xfffe
	s_or_b32 s5, s5, s8
	s_and_not1_b32 exec_lo, exec_lo, s4
	s_cbranch_execz .LBB32_244
.LBB32_242:                             ; =>This Inner Loop Header: Depth=1
	v_ashrrev_i32_e32 v6, 31, v5
	s_or_b32 s6, s6, exec_lo
	s_or_b32 s7, s7, exec_lo
	s_mov_b32 s8, exec_lo
	s_delay_alu instid0(VALU_DEP_1) | instskip(NEXT) | instid1(VALU_DEP_1)
	v_lshlrev_b64_e32 v[2:3], 1, v[5:6]
	v_add_co_u32 v2, vcc_lo, s42, v2
	s_wait_alu 0xfffd
	s_delay_alu instid0(VALU_DEP_2)
	v_add_co_ci_u32_e64 v3, null, s43, v3, vcc_lo
	global_load_u16 v3, v[2:3], off
	v_mov_b32_e32 v2, v0
                                        ; implicit-def: $vgpr0
	s_wait_loadcnt 0x0
	v_cmpx_ne_u16_e64 v3, v31
	s_cbranch_execz .LBB32_241
; %bb.243:                              ;   in Loop: Header=BB32_242 Depth=1
	s_delay_alu instid0(VALU_DEP_2) | instskip(SKIP_3) | instid1(VALU_DEP_2)
	v_add_nc_u32_e32 v0, s50, v2
	v_add_nc_u32_e32 v5, s54, v5
	s_and_not1_b32 s7, s7, exec_lo
	s_and_not1_b32 s6, s6, exec_lo
	v_cmp_ge_i32_e32 vcc_lo, v0, v1
	s_and_b32 s9, vcc_lo, exec_lo
	s_wait_alu 0xfffe
	s_or_b32 s7, s7, s9
	s_branch .LBB32_241
.LBB32_244:
	s_or_b32 exec_lo, exec_lo, s4
	s_wait_alu 0xfffe
	s_and_saveexec_b32 s4, s5
	s_wait_alu 0xfffe
	s_xor_b32 s4, exec_lo, s4
	s_cbranch_execz .LBB32_249
; %bb.245:
	s_mov_b32 s5, exec_lo
	s_brev_b32 s4, -2
.LBB32_246:                             ; =>This Inner Loop Header: Depth=1
	s_wait_alu 0xfffe
	s_ctz_i32_b32 s6, s5
	s_wait_alu 0xfffe
	v_readlane_b32 s7, v2, s6
	s_lshl_b32 s6, 1, s6
	s_wait_alu 0xfffe
	s_and_not1_b32 s5, s5, s6
	s_min_i32 s4, s4, s7
	s_wait_alu 0xfffe
	s_cmp_lg_u32 s5, 0
	s_cbranch_scc1 .LBB32_246
; %bb.247:
	v_mbcnt_lo_u32_b32 v0, exec_lo, 0
	s_mov_b32 s5, exec_lo
	s_delay_alu instid0(VALU_DEP_1)
	v_cmpx_eq_u32_e32 0, v0
	s_wait_alu 0xfffe
	s_xor_b32 s5, exec_lo, s5
; %bb.248:
	v_dual_mov_b32 v0, 0 :: v_dual_mov_b32 v1, s4
	ds_min_i32 v0, v1 offset:4108
.LBB32_249:
	s_or_b32 exec_lo, exec_lo, s3
	s_wait_loadcnt_dscnt 0x0
	s_barrier_signal -1
	s_barrier_wait -1
	global_inv scope:SCOPE_SE
	s_and_saveexec_b32 s3, s2
	s_cbranch_execz .LBB32_251
; %bb.250:
	v_mov_b32_e32 v2, 0
	s_mul_i32 s6, s33, s29
	s_mul_i32 s4, s38, s29
	s_wait_alu 0xfffe
	s_ashr_i32 s7, s6, 31
	s_ashr_i32 s5, s4, 31
	ds_load_b32 v0, v2 offset:4108
	s_wait_alu 0xfffe
	s_lshl_b64 s[6:7], s[6:7], 3
	s_lshl_b64 s[4:5], s[4:5], 1
	s_wait_alu 0xfffe
	s_add_nc_u64 s[6:7], s[30:31], s[6:7]
	s_add_nc_u64 s[4:5], s[34:35], s[4:5]
	s_wait_dscnt 0x0
	v_ashrrev_i32_e32 v1, 31, v0
	s_clause 0x1
	global_store_b64 v2, v[0:1], s[6:7]
	global_store_b16 v2, v31, s[4:5]
.LBB32_251:
	s_or_b32 exec_lo, exec_lo, s3
.LBB32_252:
	s_wait_alu 0xfffe
	s_or_saveexec_b32 s1, s1
	s_mov_b32 s2, 0
	s_wait_alu 0xfffe
	s_xor_b32 exec_lo, exec_lo, s1
	s_cbranch_execnz .LBB32_255
.LBB32_253:
	s_or_b32 exec_lo, exec_lo, s1
	s_delay_alu instid0(SALU_CYCLE_1)
	s_and_b32 s1, s2, exec_lo
	s_and_not1_saveexec_b32 s0, s0
	s_cbranch_execz .LBB32_231
.LBB32_254:
	s_wait_alu 0xfffe
	s_or_b32 s1, s1, exec_lo
	s_trap 2
	s_or_b32 exec_lo, exec_lo, s0
	s_wait_alu 0xfffe
	s_and_saveexec_b32 s0, s1
	s_cbranch_execnz .LBB32_232
	s_branch .LBB32_233
.LBB32_255:
	s_mov_b32 s2, exec_lo
	s_trap 2
	s_branch .LBB32_253
	.section	.rodata,"a",@progbits
	.p2align	6, 0x0
	.amdhsa_kernel _ZN2at6native12_GLOBAL__N_114gatherKthValueIsiLi1EEEvNS_4cuda6detail10TensorInfoIKT_T0_EES8_S8_S8_S8_NS5_IS6_S8_EENS5_IlS8_EE
		.amdhsa_group_segment_fixed_size 4112
		.amdhsa_private_segment_fixed_size 0
		.amdhsa_kernarg_size 920
		.amdhsa_user_sgpr_count 2
		.amdhsa_user_sgpr_dispatch_ptr 0
		.amdhsa_user_sgpr_queue_ptr 0
		.amdhsa_user_sgpr_kernarg_segment_ptr 1
		.amdhsa_user_sgpr_dispatch_id 0
		.amdhsa_user_sgpr_private_segment_size 0
		.amdhsa_wavefront_size32 1
		.amdhsa_uses_dynamic_stack 0
		.amdhsa_enable_private_segment 0
		.amdhsa_system_sgpr_workgroup_id_x 1
		.amdhsa_system_sgpr_workgroup_id_y 1
		.amdhsa_system_sgpr_workgroup_id_z 1
		.amdhsa_system_sgpr_workgroup_info 0
		.amdhsa_system_vgpr_workitem_id 0
		.amdhsa_next_free_vgpr 44
		.amdhsa_next_free_sgpr 80
		.amdhsa_reserve_vcc 1
		.amdhsa_float_round_mode_32 0
		.amdhsa_float_round_mode_16_64 0
		.amdhsa_float_denorm_mode_32 3
		.amdhsa_float_denorm_mode_16_64 3
		.amdhsa_fp16_overflow 0
		.amdhsa_workgroup_processor_mode 1
		.amdhsa_memory_ordered 1
		.amdhsa_forward_progress 1
		.amdhsa_inst_pref_size 86
		.amdhsa_round_robin_scheduling 0
		.amdhsa_exception_fp_ieee_invalid_op 0
		.amdhsa_exception_fp_denorm_src 0
		.amdhsa_exception_fp_ieee_div_zero 0
		.amdhsa_exception_fp_ieee_overflow 0
		.amdhsa_exception_fp_ieee_underflow 0
		.amdhsa_exception_fp_ieee_inexact 0
		.amdhsa_exception_int_div_zero 0
	.end_amdhsa_kernel
	.section	.text._ZN2at6native12_GLOBAL__N_114gatherKthValueIsiLi1EEEvNS_4cuda6detail10TensorInfoIKT_T0_EES8_S8_S8_S8_NS5_IS6_S8_EENS5_IlS8_EE,"axG",@progbits,_ZN2at6native12_GLOBAL__N_114gatherKthValueIsiLi1EEEvNS_4cuda6detail10TensorInfoIKT_T0_EES8_S8_S8_S8_NS5_IS6_S8_EENS5_IlS8_EE,comdat
.Lfunc_end32:
	.size	_ZN2at6native12_GLOBAL__N_114gatherKthValueIsiLi1EEEvNS_4cuda6detail10TensorInfoIKT_T0_EES8_S8_S8_S8_NS5_IS6_S8_EENS5_IlS8_EE, .Lfunc_end32-_ZN2at6native12_GLOBAL__N_114gatherKthValueIsiLi1EEEvNS_4cuda6detail10TensorInfoIKT_T0_EES8_S8_S8_S8_NS5_IS6_S8_EENS5_IlS8_EE
                                        ; -- End function
	.set _ZN2at6native12_GLOBAL__N_114gatherKthValueIsiLi1EEEvNS_4cuda6detail10TensorInfoIKT_T0_EES8_S8_S8_S8_NS5_IS6_S8_EENS5_IlS8_EE.num_vgpr, 44
	.set _ZN2at6native12_GLOBAL__N_114gatherKthValueIsiLi1EEEvNS_4cuda6detail10TensorInfoIKT_T0_EES8_S8_S8_S8_NS5_IS6_S8_EENS5_IlS8_EE.num_agpr, 0
	.set _ZN2at6native12_GLOBAL__N_114gatherKthValueIsiLi1EEEvNS_4cuda6detail10TensorInfoIKT_T0_EES8_S8_S8_S8_NS5_IS6_S8_EENS5_IlS8_EE.numbered_sgpr, 80
	.set _ZN2at6native12_GLOBAL__N_114gatherKthValueIsiLi1EEEvNS_4cuda6detail10TensorInfoIKT_T0_EES8_S8_S8_S8_NS5_IS6_S8_EENS5_IlS8_EE.num_named_barrier, 0
	.set _ZN2at6native12_GLOBAL__N_114gatherKthValueIsiLi1EEEvNS_4cuda6detail10TensorInfoIKT_T0_EES8_S8_S8_S8_NS5_IS6_S8_EENS5_IlS8_EE.private_seg_size, 0
	.set _ZN2at6native12_GLOBAL__N_114gatherKthValueIsiLi1EEEvNS_4cuda6detail10TensorInfoIKT_T0_EES8_S8_S8_S8_NS5_IS6_S8_EENS5_IlS8_EE.uses_vcc, 1
	.set _ZN2at6native12_GLOBAL__N_114gatherKthValueIsiLi1EEEvNS_4cuda6detail10TensorInfoIKT_T0_EES8_S8_S8_S8_NS5_IS6_S8_EENS5_IlS8_EE.uses_flat_scratch, 0
	.set _ZN2at6native12_GLOBAL__N_114gatherKthValueIsiLi1EEEvNS_4cuda6detail10TensorInfoIKT_T0_EES8_S8_S8_S8_NS5_IS6_S8_EENS5_IlS8_EE.has_dyn_sized_stack, 0
	.set _ZN2at6native12_GLOBAL__N_114gatherKthValueIsiLi1EEEvNS_4cuda6detail10TensorInfoIKT_T0_EES8_S8_S8_S8_NS5_IS6_S8_EENS5_IlS8_EE.has_recursion, 0
	.set _ZN2at6native12_GLOBAL__N_114gatherKthValueIsiLi1EEEvNS_4cuda6detail10TensorInfoIKT_T0_EES8_S8_S8_S8_NS5_IS6_S8_EENS5_IlS8_EE.has_indirect_call, 0
	.section	.AMDGPU.csdata,"",@progbits
; Kernel info:
; codeLenInByte = 10960
; TotalNumSgprs: 82
; NumVgprs: 44
; ScratchSize: 0
; MemoryBound: 0
; FloatMode: 240
; IeeeMode: 1
; LDSByteSize: 4112 bytes/workgroup (compile time only)
; SGPRBlocks: 0
; VGPRBlocks: 5
; NumSGPRsForWavesPerEU: 82
; NumVGPRsForWavesPerEU: 44
; Occupancy: 16
; WaveLimiterHint : 1
; COMPUTE_PGM_RSRC2:SCRATCH_EN: 0
; COMPUTE_PGM_RSRC2:USER_SGPR: 2
; COMPUTE_PGM_RSRC2:TRAP_HANDLER: 0
; COMPUTE_PGM_RSRC2:TGID_X_EN: 1
; COMPUTE_PGM_RSRC2:TGID_Y_EN: 1
; COMPUTE_PGM_RSRC2:TGID_Z_EN: 1
; COMPUTE_PGM_RSRC2:TIDIG_COMP_CNT: 0
	.section	.text._ZN2at6native12_GLOBAL__N_114gatherKthValueIsiLi2EEEvNS_4cuda6detail10TensorInfoIKT_T0_EES8_S8_S8_S8_NS5_IS6_S8_EENS5_IlS8_EE,"axG",@progbits,_ZN2at6native12_GLOBAL__N_114gatherKthValueIsiLi2EEEvNS_4cuda6detail10TensorInfoIKT_T0_EES8_S8_S8_S8_NS5_IS6_S8_EENS5_IlS8_EE,comdat
	.globl	_ZN2at6native12_GLOBAL__N_114gatherKthValueIsiLi2EEEvNS_4cuda6detail10TensorInfoIKT_T0_EES8_S8_S8_S8_NS5_IS6_S8_EENS5_IlS8_EE ; -- Begin function _ZN2at6native12_GLOBAL__N_114gatherKthValueIsiLi2EEEvNS_4cuda6detail10TensorInfoIKT_T0_EES8_S8_S8_S8_NS5_IS6_S8_EENS5_IlS8_EE
	.p2align	8
	.type	_ZN2at6native12_GLOBAL__N_114gatherKthValueIsiLi2EEEvNS_4cuda6detail10TensorInfoIKT_T0_EES8_S8_S8_S8_NS5_IS6_S8_EENS5_IlS8_EE,@function
_ZN2at6native12_GLOBAL__N_114gatherKthValueIsiLi2EEEvNS_4cuda6detail10TensorInfoIKT_T0_EES8_S8_S8_S8_NS5_IS6_S8_EENS5_IlS8_EE: ; @_ZN2at6native12_GLOBAL__N_114gatherKthValueIsiLi2EEEvNS_4cuda6detail10TensorInfoIKT_T0_EES8_S8_S8_S8_NS5_IS6_S8_EENS5_IlS8_EE
; %bb.0:
	s_clause 0x1
	s_load_b64 s[4:5], s[0:1], 0x298
	s_load_b128 s[36:39], s[0:1], 0xd8
	s_lshr_b32 s2, ttmp7, 16
	s_and_b32 s3, ttmp7, 0xffff
	s_wait_kmcnt 0x0
	s_mul_i32 s2, s5, s2
	s_delay_alu instid0(SALU_CYCLE_1) | instskip(NEXT) | instid1(SALU_CYCLE_1)
	s_add_co_i32 s2, s2, s3
	s_mul_i32 s33, s2, s4
	s_delay_alu instid0(SALU_CYCLE_1) | instskip(NEXT) | instid1(SALU_CYCLE_1)
	s_add_co_i32 s33, s33, ttmp9
	s_cmp_ge_i32 s33, s38
	s_cbranch_scc1 .LBB33_233
; %bb.1:
	s_clause 0x4
	s_load_b32 s5, s[0:1], 0xc
	s_load_b32 s58, s[0:1], 0xf4
	;; [unrolled: 1-line block ×3, first 2 shown]
	s_load_b64 s[6:7], s[0:1], 0x6c
	s_load_b64 s[30:31], s[0:1], 0x154
	s_mov_b32 s51, 0
	s_abs_i32 s40, s33
	s_mov_b32 s41, s51
	s_add_nc_u64 s[10:11], s[0:1], 0x298
	s_ashr_i32 s61, s33, 31
	s_wait_kmcnt 0x0
	s_abs_i32 s14, s5
	s_abs_i32 s60, s58
	s_cvt_f32_u32 s2, s14
	s_abs_i32 s59, s38
	s_cvt_f32_u32 s3, s60
	s_cvt_f32_u32 s8, s59
	v_rcp_iflag_f32_e32 v1, s2
	s_sub_co_i32 s13, 0, s14
	v_rcp_iflag_f32_e32 v2, s3
	v_rcp_iflag_f32_e32 v3, s8
	s_clause 0x1
	s_load_b64 s[8:9], s[0:1], 0x0
	s_load_b64 s[34:35], s[0:1], 0x22c
	s_sub_co_i32 s16, 0, s60
	s_ashr_i32 s15, s5, 31
	s_delay_alu instid0(TRANS32_DEP_3) | instskip(NEXT) | instid1(TRANS32_DEP_2)
	v_readfirstlane_b32 s2, v1
	v_readfirstlane_b32 s3, v2
	s_delay_alu instid0(TRANS32_DEP_1)
	v_readfirstlane_b32 s12, v3
	s_mul_f32 s2, s2, 0x4f7ffffe
	s_mul_f32 s3, s3, 0x4f7ffffe
	;; [unrolled: 1-line block ×3, first 2 shown]
	s_wait_alu 0xfffe
	s_cvt_u32_f32 s2, s2
	s_cvt_u32_f32 s17, s3
	;; [unrolled: 1-line block ×3, first 2 shown]
	s_wait_alu 0xfffe
	s_mul_i32 s13, s13, s2
	s_sub_co_i32 s3, 0, s59
	s_mul_hi_u32 s13, s2, s13
	s_wait_alu 0xfffe
	s_mul_i32 s3, s3, s12
	s_add_co_i32 s50, s2, s13
	s_mul_i32 s16, s16, s17
	s_wait_alu 0xfffe
	s_mul_hi_u32 s13, s12, s3
	s_mul_u64 s[2:3], s[40:41], s[50:51]
	v_cmp_eq_u32_e64 s2, 0, v0
	s_mul_hi_u32 s16, s17, s16
	s_add_co_i32 s12, s12, s13
	s_add_co_i32 s50, s17, s16
	s_mov_b32 s13, s51
	s_wait_alu 0xfffe
	s_and_saveexec_b32 s16, s2
; %bb.2:
	v_dual_mov_b32 v1, 0 :: v_dual_mov_b32 v2, s36
	s_delay_alu instid0(VALU_DEP_1)
	v_mov_b32_e32 v3, v1
	ds_store_b96 v1, v[1:3] offset:4096
; %bb.3:
	s_or_b32 exec_lo, exec_lo, s16
	s_mul_i32 s16, s3, s14
	s_ashr_i32 s63, s58, 31
	s_sub_co_i32 s16, s40, s16
	s_ashr_i32 s62, s38, 31
	s_xor_b32 s15, s61, s15
	s_add_co_i32 s17, s3, 1
	s_sub_co_i32 s18, s16, s14
	s_cmp_ge_u32 s16, s14
	s_wait_dscnt 0x0
	s_cselect_b32 s3, s17, s3
	s_cselect_b32 s16, s18, s16
	s_wait_alu 0xfffe
	s_add_co_i32 s17, s3, 1
	s_cmp_ge_u32 s16, s14
	s_barrier_signal -1
	s_barrier_wait -1
	global_inv scope:SCOPE_SE
	s_load_b32 s14, s[10:11], 0xc
	s_cselect_b32 s3, s17, s3
	s_mul_u64 s[46:47], s[40:41], s[50:51]
	s_wait_alu 0xfffe
	s_xor_b32 s3, s3, s15
	s_mul_u64 s[28:29], s[40:41], s[12:13]
	s_wait_alu 0xfffe
	s_sub_co_i32 s3, s3, s15
	s_clause 0x1
	s_load_b64 s[42:43], s[0:1], 0x1c0
	s_load_b64 s[44:45], s[0:1], 0xe8
	s_mul_i32 s5, s3, s5
	s_mul_i32 s3, s3, s6
	s_sub_co_i32 s5, s33, s5
	v_mbcnt_lo_u32_b32 v15, -1, 0
	s_mul_i32 s5, s5, s7
	v_cmp_gt_u32_e32 vcc_lo, 32, v0
	s_wait_alu 0xfffe
	s_add_co_i32 s0, s3, s5
	v_dual_mov_b32 v7, 0 :: v_dual_lshlrev_b32 v16, 2, v0
	s_ashr_i32 s1, s0, 31
	v_mul_lo_u32 v5, s39, v0
	s_lshl_b64 s[0:1], s[0:1], 1
	s_delay_alu instid0(VALU_DEP_2)
	v_dual_mov_b32 v6, v7 :: v_dual_lshlrev_b32 v17, 1, v0
	s_wait_kmcnt 0x0
	s_and_b32 s41, s14, 0xffff
	s_add_nc_u64 s[48:49], s[8:9], s[0:1]
	s_lshl_b32 s46, s41, 2
	v_cmp_gt_i32_e64 s0, 4, v15
	s_cvt_f32_u32 s3, s46
	s_add_co_i32 s64, s41, -1
	s_bfe_u32 s1, s14, 0xb0005
	s_add_co_i32 s74, s64, s36
	s_wait_alu 0xfffe
	v_rcp_iflag_f32_e32 v1, s3
	s_and_b32 s66, vcc_lo, s0
	s_cmp_gt_i32 s36, 0x600
	s_mov_b32 s12, s39
	s_cselect_b32 s67, -1, 0
	s_cmp_gt_u32 s41, 31
	v_mad_co_u64_u32 v[12:13], null, s39, v16, s[12:13]
	s_cselect_b32 s68, -1, 0
	s_cmp_lt_u32 ttmp9, s4
	s_delay_alu instid0(TRANS32_DEP_1)
	v_readfirstlane_b32 s4, v1
	s_cselect_b32 s50, 12, 18
	s_add_co_i32 s3, s1, -1
	s_bfe_u32 s69, s41, 0x30005
	s_wait_alu 0xfffe
	s_and_b32 s3, s3, 0xffff
	v_lshlrev_b64_e32 v[1:2], 1, v[5:6]
	s_wait_alu 0xfffe
	s_cmp_gt_u32 s3, 6
	s_mul_f32 s3, s4, 0x4f7ffffe
	s_cselect_b32 s70, -1, 0
	s_and_b32 s71, s1, 0x7f8
	s_cmp_lg_u32 s69, 0
	s_wait_alu 0xfffe
	s_cvt_u32_f32 s3, s3
	s_cselect_b32 s72, -1, 0
	s_sub_co_i32 s4, 0, s46
	v_add_co_u32 v8, vcc_lo, s48, v1
	s_wait_alu 0xfffe
	s_mul_i32 s4, s4, s3
	v_add_co_ci_u32_e64 v9, null, s49, v2, vcc_lo
	s_mul_hi_u32 s4, s3, s4
	v_lshlrev_b64_e64 v[1:2], v15, -1
	s_add_co_i32 s52, s3, s4
	s_cvt_f32_u32 s3, s41
	s_mul_hi_u32 s4, s36, s52
	v_lshrrev_b32_e32 v2, 1, v0
	s_mul_i32 s4, s4, s46
	s_wait_alu 0xfffe
	v_rcp_iflag_f32_e32 v3, s3
	s_sub_co_i32 s4, s36, s4
	v_not_b32_e32 v20, v1
	s_sub_co_i32 s5, s4, s46
	s_cmp_ge_u32 s4, s46
	v_mov_b32_e32 v32, s37
	s_cselect_b32 s4, s5, s4
	v_cmp_eq_u32_e64 s0, 0, v15
	s_sub_co_i32 s6, s4, s46
	s_cmp_ge_u32 s4, s46
	v_readfirstlane_b32 s5, v3
	s_cselect_b32 s9, s6, s4
	s_sub_co_i32 s6, 0, s41
	s_wait_alu 0xfffe
	s_sub_co_i32 s73, s36, s9
	s_abs_i32 s7, s74
	s_mul_f32 s5, s5, 0x4f7ffffe
	v_add_nc_u32_e32 v19, s73, v0
	v_or_b32_e32 v3, 3, v16
	v_cmp_gt_u32_e64 s1, 2, v0
	s_cvt_u32_f32 s5, s5
	v_dual_mov_b32 v31, 0 :: v_dual_add_nc_u32 v18, 0xc00, v17
	v_mul_lo_u32 v1, v19, s39
	s_delay_alu instid0(SALU_CYCLE_1)
	s_mul_i32 s6, s6, s5
	v_mul_lo_u32 v24, s39, v3
	s_mul_hi_u32 s6, s5, s6
	v_cmp_gt_u32_e64 s3, s36, v0
	s_add_co_i32 s54, s5, s6
	s_movk_i32 s5, 0x1f0
	s_mul_hi_u32 s6, s7, s54
	v_and_or_b32 v21, v2, s5, 0xc00
	v_ashrrev_i32_e32 v2, 31, v1
	s_mul_i32 s6, s6, s41
	v_cmp_gt_i32_e64 s4, s36, v0
	s_sub_co_i32 s5, s7, s6
	s_ashr_i32 s7, s74, 31
	v_lshlrev_b64_e32 v[1:2], 1, v[1:2]
	s_wait_alu 0xfffe
	s_sub_co_i32 s6, s5, s41
	s_cmp_ge_u32 s5, s41
	v_dual_mov_b32 v22, 0 :: v_dual_lshlrev_b32 v25, 2, v5
	s_cselect_b32 s6, s6, s5
	v_add_co_u32 v10, vcc_lo, s48, v1
	v_add3_u32 v1, s41, s36, v0
	s_sub_co_i32 s8, s6, s41
	s_cmp_ge_u32 s6, s41
	s_wait_alu 0xfffd
	v_add_co_ci_u32_e64 v11, null, s49, v2, vcc_lo
	s_wait_alu 0xfffe
	s_cselect_b32 s8, s8, s6
	v_or_b32_e32 v2, 2, v16
	v_subrev_nc_u32_e32 v1, s9, v1
	s_wait_alu 0xfffe
	s_xor_b32 s8, s8, s7
	v_cmp_gt_i32_e64 s5, s73, v16
	s_wait_alu 0xfffe
	s_sub_co_i32 s8, s7, s8
	v_mul_lo_u32 v23, s39, v2
	v_mul_lo_u32 v26, s39, v1
	s_wait_alu 0xfffe
	s_add_co_i32 s74, s74, s8
	v_cmp_gt_u32_e64 s6, s36, v19
	v_cmp_gt_i32_e64 s7, s36, v19
	v_cmp_gt_i32_e64 s8, s74, v0
	v_dual_mov_b32 v30, 0 :: v_dual_lshlrev_b32 v27, 3, v0
	v_lshl_or_b32 v28, v15, 2, 0xc00
	v_mov_b32_e32 v29, 0
	s_mul_i32 s65, s39, s41
	s_mov_b32 s53, s51
	s_mov_b32 s55, s51
	s_lshl_b32 s75, s65, 2
	s_lshl_b32 s76, s41, 3
	;; [unrolled: 1-line block ×3, first 2 shown]
	s_mov_b32 s84, 14
	s_add_nc_u64 s[56:57], s[10:11], s[50:51]
	s_mov_b32 s37, s51
                                        ; implicit-def: $sgpr81
                                        ; implicit-def: $sgpr83
                                        ; implicit-def: $sgpr78
                                        ; implicit-def: $sgpr80
                                        ; implicit-def: $sgpr82
                                        ; implicit-def: $sgpr79
	s_branch .LBB33_7
.LBB33_4:                               ;   in Loop: Header=BB33_7 Depth=1
	s_wait_alu 0xfffe
	s_or_b32 exec_lo, exec_lo, s13
	s_delay_alu instid0(SALU_CYCLE_1)
	s_and_b32 s10, s10, exec_lo
	s_and_not1_b32 s15, s15, exec_lo
	s_and_not1_b32 s14, s14, exec_lo
	s_or_not1_b32 s12, s12, exec_lo
.LBB33_5:                               ;   in Loop: Header=BB33_7 Depth=1
	s_wait_alu 0xfffe
	s_or_b32 exec_lo, exec_lo, s9
	s_delay_alu instid0(SALU_CYCLE_1)
	s_and_not1_b32 s9, s79, exec_lo
	s_and_b32 s10, s10, exec_lo
	s_and_not1_b32 s13, s80, exec_lo
	s_wait_alu 0xfffe
	s_or_b32 s79, s9, s10
	s_and_not1_b32 s9, s82, exec_lo
	s_and_b32 s10, s15, exec_lo
	s_and_b32 s14, s14, exec_lo
	s_wait_alu 0xfffe
	s_or_b32 s82, s9, s10
	s_or_b32 s80, s13, s14
	s_or_not1_b32 s13, s12, exec_lo
.LBB33_6:                               ;   in Loop: Header=BB33_7 Depth=1
	s_wait_alu 0xfffe
	s_or_b32 exec_lo, exec_lo, s11
	s_delay_alu instid0(SALU_CYCLE_1)
	s_and_b32 s9, exec_lo, s13
	v_mov_b32_e32 v32, v4
	s_wait_alu 0xfffe
	s_or_b32 s37, s9, s37
	s_and_not1_b32 s9, s78, exec_lo
	s_and_b32 s10, s79, exec_lo
	s_and_not1_b32 s11, s83, exec_lo
	s_wait_alu 0xfffe
	s_or_b32 s78, s9, s10
	s_and_b32 s9, s82, exec_lo
	s_and_not1_b32 s10, s81, exec_lo
	s_and_b32 s12, s80, exec_lo
	s_wait_alu 0xfffe
	s_or_b32 s83, s11, s9
	s_or_b32 s81, s10, s12
	s_mov_b32 s84, s21
	s_and_not1_b32 exec_lo, exec_lo, s37
	s_cbranch_execz .LBB33_229
.LBB33_7:                               ; =>This Loop Header: Depth=1
                                        ;     Child Loop BB33_12 Depth 2
                                        ;     Child Loop BB33_27 Depth 2
	;; [unrolled: 1-line block ×16, first 2 shown]
	ds_load_b64 v[1:2], v7 offset:4096
	s_wait_dscnt 0x0
	v_readfirstlane_b32 s50, v1
	s_cmp_gt_i32 s50, 0
	s_cbranch_scc1 .LBB33_34
; %bb.8:                                ;   in Loop: Header=BB33_7 Depth=1
	s_and_b32 vcc_lo, exec_lo, s67
	s_wait_alu 0xfffe
	s_cbranch_vccz .LBB33_20
; %bb.9:                                ;   in Loop: Header=BB33_7 Depth=1
	v_cmp_gt_i32_e32 vcc_lo, 0x601, v2
	s_mov_b32 s10, 0
	s_mov_b32 s9, 0
	s_cbranch_vccz .LBB33_21
; %bb.10:                               ;   in Loop: Header=BB33_7 Depth=1
	global_load_u16 v1, v[8:9], off
	s_load_u16 s11, s[56:57], 0x0
	s_mov_b32 s12, 0
	s_wait_kmcnt 0x0
	v_add_nc_u32_e32 v2, s11, v0
	s_mul_i32 s13, s39, s11
	s_delay_alu instid0(VALU_DEP_1)
	v_mul_lo_u32 v6, s39, v2
	v_mov_b32_e32 v2, v0
	s_branch .LBB33_12
.LBB33_11:                              ;   in Loop: Header=BB33_12 Depth=2
	s_wait_alu 0xfffe
	s_or_b32 exec_lo, exec_lo, s9
	v_cmp_le_i32_e32 vcc_lo, s36, v2
	v_dual_mov_b32 v1, v3 :: v_dual_add_nc_u32 v6, s13, v6
	s_or_b32 s12, vcc_lo, s12
	s_wait_alu 0xfffe
	s_and_not1_b32 exec_lo, exec_lo, s12
	s_cbranch_execz .LBB33_66
.LBB33_12:                              ;   Parent Loop BB33_7 Depth=1
                                        ; =>  This Inner Loop Header: Depth=2
	s_delay_alu instid0(VALU_DEP_1) | instskip(SKIP_3) | instid1(VALU_DEP_2)
	v_dual_mov_b32 v3, 0 :: v_dual_add_nc_u32 v2, s11, v2
	s_wait_dscnt 0x0
	v_mov_b32_e32 v4, 0
	s_mov_b32 s9, exec_lo
	v_cmpx_gt_u32_e64 s36, v2
	s_cbranch_execz .LBB33_14
; %bb.13:                               ;   in Loop: Header=BB33_12 Depth=2
	v_lshlrev_b64_e32 v[13:14], 1, v[6:7]
	s_delay_alu instid0(VALU_DEP_1) | instskip(SKIP_1) | instid1(VALU_DEP_2)
	v_add_co_u32 v13, vcc_lo, s48, v13
	s_wait_alu 0xfffd
	v_add_co_ci_u32_e64 v14, null, s49, v14, vcc_lo
	global_load_u16 v3, v[13:14], off
.LBB33_14:                              ;   in Loop: Header=BB33_12 Depth=2
	s_wait_alu 0xfffe
	s_or_b32 exec_lo, exec_lo, s9
	s_wait_loadcnt 0x0
	v_bfe_i32 v13, v1, 0, 16
	s_delay_alu instid0(VALU_DEP_1) | instskip(NEXT) | instid1(VALU_DEP_1)
	v_add_nc_u32_e32 v13, 0x8000, v13
	v_and_b32_e32 v13, v13, v30
	s_delay_alu instid0(VALU_DEP_1)
	v_cmp_eq_u32_e32 vcc_lo, v13, v22
	s_cmp_lg_u32 vcc_lo, 0
	s_cselect_b32 s9, -1, 0
	s_wait_alu 0xfffe
	s_and_b32 s9, s0, s9
	s_wait_alu 0xfffe
	s_and_saveexec_b32 s14, s9
	s_cbranch_execz .LBB33_18
; %bb.15:                               ;   in Loop: Header=BB33_12 Depth=2
	s_mov_b32 s17, exec_lo
	s_bcnt1_i32_b32 s15, vcc_lo
	s_wait_alu 0xfffe
	v_mbcnt_lo_u32_b32 v4, s17, 0
	s_mov_b32 s16, exec_lo
                                        ; implicit-def: $vgpr13
	s_delay_alu instid0(VALU_DEP_1)
	v_cmpx_eq_u32_e32 0, v4
; %bb.16:                               ;   in Loop: Header=BB33_12 Depth=2
	s_bcnt1_i32_b32 s9, s17
	s_wait_alu 0xfffe
	s_mul_i32 s9, s15, s9
	s_wait_alu 0xfffe
	v_mov_b32_e32 v13, s9
	ds_add_rtn_u32 v13, v7, v13 offset:4104
; %bb.17:                               ;   in Loop: Header=BB33_12 Depth=2
	s_or_b32 exec_lo, exec_lo, s16
	s_wait_dscnt 0x0
	v_readfirstlane_b32 s9, v13
	s_wait_alu 0xf1ff
	s_delay_alu instid0(VALU_DEP_1)
	v_mad_u32_u24 v4, s15, v4, s9
.LBB33_18:                              ;   in Loop: Header=BB33_12 Depth=2
	s_wait_alu 0xfffe
	s_or_b32 exec_lo, exec_lo, s14
	ds_bpermute_b32 v4, v7, v4
	s_and_saveexec_b32 s9, vcc_lo
	s_cbranch_execz .LBB33_11
; %bb.19:                               ;   in Loop: Header=BB33_12 Depth=2
	v_and_b32_e32 v13, vcc_lo, v20
	s_delay_alu instid0(VALU_DEP_1) | instskip(NEXT) | instid1(VALU_DEP_1)
	v_bcnt_u32_b32 v13, v13, 0
	v_lshlrev_b32_e32 v13, 1, v13
	s_wait_dscnt 0x0
	s_delay_alu instid0(VALU_DEP_1)
	v_lshl_add_u32 v4, v4, 1, v13
	ds_store_b16 v4, v1
	s_branch .LBB33_11
.LBB33_20:                              ;   in Loop: Header=BB33_7 Depth=1
	s_mov_b32 s10, -1
	s_mov_b32 s9, 0
.LBB33_21:                              ;   in Loop: Header=BB33_7 Depth=1
	s_wait_alu 0xfffe
	s_and_b32 vcc_lo, exec_lo, s10
	s_wait_alu 0xfffe
	s_cbranch_vccz .LBB33_32
.LBB33_22:                              ;   in Loop: Header=BB33_7 Depth=1
	v_mov_b32_e32 v1, 0
	s_and_saveexec_b32 s9, s3
	s_cbranch_execz .LBB33_24
; %bb.23:                               ;   in Loop: Header=BB33_7 Depth=1
	global_load_u16 v1, v[8:9], off
.LBB33_24:                              ;   in Loop: Header=BB33_7 Depth=1
	s_wait_alu 0xfffe
	s_or_b32 exec_lo, exec_lo, s9
	s_and_saveexec_b32 s9, s4
	s_cbranch_execz .LBB33_29
; %bb.25:                               ;   in Loop: Header=BB33_7 Depth=1
	s_load_u16 s10, s[56:57], 0x0
	s_mov_b32 s13, 0
	s_wait_kmcnt 0x0
	v_dual_mov_b32 v3, v0 :: v_dual_add_nc_u32 v2, s10, v0
	s_lshl_b32 s11, s10, 1
	s_mul_i32 s12, s39, s10
	s_delay_alu instid0(VALU_DEP_1)
	v_mul_lo_u32 v6, s39, v2
	v_mov_b32_e32 v2, v17
	s_branch .LBB33_27
.LBB33_26:                              ;   in Loop: Header=BB33_27 Depth=2
	s_wait_alu 0xfffe
	s_or_b32 exec_lo, exec_lo, s14
	v_cmp_le_i32_e32 vcc_lo, s36, v3
	s_wait_loadcnt 0x0
	ds_store_b16 v2, v1
	v_dual_mov_b32 v1, v4 :: v_dual_add_nc_u32 v2, s11, v2
	v_add_nc_u32_e32 v6, s12, v6
	s_or_b32 s13, vcc_lo, s13
	s_wait_alu 0xfffe
	s_and_not1_b32 exec_lo, exec_lo, s13
	s_cbranch_execz .LBB33_29
.LBB33_27:                              ;   Parent Loop BB33_7 Depth=1
                                        ; =>  This Inner Loop Header: Depth=2
	v_dual_mov_b32 v4, 0 :: v_dual_add_nc_u32 v3, s10, v3
	s_mov_b32 s14, exec_lo
	s_delay_alu instid0(VALU_DEP_1)
	v_cmpx_gt_u32_e64 s36, v3
	s_cbranch_execz .LBB33_26
; %bb.28:                               ;   in Loop: Header=BB33_27 Depth=2
	s_delay_alu instid0(VALU_DEP_4) | instskip(NEXT) | instid1(VALU_DEP_1)
	v_lshlrev_b64_e32 v[13:14], 1, v[6:7]
	v_add_co_u32 v13, vcc_lo, s48, v13
	s_wait_alu 0xfffd
	s_delay_alu instid0(VALU_DEP_2)
	v_add_co_ci_u32_e64 v14, null, s49, v14, vcc_lo
	global_load_u16 v4, v[13:14], off
	s_branch .LBB33_26
.LBB33_29:                              ;   in Loop: Header=BB33_7 Depth=1
	s_wait_alu 0xfffe
	s_or_b32 exec_lo, exec_lo, s9
	s_wait_loadcnt_dscnt 0x0
	s_barrier_signal -1
	s_barrier_wait -1
	global_inv scope:SCOPE_SE
	s_and_saveexec_b32 s9, s2
; %bb.30:                               ;   in Loop: Header=BB33_7 Depth=1
	v_mov_b32_e32 v1, s36
	ds_store_b32 v7, v1 offset:4096
; %bb.31:                               ;   in Loop: Header=BB33_7 Depth=1
	s_wait_alu 0xfffe
	s_or_b32 exec_lo, exec_lo, s9
	s_mov_b32 s9, -1
	s_wait_loadcnt_dscnt 0x0
	s_barrier_signal -1
	s_barrier_wait -1
.LBB33_32:                              ;   in Loop: Header=BB33_7 Depth=1
	s_wait_alu 0xfffe
	s_and_b32 vcc_lo, exec_lo, s9
	s_wait_alu 0xfffe
	s_cbranch_vccz .LBB33_34
; %bb.33:                               ;   in Loop: Header=BB33_7 Depth=1
	s_wait_loadcnt 0x0
	global_inv scope:SCOPE_SE
	ds_load_b32 v1, v7 offset:4096
	s_wait_dscnt 0x0
	v_readfirstlane_b32 s50, v1
.LBB33_34:                              ;   in Loop: Header=BB33_7 Depth=1
	s_delay_alu instid0(VALU_DEP_1)
	s_cmp_lt_i32 s50, 1
	s_mov_b32 s9, -1
                                        ; implicit-def: $vgpr1
	s_cbranch_scc1 .LBB33_44
; %bb.35:                               ;   in Loop: Header=BB33_7 Depth=1
	s_wait_alu 0xfffe
	s_and_b32 vcc_lo, exec_lo, s9
	s_wait_alu 0xfffe
	s_cbranch_vccnz .LBB33_57
.LBB33_36:                              ;   in Loop: Header=BB33_7 Depth=1
	v_lshlrev_b32_e32 v6, 7, v29
	s_and_saveexec_b32 s9, s0
.LBB33_37:                              ;   in Loop: Header=BB33_7 Depth=1
	s_delay_alu instid0(VALU_DEP_1)
	v_lshl_add_u32 v13, v6, 2, v21
	ds_store_b128 v13, v[1:4]
.LBB33_38:                              ;   in Loop: Header=BB33_7 Depth=1
	s_wait_alu 0xfffe
	s_or_b32 exec_lo, exec_lo, s9
	s_wait_loadcnt_dscnt 0x0
	s_barrier_signal -1
	s_barrier_wait -1
	global_inv scope:SCOPE_SE
	s_and_saveexec_b32 s9, s66
	s_cbranch_execz .LBB33_73
; %bb.39:                               ;   in Loop: Header=BB33_7 Depth=1
	v_mov_b32_e32 v1, 0
	s_and_not1_b32 vcc_lo, exec_lo, s68
	s_wait_alu 0xfffe
	s_cbranch_vccnz .LBB33_72
; %bb.40:                               ;   in Loop: Header=BB33_7 Depth=1
	s_and_not1_b32 vcc_lo, exec_lo, s70
	s_wait_alu 0xfffe
	s_cbranch_vccnz .LBB33_69
; %bb.41:                               ;   in Loop: Header=BB33_7 Depth=1
	v_lshl_add_u32 v2, v29, 9, v28
	v_mov_b32_e32 v1, 0
	s_mov_b32 s10, 0
.LBB33_42:                              ;   Parent Loop BB33_7 Depth=1
                                        ; =>  This Inner Loop Header: Depth=2
	ds_load_2addr_b32 v[3:4], v2 offset1:4
	ds_load_2addr_b32 v[13:14], v2 offset0:8 offset1:12
	ds_load_2addr_b32 v[33:34], v2 offset0:16 offset1:20
	;; [unrolled: 1-line block ×3, first 2 shown]
	v_add_nc_u32_e32 v2, 0x80, v2
	s_wait_alu 0xfffe
	s_add_co_i32 s10, s10, 8
	s_wait_alu 0xfffe
	s_cmp_eq_u32 s71, s10
	s_wait_dscnt 0x3
	v_add3_u32 v1, v3, v1, v4
	s_wait_dscnt 0x2
	s_delay_alu instid0(VALU_DEP_1) | instskip(SKIP_1) | instid1(VALU_DEP_1)
	v_add3_u32 v1, v13, v1, v14
	s_wait_dscnt 0x1
	v_add3_u32 v1, v33, v1, v34
	s_wait_dscnt 0x0
	s_delay_alu instid0(VALU_DEP_1)
	v_add3_u32 v1, v35, v1, v36
	s_cbranch_scc0 .LBB33_42
; %bb.43:                               ;   in Loop: Header=BB33_7 Depth=1
	s_mov_b32 s10, s71
	s_and_not1_b32 vcc_lo, exec_lo, s72
	s_wait_alu 0xfffe
	s_cbranch_vccz .LBB33_70
	s_branch .LBB33_72
.LBB33_44:                              ;   in Loop: Header=BB33_7 Depth=1
	v_dual_mov_b32 v1, 0 :: v_dual_mov_b32 v2, 0
	v_dual_mov_b32 v3, 0 :: v_dual_mov_b32 v4, 0
	s_and_saveexec_b32 s85, s5
	s_cbranch_execnz .LBB33_47
; %bb.45:                               ;   in Loop: Header=BB33_7 Depth=1
	s_wait_alu 0xfffe
	s_or_b32 exec_lo, exec_lo, s85
	v_mov_b32_e32 v33, 0
	s_and_saveexec_b32 s9, s6
	s_cbranch_execnz .LBB33_50
.LBB33_46:                              ;   in Loop: Header=BB33_7 Depth=1
	s_wait_alu 0xfffe
	s_or_b32 exec_lo, exec_lo, s9
	s_and_saveexec_b32 s13, s7
	s_cbranch_execnz .LBB33_51
	s_branch .LBB33_56
.LBB33_47:                              ;   in Loop: Header=BB33_7 Depth=1
	v_mov_b32_e32 v6, v16
	s_mov_b32 s86, 0
	s_mov_b32 s87, 0
	;; [unrolled: 1-line block ×6, first 2 shown]
.LBB33_48:                              ;   Parent Loop BB33_7 Depth=1
                                        ; =>  This Inner Loop Header: Depth=2
	s_wait_alu 0xfffe
	v_add_nc_u32_e32 v1, s87, v25
	v_add_nc_u32_e32 v3, s87, v12
	;; [unrolled: 1-line block ×4, first 2 shown]
	s_add_co_i32 s87, s87, s75
	v_ashrrev_i32_e32 v2, 31, v1
	v_ashrrev_i32_e32 v4, 31, v3
	;; [unrolled: 1-line block ×4, first 2 shown]
	s_delay_alu instid0(VALU_DEP_4) | instskip(NEXT) | instid1(VALU_DEP_4)
	v_lshlrev_b64_e32 v[1:2], 1, v[1:2]
	v_lshlrev_b64_e32 v[3:4], 1, v[3:4]
	s_delay_alu instid0(VALU_DEP_4) | instskip(NEXT) | instid1(VALU_DEP_4)
	v_lshlrev_b64_e32 v[13:14], 1, v[13:14]
	v_lshlrev_b64_e32 v[33:34], 1, v[33:34]
	s_delay_alu instid0(VALU_DEP_4)
	v_add_co_u32 v1, vcc_lo, s48, v1
	s_wait_alu 0xfffd
	v_add_co_ci_u32_e64 v2, null, s49, v2, vcc_lo
	v_add_co_u32 v3, vcc_lo, s48, v3
	s_wait_alu 0xfffd
	v_add_co_ci_u32_e64 v4, null, s49, v4, vcc_lo
	;; [unrolled: 3-line block ×4, first 2 shown]
	s_clause 0x3
	global_load_i16 v1, v[1:2], off
	global_load_i16 v2, v[3:4], off
	;; [unrolled: 1-line block ×4, first 2 shown]
	s_wait_loadcnt 0x3
	v_add_nc_u32_e32 v1, 0x8000, v1
	s_wait_loadcnt 0x2
	v_add_nc_u32_e32 v2, 0x8000, v2
	;; [unrolled: 2-line block ×4, first 2 shown]
	v_and_b32_e32 v13, v1, v30
	v_bfe_u32 v1, v1, s84, 2
	v_and_b32_e32 v14, v2, v30
	v_bfe_u32 v2, v2, s84, 2
	;; [unrolled: 2-line block ×3, first 2 shown]
	v_cmp_eq_u32_e64 s9, v13, v22
	v_cmp_eq_u32_e64 s13, 0, v1
	v_and_b32_e32 v34, v4, v30
	v_bfe_u32 v4, v4, s84, 2
	v_cmp_eq_u32_e64 s10, v14, v22
	v_cmp_eq_u32_e64 s14, 0, v2
	;; [unrolled: 1-line block ×4, first 2 shown]
	s_and_b32 s13, s9, s13
	v_cmp_eq_u32_e64 s12, v34, v22
	v_cmp_eq_u32_e64 s16, 0, v4
	;; [unrolled: 1-line block ×5, first 2 shown]
	s_wait_alu 0xfffe
	v_cndmask_b32_e64 v1, 0, 1, s13
	s_and_b32 s13, s10, s14
	v_cmp_eq_u32_e64 s18, 1, v2
	v_cmp_eq_u32_e64 s22, 2, v2
	v_cmp_eq_u32_e64 s26, 3, v2
	s_wait_alu 0xfffe
	v_cndmask_b32_e64 v2, 0, 1, s13
	s_and_b32 s13, s11, s15
	v_cmp_eq_u32_e64 s19, 1, v3
	v_cmp_eq_u32_e64 s23, 2, v3
	v_cmp_eq_u32_e64 s27, 3, v3
	;; [unrolled: 6-line block ×3, first 2 shown]
	s_wait_alu 0xfffe
	v_cndmask_b32_e64 v4, 0, 1, s13
	s_and_b32 s13, s9, s17
	s_wait_alu 0xfffe
	v_cndmask_b32_e64 v13, 0, 1, s13
	s_and_b32 s13, s10, s18
	;; [unrolled: 3-line block ×4, first 2 shown]
	v_cmp_ne_u32_e64 s14, 0, v14
	s_wait_alu 0xfffe
	v_cndmask_b32_e64 v34, 0, 1, s13
	s_and_b32 s13, s9, s21
	s_and_b32 s9, s9, s25
	s_wait_alu 0xfffe
	v_cndmask_b32_e64 v35, 0, 1, s13
	v_cndmask_b32_e64 v39, 0, 1, s9
	s_and_b32 s9, s10, s26
	s_and_b32 s13, s10, s22
	s_wait_alu 0xfffe
	v_cndmask_b32_e64 v40, 0, 1, s9
	s_and_b32 s9, s11, s27
	v_cndmask_b32_e64 v36, 0, 1, s13
	s_wait_alu 0xfffe
	v_cndmask_b32_e64 v41, 0, 1, s9
	s_and_b32 s9, s12, s28
	s_and_b32 s13, s11, s23
	s_wait_alu 0xfffe
	v_cndmask_b32_e64 v42, 0, 1, s9
	v_cmp_ne_u32_e64 s9, 0, v1
	v_cmp_ne_u32_e64 s10, 0, v2
	v_cndmask_b32_e64 v37, 0, 1, s13
	s_and_b32 s13, s12, s24
	v_cmp_ne_u32_e64 s11, 0, v3
	s_wait_alu 0xfffe
	v_cndmask_b32_e64 v38, 0, 1, s13
	v_cmp_ne_u32_e64 s13, 0, v13
	v_cmp_ne_u32_e64 s17, 0, v35
	;; [unrolled: 1-line block ×3, first 2 shown]
	s_bcnt1_i32_b32 s9, s9
	v_cmp_ne_u32_e64 s12, 0, v4
	v_cmp_ne_u32_e64 s18, 0, v36
	;; [unrolled: 1-line block ×3, first 2 shown]
	s_bcnt1_i32_b32 s10, s10
	s_wait_alu 0xfffe
	s_add_co_i32 s9, s9, s91
	v_cmp_ne_u32_e64 s15, 0, v33
	v_cmp_ne_u32_e64 s19, 0, v37
	;; [unrolled: 1-line block ×3, first 2 shown]
	s_bcnt1_i32_b32 s11, s11
	s_wait_alu 0xfffe
	s_add_co_i32 s9, s9, s10
	s_bcnt1_i32_b32 s13, s13
	s_bcnt1_i32_b32 s17, s17
	;; [unrolled: 1-line block ×3, first 2 shown]
	v_cmp_ne_u32_e64 s16, 0, v34
	v_cmp_ne_u32_e64 s20, 0, v38
	;; [unrolled: 1-line block ×3, first 2 shown]
	s_bcnt1_i32_b32 s12, s12
	s_wait_alu 0xfffe
	s_add_co_i32 s9, s9, s11
	s_bcnt1_i32_b32 s14, s14
	s_bcnt1_i32_b32 s18, s18
	;; [unrolled: 1-line block ×3, first 2 shown]
	s_add_co_i32 s13, s13, s90
	s_add_co_i32 s17, s17, s89
	;; [unrolled: 1-line block ×3, first 2 shown]
	s_wait_alu 0xfffe
	s_add_co_i32 s91, s9, s12
	s_wait_alu 0xfffe
	v_dual_mov_b32 v1, s91 :: v_dual_add_nc_u32 v6, s46, v6
	s_bcnt1_i32_b32 s15, s15
	s_bcnt1_i32_b32 s19, s19
	;; [unrolled: 1-line block ×3, first 2 shown]
	s_add_co_i32 s10, s13, s14
	s_add_co_i32 s13, s17, s18
	;; [unrolled: 1-line block ×3, first 2 shown]
	s_bcnt1_i32_b32 s16, s16
	s_bcnt1_i32_b32 s20, s20
	;; [unrolled: 1-line block ×3, first 2 shown]
	s_wait_alu 0xfffe
	s_add_co_i32 s10, s10, s15
	s_add_co_i32 s11, s13, s19
	;; [unrolled: 1-line block ×3, first 2 shown]
	v_cmp_le_i32_e32 vcc_lo, s73, v6
	s_wait_alu 0xfffe
	s_add_co_i32 s90, s10, s16
	s_add_co_i32 s89, s11, s20
	;; [unrolled: 1-line block ×3, first 2 shown]
	s_wait_alu 0xfffe
	v_dual_mov_b32 v2, s90 :: v_dual_mov_b32 v3, s89
	v_mov_b32_e32 v4, s88
	s_or_b32 s86, vcc_lo, s86
	s_wait_alu 0xfffe
	s_and_not1_b32 exec_lo, exec_lo, s86
	s_cbranch_execnz .LBB33_48
; %bb.49:                               ;   in Loop: Header=BB33_7 Depth=1
	s_or_b32 exec_lo, exec_lo, s86
	s_delay_alu instid0(SALU_CYCLE_1)
	s_or_b32 exec_lo, exec_lo, s85
	v_mov_b32_e32 v33, 0
	s_and_saveexec_b32 s9, s6
	s_cbranch_execz .LBB33_46
.LBB33_50:                              ;   in Loop: Header=BB33_7 Depth=1
	global_load_u16 v33, v[10:11], off
	s_wait_alu 0xfffe
	s_or_b32 exec_lo, exec_lo, s9
	s_and_saveexec_b32 s13, s7
	s_cbranch_execz .LBB33_56
.LBB33_51:                              ;   in Loop: Header=BB33_7 Depth=1
	v_dual_mov_b32 v13, v26 :: v_dual_mov_b32 v6, v19
	s_mov_b32 s14, 0
	s_branch .LBB33_53
.LBB33_52:                              ;   in Loop: Header=BB33_53 Depth=2
	s_wait_alu 0xfffe
	s_or_b32 exec_lo, exec_lo, s9
	s_wait_loadcnt 0x0
	v_bfe_i32 v33, v33, 0, 16
	v_add_nc_u32_e32 v13, s65, v13
	s_delay_alu instid0(VALU_DEP_2) | instskip(NEXT) | instid1(VALU_DEP_1)
	v_add_nc_u32_e32 v33, 0x8000, v33
	v_and_b32_e32 v34, v33, v30
	v_bfe_u32 v33, v33, s84, 2
	s_delay_alu instid0(VALU_DEP_2) | instskip(NEXT) | instid1(VALU_DEP_2)
	v_cmp_eq_u32_e32 vcc_lo, v34, v22
	v_cmp_eq_u32_e64 s9, 0, v33
	v_cmp_eq_u32_e64 s10, 1, v33
	;; [unrolled: 1-line block ×4, first 2 shown]
	s_and_b32 s9, vcc_lo, s9
	s_wait_alu 0xfffe
	v_cndmask_b32_e64 v33, 0, 1, s9
	s_and_b32 s9, vcc_lo, s10
	s_wait_alu 0xfffe
	v_cndmask_b32_e64 v34, 0, 1, s9
	s_and_b32 s9, vcc_lo, s11
	s_wait_alu 0xfffe
	v_cndmask_b32_e64 v35, 0, 1, s9
	s_and_b32 s9, vcc_lo, s12
	v_cmp_ne_u32_e32 vcc_lo, 0, v33
	s_wait_alu 0xfffe
	v_cndmask_b32_e64 v36, 0, 1, s9
	v_cmp_ne_u32_e64 s9, 0, v34
	v_cmp_ne_u32_e64 s10, 0, v35
	v_cmp_le_i32_e64 s12, s36, v6
	s_bcnt1_i32_b32 s15, vcc_lo
	v_cmp_ne_u32_e64 s11, 0, v36
	s_bcnt1_i32_b32 s9, s9
	s_bcnt1_i32_b32 s10, s10
	s_wait_alu 0xfffe
	v_add_nc_u32_e32 v1, s15, v1
	v_add_nc_u32_e32 v2, s9, v2
	s_bcnt1_i32_b32 s11, s11
	v_add_nc_u32_e32 v3, s10, v3
	s_wait_alu 0xfffe
	v_dual_mov_b32 v33, v14 :: v_dual_add_nc_u32 v4, s11, v4
	s_or_b32 s14, s12, s14
	s_wait_alu 0xfffe
	s_and_not1_b32 exec_lo, exec_lo, s14
	s_cbranch_execz .LBB33_55
.LBB33_53:                              ;   Parent Loop BB33_7 Depth=1
                                        ; =>  This Inner Loop Header: Depth=2
	s_delay_alu instid0(VALU_DEP_1) | instskip(SKIP_2) | instid1(VALU_DEP_2)
	v_add_nc_u32_e32 v6, s41, v6
	v_mov_b32_e32 v14, 0
	s_mov_b32 s9, exec_lo
	v_cmpx_gt_u32_e64 s36, v6
	s_cbranch_execz .LBB33_52
; %bb.54:                               ;   in Loop: Header=BB33_53 Depth=2
	v_ashrrev_i32_e32 v14, 31, v13
	s_delay_alu instid0(VALU_DEP_1) | instskip(NEXT) | instid1(VALU_DEP_1)
	v_lshlrev_b64_e32 v[34:35], 1, v[13:14]
	v_add_co_u32 v34, vcc_lo, s48, v34
	s_wait_alu 0xfffd
	s_delay_alu instid0(VALU_DEP_2)
	v_add_co_ci_u32_e64 v35, null, s49, v35, vcc_lo
	global_load_u16 v14, v[34:35], off
	s_branch .LBB33_52
.LBB33_55:                              ;   in Loop: Header=BB33_7 Depth=1
	s_or_b32 exec_lo, exec_lo, s14
.LBB33_56:                              ;   in Loop: Header=BB33_7 Depth=1
	s_wait_alu 0xfffe
	s_or_b32 exec_lo, exec_lo, s13
	s_branch .LBB33_36
.LBB33_57:                              ;   in Loop: Header=BB33_7 Depth=1
	s_mul_u64 s[10:11], s[50:51], s[52:53]
	v_dual_mov_b32 v1, 0 :: v_dual_mov_b32 v2, 0
	s_wait_alu 0xfffe
	s_mul_i32 s9, s11, s46
	v_dual_mov_b32 v3, 0 :: v_dual_mov_b32 v4, 0
	s_wait_alu 0xfffe
	s_sub_co_i32 s9, s50, s9
	s_mov_b32 s86, exec_lo
	s_wait_alu 0xfffe
	s_sub_co_i32 s10, s9, s46
	s_cmp_ge_u32 s9, s46
	s_wait_alu 0xfffe
	s_cselect_b32 s9, s10, s9
	s_wait_alu 0xfffe
	s_sub_co_i32 s10, s9, s46
	s_cmp_ge_u32 s9, s46
	s_wait_alu 0xfffe
	s_cselect_b32 s9, s10, s9
	s_wait_alu 0xfffe
	s_sub_co_i32 s85, s50, s9
	s_wait_alu 0xfffe
	v_cmpx_gt_u32_e64 s85, v16
	s_cbranch_execz .LBB33_61
; %bb.58:                               ;   in Loop: Header=BB33_7 Depth=1
	v_dual_mov_b32 v6, v27 :: v_dual_mov_b32 v13, v16
	s_mov_b32 s87, 0
	s_mov_b32 s88, 0
	s_mov_b32 s89, 0
	s_mov_b32 s90, 0
	s_mov_b32 s91, 0
.LBB33_59:                              ;   Parent Loop BB33_7 Depth=1
                                        ; =>  This Inner Loop Header: Depth=2
	ds_load_b64 v[1:2], v6
	s_wait_dscnt 0x0
	v_bfe_i32 v3, v1, 0, 16
	v_ashrrev_i32_e32 v1, 16, v1
	v_bfe_i32 v4, v2, 0, 16
	v_ashrrev_i32_e32 v2, 16, v2
	s_delay_alu instid0(VALU_DEP_4) | instskip(NEXT) | instid1(VALU_DEP_4)
	v_add_nc_u32_e32 v3, 0x8000, v3
	v_add_nc_u32_e32 v1, 0x8000, v1
	s_delay_alu instid0(VALU_DEP_4) | instskip(NEXT) | instid1(VALU_DEP_4)
	v_add_nc_u32_e32 v4, 0x8000, v4
	v_add_nc_u32_e32 v2, 0x8000, v2
	s_delay_alu instid0(VALU_DEP_4)
	v_and_b32_e32 v14, v3, v30
	v_bfe_u32 v3, v3, s84, 2
	s_wait_loadcnt 0x0
	v_and_b32_e32 v33, v1, v30
	v_bfe_u32 v1, v1, s84, 2
	v_and_b32_e32 v34, v4, v30
	v_bfe_u32 v4, v4, s84, 2
	v_cmp_eq_u32_e64 s9, v14, v22
	v_cmp_eq_u32_e64 s13, 0, v3
	v_and_b32_e32 v35, v2, v30
	v_bfe_u32 v2, v2, s84, 2
	v_cmp_eq_u32_e64 s10, v33, v22
	v_cmp_eq_u32_e64 s14, 0, v1
	;; [unrolled: 1-line block ×4, first 2 shown]
	s_and_b32 s13, s9, s13
	v_cmp_eq_u32_e64 s12, v35, v22
	v_cmp_eq_u32_e64 s16, 0, v2
	;; [unrolled: 1-line block ×5, first 2 shown]
	s_wait_alu 0xfffe
	v_cndmask_b32_e64 v1, 0, 1, s13
	s_and_b32 s13, s10, s14
	v_cmp_eq_u32_e64 s17, 1, v3
	v_cmp_eq_u32_e64 s20, 1, v2
	;; [unrolled: 1-line block ×4, first 2 shown]
	s_wait_alu 0xfffe
	v_cndmask_b32_e64 v2, 0, 1, s13
	s_and_b32 s13, s11, s15
	v_cmp_eq_u32_e64 s21, 2, v3
	v_cmp_eq_u32_e64 s25, 3, v3
	s_wait_alu 0xfffe
	v_cndmask_b32_e64 v3, 0, 1, s13
	s_and_b32 s13, s12, s16
	v_cmp_eq_u32_e64 s19, 1, v4
	v_cmp_eq_u32_e64 s23, 2, v4
	;; [unrolled: 1-line block ×3, first 2 shown]
	s_wait_alu 0xfffe
	v_cndmask_b32_e64 v4, 0, 1, s13
	s_and_b32 s13, s9, s17
	s_wait_alu 0xfffe
	v_cndmask_b32_e64 v14, 0, 1, s13
	s_and_b32 s13, s10, s18
	;; [unrolled: 3-line block ×4, first 2 shown]
	v_cmp_ne_u32_e64 s14, 0, v33
	s_wait_alu 0xfffe
	v_cndmask_b32_e64 v35, 0, 1, s13
	s_and_b32 s13, s9, s21
	s_and_b32 s9, s9, s25
	s_wait_alu 0xfffe
	v_cndmask_b32_e64 v36, 0, 1, s13
	s_and_b32 s13, s10, s22
	v_cndmask_b32_e64 v40, 0, 1, s9
	s_and_b32 s9, s10, s26
	s_wait_alu 0xfffe
	v_cndmask_b32_e64 v37, 0, 1, s13
	s_and_b32 s13, s11, s23
	v_cndmask_b32_e64 v41, 0, 1, s9
	;; [unrolled: 5-line block ×3, first 2 shown]
	s_and_b32 s9, s12, s28
	s_wait_alu 0xfffe
	v_cndmask_b32_e64 v39, 0, 1, s13
	v_cndmask_b32_e64 v43, 0, 1, s9
	v_cmp_ne_u32_e64 s9, 0, v1
	v_cmp_ne_u32_e64 s13, 0, v14
	;; [unrolled: 1-line block ×6, first 2 shown]
	s_bcnt1_i32_b32 s9, s9
	s_bcnt1_i32_b32 s13, s13
	v_cmp_ne_u32_e64 s16, 0, v35
	v_cmp_ne_u32_e64 s18, 0, v37
	v_cmp_ne_u32_e64 s22, 0, v41
	s_bcnt1_i32_b32 s10, s10
	s_bcnt1_i32_b32 s14, s14
	s_wait_alu 0xfffe
	s_add_co_i32 s9, s9, s91
	s_add_co_i32 s13, s13, s90
	v_cmp_ne_u32_e64 s11, 0, v3
	v_cmp_ne_u32_e64 s19, 0, v38
	;; [unrolled: 1-line block ×3, first 2 shown]
	s_bcnt1_i32_b32 s15, s15
	s_wait_alu 0xfffe
	s_add_co_i32 s9, s9, s10
	s_add_co_i32 s10, s13, s14
	s_bcnt1_i32_b32 s17, s17
	s_bcnt1_i32_b32 s21, s21
	v_cmp_ne_u32_e64 s12, 0, v4
	v_cmp_ne_u32_e64 s20, 0, v39
	v_cmp_ne_u32_e64 s24, 0, v43
	s_bcnt1_i32_b32 s16, s16
	s_wait_alu 0xfffe
	s_add_co_i32 s10, s10, s15
	s_bcnt1_i32_b32 s18, s18
	s_bcnt1_i32_b32 s22, s22
	s_add_co_i32 s17, s17, s89
	s_add_co_i32 s21, s21, s88
	s_wait_alu 0xfffe
	s_add_co_i32 s90, s10, s16
	s_wait_alu 0xfffe
	v_dual_mov_b32 v2, s90 :: v_dual_add_nc_u32 v13, s46, v13
	s_bcnt1_i32_b32 s11, s11
	s_bcnt1_i32_b32 s19, s19
	;; [unrolled: 1-line block ×3, first 2 shown]
	s_add_co_i32 s13, s17, s18
	s_add_co_i32 s14, s21, s22
	s_bcnt1_i32_b32 s12, s12
	s_bcnt1_i32_b32 s20, s20
	;; [unrolled: 1-line block ×3, first 2 shown]
	s_wait_alu 0xfffe
	s_add_co_i32 s9, s9, s11
	s_add_co_i32 s11, s13, s19
	;; [unrolled: 1-line block ×3, first 2 shown]
	v_cmp_le_i32_e32 vcc_lo, s85, v13
	s_wait_alu 0xfffe
	s_add_co_i32 s91, s9, s12
	s_add_co_i32 s89, s11, s20
	;; [unrolled: 1-line block ×3, first 2 shown]
	s_wait_alu 0xfffe
	v_dual_mov_b32 v1, s91 :: v_dual_add_nc_u32 v6, s76, v6
	v_dual_mov_b32 v3, s89 :: v_dual_mov_b32 v4, s88
	s_or_b32 s87, vcc_lo, s87
	s_wait_alu 0xfffe
	s_and_not1_b32 exec_lo, exec_lo, s87
	s_cbranch_execnz .LBB33_59
; %bb.60:                               ;   in Loop: Header=BB33_7 Depth=1
	s_or_b32 exec_lo, exec_lo, s87
.LBB33_61:                              ;   in Loop: Header=BB33_7 Depth=1
	s_delay_alu instid0(SALU_CYCLE_1) | instskip(SKIP_2) | instid1(VALU_DEP_1)
	s_or_b32 exec_lo, exec_lo, s86
	v_add_nc_u32_e32 v6, s85, v0
	s_mov_b32 s14, exec_lo
	v_cmpx_gt_i32_e64 s50, v6
	s_cbranch_execz .LBB33_65
; %bb.62:                               ;   in Loop: Header=BB33_7 Depth=1
	v_lshlrev_b32_e32 v13, 1, v6
	s_mov_b32 s15, 0
.LBB33_63:                              ;   Parent Loop BB33_7 Depth=1
                                        ; =>  This Inner Loop Header: Depth=2
	ds_load_i16 v14, v13
	v_add_nc_u32_e32 v6, s41, v6
	v_add_nc_u32_e32 v13, s77, v13
	s_delay_alu instid0(VALU_DEP_2) | instskip(SKIP_3) | instid1(VALU_DEP_1)
	v_cmp_le_i32_e32 vcc_lo, s50, v6
	s_wait_dscnt 0x0
	v_add_nc_u32_e32 v14, 0x8000, v14
	s_wait_loadcnt 0x0
	v_and_b32_e32 v33, v14, v30
	v_bfe_u32 v14, v14, s84, 2
	s_delay_alu instid0(VALU_DEP_2) | instskip(NEXT) | instid1(VALU_DEP_2)
	v_cmp_eq_u32_e64 s9, v33, v22
	v_cmp_eq_u32_e64 s10, 0, v14
	;; [unrolled: 1-line block ×5, first 2 shown]
	s_and_b32 s10, s9, s10
	s_wait_alu 0xfffe
	v_cndmask_b32_e64 v14, 0, 1, s10
	s_and_b32 s10, s9, s11
	s_wait_alu 0xfffe
	v_cndmask_b32_e64 v33, 0, 1, s10
	s_and_b32 s10, s9, s12
	s_and_b32 s9, s9, s13
	s_wait_alu 0xfffe
	v_cndmask_b32_e64 v34, 0, 1, s10
	v_cndmask_b32_e64 v35, 0, 1, s9
	v_cmp_ne_u32_e64 s9, 0, v14
	v_cmp_ne_u32_e64 s10, 0, v33
	s_delay_alu instid0(VALU_DEP_4) | instskip(NEXT) | instid1(VALU_DEP_4)
	v_cmp_ne_u32_e64 s11, 0, v34
	v_cmp_ne_u32_e64 s12, 0, v35
	s_bcnt1_i32_b32 s9, s9
	s_bcnt1_i32_b32 s10, s10
	s_wait_alu 0xfffe
	v_add_nc_u32_e32 v1, s9, v1
	s_bcnt1_i32_b32 s11, s11
	s_bcnt1_i32_b32 s12, s12
	v_add_nc_u32_e32 v2, s10, v2
	s_wait_alu 0xfffe
	v_add_nc_u32_e32 v3, s11, v3
	v_add_nc_u32_e32 v4, s12, v4
	s_or_b32 s15, vcc_lo, s15
	s_wait_alu 0xfffe
	s_and_not1_b32 exec_lo, exec_lo, s15
	s_cbranch_execnz .LBB33_63
; %bb.64:                               ;   in Loop: Header=BB33_7 Depth=1
	s_or_b32 exec_lo, exec_lo, s15
.LBB33_65:                              ;   in Loop: Header=BB33_7 Depth=1
	s_wait_alu 0xfffe
	s_or_b32 exec_lo, exec_lo, s14
	v_lshlrev_b32_e32 v6, 7, v29
	s_and_saveexec_b32 s9, s0
	s_cbranch_execnz .LBB33_37
	s_branch .LBB33_38
.LBB33_66:                              ;   in Loop: Header=BB33_7 Depth=1
	s_or_b32 exec_lo, exec_lo, s12
	s_wait_dscnt 0x0
	s_barrier_signal -1
	s_barrier_wait -1
	global_inv scope:SCOPE_SE
	s_and_saveexec_b32 s9, s2
	s_cbranch_execz .LBB33_68
; %bb.67:                               ;   in Loop: Header=BB33_7 Depth=1
	ds_load_b32 v1, v7 offset:4104
	s_wait_dscnt 0x0
	ds_store_b32 v7, v1 offset:4096
.LBB33_68:                              ;   in Loop: Header=BB33_7 Depth=1
	s_wait_alu 0xfffe
	s_or_b32 exec_lo, exec_lo, s9
	s_wait_loadcnt_dscnt 0x0
	s_barrier_signal -1
	s_mov_b32 s9, -1
	s_barrier_wait -1
	s_and_b32 vcc_lo, exec_lo, s10
	s_wait_alu 0xfffe
	s_cbranch_vccnz .LBB33_22
	s_branch .LBB33_32
.LBB33_69:                              ;   in Loop: Header=BB33_7 Depth=1
	v_mov_b32_e32 v1, 0
	s_mov_b32 s10, 0
	s_and_not1_b32 vcc_lo, exec_lo, s72
	s_wait_alu 0xfffe
	s_cbranch_vccnz .LBB33_72
.LBB33_70:                              ;   in Loop: Header=BB33_7 Depth=1
	v_lshlrev_b32_e32 v2, 9, v29
	s_lshl_b32 s10, s10, 4
	s_wait_alu 0xfffe
	s_delay_alu instid0(VALU_DEP_1)
	v_add3_u32 v2, v2, s10, v28
	s_mov_b32 s10, s69
.LBB33_71:                              ;   Parent Loop BB33_7 Depth=1
                                        ; =>  This Inner Loop Header: Depth=2
	ds_load_b32 v3, v2
	v_add_nc_u32_e32 v2, 16, v2
	s_wait_alu 0xfffe
	s_add_co_i32 s10, s10, -1
	s_wait_alu 0xfffe
	s_cmp_lg_u32 s10, 0
	s_wait_dscnt 0x0
	v_add_nc_u32_e32 v1, v3, v1
	s_cbranch_scc1 .LBB33_71
.LBB33_72:                              ;   in Loop: Header=BB33_7 Depth=1
	v_add_lshl_u32 v2, v6, v15, 2
	ds_store_b32 v2, v1 offset:3072
.LBB33_73:                              ;   in Loop: Header=BB33_7 Depth=1
	s_wait_alu 0xfffe
	s_or_b32 exec_lo, exec_lo, s9
	v_lshlrev_b32_e32 v1, 2, v6
	s_wait_loadcnt_dscnt 0x0
	s_barrier_signal -1
	s_barrier_wait -1
	global_inv scope:SCOPE_SE
	ds_load_b128 v[1:4], v1 offset:3072
	s_lshl_b32 s10, 3, s84
	v_cmp_eq_u32_e32 vcc_lo, 1, v32
	s_wait_alu 0xfffe
	s_not_b32 s17, s10
	s_mov_b32 s13, -1
	s_mov_b32 s15, -1
                                        ; implicit-def: $sgpr20
                                        ; implicit-def: $sgpr18
	s_wait_dscnt 0x0
	v_readfirstlane_b32 s12, v1
	v_readfirstlane_b32 s19, v2
	;; [unrolled: 1-line block ×4, first 2 shown]
	s_cmp_eq_u32 s12, 1
	s_cselect_b32 s11, -1, 0
	s_wait_alu 0xfffe
	s_and_b32 s14, s11, vcc_lo
	s_wait_alu 0xfffe
	s_and_saveexec_b32 s11, s14
	s_cbranch_execz .LBB33_99
; %bb.74:                               ;   in Loop: Header=BB33_7 Depth=1
	ds_load_b32 v1, v7 offset:4096
	s_wait_loadcnt_dscnt 0x0
	s_barrier_signal -1
	s_barrier_wait -1
	global_inv scope:SCOPE_SE
	v_readfirstlane_b32 s15, v1
	s_and_saveexec_b32 s18, s1
; %bb.75:                               ;   in Loop: Header=BB33_7 Depth=1
	ds_store_b16 v18, v7
; %bb.76:                               ;   in Loop: Header=BB33_7 Depth=1
	s_wait_alu 0xfffe
	s_or_b32 exec_lo, exec_lo, s18
	v_and_b32_e32 v22, s17, v22
	v_or_b32_e32 v30, s10, v30
	s_mov_b32 s18, -1
	s_mov_b32 s20, 0
	s_cmp_lt_i32 s15, 1
	s_mov_b32 s21, 0
	s_mov_b32 s22, -1
	s_wait_loadcnt_dscnt 0x0
	s_barrier_signal -1
	s_barrier_wait -1
	global_inv scope:SCOPE_SE
                                        ; implicit-def: $vgpr31
	s_cbranch_scc0 .LBB33_87
; %bb.77:                               ;   in Loop: Header=BB33_7 Depth=1
	s_mov_b32 s22, 0
                                        ; implicit-def: $vgpr31
	s_and_saveexec_b32 s23, s8
	s_cbranch_execz .LBB33_86
; %bb.78:                               ;   in Loop: Header=BB33_7 Depth=1
	v_mov_b32_e32 v1, v5
	v_mov_b32_e32 v3, v0
                                        ; implicit-def: $sgpr24
	s_branch .LBB33_81
.LBB33_79:                              ;   in Loop: Header=BB33_81 Depth=2
	s_wait_alu 0xfffe
	s_or_b32 exec_lo, exec_lo, s25
	s_wait_loadcnt_dscnt 0x0
	s_barrier_signal -1
	s_barrier_wait -1
	global_inv scope:SCOPE_SE
	ds_load_b32 v2, v7 offset:3072
	s_mov_b32 s25, -1
	s_mov_b32 s26, -1
	s_wait_loadcnt_dscnt 0x0
	s_barrier_signal -1
	s_barrier_wait -1
	global_inv scope:SCOPE_SE
	v_and_b32_e32 v4, 0xffff, v2
	s_delay_alu instid0(VALU_DEP_1)
	v_cmp_ne_u32_e32 vcc_lo, 0, v4
	s_cbranch_vccz .LBB33_84
.LBB33_80:                              ;   in Loop: Header=BB33_81 Depth=2
	s_wait_alu 0xfffe
	s_and_b32 s25, exec_lo, s25
	s_wait_alu 0xfffe
	s_or_b32 s21, s25, s21
	s_and_not1_b32 s24, s24, exec_lo
	s_and_b32 s25, s26, exec_lo
	s_wait_alu 0xfffe
	s_or_b32 s24, s24, s25
	s_and_not1_b32 exec_lo, exec_lo, s21
	s_cbranch_execz .LBB33_85
.LBB33_81:                              ;   Parent Loop BB33_7 Depth=1
                                        ; =>  This Inner Loop Header: Depth=2
	s_mov_b32 s25, exec_lo
	s_delay_alu instid0(VALU_DEP_1)
	v_cmpx_gt_i32_e64 s36, v3
	s_cbranch_execz .LBB33_79
; %bb.82:                               ;   in Loop: Header=BB33_81 Depth=2
	v_ashrrev_i32_e32 v2, 31, v1
	s_delay_alu instid0(VALU_DEP_1) | instskip(NEXT) | instid1(VALU_DEP_1)
	v_lshlrev_b64_e32 v[13:14], 1, v[1:2]
	v_add_co_u32 v13, vcc_lo, s48, v13
	s_wait_alu 0xfffd
	s_delay_alu instid0(VALU_DEP_2) | instskip(SKIP_3) | instid1(VALU_DEP_1)
	v_add_co_ci_u32_e64 v14, null, s49, v14, vcc_lo
	global_load_u16 v2, v[13:14], off
	s_wait_loadcnt 0x0
	v_bfe_i32 v4, v2, 0, 16
	v_add_nc_u32_e32 v4, 0x8000, v4
	s_delay_alu instid0(VALU_DEP_1) | instskip(NEXT) | instid1(VALU_DEP_1)
	v_and_b32_e32 v4, v4, v30
	v_cmp_eq_u32_e32 vcc_lo, v4, v22
	s_and_b32 exec_lo, exec_lo, vcc_lo
	s_cbranch_execz .LBB33_79
; %bb.83:                               ;   in Loop: Header=BB33_81 Depth=2
	v_perm_b32 v2, v2, 1, 0x5040100
	ds_store_b32 v7, v2 offset:3072
	s_branch .LBB33_79
.LBB33_84:                              ;   in Loop: Header=BB33_81 Depth=2
	v_add_nc_u32_e32 v3, s41, v3
	v_add_nc_u32_e32 v1, s65, v1
	s_mov_b32 s26, 0
	s_delay_alu instid0(VALU_DEP_2)
	v_cmp_le_i32_e32 vcc_lo, s74, v3
	s_or_not1_b32 s25, vcc_lo, exec_lo
	s_branch .LBB33_80
.LBB33_85:                              ;   in Loop: Header=BB33_7 Depth=1
	s_or_b32 exec_lo, exec_lo, s21
	v_lshrrev_b32_e32 v31, 16, v2
	s_wait_alu 0xfffe
	s_and_b32 s21, s24, exec_lo
.LBB33_86:                              ;   in Loop: Header=BB33_7 Depth=1
	s_wait_alu 0xfffe
	s_or_b32 exec_lo, exec_lo, s23
.LBB33_87:                              ;   in Loop: Header=BB33_7 Depth=1
	s_wait_alu 0xfffe
	s_and_b32 vcc_lo, exec_lo, s22
	s_wait_alu 0xfffe
	s_cbranch_vccz .LBB33_98
; %bb.88:                               ;   in Loop: Header=BB33_7 Depth=1
	s_add_co_i32 s20, s15, s64
                                        ; implicit-def: $vgpr31
	s_wait_alu 0xfffe
	s_abs_i32 s50, s20
	s_wait_alu 0xfffe
	s_mul_u64 s[22:23], s[50:51], s[54:55]
	s_ashr_i32 s22, s20, 31
	s_wait_alu 0xfffe
	s_mul_i32 s18, s23, s41
	s_wait_alu 0xfffe
	s_sub_co_i32 s18, s50, s18
	s_wait_alu 0xfffe
	s_sub_co_i32 s23, s18, s41
	s_cmp_ge_u32 s18, s41
	s_wait_alu 0xfffe
	s_cselect_b32 s18, s23, s18
	s_wait_alu 0xfffe
	s_sub_co_i32 s23, s18, s41
	s_cmp_ge_u32 s18, s41
	s_wait_alu 0xfffe
	s_cselect_b32 s18, s23, s18
	s_wait_alu 0xfffe
	s_xor_b32 s18, s18, s22
	s_wait_alu 0xfffe
	s_sub_co_i32 s18, s22, s18
	s_wait_alu 0xfffe
	s_add_co_i32 s20, s20, s18
	s_mov_b32 s18, exec_lo
	s_wait_alu 0xfffe
	v_cmpx_gt_i32_e64 s20, v0
	s_cbranch_execz .LBB33_97
; %bb.89:                               ;   in Loop: Header=BB33_7 Depth=1
	v_dual_mov_b32 v1, v17 :: v_dual_mov_b32 v2, v0
	s_mov_b32 s22, 0
                                        ; implicit-def: $sgpr23
	s_branch .LBB33_92
.LBB33_90:                              ;   in Loop: Header=BB33_92 Depth=2
	s_wait_alu 0xfffe
	s_or_b32 exec_lo, exec_lo, s24
	s_wait_loadcnt_dscnt 0x0
	s_barrier_signal -1
	s_barrier_wait -1
	global_inv scope:SCOPE_SE
	ds_load_b32 v3, v7 offset:3072
	s_mov_b32 s24, -1
	s_mov_b32 s25, -1
	s_wait_loadcnt_dscnt 0x0
	s_barrier_signal -1
	s_barrier_wait -1
	global_inv scope:SCOPE_SE
	v_and_b32_e32 v4, 0xffff, v3
	s_delay_alu instid0(VALU_DEP_1)
	v_cmp_ne_u32_e32 vcc_lo, 0, v4
	s_cbranch_vccz .LBB33_95
.LBB33_91:                              ;   in Loop: Header=BB33_92 Depth=2
	s_wait_alu 0xfffe
	s_and_b32 s24, exec_lo, s24
	s_wait_alu 0xfffe
	s_or_b32 s22, s24, s22
	s_and_not1_b32 s23, s23, exec_lo
	s_and_b32 s24, s25, exec_lo
	s_wait_alu 0xfffe
	s_or_b32 s23, s23, s24
	s_and_not1_b32 exec_lo, exec_lo, s22
	s_cbranch_execz .LBB33_96
.LBB33_92:                              ;   Parent Loop BB33_7 Depth=1
                                        ; =>  This Inner Loop Header: Depth=2
	s_mov_b32 s24, exec_lo
	s_delay_alu instid0(VALU_DEP_1)
	v_cmpx_gt_i32_e64 s15, v2
	s_cbranch_execz .LBB33_90
; %bb.93:                               ;   in Loop: Header=BB33_92 Depth=2
	ds_load_u16 v3, v1
	s_wait_dscnt 0x0
	v_bfe_i32 v4, v3, 0, 16
	s_delay_alu instid0(VALU_DEP_1) | instskip(NEXT) | instid1(VALU_DEP_1)
	v_add_nc_u32_e32 v4, 0x8000, v4
	v_and_b32_e32 v4, v4, v30
	s_delay_alu instid0(VALU_DEP_1)
	v_cmp_eq_u32_e32 vcc_lo, v4, v22
	s_and_b32 exec_lo, exec_lo, vcc_lo
	s_cbranch_execz .LBB33_90
; %bb.94:                               ;   in Loop: Header=BB33_92 Depth=2
	v_perm_b32 v3, v3, 1, 0x5040100
	ds_store_b32 v7, v3 offset:3072
	s_branch .LBB33_90
.LBB33_95:                              ;   in Loop: Header=BB33_92 Depth=2
	v_add_nc_u32_e32 v2, s41, v2
	v_add_nc_u32_e32 v1, s77, v1
	s_mov_b32 s25, 0
	s_delay_alu instid0(VALU_DEP_2)
	v_cmp_le_i32_e32 vcc_lo, s20, v2
	s_or_not1_b32 s24, vcc_lo, exec_lo
	s_branch .LBB33_91
.LBB33_96:                              ;   in Loop: Header=BB33_7 Depth=1
	s_or_b32 exec_lo, exec_lo, s22
	s_delay_alu instid0(SALU_CYCLE_1)
	s_and_not1_b32 s15, s21, exec_lo
	s_wait_alu 0xfffe
	s_and_b32 s20, s23, exec_lo
	v_lshrrev_b32_e32 v31, 16, v3
	s_wait_alu 0xfffe
	s_or_b32 s21, s15, s20
.LBB33_97:                              ;   in Loop: Header=BB33_7 Depth=1
	s_or_b32 exec_lo, exec_lo, s18
	s_mov_b32 s18, 0
	s_mov_b32 s20, -1
.LBB33_98:                              ;   in Loop: Header=BB33_7 Depth=1
	s_wait_alu 0xfffe
	s_or_not1_b32 s15, s21, exec_lo
.LBB33_99:                              ;   in Loop: Header=BB33_7 Depth=1
	s_wait_alu 0xfffe
	s_or_b32 exec_lo, exec_lo, s11
	v_readfirstlane_b32 s21, v0
	s_and_not1_b32 s11, s82, exec_lo
	s_and_b32 s20, s20, exec_lo
	s_and_not1_b32 s22, s80, exec_lo
	s_and_b32 s18, s18, exec_lo
	s_and_not1_b32 s79, s79, exec_lo
	s_wait_alu 0xfffe
	s_or_b32 s82, s11, s20
	s_or_b32 s80, s22, s18
                                        ; implicit-def: $vgpr4
	s_and_saveexec_b32 s11, s15
	s_cbranch_execz .LBB33_6
; %bb.100:                              ;   in Loop: Header=BB33_7 Depth=1
	v_dual_mov_b32 v4, 1 :: v_dual_mov_b32 v3, 1
	s_xor_b32 s14, s14, -1
	s_mov_b32 s20, 0
	s_wait_alu 0xfffe
	s_and_saveexec_b32 s13, s14
	s_cbranch_execz .LBB33_109
; %bb.101:                              ;   in Loop: Header=BB33_7 Depth=1
	s_mov_b32 s14, exec_lo
	v_cmpx_ge_i32_e64 s12, v32
	s_wait_alu 0xfffe
	s_xor_b32 s14, exec_lo, s14
	s_cbranch_execz .LBB33_106
; %bb.102:                              ;   in Loop: Header=BB33_7 Depth=1
	ds_load_b32 v1, v7 offset:4096
	v_and_b32_e32 v22, s17, v22
	v_or_b32_e32 v30, s10, v30
	s_wait_dscnt 0x0
	v_cmp_ne_u32_e32 vcc_lo, 0, v1
	s_cbranch_vccnz .LBB33_106
; %bb.103:                              ;   in Loop: Header=BB33_7 Depth=1
	s_and_saveexec_b32 s15, s2
; %bb.104:                              ;   in Loop: Header=BB33_7 Depth=1
	v_mov_b32_e32 v1, s12
	ds_store_b32 v7, v1 offset:4100
; %bb.105:                              ;   in Loop: Header=BB33_7 Depth=1
	s_wait_alu 0xfffe
	s_or_b32 exec_lo, exec_lo, s15
	s_wait_loadcnt_dscnt 0x0
	s_barrier_signal -1
	s_barrier_wait -1
	global_inv scope:SCOPE_SE
.LBB33_106:                             ;   in Loop: Header=BB33_7 Depth=1
	s_wait_alu 0xfffe
	s_or_saveexec_b32 s14, s14
	v_mov_b32_e32 v3, 8
	s_mov_b32 s15, 0
	s_wait_alu 0xfffe
	s_xor_b32 exec_lo, exec_lo, s14
; %bb.107:                              ;   in Loop: Header=BB33_7 Depth=1
	v_subrev_nc_u32_e32 v32, s12, v32
	v_mov_b32_e32 v3, 0
	s_mov_b32 s15, exec_lo
; %bb.108:                              ;   in Loop: Header=BB33_7 Depth=1
	s_or_b32 exec_lo, exec_lo, s14
	s_delay_alu instid0(VALU_DEP_2)
	v_mov_b32_e32 v4, v32
	s_wait_alu 0xfffe
	s_and_b32 s20, s15, exec_lo
.LBB33_109:                             ;   in Loop: Header=BB33_7 Depth=1
	s_wait_alu 0xfffe
	s_or_b32 exec_lo, exec_lo, s13
	s_mov_b32 s12, -1
	s_mov_b32 s18, -1
                                        ; implicit-def: $sgpr14
                                        ; implicit-def: $sgpr15
	s_and_saveexec_b32 s13, s20
	s_wait_alu 0xfffe
	s_xor_b32 s13, exec_lo, s13
	s_cbranch_execz .LBB33_226
; %bb.110:                              ;   in Loop: Header=BB33_7 Depth=1
	v_cmp_eq_u32_e32 vcc_lo, 1, v4
	s_cmp_eq_u32 s19, 1
	s_mov_b32 s21, -1
	s_cselect_b32 s14, -1, 0
                                        ; implicit-def: $sgpr15
	s_wait_alu 0xfffe
	s_and_b32 s20, s14, vcc_lo
                                        ; implicit-def: $sgpr14
	s_wait_alu 0xfffe
	s_and_saveexec_b32 s18, s20
	s_cbranch_execz .LBB33_136
; %bb.111:                              ;   in Loop: Header=BB33_7 Depth=1
	ds_load_b32 v1, v7 offset:4096
	s_wait_loadcnt_dscnt 0x0
	s_barrier_signal -1
	s_barrier_wait -1
	global_inv scope:SCOPE_SE
	v_readfirstlane_b32 s21, v1
	s_and_saveexec_b32 s14, s1
; %bb.112:                              ;   in Loop: Header=BB33_7 Depth=1
	ds_store_b16 v18, v7
; %bb.113:                              ;   in Loop: Header=BB33_7 Depth=1
	s_wait_alu 0xfffe
	s_or_b32 exec_lo, exec_lo, s14
	s_lshl_b32 s14, 1, s84
	v_or_b32_e32 v30, s10, v30
	s_wait_alu 0xfffe
	v_and_or_b32 v22, v22, s17, s14
	s_mov_b32 s14, -1
	s_mov_b32 s15, 0
	s_cmp_gt_i32 s21, 0
	s_mov_b32 s22, 0
	s_mov_b32 s23, -1
	s_wait_loadcnt_dscnt 0x0
	s_barrier_signal -1
	s_barrier_wait -1
	global_inv scope:SCOPE_SE
                                        ; implicit-def: $vgpr31
	s_cbranch_scc1 .LBB33_124
; %bb.114:                              ;   in Loop: Header=BB33_7 Depth=1
	s_mov_b32 s23, 0
                                        ; implicit-def: $vgpr31
	s_and_saveexec_b32 s24, s8
	s_cbranch_execz .LBB33_123
; %bb.115:                              ;   in Loop: Header=BB33_7 Depth=1
	v_dual_mov_b32 v1, v5 :: v_dual_mov_b32 v6, v0
                                        ; implicit-def: $sgpr25
	s_branch .LBB33_118
.LBB33_116:                             ;   in Loop: Header=BB33_118 Depth=2
	s_wait_alu 0xfffe
	s_or_b32 exec_lo, exec_lo, s26
	s_wait_loadcnt_dscnt 0x0
	s_barrier_signal -1
	s_barrier_wait -1
	global_inv scope:SCOPE_SE
	ds_load_b32 v2, v7 offset:3072
	s_mov_b32 s26, -1
	s_mov_b32 s27, -1
	s_wait_loadcnt_dscnt 0x0
	s_barrier_signal -1
	s_barrier_wait -1
	global_inv scope:SCOPE_SE
	v_and_b32_e32 v13, 0xffff, v2
	s_delay_alu instid0(VALU_DEP_1)
	v_cmp_ne_u32_e32 vcc_lo, 0, v13
	s_cbranch_vccz .LBB33_121
.LBB33_117:                             ;   in Loop: Header=BB33_118 Depth=2
	s_wait_alu 0xfffe
	s_and_b32 s26, exec_lo, s26
	s_wait_alu 0xfffe
	s_or_b32 s22, s26, s22
	s_and_not1_b32 s25, s25, exec_lo
	s_and_b32 s26, s27, exec_lo
	s_wait_alu 0xfffe
	s_or_b32 s25, s25, s26
	s_and_not1_b32 exec_lo, exec_lo, s22
	s_cbranch_execz .LBB33_122
.LBB33_118:                             ;   Parent Loop BB33_7 Depth=1
                                        ; =>  This Inner Loop Header: Depth=2
	s_mov_b32 s26, exec_lo
	s_delay_alu instid0(VALU_DEP_1)
	v_cmpx_gt_i32_e64 s36, v6
	s_cbranch_execz .LBB33_116
; %bb.119:                              ;   in Loop: Header=BB33_118 Depth=2
	v_ashrrev_i32_e32 v2, 31, v1
	s_delay_alu instid0(VALU_DEP_1) | instskip(NEXT) | instid1(VALU_DEP_1)
	v_lshlrev_b64_e32 v[13:14], 1, v[1:2]
	v_add_co_u32 v13, vcc_lo, s48, v13
	s_wait_alu 0xfffd
	s_delay_alu instid0(VALU_DEP_2) | instskip(SKIP_3) | instid1(VALU_DEP_1)
	v_add_co_ci_u32_e64 v14, null, s49, v14, vcc_lo
	global_load_u16 v2, v[13:14], off
	s_wait_loadcnt 0x0
	v_bfe_i32 v13, v2, 0, 16
	v_add_nc_u32_e32 v13, 0x8000, v13
	s_delay_alu instid0(VALU_DEP_1) | instskip(NEXT) | instid1(VALU_DEP_1)
	v_and_b32_e32 v13, v13, v30
	v_cmp_eq_u32_e32 vcc_lo, v13, v22
	s_and_b32 exec_lo, exec_lo, vcc_lo
	s_cbranch_execz .LBB33_116
; %bb.120:                              ;   in Loop: Header=BB33_118 Depth=2
	v_perm_b32 v2, v2, 1, 0x5040100
	ds_store_b32 v7, v2 offset:3072
	s_branch .LBB33_116
.LBB33_121:                             ;   in Loop: Header=BB33_118 Depth=2
	v_add_nc_u32_e32 v6, s41, v6
	v_add_nc_u32_e32 v1, s65, v1
	s_mov_b32 s27, 0
	s_delay_alu instid0(VALU_DEP_2)
	v_cmp_le_i32_e32 vcc_lo, s74, v6
	s_or_not1_b32 s26, vcc_lo, exec_lo
	s_branch .LBB33_117
.LBB33_122:                             ;   in Loop: Header=BB33_7 Depth=1
	s_or_b32 exec_lo, exec_lo, s22
	v_lshrrev_b32_e32 v31, 16, v2
	s_wait_alu 0xfffe
	s_and_b32 s22, s25, exec_lo
.LBB33_123:                             ;   in Loop: Header=BB33_7 Depth=1
	s_wait_alu 0xfffe
	s_or_b32 exec_lo, exec_lo, s24
.LBB33_124:                             ;   in Loop: Header=BB33_7 Depth=1
	s_wait_alu 0xfffe
	s_and_b32 vcc_lo, exec_lo, s23
	s_wait_alu 0xfffe
	s_cbranch_vccz .LBB33_135
; %bb.125:                              ;   in Loop: Header=BB33_7 Depth=1
	s_add_co_i32 s23, s21, s64
                                        ; implicit-def: $vgpr31
	s_wait_alu 0xfffe
	s_abs_i32 s50, s23
	s_wait_alu 0xfffe
	s_mul_u64 s[14:15], s[50:51], s[54:55]
	s_wait_alu 0xfffe
	s_mul_i32 s14, s15, s41
	s_ashr_i32 s15, s23, 31
	s_wait_alu 0xfffe
	s_sub_co_i32 s14, s50, s14
	s_wait_alu 0xfffe
	s_sub_co_i32 s24, s14, s41
	s_cmp_ge_u32 s14, s41
	s_wait_alu 0xfffe
	s_cselect_b32 s14, s24, s14
	s_wait_alu 0xfffe
	s_sub_co_i32 s24, s14, s41
	s_cmp_ge_u32 s14, s41
	s_wait_alu 0xfffe
	s_cselect_b32 s14, s24, s14
	s_wait_alu 0xfffe
	s_xor_b32 s14, s14, s15
	s_wait_alu 0xfffe
	s_sub_co_i32 s14, s15, s14
	s_wait_alu 0xfffe
	s_add_co_i32 s15, s23, s14
	s_mov_b32 s14, exec_lo
	s_wait_alu 0xfffe
	v_cmpx_gt_i32_e64 s15, v0
	s_cbranch_execz .LBB33_134
; %bb.126:                              ;   in Loop: Header=BB33_7 Depth=1
	v_dual_mov_b32 v1, v17 :: v_dual_mov_b32 v2, v0
	s_mov_b32 s23, 0
                                        ; implicit-def: $sgpr24
	s_branch .LBB33_129
.LBB33_127:                             ;   in Loop: Header=BB33_129 Depth=2
	s_wait_alu 0xfffe
	s_or_b32 exec_lo, exec_lo, s25
	s_wait_loadcnt_dscnt 0x0
	s_barrier_signal -1
	s_barrier_wait -1
	global_inv scope:SCOPE_SE
	ds_load_b32 v6, v7 offset:3072
	s_mov_b32 s25, -1
	s_mov_b32 s26, -1
	s_wait_loadcnt_dscnt 0x0
	s_barrier_signal -1
	s_barrier_wait -1
	global_inv scope:SCOPE_SE
	v_and_b32_e32 v13, 0xffff, v6
	s_delay_alu instid0(VALU_DEP_1)
	v_cmp_eq_u32_e32 vcc_lo, 0, v13
	s_cbranch_vccnz .LBB33_132
.LBB33_128:                             ;   in Loop: Header=BB33_129 Depth=2
	s_wait_alu 0xfffe
	s_and_b32 s25, exec_lo, s25
	s_wait_alu 0xfffe
	s_or_b32 s23, s25, s23
	s_and_not1_b32 s24, s24, exec_lo
	s_and_b32 s25, s26, exec_lo
	s_wait_alu 0xfffe
	s_or_b32 s24, s24, s25
	s_and_not1_b32 exec_lo, exec_lo, s23
	s_cbranch_execz .LBB33_133
.LBB33_129:                             ;   Parent Loop BB33_7 Depth=1
                                        ; =>  This Inner Loop Header: Depth=2
	s_mov_b32 s25, exec_lo
	s_delay_alu instid0(VALU_DEP_1)
	v_cmpx_gt_i32_e64 s21, v2
	s_cbranch_execz .LBB33_127
; %bb.130:                              ;   in Loop: Header=BB33_129 Depth=2
	ds_load_u16 v6, v1
	s_wait_dscnt 0x0
	v_bfe_i32 v13, v6, 0, 16
	s_delay_alu instid0(VALU_DEP_1) | instskip(NEXT) | instid1(VALU_DEP_1)
	v_add_nc_u32_e32 v13, 0x8000, v13
	v_and_b32_e32 v13, v13, v30
	s_delay_alu instid0(VALU_DEP_1)
	v_cmp_eq_u32_e32 vcc_lo, v13, v22
	s_and_b32 exec_lo, exec_lo, vcc_lo
	s_cbranch_execz .LBB33_127
; %bb.131:                              ;   in Loop: Header=BB33_129 Depth=2
	v_perm_b32 v6, v6, 1, 0x5040100
	ds_store_b32 v7, v6 offset:3072
	s_branch .LBB33_127
.LBB33_132:                             ;   in Loop: Header=BB33_129 Depth=2
	v_add_nc_u32_e32 v2, s41, v2
	v_add_nc_u32_e32 v1, s77, v1
	s_mov_b32 s26, 0
	s_delay_alu instid0(VALU_DEP_2)
	v_cmp_le_i32_e32 vcc_lo, s15, v2
	s_or_not1_b32 s25, vcc_lo, exec_lo
	s_branch .LBB33_128
.LBB33_133:                             ;   in Loop: Header=BB33_7 Depth=1
	s_or_b32 exec_lo, exec_lo, s23
	v_lshrrev_b32_e32 v31, 16, v6
	s_and_not1_b32 s15, s22, exec_lo
	s_wait_alu 0xfffe
	s_and_b32 s21, s24, exec_lo
	s_wait_alu 0xfffe
	s_or_b32 s22, s15, s21
.LBB33_134:                             ;   in Loop: Header=BB33_7 Depth=1
	s_or_b32 exec_lo, exec_lo, s14
	s_mov_b32 s14, 0
	s_mov_b32 s15, -1
.LBB33_135:                             ;   in Loop: Header=BB33_7 Depth=1
	s_wait_alu 0xfffe
	s_or_not1_b32 s21, s22, exec_lo
.LBB33_136:                             ;   in Loop: Header=BB33_7 Depth=1
	s_wait_alu 0xfffe
	s_or_b32 exec_lo, exec_lo, s18
	s_mov_b32 s22, 0
	s_and_saveexec_b32 s18, s21
	s_cbranch_execz .LBB33_225
; %bb.137:                              ;   in Loop: Header=BB33_7 Depth=1
	v_dual_mov_b32 v6, 1 :: v_dual_mov_b32 v3, 1
	s_xor_b32 s21, s20, -1
	s_mov_b32 s23, 0
	s_wait_alu 0xfffe
	s_and_saveexec_b32 s20, s21
	s_cbranch_execz .LBB33_146
; %bb.138:                              ;   in Loop: Header=BB33_7 Depth=1
	s_mov_b32 s21, exec_lo
	v_cmpx_ge_i32_e64 s19, v4
	s_wait_alu 0xfffe
	s_xor_b32 s21, exec_lo, s21
	s_cbranch_execz .LBB33_143
; %bb.139:                              ;   in Loop: Header=BB33_7 Depth=1
	ds_load_b32 v1, v7 offset:4096
	s_lshl_b32 s22, 1, s84
	v_or_b32_e32 v30, s10, v30
	s_wait_alu 0xfffe
	v_and_or_b32 v22, v22, s17, s22
	s_wait_dscnt 0x0
	v_cmp_ne_u32_e32 vcc_lo, 0, v1
	s_cbranch_vccnz .LBB33_143
; %bb.140:                              ;   in Loop: Header=BB33_7 Depth=1
	s_and_saveexec_b32 s22, s2
; %bb.141:                              ;   in Loop: Header=BB33_7 Depth=1
	v_mov_b32_e32 v1, s19
	ds_store_b32 v7, v1 offset:4100
; %bb.142:                              ;   in Loop: Header=BB33_7 Depth=1
	s_wait_alu 0xfffe
	s_or_b32 exec_lo, exec_lo, s22
	s_wait_loadcnt_dscnt 0x0
	s_barrier_signal -1
	s_barrier_wait -1
	global_inv scope:SCOPE_SE
.LBB33_143:                             ;   in Loop: Header=BB33_7 Depth=1
	s_wait_alu 0xfffe
	s_or_saveexec_b32 s21, s21
	v_mov_b32_e32 v3, 8
	s_mov_b32 s22, 0
	s_wait_alu 0xfffe
	s_xor_b32 exec_lo, exec_lo, s21
; %bb.144:                              ;   in Loop: Header=BB33_7 Depth=1
	v_subrev_nc_u32_e32 v4, s19, v4
	v_mov_b32_e32 v3, 0
	s_mov_b32 s22, exec_lo
; %bb.145:                              ;   in Loop: Header=BB33_7 Depth=1
	s_or_b32 exec_lo, exec_lo, s21
	s_delay_alu instid0(VALU_DEP_2)
	v_mov_b32_e32 v6, v4
	s_wait_alu 0xfffe
	s_and_b32 s23, s22, exec_lo
.LBB33_146:                             ;   in Loop: Header=BB33_7 Depth=1
	s_wait_alu 0xfffe
	s_or_b32 exec_lo, exec_lo, s20
	s_mov_b32 s22, -1
                                        ; implicit-def: $sgpr20
                                        ; implicit-def: $sgpr21
	s_and_saveexec_b32 s19, s23
	s_cbranch_execz .LBB33_224
; %bb.147:                              ;   in Loop: Header=BB33_7 Depth=1
	v_cmp_eq_u32_e32 vcc_lo, 1, v6
	s_cmp_eq_u32 s16, 1
	s_mov_b32 s24, -1
	s_cselect_b32 s20, -1, 0
                                        ; implicit-def: $sgpr21
	s_wait_alu 0xfffe
	s_and_b32 s23, s20, vcc_lo
                                        ; implicit-def: $sgpr20
	s_wait_alu 0xfffe
	s_and_saveexec_b32 s22, s23
	s_cbranch_execz .LBB33_173
; %bb.148:                              ;   in Loop: Header=BB33_7 Depth=1
	ds_load_b32 v1, v7 offset:4096
	s_wait_loadcnt_dscnt 0x0
	s_barrier_signal -1
	s_barrier_wait -1
	global_inv scope:SCOPE_SE
	v_readfirstlane_b32 s24, v1
	s_and_saveexec_b32 s20, s1
; %bb.149:                              ;   in Loop: Header=BB33_7 Depth=1
	ds_store_b16 v18, v7
; %bb.150:                              ;   in Loop: Header=BB33_7 Depth=1
	s_wait_alu 0xfffe
	s_or_b32 exec_lo, exec_lo, s20
	s_lshl_b32 s20, 2, s84
	v_or_b32_e32 v30, s10, v30
	s_wait_alu 0xfffe
	v_and_or_b32 v22, v22, s17, s20
	s_mov_b32 s20, -1
	s_mov_b32 s21, 0
	s_cmp_gt_i32 s24, 0
	s_mov_b32 s25, 0
	s_mov_b32 s26, -1
	s_wait_loadcnt_dscnt 0x0
	s_barrier_signal -1
	s_barrier_wait -1
	global_inv scope:SCOPE_SE
                                        ; implicit-def: $vgpr31
	s_cbranch_scc1 .LBB33_161
; %bb.151:                              ;   in Loop: Header=BB33_7 Depth=1
	s_mov_b32 s26, 0
                                        ; implicit-def: $vgpr31
	s_and_saveexec_b32 s27, s8
	s_cbranch_execz .LBB33_160
; %bb.152:                              ;   in Loop: Header=BB33_7 Depth=1
	v_dual_mov_b32 v1, v5 :: v_dual_mov_b32 v4, v0
                                        ; implicit-def: $sgpr28
	s_branch .LBB33_155
.LBB33_153:                             ;   in Loop: Header=BB33_155 Depth=2
	s_wait_alu 0xfffe
	s_or_b32 exec_lo, exec_lo, s50
	s_wait_loadcnt_dscnt 0x0
	s_barrier_signal -1
	s_barrier_wait -1
	global_inv scope:SCOPE_SE
	ds_load_b32 v2, v7 offset:3072
	s_mov_b32 s50, -1
	s_mov_b32 s85, -1
	s_wait_loadcnt_dscnt 0x0
	s_barrier_signal -1
	s_barrier_wait -1
	global_inv scope:SCOPE_SE
	v_and_b32_e32 v13, 0xffff, v2
	s_delay_alu instid0(VALU_DEP_1)
	v_cmp_ne_u32_e32 vcc_lo, 0, v13
	s_cbranch_vccz .LBB33_158
.LBB33_154:                             ;   in Loop: Header=BB33_155 Depth=2
	s_wait_alu 0xfffe
	s_and_b32 s50, exec_lo, s50
	s_wait_alu 0xfffe
	s_or_b32 s25, s50, s25
	s_and_not1_b32 s28, s28, exec_lo
	s_and_b32 s50, s85, exec_lo
	s_wait_alu 0xfffe
	s_or_b32 s28, s28, s50
	s_and_not1_b32 exec_lo, exec_lo, s25
	s_cbranch_execz .LBB33_159
.LBB33_155:                             ;   Parent Loop BB33_7 Depth=1
                                        ; =>  This Inner Loop Header: Depth=2
	s_mov_b32 s50, exec_lo
	s_delay_alu instid0(VALU_DEP_1)
	v_cmpx_gt_i32_e64 s36, v4
	s_cbranch_execz .LBB33_153
; %bb.156:                              ;   in Loop: Header=BB33_155 Depth=2
	v_ashrrev_i32_e32 v2, 31, v1
	s_delay_alu instid0(VALU_DEP_1) | instskip(NEXT) | instid1(VALU_DEP_1)
	v_lshlrev_b64_e32 v[13:14], 1, v[1:2]
	v_add_co_u32 v13, vcc_lo, s48, v13
	s_wait_alu 0xfffd
	s_delay_alu instid0(VALU_DEP_2) | instskip(SKIP_3) | instid1(VALU_DEP_1)
	v_add_co_ci_u32_e64 v14, null, s49, v14, vcc_lo
	global_load_u16 v2, v[13:14], off
	s_wait_loadcnt 0x0
	v_bfe_i32 v13, v2, 0, 16
	v_add_nc_u32_e32 v13, 0x8000, v13
	s_delay_alu instid0(VALU_DEP_1) | instskip(NEXT) | instid1(VALU_DEP_1)
	v_and_b32_e32 v13, v13, v30
	v_cmp_eq_u32_e32 vcc_lo, v13, v22
	s_and_b32 exec_lo, exec_lo, vcc_lo
	s_cbranch_execz .LBB33_153
; %bb.157:                              ;   in Loop: Header=BB33_155 Depth=2
	v_perm_b32 v2, v2, 1, 0x5040100
	ds_store_b32 v7, v2 offset:3072
	s_branch .LBB33_153
.LBB33_158:                             ;   in Loop: Header=BB33_155 Depth=2
	v_add_nc_u32_e32 v4, s41, v4
	v_add_nc_u32_e32 v1, s65, v1
	s_mov_b32 s85, 0
	s_delay_alu instid0(VALU_DEP_2)
	v_cmp_le_i32_e32 vcc_lo, s74, v4
	s_or_not1_b32 s50, vcc_lo, exec_lo
	s_branch .LBB33_154
.LBB33_159:                             ;   in Loop: Header=BB33_7 Depth=1
	s_or_b32 exec_lo, exec_lo, s25
	v_lshrrev_b32_e32 v31, 16, v2
	s_and_b32 s25, s28, exec_lo
.LBB33_160:                             ;   in Loop: Header=BB33_7 Depth=1
	s_wait_alu 0xfffe
	s_or_b32 exec_lo, exec_lo, s27
.LBB33_161:                             ;   in Loop: Header=BB33_7 Depth=1
	s_wait_alu 0xfffe
	s_and_b32 vcc_lo, exec_lo, s26
	s_wait_alu 0xfffe
	s_cbranch_vccz .LBB33_172
; %bb.162:                              ;   in Loop: Header=BB33_7 Depth=1
	s_add_co_i32 s26, s24, s64
                                        ; implicit-def: $vgpr31
	s_wait_alu 0xfffe
	s_abs_i32 s50, s26
	s_wait_alu 0xfffe
	s_mul_u64 s[20:21], s[50:51], s[54:55]
	s_wait_alu 0xfffe
	s_mul_i32 s20, s21, s41
	s_ashr_i32 s21, s26, 31
	s_wait_alu 0xfffe
	s_sub_co_i32 s20, s50, s20
	s_wait_alu 0xfffe
	s_sub_co_i32 s27, s20, s41
	s_cmp_ge_u32 s20, s41
	s_wait_alu 0xfffe
	s_cselect_b32 s20, s27, s20
	s_wait_alu 0xfffe
	s_sub_co_i32 s27, s20, s41
	s_cmp_ge_u32 s20, s41
	s_wait_alu 0xfffe
	s_cselect_b32 s20, s27, s20
	s_wait_alu 0xfffe
	s_xor_b32 s20, s20, s21
	s_wait_alu 0xfffe
	s_sub_co_i32 s20, s21, s20
	s_wait_alu 0xfffe
	s_add_co_i32 s21, s26, s20
	s_mov_b32 s20, exec_lo
	s_wait_alu 0xfffe
	v_cmpx_gt_i32_e64 s21, v0
	s_cbranch_execz .LBB33_171
; %bb.163:                              ;   in Loop: Header=BB33_7 Depth=1
	v_dual_mov_b32 v1, v17 :: v_dual_mov_b32 v2, v0
	s_mov_b32 s26, 0
                                        ; implicit-def: $sgpr27
	s_branch .LBB33_166
.LBB33_164:                             ;   in Loop: Header=BB33_166 Depth=2
	s_or_b32 exec_lo, exec_lo, s28
	s_wait_loadcnt_dscnt 0x0
	s_barrier_signal -1
	s_barrier_wait -1
	global_inv scope:SCOPE_SE
	ds_load_b32 v4, v7 offset:3072
	s_mov_b32 s28, -1
	s_mov_b32 s50, -1
	s_wait_loadcnt_dscnt 0x0
	s_barrier_signal -1
	s_barrier_wait -1
	global_inv scope:SCOPE_SE
	v_and_b32_e32 v13, 0xffff, v4
	s_delay_alu instid0(VALU_DEP_1)
	v_cmp_eq_u32_e32 vcc_lo, 0, v13
	s_cbranch_vccnz .LBB33_169
.LBB33_165:                             ;   in Loop: Header=BB33_166 Depth=2
	s_and_b32 s28, exec_lo, s28
	s_wait_alu 0xfffe
	s_or_b32 s26, s28, s26
	s_and_not1_b32 s27, s27, exec_lo
	s_and_b32 s28, s50, exec_lo
	s_wait_alu 0xfffe
	s_or_b32 s27, s27, s28
	s_and_not1_b32 exec_lo, exec_lo, s26
	s_cbranch_execz .LBB33_170
.LBB33_166:                             ;   Parent Loop BB33_7 Depth=1
                                        ; =>  This Inner Loop Header: Depth=2
	s_mov_b32 s28, exec_lo
	s_delay_alu instid0(VALU_DEP_1)
	v_cmpx_gt_i32_e64 s24, v2
	s_cbranch_execz .LBB33_164
; %bb.167:                              ;   in Loop: Header=BB33_166 Depth=2
	ds_load_u16 v4, v1
	s_wait_dscnt 0x0
	v_bfe_i32 v13, v4, 0, 16
	s_delay_alu instid0(VALU_DEP_1) | instskip(NEXT) | instid1(VALU_DEP_1)
	v_add_nc_u32_e32 v13, 0x8000, v13
	v_and_b32_e32 v13, v13, v30
	s_delay_alu instid0(VALU_DEP_1)
	v_cmp_eq_u32_e32 vcc_lo, v13, v22
	s_and_b32 exec_lo, exec_lo, vcc_lo
	s_cbranch_execz .LBB33_164
; %bb.168:                              ;   in Loop: Header=BB33_166 Depth=2
	v_perm_b32 v4, v4, 1, 0x5040100
	ds_store_b32 v7, v4 offset:3072
	s_branch .LBB33_164
.LBB33_169:                             ;   in Loop: Header=BB33_166 Depth=2
	v_add_nc_u32_e32 v2, s41, v2
	v_add_nc_u32_e32 v1, s77, v1
	s_mov_b32 s50, 0
	s_delay_alu instid0(VALU_DEP_2)
	v_cmp_le_i32_e32 vcc_lo, s21, v2
	s_or_not1_b32 s28, vcc_lo, exec_lo
	s_branch .LBB33_165
.LBB33_170:                             ;   in Loop: Header=BB33_7 Depth=1
	s_or_b32 exec_lo, exec_lo, s26
	v_lshrrev_b32_e32 v31, 16, v4
	s_and_not1_b32 s21, s25, exec_lo
	s_wait_alu 0xfffe
	s_and_b32 s24, s27, exec_lo
	s_wait_alu 0xfffe
	s_or_b32 s25, s21, s24
.LBB33_171:                             ;   in Loop: Header=BB33_7 Depth=1
	s_or_b32 exec_lo, exec_lo, s20
	s_mov_b32 s20, 0
	s_mov_b32 s21, -1
.LBB33_172:                             ;   in Loop: Header=BB33_7 Depth=1
	s_wait_alu 0xfffe
	s_or_not1_b32 s24, s25, exec_lo
.LBB33_173:                             ;   in Loop: Header=BB33_7 Depth=1
	s_wait_alu 0xfffe
	s_or_b32 exec_lo, exec_lo, s22
	s_mov_b32 s25, 0
	s_and_saveexec_b32 s22, s24
	s_cbranch_execz .LBB33_223
; %bb.174:                              ;   in Loop: Header=BB33_7 Depth=1
	v_dual_mov_b32 v4, 1 :: v_dual_mov_b32 v3, 1
	s_xor_b32 s24, s23, -1
	s_wait_alu 0xfffe
	s_and_saveexec_b32 s23, s24
	s_cbranch_execz .LBB33_183
; %bb.175:                              ;   in Loop: Header=BB33_7 Depth=1
	s_mov_b32 s24, exec_lo
	v_cmpx_ge_i32_e64 s16, v6
	s_wait_alu 0xfffe
	s_xor_b32 s24, exec_lo, s24
	s_cbranch_execz .LBB33_180
; %bb.176:                              ;   in Loop: Header=BB33_7 Depth=1
	ds_load_b32 v1, v7 offset:4096
	s_lshl_b32 s25, 2, s84
	v_or_b32_e32 v30, s10, v30
	s_wait_alu 0xfffe
	v_and_or_b32 v22, v22, s17, s25
	s_wait_dscnt 0x0
	v_cmp_ne_u32_e32 vcc_lo, 0, v1
	s_cbranch_vccnz .LBB33_180
; %bb.177:                              ;   in Loop: Header=BB33_7 Depth=1
	s_and_saveexec_b32 s17, s2
; %bb.178:                              ;   in Loop: Header=BB33_7 Depth=1
	v_mov_b32_e32 v1, s16
	ds_store_b32 v7, v1 offset:4100
; %bb.179:                              ;   in Loop: Header=BB33_7 Depth=1
	s_wait_alu 0xfffe
	s_or_b32 exec_lo, exec_lo, s17
	s_wait_loadcnt_dscnt 0x0
	s_barrier_signal -1
	s_barrier_wait -1
	global_inv scope:SCOPE_SE
.LBB33_180:                             ;   in Loop: Header=BB33_7 Depth=1
	s_wait_alu 0xfffe
	s_or_saveexec_b32 s17, s24
	v_mov_b32_e32 v3, 8
	s_mov_b32 s24, 0
	s_wait_alu 0xfffe
	s_xor_b32 exec_lo, exec_lo, s17
; %bb.181:                              ;   in Loop: Header=BB33_7 Depth=1
	v_subrev_nc_u32_e32 v6, s16, v6
	v_mov_b32_e32 v3, 0
	s_mov_b32 s24, exec_lo
; %bb.182:                              ;   in Loop: Header=BB33_7 Depth=1
	s_or_b32 exec_lo, exec_lo, s17
	s_delay_alu instid0(VALU_DEP_2)
	v_mov_b32_e32 v4, v6
	s_wait_alu 0xfffe
	s_and_b32 s25, s24, exec_lo
.LBB33_183:                             ;   in Loop: Header=BB33_7 Depth=1
	s_wait_alu 0xfffe
	s_or_b32 exec_lo, exec_lo, s23
	s_mov_b32 s17, -1
                                        ; implicit-def: $sgpr24
                                        ; implicit-def: $sgpr23
	s_and_saveexec_b32 s16, s25
	s_cbranch_execz .LBB33_222
; %bb.184:                              ;   in Loop: Header=BB33_7 Depth=1
	v_cmp_eq_u32_e32 vcc_lo, 1, v4
	s_cmp_eq_u32 s9, 1
	s_mov_b32 s26, -1
	s_cselect_b32 s17, -1, 0
                                        ; implicit-def: $sgpr24
                                        ; implicit-def: $sgpr23
	s_wait_alu 0xfffe
	s_and_b32 s17, s17, vcc_lo
	s_wait_alu 0xfffe
	s_and_saveexec_b32 s25, s17
	s_cbranch_execz .LBB33_210
; %bb.185:                              ;   in Loop: Header=BB33_7 Depth=1
	ds_load_b32 v1, v7 offset:4096
	s_wait_loadcnt_dscnt 0x0
	s_barrier_signal -1
	s_barrier_wait -1
	global_inv scope:SCOPE_SE
	v_readfirstlane_b32 s26, v1
	s_and_saveexec_b32 s23, s1
; %bb.186:                              ;   in Loop: Header=BB33_7 Depth=1
	ds_store_b16 v18, v7
; %bb.187:                              ;   in Loop: Header=BB33_7 Depth=1
	s_wait_alu 0xfffe
	s_or_b32 exec_lo, exec_lo, s23
	v_or_b32_e32 v22, s10, v22
	v_or_b32_e32 v30, s10, v30
	s_mov_b32 s23, -1
	s_mov_b32 s24, 0
	s_cmp_gt_i32 s26, 0
	s_mov_b32 s27, 0
	s_mov_b32 s28, -1
	s_wait_loadcnt_dscnt 0x0
	s_barrier_signal -1
	s_barrier_wait -1
	global_inv scope:SCOPE_SE
                                        ; implicit-def: $vgpr31
	s_cbranch_scc1 .LBB33_198
; %bb.188:                              ;   in Loop: Header=BB33_7 Depth=1
	s_mov_b32 s28, 0
                                        ; implicit-def: $vgpr31
	s_and_saveexec_b32 s50, s8
	s_cbranch_execz .LBB33_197
; %bb.189:                              ;   in Loop: Header=BB33_7 Depth=1
	v_dual_mov_b32 v1, v5 :: v_dual_mov_b32 v6, v0
                                        ; implicit-def: $sgpr85
	s_branch .LBB33_192
.LBB33_190:                             ;   in Loop: Header=BB33_192 Depth=2
	s_wait_alu 0xfffe
	s_or_b32 exec_lo, exec_lo, s86
	s_wait_loadcnt_dscnt 0x0
	s_barrier_signal -1
	s_barrier_wait -1
	global_inv scope:SCOPE_SE
	ds_load_b32 v2, v7 offset:3072
	s_mov_b32 s86, -1
	s_mov_b32 s87, -1
	s_wait_loadcnt_dscnt 0x0
	s_barrier_signal -1
	s_barrier_wait -1
	global_inv scope:SCOPE_SE
	v_and_b32_e32 v13, 0xffff, v2
	s_delay_alu instid0(VALU_DEP_1)
	v_cmp_ne_u32_e32 vcc_lo, 0, v13
	s_cbranch_vccz .LBB33_195
.LBB33_191:                             ;   in Loop: Header=BB33_192 Depth=2
	s_wait_alu 0xfffe
	s_and_b32 s86, exec_lo, s86
	s_wait_alu 0xfffe
	s_or_b32 s27, s86, s27
	s_and_not1_b32 s85, s85, exec_lo
	s_and_b32 s86, s87, exec_lo
	s_wait_alu 0xfffe
	s_or_b32 s85, s85, s86
	s_and_not1_b32 exec_lo, exec_lo, s27
	s_cbranch_execz .LBB33_196
.LBB33_192:                             ;   Parent Loop BB33_7 Depth=1
                                        ; =>  This Inner Loop Header: Depth=2
	s_mov_b32 s86, exec_lo
	s_delay_alu instid0(VALU_DEP_1)
	v_cmpx_gt_i32_e64 s36, v6
	s_cbranch_execz .LBB33_190
; %bb.193:                              ;   in Loop: Header=BB33_192 Depth=2
	v_ashrrev_i32_e32 v2, 31, v1
	s_delay_alu instid0(VALU_DEP_1) | instskip(NEXT) | instid1(VALU_DEP_1)
	v_lshlrev_b64_e32 v[13:14], 1, v[1:2]
	v_add_co_u32 v13, vcc_lo, s48, v13
	s_wait_alu 0xfffd
	s_delay_alu instid0(VALU_DEP_2) | instskip(SKIP_3) | instid1(VALU_DEP_1)
	v_add_co_ci_u32_e64 v14, null, s49, v14, vcc_lo
	global_load_u16 v2, v[13:14], off
	s_wait_loadcnt 0x0
	v_bfe_i32 v13, v2, 0, 16
	v_add_nc_u32_e32 v13, 0x8000, v13
	s_delay_alu instid0(VALU_DEP_1) | instskip(NEXT) | instid1(VALU_DEP_1)
	v_and_b32_e32 v13, v13, v30
	v_cmp_eq_u32_e32 vcc_lo, v13, v22
	s_and_b32 exec_lo, exec_lo, vcc_lo
	s_cbranch_execz .LBB33_190
; %bb.194:                              ;   in Loop: Header=BB33_192 Depth=2
	v_perm_b32 v2, v2, 1, 0x5040100
	ds_store_b32 v7, v2 offset:3072
	s_branch .LBB33_190
.LBB33_195:                             ;   in Loop: Header=BB33_192 Depth=2
	v_add_nc_u32_e32 v6, s41, v6
	v_add_nc_u32_e32 v1, s65, v1
	s_mov_b32 s87, 0
	s_delay_alu instid0(VALU_DEP_2)
	v_cmp_le_i32_e32 vcc_lo, s74, v6
	s_or_not1_b32 s86, vcc_lo, exec_lo
	s_branch .LBB33_191
.LBB33_196:                             ;   in Loop: Header=BB33_7 Depth=1
	s_or_b32 exec_lo, exec_lo, s27
	v_lshrrev_b32_e32 v31, 16, v2
	s_wait_alu 0xfffe
	s_and_b32 s27, s85, exec_lo
.LBB33_197:                             ;   in Loop: Header=BB33_7 Depth=1
	s_wait_alu 0xfffe
	s_or_b32 exec_lo, exec_lo, s50
.LBB33_198:                             ;   in Loop: Header=BB33_7 Depth=1
	s_delay_alu instid0(SALU_CYCLE_1)
	s_and_b32 vcc_lo, exec_lo, s28
	s_wait_alu 0xfffe
	s_cbranch_vccz .LBB33_209
; %bb.199:                              ;   in Loop: Header=BB33_7 Depth=1
	s_add_co_i32 s24, s26, s64
                                        ; implicit-def: $vgpr31
	s_wait_alu 0xfffe
	s_abs_i32 s50, s24
	s_ashr_i32 s28, s24, 31
	s_wait_alu 0xfffe
	s_mul_u64 s[86:87], s[50:51], s[54:55]
	s_wait_alu 0xfffe
	s_mul_i32 s23, s87, s41
	s_wait_alu 0xfffe
	s_sub_co_i32 s23, s50, s23
	s_wait_alu 0xfffe
	s_sub_co_i32 s50, s23, s41
	s_cmp_ge_u32 s23, s41
	s_wait_alu 0xfffe
	s_cselect_b32 s23, s50, s23
	s_wait_alu 0xfffe
	s_sub_co_i32 s50, s23, s41
	s_cmp_ge_u32 s23, s41
	s_wait_alu 0xfffe
	s_cselect_b32 s23, s50, s23
	s_wait_alu 0xfffe
	s_xor_b32 s23, s23, s28
	s_wait_alu 0xfffe
	s_sub_co_i32 s23, s28, s23
	s_wait_alu 0xfffe
	s_add_co_i32 s24, s24, s23
	s_mov_b32 s23, exec_lo
	s_wait_alu 0xfffe
	v_cmpx_gt_i32_e64 s24, v0
	s_cbranch_execz .LBB33_208
; %bb.200:                              ;   in Loop: Header=BB33_7 Depth=1
	v_dual_mov_b32 v1, v17 :: v_dual_mov_b32 v2, v0
	s_mov_b32 s28, 0
                                        ; implicit-def: $sgpr50
	s_branch .LBB33_203
.LBB33_201:                             ;   in Loop: Header=BB33_203 Depth=2
	s_wait_alu 0xfffe
	s_or_b32 exec_lo, exec_lo, s85
	s_wait_loadcnt_dscnt 0x0
	s_barrier_signal -1
	s_barrier_wait -1
	global_inv scope:SCOPE_SE
	ds_load_b32 v6, v7 offset:3072
	s_mov_b32 s85, -1
	s_mov_b32 s86, -1
	s_wait_loadcnt_dscnt 0x0
	s_barrier_signal -1
	s_barrier_wait -1
	global_inv scope:SCOPE_SE
	v_and_b32_e32 v13, 0xffff, v6
	s_delay_alu instid0(VALU_DEP_1)
	v_cmp_eq_u32_e32 vcc_lo, 0, v13
	s_cbranch_vccnz .LBB33_206
.LBB33_202:                             ;   in Loop: Header=BB33_203 Depth=2
	s_wait_alu 0xfffe
	s_and_b32 s85, exec_lo, s85
	s_wait_alu 0xfffe
	s_or_b32 s28, s85, s28
	s_and_not1_b32 s50, s50, exec_lo
	s_and_b32 s85, s86, exec_lo
	s_wait_alu 0xfffe
	s_or_b32 s50, s50, s85
	s_and_not1_b32 exec_lo, exec_lo, s28
	s_cbranch_execz .LBB33_207
.LBB33_203:                             ;   Parent Loop BB33_7 Depth=1
                                        ; =>  This Inner Loop Header: Depth=2
	s_mov_b32 s85, exec_lo
	s_delay_alu instid0(VALU_DEP_1)
	v_cmpx_gt_i32_e64 s26, v2
	s_cbranch_execz .LBB33_201
; %bb.204:                              ;   in Loop: Header=BB33_203 Depth=2
	ds_load_u16 v6, v1
	s_wait_dscnt 0x0
	v_bfe_i32 v13, v6, 0, 16
	s_delay_alu instid0(VALU_DEP_1) | instskip(NEXT) | instid1(VALU_DEP_1)
	v_add_nc_u32_e32 v13, 0x8000, v13
	v_and_b32_e32 v13, v13, v30
	s_delay_alu instid0(VALU_DEP_1)
	v_cmp_eq_u32_e32 vcc_lo, v13, v22
	s_and_b32 exec_lo, exec_lo, vcc_lo
	s_cbranch_execz .LBB33_201
; %bb.205:                              ;   in Loop: Header=BB33_203 Depth=2
	v_perm_b32 v6, v6, 1, 0x5040100
	ds_store_b32 v7, v6 offset:3072
	s_branch .LBB33_201
.LBB33_206:                             ;   in Loop: Header=BB33_203 Depth=2
	v_add_nc_u32_e32 v2, s41, v2
	v_add_nc_u32_e32 v1, s77, v1
	s_mov_b32 s86, 0
	s_delay_alu instid0(VALU_DEP_2)
	v_cmp_le_i32_e32 vcc_lo, s24, v2
	s_or_not1_b32 s85, vcc_lo, exec_lo
	s_branch .LBB33_202
.LBB33_207:                             ;   in Loop: Header=BB33_7 Depth=1
	s_or_b32 exec_lo, exec_lo, s28
	v_lshrrev_b32_e32 v31, 16, v6
	s_and_not1_b32 s24, s27, exec_lo
	s_wait_alu 0xfffe
	s_and_b32 s26, s50, exec_lo
	s_wait_alu 0xfffe
	s_or_b32 s27, s24, s26
.LBB33_208:                             ;   in Loop: Header=BB33_7 Depth=1
	s_or_b32 exec_lo, exec_lo, s23
	s_mov_b32 s23, 0
	s_mov_b32 s24, -1
.LBB33_209:                             ;   in Loop: Header=BB33_7 Depth=1
	s_wait_alu 0xfffe
	s_or_not1_b32 s26, s27, exec_lo
.LBB33_210:                             ;   in Loop: Header=BB33_7 Depth=1
	s_wait_alu 0xfffe
	s_or_b32 exec_lo, exec_lo, s25
	s_mov_b32 s27, 0
	s_and_saveexec_b32 s25, s26
	s_cbranch_execz .LBB33_221
; %bb.211:                              ;   in Loop: Header=BB33_7 Depth=1
	v_mov_b32_e32 v3, 1
	v_mov_b32_e32 v1, 1
	s_xor_b32 s26, s17, -1
	s_wait_alu 0xfffe
	s_and_saveexec_b32 s17, s26
	s_cbranch_execz .LBB33_220
; %bb.212:                              ;   in Loop: Header=BB33_7 Depth=1
	s_mov_b32 s26, exec_lo
	v_cmpx_ge_i32_e64 s9, v4
	s_wait_alu 0xfffe
	s_xor_b32 s26, exec_lo, s26
	s_cbranch_execz .LBB33_217
; %bb.213:                              ;   in Loop: Header=BB33_7 Depth=1
	ds_load_b32 v1, v7 offset:4096
	v_or_b32_e32 v22, s10, v22
	v_or_b32_e32 v30, s10, v30
	s_wait_dscnt 0x0
	v_cmp_ne_u32_e32 vcc_lo, 0, v1
	s_cbranch_vccnz .LBB33_217
; %bb.214:                              ;   in Loop: Header=BB33_7 Depth=1
	s_and_saveexec_b32 s10, s2
; %bb.215:                              ;   in Loop: Header=BB33_7 Depth=1
	v_mov_b32_e32 v1, s9
	ds_store_b32 v7, v1 offset:4100
; %bb.216:                              ;   in Loop: Header=BB33_7 Depth=1
	s_wait_alu 0xfffe
	s_or_b32 exec_lo, exec_lo, s10
	s_wait_loadcnt_dscnt 0x0
	s_barrier_signal -1
	s_barrier_wait -1
	global_inv scope:SCOPE_SE
.LBB33_217:                             ;   in Loop: Header=BB33_7 Depth=1
	s_wait_alu 0xfffe
	s_and_not1_saveexec_b32 s10, s26
; %bb.218:                              ;   in Loop: Header=BB33_7 Depth=1
	v_subrev_nc_u32_e32 v4, s9, v4
; %bb.219:                              ;   in Loop: Header=BB33_7 Depth=1
	s_wait_alu 0xfffe
	s_or_b32 exec_lo, exec_lo, s10
	v_mov_b32_e32 v3, 8
	s_delay_alu instid0(VALU_DEP_2)
	v_mov_b32_e32 v1, v4
.LBB33_220:                             ;   in Loop: Header=BB33_7 Depth=1
	s_wait_alu 0xfffe
	s_or_b32 exec_lo, exec_lo, s17
	s_delay_alu instid0(VALU_DEP_1)
	v_mov_b32_e32 v4, v1
	s_mov_b32 s27, exec_lo
.LBB33_221:                             ;   in Loop: Header=BB33_7 Depth=1
	s_wait_alu 0xfffe
	s_or_b32 exec_lo, exec_lo, s25
	s_delay_alu instid0(SALU_CYCLE_1)
	s_or_not1_b32 s17, s27, exec_lo
.LBB33_222:                             ;   in Loop: Header=BB33_7 Depth=1
	s_wait_alu 0xfffe
	s_or_b32 exec_lo, exec_lo, s16
	v_mov_b32_e32 v6, v4
	s_and_not1_b32 s9, s21, exec_lo
	s_and_b32 s10, s24, exec_lo
	s_and_not1_b32 s16, s20, exec_lo
	s_and_b32 s20, s23, exec_lo
	s_wait_alu 0xfffe
	s_or_b32 s21, s9, s10
	s_or_b32 s20, s16, s20
	s_and_b32 s25, s17, exec_lo
.LBB33_223:                             ;   in Loop: Header=BB33_7 Depth=1
	s_wait_alu 0xfffe
	s_or_b32 exec_lo, exec_lo, s22
	s_delay_alu instid0(SALU_CYCLE_1)
	s_or_not1_b32 s22, s25, exec_lo
.LBB33_224:                             ;   in Loop: Header=BB33_7 Depth=1
	s_wait_alu 0xfffe
	s_or_b32 exec_lo, exec_lo, s19
	v_mov_b32_e32 v4, v6
	s_and_not1_b32 s9, s15, exec_lo
	s_and_b32 s10, s21, exec_lo
	s_and_not1_b32 s14, s14, exec_lo
	s_and_b32 s16, s20, exec_lo
	s_wait_alu 0xfffe
	s_or_b32 s15, s9, s10
	s_or_b32 s14, s14, s16
	s_and_b32 s22, s22, exec_lo
.LBB33_225:                             ;   in Loop: Header=BB33_7 Depth=1
	s_wait_alu 0xfffe
	s_or_b32 exec_lo, exec_lo, s18
	s_delay_alu instid0(SALU_CYCLE_1)
	s_or_not1_b32 s18, s22, exec_lo
.LBB33_226:                             ;   in Loop: Header=BB33_7 Depth=1
	s_wait_alu 0xfffe
	s_or_b32 exec_lo, exec_lo, s13
	s_mov_b32 s10, 0
                                        ; implicit-def: $sgpr21
	s_and_saveexec_b32 s9, s18
	s_wait_alu 0xfffe
	s_xor_b32 s9, exec_lo, s9
	s_cbranch_execz .LBB33_5
; %bb.227:                              ;   in Loop: Header=BB33_7 Depth=1
	v_and_b32_e32 v1, 7, v3
	s_mov_b32 s12, -1
	s_mov_b32 s10, -1
	s_mov_b32 s13, exec_lo
                                        ; implicit-def: $sgpr21
	s_delay_alu instid0(VALU_DEP_1)
	v_cmpx_eq_u32_e32 0, v1
	s_cbranch_execz .LBB33_4
; %bb.228:                              ;   in Loop: Header=BB33_7 Depth=1
	s_add_co_i32 s21, s84, -2
	s_cmp_eq_u32 s84, 0
	v_xor_b32_e32 v29, 1, v29
	s_cselect_b32 s12, -1, 0
	s_xor_b32 s10, exec_lo, -1
	s_wait_alu 0xfffe
	s_or_not1_b32 s12, s12, exec_lo
	s_branch .LBB33_4
.LBB33_229:
	s_or_b32 exec_lo, exec_lo, s37
	s_xor_b32 s4, s83, -1
	s_xor_b32 s0, s81, -1
	;; [unrolled: 1-line block ×3, first 2 shown]
	s_mov_b32 s1, 0
	s_and_saveexec_b32 s5, s0
	s_wait_alu 0xfffe
	s_xor_b32 s0, exec_lo, s5
	s_cbranch_execnz .LBB33_234
; %bb.230:
	s_and_not1_saveexec_b32 s0, s0
	s_cbranch_execnz .LBB33_254
.LBB33_231:
	s_or_b32 exec_lo, exec_lo, s0
	s_and_saveexec_b32 s0, s1
.LBB33_232:
	; divergent unreachable
.LBB33_233:
	s_endpgm
.LBB33_234:
	s_and_saveexec_b32 s1, s4
	s_delay_alu instid0(SALU_CYCLE_1)
	s_xor_b32 s1, exec_lo, s1
	s_cbranch_execz .LBB33_252
; %bb.235:
	s_and_saveexec_b32 s4, s3
	s_wait_alu 0xfffe
	s_xor_b32 s3, exec_lo, s4
; %bb.236:
	v_xor_b32_e32 v31, 0xffff8000, v22
; %bb.237:
	s_wait_alu 0xfffe
	s_or_b32 exec_lo, exec_lo, s3
	s_and_saveexec_b32 s3, s2
; %bb.238:
	v_dual_mov_b32 v1, 0 :: v_dual_mov_b32 v2, s36
	ds_store_b32 v1, v2 offset:4108
; %bb.239:
	s_wait_alu 0xfffe
	s_or_b32 exec_lo, exec_lo, s3
	v_mov_b32_e32 v1, 0
	s_wait_loadcnt_dscnt 0x0
	s_barrier_signal -1
	s_barrier_wait -1
	global_inv scope:SCOPE_SE
	ds_load_b32 v1, v1 offset:4108
	s_mov_b32 s3, exec_lo
	s_wait_dscnt 0x0
	v_min_i32_e32 v1, s36, v1
	s_delay_alu instid0(VALU_DEP_1)
	v_cmpx_lt_i32_e64 v0, v1
	s_cbranch_execz .LBB33_249
; %bb.240:
	s_mov_b32 s4, 0
                                        ; implicit-def: $sgpr5
                                        ; implicit-def: $sgpr7
                                        ; implicit-def: $sgpr6
	s_branch .LBB33_242
.LBB33_241:                             ;   in Loop: Header=BB33_242 Depth=1
	s_wait_alu 0xfffe
	s_or_b32 exec_lo, exec_lo, s8
	s_delay_alu instid0(SALU_CYCLE_1)
	s_and_b32 s8, exec_lo, s7
	s_wait_alu 0xfffe
	s_or_b32 s4, s8, s4
	s_and_not1_b32 s5, s5, exec_lo
	s_and_b32 s8, s6, exec_lo
	s_wait_alu 0xfffe
	s_or_b32 s5, s5, s8
	s_and_not1_b32 exec_lo, exec_lo, s4
	s_cbranch_execz .LBB33_244
.LBB33_242:                             ; =>This Inner Loop Header: Depth=1
	v_ashrrev_i32_e32 v6, 31, v5
	s_or_b32 s6, s6, exec_lo
	s_or_b32 s7, s7, exec_lo
	s_mov_b32 s8, exec_lo
	s_delay_alu instid0(VALU_DEP_1) | instskip(NEXT) | instid1(VALU_DEP_1)
	v_lshlrev_b64_e32 v[2:3], 1, v[5:6]
	v_add_co_u32 v2, vcc_lo, s48, v2
	s_wait_alu 0xfffd
	s_delay_alu instid0(VALU_DEP_2)
	v_add_co_ci_u32_e64 v3, null, s49, v3, vcc_lo
	global_load_u16 v3, v[2:3], off
	v_mov_b32_e32 v2, v0
                                        ; implicit-def: $vgpr0
	s_wait_loadcnt 0x0
	v_cmpx_ne_u16_e64 v3, v31
	s_cbranch_execz .LBB33_241
; %bb.243:                              ;   in Loop: Header=BB33_242 Depth=1
	s_delay_alu instid0(VALU_DEP_2) | instskip(SKIP_3) | instid1(VALU_DEP_2)
	v_add_nc_u32_e32 v0, s41, v2
	v_add_nc_u32_e32 v5, s65, v5
	s_and_not1_b32 s7, s7, exec_lo
	s_and_not1_b32 s6, s6, exec_lo
	v_cmp_ge_i32_e32 vcc_lo, v0, v1
	s_and_b32 s9, vcc_lo, exec_lo
	s_wait_alu 0xfffe
	s_or_b32 s7, s7, s9
	s_branch .LBB33_241
.LBB33_244:
	s_or_b32 exec_lo, exec_lo, s4
	s_wait_alu 0xfffe
	s_and_saveexec_b32 s4, s5
	s_wait_alu 0xfffe
	s_xor_b32 s4, exec_lo, s4
	s_cbranch_execz .LBB33_249
; %bb.245:
	s_mov_b32 s5, exec_lo
	s_brev_b32 s4, -2
.LBB33_246:                             ; =>This Inner Loop Header: Depth=1
	s_wait_alu 0xfffe
	s_ctz_i32_b32 s6, s5
	s_wait_alu 0xfffe
	v_readlane_b32 s7, v2, s6
	s_lshl_b32 s6, 1, s6
	s_wait_alu 0xfffe
	s_and_not1_b32 s5, s5, s6
	s_min_i32 s4, s4, s7
	s_wait_alu 0xfffe
	s_cmp_lg_u32 s5, 0
	s_cbranch_scc1 .LBB33_246
; %bb.247:
	v_mbcnt_lo_u32_b32 v0, exec_lo, 0
	s_mov_b32 s5, exec_lo
	s_delay_alu instid0(VALU_DEP_1)
	v_cmpx_eq_u32_e32 0, v0
	s_wait_alu 0xfffe
	s_xor_b32 s5, exec_lo, s5
; %bb.248:
	v_dual_mov_b32 v0, 0 :: v_dual_mov_b32 v1, s4
	ds_min_i32 v0, v1 offset:4108
.LBB33_249:
	s_wait_alu 0xfffe
	s_or_b32 exec_lo, exec_lo, s3
	s_wait_loadcnt_dscnt 0x0
	s_barrier_signal -1
	s_barrier_wait -1
	global_inv scope:SCOPE_SE
	s_and_saveexec_b32 s3, s2
	s_cbranch_execz .LBB33_251
; %bb.250:
	s_mul_i32 s2, s47, s60
	s_xor_b32 s4, s61, s63
	s_wait_alu 0xfffe
	s_sub_co_i32 s2, s40, s2
	s_add_co_i32 s5, s47, 1
	s_wait_alu 0xfffe
	s_sub_co_i32 s6, s2, s60
	s_cmp_ge_u32 s2, s60
	v_mov_b32_e32 v2, 0
	s_cselect_b32 s5, s5, s47
	s_wait_alu 0xfffe
	s_cselect_b32 s2, s6, s2
	s_add_co_i32 s6, s5, 1
	s_wait_alu 0xfffe
	s_cmp_ge_u32 s2, s60
	s_mul_i32 s2, s29, s59
	s_cselect_b32 s5, s6, s5
	s_wait_alu 0xfffe
	s_sub_co_i32 s2, s40, s2
	s_xor_b32 s5, s5, s4
	s_xor_b32 s6, s61, s62
	s_wait_alu 0xfffe
	s_sub_co_i32 s4, s5, s4
	s_add_co_i32 s7, s29, 1
	s_wait_alu 0xfffe
	s_mul_i32 s5, s4, s58
	s_mul_i32 s4, s4, s30
	s_wait_alu 0xfffe
	s_sub_co_i32 s5, s33, s5
	s_sub_co_i32 s8, s2, s59
	s_wait_alu 0xfffe
	s_mul_i32 s5, s5, s31
	ds_load_b32 v0, v2 offset:4108
	s_wait_alu 0xfffe
	s_add_co_i32 s4, s4, s5
	s_cmp_ge_u32 s2, s59
	s_cselect_b32 s5, s7, s29
	s_cselect_b32 s2, s8, s2
	s_wait_alu 0xfffe
	s_add_co_i32 s7, s5, 1
	s_cmp_ge_u32 s2, s59
	s_wait_alu 0xfffe
	s_cselect_b32 s2, s7, s5
	s_wait_alu 0xfffe
	s_xor_b32 s2, s2, s6
	s_wait_alu 0xfffe
	s_sub_co_i32 s2, s2, s6
	s_wait_alu 0xfffe
	s_mul_i32 s5, s2, s38
	s_mul_i32 s2, s2, s34
	s_wait_alu 0xfffe
	s_sub_co_i32 s5, s33, s5
	s_wait_alu 0xfffe
	s_mul_i32 s5, s5, s35
	s_wait_dscnt 0x0
	v_ashrrev_i32_e32 v1, 31, v0
	s_wait_alu 0xfffe
	s_add_co_i32 s6, s2, s5
	s_ashr_i32 s5, s4, 31
	s_wait_alu 0xfffe
	s_ashr_i32 s7, s6, 31
	s_lshl_b64 s[4:5], s[4:5], 1
	s_wait_alu 0xfffe
	s_lshl_b64 s[6:7], s[6:7], 3
	s_add_nc_u64 s[4:5], s[44:45], s[4:5]
	s_wait_alu 0xfffe
	s_add_nc_u64 s[6:7], s[42:43], s[6:7]
	s_clause 0x1
	global_store_b64 v2, v[0:1], s[6:7]
	global_store_b16 v2, v31, s[4:5]
.LBB33_251:
	s_wait_alu 0xfffe
	s_or_b32 exec_lo, exec_lo, s3
.LBB33_252:
	s_or_saveexec_b32 s1, s1
	s_mov_b32 s2, 0
	s_xor_b32 exec_lo, exec_lo, s1
	s_cbranch_execnz .LBB33_255
.LBB33_253:
	s_or_b32 exec_lo, exec_lo, s1
	s_wait_alu 0xfffe
	s_and_b32 s1, s2, exec_lo
	s_and_not1_saveexec_b32 s0, s0
	s_cbranch_execz .LBB33_231
.LBB33_254:
	s_or_b32 s1, s1, exec_lo
	s_trap 2
	s_or_b32 exec_lo, exec_lo, s0
	s_and_saveexec_b32 s0, s1
	s_cbranch_execnz .LBB33_232
	s_branch .LBB33_233
.LBB33_255:
	s_mov_b32 s2, exec_lo
	s_trap 2
	s_branch .LBB33_253
	.section	.rodata,"a",@progbits
	.p2align	6, 0x0
	.amdhsa_kernel _ZN2at6native12_GLOBAL__N_114gatherKthValueIsiLi2EEEvNS_4cuda6detail10TensorInfoIKT_T0_EES8_S8_S8_S8_NS5_IS6_S8_EENS5_IlS8_EE
		.amdhsa_group_segment_fixed_size 4112
		.amdhsa_private_segment_fixed_size 0
		.amdhsa_kernarg_size 920
		.amdhsa_user_sgpr_count 2
		.amdhsa_user_sgpr_dispatch_ptr 0
		.amdhsa_user_sgpr_queue_ptr 0
		.amdhsa_user_sgpr_kernarg_segment_ptr 1
		.amdhsa_user_sgpr_dispatch_id 0
		.amdhsa_user_sgpr_private_segment_size 0
		.amdhsa_wavefront_size32 1
		.amdhsa_uses_dynamic_stack 0
		.amdhsa_enable_private_segment 0
		.amdhsa_system_sgpr_workgroup_id_x 1
		.amdhsa_system_sgpr_workgroup_id_y 1
		.amdhsa_system_sgpr_workgroup_id_z 1
		.amdhsa_system_sgpr_workgroup_info 0
		.amdhsa_system_vgpr_workitem_id 0
		.amdhsa_next_free_vgpr 44
		.amdhsa_next_free_sgpr 92
		.amdhsa_reserve_vcc 1
		.amdhsa_float_round_mode_32 0
		.amdhsa_float_round_mode_16_64 0
		.amdhsa_float_denorm_mode_32 3
		.amdhsa_float_denorm_mode_16_64 3
		.amdhsa_fp16_overflow 0
		.amdhsa_workgroup_processor_mode 1
		.amdhsa_memory_ordered 1
		.amdhsa_forward_progress 1
		.amdhsa_inst_pref_size 90
		.amdhsa_round_robin_scheduling 0
		.amdhsa_exception_fp_ieee_invalid_op 0
		.amdhsa_exception_fp_denorm_src 0
		.amdhsa_exception_fp_ieee_div_zero 0
		.amdhsa_exception_fp_ieee_overflow 0
		.amdhsa_exception_fp_ieee_underflow 0
		.amdhsa_exception_fp_ieee_inexact 0
		.amdhsa_exception_int_div_zero 0
	.end_amdhsa_kernel
	.section	.text._ZN2at6native12_GLOBAL__N_114gatherKthValueIsiLi2EEEvNS_4cuda6detail10TensorInfoIKT_T0_EES8_S8_S8_S8_NS5_IS6_S8_EENS5_IlS8_EE,"axG",@progbits,_ZN2at6native12_GLOBAL__N_114gatherKthValueIsiLi2EEEvNS_4cuda6detail10TensorInfoIKT_T0_EES8_S8_S8_S8_NS5_IS6_S8_EENS5_IlS8_EE,comdat
.Lfunc_end33:
	.size	_ZN2at6native12_GLOBAL__N_114gatherKthValueIsiLi2EEEvNS_4cuda6detail10TensorInfoIKT_T0_EES8_S8_S8_S8_NS5_IS6_S8_EENS5_IlS8_EE, .Lfunc_end33-_ZN2at6native12_GLOBAL__N_114gatherKthValueIsiLi2EEEvNS_4cuda6detail10TensorInfoIKT_T0_EES8_S8_S8_S8_NS5_IS6_S8_EENS5_IlS8_EE
                                        ; -- End function
	.set _ZN2at6native12_GLOBAL__N_114gatherKthValueIsiLi2EEEvNS_4cuda6detail10TensorInfoIKT_T0_EES8_S8_S8_S8_NS5_IS6_S8_EENS5_IlS8_EE.num_vgpr, 44
	.set _ZN2at6native12_GLOBAL__N_114gatherKthValueIsiLi2EEEvNS_4cuda6detail10TensorInfoIKT_T0_EES8_S8_S8_S8_NS5_IS6_S8_EENS5_IlS8_EE.num_agpr, 0
	.set _ZN2at6native12_GLOBAL__N_114gatherKthValueIsiLi2EEEvNS_4cuda6detail10TensorInfoIKT_T0_EES8_S8_S8_S8_NS5_IS6_S8_EENS5_IlS8_EE.numbered_sgpr, 92
	.set _ZN2at6native12_GLOBAL__N_114gatherKthValueIsiLi2EEEvNS_4cuda6detail10TensorInfoIKT_T0_EES8_S8_S8_S8_NS5_IS6_S8_EENS5_IlS8_EE.num_named_barrier, 0
	.set _ZN2at6native12_GLOBAL__N_114gatherKthValueIsiLi2EEEvNS_4cuda6detail10TensorInfoIKT_T0_EES8_S8_S8_S8_NS5_IS6_S8_EENS5_IlS8_EE.private_seg_size, 0
	.set _ZN2at6native12_GLOBAL__N_114gatherKthValueIsiLi2EEEvNS_4cuda6detail10TensorInfoIKT_T0_EES8_S8_S8_S8_NS5_IS6_S8_EENS5_IlS8_EE.uses_vcc, 1
	.set _ZN2at6native12_GLOBAL__N_114gatherKthValueIsiLi2EEEvNS_4cuda6detail10TensorInfoIKT_T0_EES8_S8_S8_S8_NS5_IS6_S8_EENS5_IlS8_EE.uses_flat_scratch, 0
	.set _ZN2at6native12_GLOBAL__N_114gatherKthValueIsiLi2EEEvNS_4cuda6detail10TensorInfoIKT_T0_EES8_S8_S8_S8_NS5_IS6_S8_EENS5_IlS8_EE.has_dyn_sized_stack, 0
	.set _ZN2at6native12_GLOBAL__N_114gatherKthValueIsiLi2EEEvNS_4cuda6detail10TensorInfoIKT_T0_EES8_S8_S8_S8_NS5_IS6_S8_EENS5_IlS8_EE.has_recursion, 0
	.set _ZN2at6native12_GLOBAL__N_114gatherKthValueIsiLi2EEEvNS_4cuda6detail10TensorInfoIKT_T0_EES8_S8_S8_S8_NS5_IS6_S8_EENS5_IlS8_EE.has_indirect_call, 0
	.section	.AMDGPU.csdata,"",@progbits
; Kernel info:
; codeLenInByte = 11500
; TotalNumSgprs: 94
; NumVgprs: 44
; ScratchSize: 0
; MemoryBound: 0
; FloatMode: 240
; IeeeMode: 1
; LDSByteSize: 4112 bytes/workgroup (compile time only)
; SGPRBlocks: 0
; VGPRBlocks: 5
; NumSGPRsForWavesPerEU: 94
; NumVGPRsForWavesPerEU: 44
; Occupancy: 16
; WaveLimiterHint : 1
; COMPUTE_PGM_RSRC2:SCRATCH_EN: 0
; COMPUTE_PGM_RSRC2:USER_SGPR: 2
; COMPUTE_PGM_RSRC2:TRAP_HANDLER: 0
; COMPUTE_PGM_RSRC2:TGID_X_EN: 1
; COMPUTE_PGM_RSRC2:TGID_Y_EN: 1
; COMPUTE_PGM_RSRC2:TGID_Z_EN: 1
; COMPUTE_PGM_RSRC2:TIDIG_COMP_CNT: 0
	.section	.text._ZN2at6native12_GLOBAL__N_114gatherKthValueIsiLi3EEEvNS_4cuda6detail10TensorInfoIKT_T0_EES8_S8_S8_S8_NS5_IS6_S8_EENS5_IlS8_EE,"axG",@progbits,_ZN2at6native12_GLOBAL__N_114gatherKthValueIsiLi3EEEvNS_4cuda6detail10TensorInfoIKT_T0_EES8_S8_S8_S8_NS5_IS6_S8_EENS5_IlS8_EE,comdat
	.globl	_ZN2at6native12_GLOBAL__N_114gatherKthValueIsiLi3EEEvNS_4cuda6detail10TensorInfoIKT_T0_EES8_S8_S8_S8_NS5_IS6_S8_EENS5_IlS8_EE ; -- Begin function _ZN2at6native12_GLOBAL__N_114gatherKthValueIsiLi3EEEvNS_4cuda6detail10TensorInfoIKT_T0_EES8_S8_S8_S8_NS5_IS6_S8_EENS5_IlS8_EE
	.p2align	8
	.type	_ZN2at6native12_GLOBAL__N_114gatherKthValueIsiLi3EEEvNS_4cuda6detail10TensorInfoIKT_T0_EES8_S8_S8_S8_NS5_IS6_S8_EENS5_IlS8_EE,@function
_ZN2at6native12_GLOBAL__N_114gatherKthValueIsiLi3EEEvNS_4cuda6detail10TensorInfoIKT_T0_EES8_S8_S8_S8_NS5_IS6_S8_EENS5_IlS8_EE: ; @_ZN2at6native12_GLOBAL__N_114gatherKthValueIsiLi3EEEvNS_4cuda6detail10TensorInfoIKT_T0_EES8_S8_S8_S8_NS5_IS6_S8_EENS5_IlS8_EE
; %bb.0:
	s_clause 0x1
	s_load_b64 s[8:9], s[0:1], 0x298
	s_load_b128 s[36:39], s[0:1], 0xd8
	s_lshr_b32 s2, ttmp7, 16
	s_and_b32 s3, ttmp7, 0xffff
	s_wait_kmcnt 0x0
	s_mul_i32 s2, s9, s2
	s_delay_alu instid0(SALU_CYCLE_1) | instskip(NEXT) | instid1(SALU_CYCLE_1)
	s_add_co_i32 s2, s2, s3
	s_mul_i32 s33, s2, s8
	s_delay_alu instid0(SALU_CYCLE_1) | instskip(NEXT) | instid1(SALU_CYCLE_1)
	s_add_co_i32 s33, s33, ttmp9
	s_cmp_ge_i32 s33, s38
	s_cbranch_scc1 .LBB34_233
; %bb.1:
	s_clause 0x2
	s_load_b64 s[12:13], s[0:1], 0xc
	s_load_b64 s[30:31], s[0:1], 0xf4
	;; [unrolled: 1-line block ×3, first 2 shown]
	s_abs_i32 s10, s33
	s_ashr_i32 s11, s33, 31
	s_mov_b32 s59, 0
	s_delay_alu instid0(SALU_CYCLE_1) | instskip(SKIP_3) | instid1(SALU_CYCLE_1)
	s_mov_b32 s49, s59
	s_mov_b32 s51, s59
	s_wait_kmcnt 0x0
	s_abs_i32 s2, s13
	s_cvt_f32_u32 s3, s2
	s_sub_co_i32 s4, 0, s2
	s_delay_alu instid0(SALU_CYCLE_2) | instskip(NEXT) | instid1(TRANS32_DEP_1)
	v_rcp_iflag_f32_e32 v1, s3
	v_readfirstlane_b32 s3, v1
	s_mul_f32 s3, s3, 0x4f7ffffe
	s_wait_alu 0xfffe
	s_delay_alu instid0(SALU_CYCLE_2) | instskip(SKIP_1) | instid1(SALU_CYCLE_2)
	s_cvt_u32_f32 s3, s3
	s_wait_alu 0xfffe
	s_mul_i32 s4, s4, s3
	s_delay_alu instid0(SALU_CYCLE_1) | instskip(NEXT) | instid1(SALU_CYCLE_1)
	s_mul_hi_u32 s4, s3, s4
	s_add_co_i32 s3, s3, s4
	s_ashr_i32 s4, s13, 31
	s_wait_alu 0xfffe
	s_mul_hi_u32 s3, s10, s3
	s_xor_b32 s7, s11, s4
	s_wait_alu 0xfffe
	s_mul_i32 s5, s3, s2
	s_delay_alu instid0(SALU_CYCLE_1)
	s_sub_co_i32 s4, s10, s5
	s_add_co_i32 s5, s3, 1
	s_sub_co_i32 s6, s4, s2
	s_cmp_ge_u32 s4, s2
	s_cselect_b32 s3, s5, s3
	s_cselect_b32 s4, s6, s4
	s_wait_alu 0xfffe
	s_add_co_i32 s9, s3, 1
	s_cmp_ge_u32 s4, s2
	s_load_b96 s[4:6], s[0:1], 0x6c
	s_cselect_b32 s2, s9, s3
	s_abs_i32 s3, s31
	s_abs_i32 s9, s12
	s_wait_alu 0xfffe
	s_cvt_f32_u32 s14, s3
	s_cvt_f32_u32 s15, s9
	s_xor_b32 s2, s2, s7
	s_sub_co_i32 s17, 0, s9
	v_rcp_iflag_f32_e32 v1, s14
	v_rcp_iflag_f32_e32 v2, s15
	s_ashr_i32 s15, s31, 31
	s_wait_alu 0xfffe
	s_sub_co_i32 s7, s2, s7
	s_xor_b32 s18, s11, s15
	s_sub_co_i32 s15, 0, s3
	s_ashr_i32 s20, s12, 31
	s_ashr_i32 s21, s7, 31
	s_delay_alu instid0(TRANS32_DEP_2) | instskip(NEXT) | instid1(TRANS32_DEP_1)
	v_readfirstlane_b32 s14, v1
	v_readfirstlane_b32 s16, v2
	s_mul_f32 s14, s14, 0x4f7ffffe
	s_wait_alu 0xfffe
	s_delay_alu instid0(SALU_CYCLE_2) | instskip(SKIP_2) | instid1(SALU_CYCLE_1)
	s_cvt_u32_f32 s2, s14
	s_mul_f32 s14, s16, 0x4f7ffffe
	s_wait_alu 0xfffe
	s_mul_i32 s15, s15, s2
	s_delay_alu instid0(SALU_CYCLE_1)
	s_cvt_u32_f32 s16, s14
	s_wait_alu 0xfffe
	s_mul_hi_u32 s15, s2, s15
	s_abs_i32 s14, s7
	s_wait_alu 0xfffe
	s_add_co_i32 s2, s2, s15
	s_mul_i32 s17, s17, s16
	s_wait_alu 0xfffe
	s_mul_hi_u32 s2, s10, s2
	s_mul_hi_u32 s15, s16, s17
	s_wait_alu 0xfffe
	s_mul_i32 s17, s2, s3
	s_add_co_i32 s58, s16, s15
	s_sub_co_i32 s15, s10, s17
	s_add_co_i32 s16, s2, 1
	s_wait_alu 0xfffe
	s_sub_co_i32 s17, s15, s3
	s_cmp_ge_u32 s15, s3
	s_cselect_b32 s2, s16, s2
	s_cselect_b32 s15, s17, s15
	s_wait_alu 0xfffe
	s_add_co_i32 s16, s2, 1
	s_cmp_ge_u32 s15, s3
	s_mov_b32 s15, s59
	s_cselect_b32 s16, s16, s2
	s_abs_i32 s17, s35
	s_abs_i32 s68, s30
	s_cvt_f32_u32 s2, s17
	s_cvt_f32_u32 s3, s68
	s_xor_b32 s16, s16, s18
	s_sub_co_i32 s22, 0, s68
	s_wait_alu 0xfffe
	v_rcp_iflag_f32_e32 v1, s2
	v_rcp_iflag_f32_e32 v2, s3
	s_mul_u64 s[2:3], s[14:15], s[58:59]
	s_ashr_i32 s2, s35, 31
	s_sub_co_i32 s43, s16, s18
	s_wait_alu 0xfffe
	s_xor_b32 s23, s11, s2
	s_abs_i32 s48, s43
	s_delay_alu instid0(TRANS32_DEP_2) | instskip(NEXT) | instid1(TRANS32_DEP_1)
	v_readfirstlane_b32 s19, v1
	v_readfirstlane_b32 s15, v2
	s_mul_f32 s19, s19, 0x4f7ffffe
	s_mul_f32 s11, s15, 0x4f7ffffe
	s_sub_co_i32 s15, 0, s17
	s_delay_alu instid0(SALU_CYCLE_1) | instskip(NEXT) | instid1(SALU_CYCLE_1)
	s_cvt_u32_f32 s2, s19
	s_cvt_u32_f32 s11, s11
	s_wait_alu 0xfffe
	s_delay_alu instid0(SALU_CYCLE_1) | instskip(NEXT) | instid1(SALU_CYCLE_1)
	s_mul_i32 s15, s15, s2
	s_mul_i32 s22, s22, s11
	s_wait_alu 0xfffe
	s_mul_hi_u32 s15, s2, s15
	s_wait_alu 0xfffe
	s_add_co_i32 s2, s2, s15
	s_mul_hi_u32 s15, s11, s22
	s_wait_alu 0xfffe
	s_mul_hi_u32 s2, s10, s2
	s_add_co_i32 s58, s11, s15
	s_wait_alu 0xfffe
	s_mul_i32 s16, s2, s17
	s_add_co_i32 s11, s2, 1
	s_sub_co_i32 s10, s10, s16
	s_delay_alu instid0(SALU_CYCLE_1)
	s_sub_co_i32 s15, s10, s17
	s_cmp_ge_u32 s10, s17
	s_cselect_b32 s2, s11, s2
	s_wait_alu 0xfffe
	s_cselect_b32 s10, s15, s10
	s_add_co_i32 s11, s2, 1
	s_cmp_ge_u32 s10, s17
	s_load_b64 s[16:17], s[0:1], 0x0
	s_cselect_b32 s15, s11, s2
	s_abs_i32 s38, s34
	s_wait_alu 0xfffe
	s_xor_b32 s15, s15, s23
	s_cvt_f32_u32 s2, s38
	s_sub_co_i32 s19, 0, s38
	s_wait_alu 0xfffe
	s_sub_co_i32 s47, s15, s23
	s_add_nc_u64 s[10:11], s[0:1], 0x298
	v_rcp_iflag_f32_e32 v1, s2
	s_abs_i32 s50, s47
	s_delay_alu instid0(TRANS32_DEP_1) | instskip(SKIP_2) | instid1(SALU_CYCLE_2)
	v_readfirstlane_b32 s2, v1
	s_mul_f32 s18, s2, 0x4f7ffffe
	v_cmp_eq_u32_e64 s2, 0, v0
	s_cvt_u32_f32 s18, s18
	s_delay_alu instid0(SALU_CYCLE_3) | instskip(NEXT) | instid1(SALU_CYCLE_1)
	s_mul_i32 s19, s19, s18
	s_mul_hi_u32 s15, s18, s19
	s_mov_b32 s19, s59
	s_wait_alu 0xfffe
	s_add_co_i32 s18, s18, s15
	s_and_saveexec_b32 s15, s2
; %bb.2:
	v_dual_mov_b32 v1, 0 :: v_dual_mov_b32 v2, s36
	s_delay_alu instid0(VALU_DEP_1)
	v_mov_b32_e32 v3, v1
	ds_store_b96 v1, v[1:3] offset:4096
; %bb.3:
	s_wait_alu 0xfffe
	s_or_b32 exec_lo, exec_lo, s15
	s_mul_i32 s15, s3, s9
	s_mul_i32 s13, s7, s13
	s_wait_alu 0xfffe
	s_sub_co_i32 s14, s14, s15
	s_ashr_i32 s71, s43, 31
	s_ashr_i32 s72, s30, 31
	s_ashr_i32 s69, s47, 31
	s_ashr_i32 s70, s34, 31
	s_sub_co_i32 s13, s33, s13
	s_xor_b32 s20, s21, s20
	s_add_co_i32 s15, s3, 1
	s_wait_alu 0xfffe
	s_sub_co_i32 s21, s14, s9
	s_cmp_ge_u32 s14, s9
	s_wait_dscnt 0x0
	s_cselect_b32 s3, s15, s3
	s_cselect_b32 s14, s21, s14
	s_wait_alu 0xfffe
	s_add_co_i32 s15, s3, 1
	s_cmp_ge_u32 s14, s9
	s_barrier_signal -1
	s_barrier_wait -1
	global_inv scope:SCOPE_SE
	s_load_b32 s9, s[10:11], 0xc
	s_cselect_b32 s3, s15, s3
	s_wait_kmcnt 0x0
	s_mul_i32 s13, s13, s6
	s_wait_alu 0xfffe
	s_xor_b32 s3, s3, s20
	s_mul_u64 s[56:57], s[48:49], s[58:59]
	s_wait_alu 0xfffe
	s_sub_co_i32 s3, s3, s20
	s_clause 0x1
	s_load_b96 s[40:42], s[0:1], 0x22c
	s_load_b64 s[52:53], s[0:1], 0x1c0
	s_mul_i32 s12, s3, s12
	s_mul_i32 s3, s3, s4
	s_sub_co_i32 s7, s7, s12
	s_clause 0x1
	s_load_b96 s[44:46], s[0:1], 0x154
	s_load_b64 s[54:55], s[0:1], 0xe8
	s_mul_i32 s5, s7, s5
	s_mul_u64 s[28:29], s[50:51], s[18:19]
	s_add_co_i32 s5, s5, s13
	v_mbcnt_lo_u32_b32 v15, -1, 0
	s_add_co_i32 s0, s5, s3
	v_cmp_gt_u32_e32 vcc_lo, 32, v0
	s_ashr_i32 s1, s0, 31
	v_dual_mov_b32 v7, 0 :: v_dual_lshlrev_b32 v16, 2, v0
	s_and_b32 s49, s9, 0xffff
	s_lshl_b64 s[0:1], s[0:1], 1
	s_lshl_b32 s51, s49, 2
	s_add_nc_u64 s[60:61], s[16:17], s[0:1]
	s_cvt_f32_u32 s3, s51
	v_cmp_gt_i32_e64 s0, 4, v15
	s_add_co_i32 s56, s49, -1
	s_bfe_u32 s1, s9, 0xb0005
	s_wait_alu 0xfffe
	v_rcp_iflag_f32_e32 v1, s3
	s_add_co_i32 s82, s56, s36
	s_and_b32 s74, vcc_lo, s0
	s_cmp_gt_i32 s36, 0x600
	v_mul_lo_u32 v5, s39, v0
	s_cselect_b32 s75, -1, 0
	s_cmp_gt_u32 s49, 31
	v_dual_mov_b32 v6, v7 :: v_dual_lshlrev_b32 v17, 1, v0
	s_cselect_b32 s76, -1, 0
	s_cmp_lt_u32 ttmp9, s8
	v_readfirstlane_b32 s4, v1
	s_cselect_b32 s58, 12, 18
	s_add_co_i32 s3, s1, -1
	s_bfe_u32 s77, s49, 0x30005
	s_wait_alu 0xfffe
	s_and_b32 s3, s3, 0xffff
	v_lshlrev_b64_e32 v[1:2], 1, v[5:6]
	s_wait_alu 0xfffe
	s_cmp_gt_u32 s3, 6
	s_mul_f32 s3, s4, 0x4f7ffffe
	s_cselect_b32 s78, -1, 0
	s_and_b32 s79, s1, 0x7f8
	s_cmp_lg_u32 s77, 0
	s_wait_alu 0xfffe
	s_cvt_u32_f32 s3, s3
	s_cselect_b32 s80, -1, 0
	s_sub_co_i32 s4, 0, s51
	v_add_co_u32 v8, vcc_lo, s60, v1
	s_wait_alu 0xfffe
	s_mul_i32 s4, s4, s3
	v_add_co_ci_u32_e64 v9, null, s61, v2, vcc_lo
	s_mul_hi_u32 s4, s3, s4
	v_lshlrev_b64_e64 v[1:2], v15, -1
	s_add_co_i32 s62, s3, s4
	s_cvt_f32_u32 s3, s49
	s_mul_hi_u32 s4, s36, s62
	v_lshrrev_b32_e32 v2, 1, v0
	s_mul_i32 s4, s4, s51
	s_wait_alu 0xfffe
	v_rcp_iflag_f32_e32 v3, s3
	s_sub_co_i32 s4, s36, s4
	v_not_b32_e32 v20, v1
	s_sub_co_i32 s5, s4, s51
	s_cmp_ge_u32 s4, s51
	v_mov_b32_e32 v32, s37
	s_cselect_b32 s4, s5, s4
	s_mov_b32 s12, s39
	s_sub_co_i32 s6, s4, s51
	s_cmp_ge_u32 s4, s51
	v_readfirstlane_b32 s5, v3
	s_cselect_b32 s9, s6, s4
	s_sub_co_i32 s6, 0, s49
	s_sub_co_i32 s81, s36, s9
	s_abs_i32 s7, s82
	s_mul_f32 s5, s5, 0x4f7ffffe
	v_add_nc_u32_e32 v19, s81, v0
	v_or_b32_e32 v3, 3, v16
	v_mad_co_u64_u32 v[12:13], null, s39, v16, s[12:13]
	s_cvt_u32_f32 s5, s5
	v_mul_lo_u32 v1, v19, s39
	v_mul_lo_u32 v24, s39, v3
	v_cmp_eq_u32_e64 s0, 0, v15
	s_mul_i32 s6, s6, s5
	v_cmp_gt_u32_e64 s1, 2, v0
	s_mul_hi_u32 s6, s5, s6
	v_dual_mov_b32 v31, 0 :: v_dual_add_nc_u32 v18, 0xc00, v17
	s_add_co_i32 s64, s5, s6
	s_movk_i32 s5, 0x1f0
	s_mul_hi_u32 s6, s7, s64
	v_and_or_b32 v21, v2, s5, 0xc00
	v_ashrrev_i32_e32 v2, 31, v1
	s_mul_i32 s6, s6, s49
	v_cmp_gt_u32_e64 s3, s36, v0
	s_sub_co_i32 s5, s7, s6
	s_ashr_i32 s7, s82, 31
	v_lshlrev_b64_e32 v[1:2], 1, v[1:2]
	s_wait_alu 0xfffe
	s_sub_co_i32 s6, s5, s49
	s_cmp_ge_u32 s5, s49
	v_cmp_gt_i32_e64 s4, s36, v0
	s_cselect_b32 s6, s6, s5
	v_cmp_gt_i32_e64 s5, s81, v16
	v_add_co_u32 v10, vcc_lo, s60, v1
	v_add3_u32 v1, s49, s36, v0
	s_sub_co_i32 s8, s6, s49
	s_cmp_ge_u32 s6, s49
	s_wait_alu 0xfffd
	v_add_co_ci_u32_e64 v11, null, s61, v2, vcc_lo
	s_cselect_b32 s8, s8, s6
	v_or_b32_e32 v2, 2, v16
	v_subrev_nc_u32_e32 v1, s9, v1
	s_xor_b32 s8, s8, s7
	v_cmp_gt_u32_e64 s6, s36, v19
	s_wait_alu 0xfffe
	s_sub_co_i32 s8, s7, s8
	v_mul_lo_u32 v23, s39, v2
	v_mul_lo_u32 v26, s39, v1
	s_wait_alu 0xfffe
	s_add_co_i32 s82, s82, s8
	v_cmp_gt_i32_e64 s7, s36, v19
	v_cmp_gt_i32_e64 s8, s82, v0
	v_dual_mov_b32 v22, 0 :: v_dual_lshlrev_b32 v25, 2, v5
	v_dual_mov_b32 v30, 0 :: v_dual_lshlrev_b32 v27, 3, v0
	v_lshl_or_b32 v28, v15, 2, 0xc00
	v_mov_b32_e32 v29, 0
	s_mul_i32 s73, s39, s49
	s_mov_b32 s63, s59
	s_mov_b32 s65, s59
	s_lshl_b32 s83, s73, 2
	s_lshl_b32 s84, s49, 3
	;; [unrolled: 1-line block ×3, first 2 shown]
	s_mov_b32 s92, 14
	s_add_nc_u64 s[66:67], s[10:11], s[58:59]
	s_mov_b32 s37, s59
                                        ; implicit-def: $sgpr89
                                        ; implicit-def: $sgpr91
                                        ; implicit-def: $sgpr86
                                        ; implicit-def: $sgpr88
                                        ; implicit-def: $sgpr90
                                        ; implicit-def: $sgpr87
	s_branch .LBB34_7
.LBB34_4:                               ;   in Loop: Header=BB34_7 Depth=1
	s_wait_alu 0xfffe
	s_or_b32 exec_lo, exec_lo, s13
	s_delay_alu instid0(SALU_CYCLE_1)
	s_and_b32 s10, s10, exec_lo
	s_and_not1_b32 s15, s15, exec_lo
	s_and_not1_b32 s14, s14, exec_lo
	s_or_not1_b32 s12, s12, exec_lo
.LBB34_5:                               ;   in Loop: Header=BB34_7 Depth=1
	s_wait_alu 0xfffe
	s_or_b32 exec_lo, exec_lo, s9
	s_delay_alu instid0(SALU_CYCLE_1)
	s_and_not1_b32 s9, s87, exec_lo
	s_and_b32 s10, s10, exec_lo
	s_and_not1_b32 s13, s88, exec_lo
	s_wait_alu 0xfffe
	s_or_b32 s87, s9, s10
	s_and_not1_b32 s9, s90, exec_lo
	s_and_b32 s10, s15, exec_lo
	s_and_b32 s14, s14, exec_lo
	s_wait_alu 0xfffe
	s_or_b32 s90, s9, s10
	s_or_b32 s88, s13, s14
	s_or_not1_b32 s13, s12, exec_lo
.LBB34_6:                               ;   in Loop: Header=BB34_7 Depth=1
	s_wait_alu 0xfffe
	s_or_b32 exec_lo, exec_lo, s11
	s_delay_alu instid0(SALU_CYCLE_1)
	s_and_b32 s9, exec_lo, s13
	v_mov_b32_e32 v32, v4
	s_wait_alu 0xfffe
	s_or_b32 s37, s9, s37
	s_and_not1_b32 s9, s86, exec_lo
	s_and_b32 s10, s87, exec_lo
	s_and_not1_b32 s11, s91, exec_lo
	s_wait_alu 0xfffe
	s_or_b32 s86, s9, s10
	s_and_b32 s9, s90, exec_lo
	s_and_not1_b32 s10, s89, exec_lo
	s_and_b32 s12, s88, exec_lo
	s_wait_alu 0xfffe
	s_or_b32 s91, s11, s9
	s_or_b32 s89, s10, s12
	s_mov_b32 s92, s21
	s_and_not1_b32 exec_lo, exec_lo, s37
	s_cbranch_execz .LBB34_229
.LBB34_7:                               ; =>This Loop Header: Depth=1
                                        ;     Child Loop BB34_12 Depth 2
                                        ;     Child Loop BB34_27 Depth 2
	;; [unrolled: 1-line block ×16, first 2 shown]
	ds_load_b64 v[1:2], v7 offset:4096
	s_wait_dscnt 0x0
	v_readfirstlane_b32 s58, v1
	s_cmp_gt_i32 s58, 0
	s_cbranch_scc1 .LBB34_34
; %bb.8:                                ;   in Loop: Header=BB34_7 Depth=1
	s_and_b32 vcc_lo, exec_lo, s75
	s_wait_alu 0xfffe
	s_cbranch_vccz .LBB34_20
; %bb.9:                                ;   in Loop: Header=BB34_7 Depth=1
	v_cmp_gt_i32_e32 vcc_lo, 0x601, v2
	s_mov_b32 s10, 0
	s_mov_b32 s9, 0
	s_cbranch_vccz .LBB34_21
; %bb.10:                               ;   in Loop: Header=BB34_7 Depth=1
	global_load_u16 v1, v[8:9], off
	s_load_u16 s11, s[66:67], 0x0
	s_mov_b32 s12, 0
	s_wait_kmcnt 0x0
	v_add_nc_u32_e32 v2, s11, v0
	s_mul_i32 s13, s39, s11
	s_delay_alu instid0(VALU_DEP_1)
	v_mul_lo_u32 v6, s39, v2
	v_mov_b32_e32 v2, v0
	s_branch .LBB34_12
.LBB34_11:                              ;   in Loop: Header=BB34_12 Depth=2
	s_wait_alu 0xfffe
	s_or_b32 exec_lo, exec_lo, s9
	v_cmp_le_i32_e32 vcc_lo, s36, v2
	v_dual_mov_b32 v1, v3 :: v_dual_add_nc_u32 v6, s13, v6
	s_or_b32 s12, vcc_lo, s12
	s_wait_alu 0xfffe
	s_and_not1_b32 exec_lo, exec_lo, s12
	s_cbranch_execz .LBB34_66
.LBB34_12:                              ;   Parent Loop BB34_7 Depth=1
                                        ; =>  This Inner Loop Header: Depth=2
	s_delay_alu instid0(VALU_DEP_1) | instskip(SKIP_3) | instid1(VALU_DEP_2)
	v_dual_mov_b32 v3, 0 :: v_dual_add_nc_u32 v2, s11, v2
	s_wait_dscnt 0x0
	v_mov_b32_e32 v4, 0
	s_mov_b32 s9, exec_lo
	v_cmpx_gt_u32_e64 s36, v2
	s_cbranch_execz .LBB34_14
; %bb.13:                               ;   in Loop: Header=BB34_12 Depth=2
	v_lshlrev_b64_e32 v[13:14], 1, v[6:7]
	s_delay_alu instid0(VALU_DEP_1) | instskip(SKIP_1) | instid1(VALU_DEP_2)
	v_add_co_u32 v13, vcc_lo, s60, v13
	s_wait_alu 0xfffd
	v_add_co_ci_u32_e64 v14, null, s61, v14, vcc_lo
	global_load_u16 v3, v[13:14], off
.LBB34_14:                              ;   in Loop: Header=BB34_12 Depth=2
	s_wait_alu 0xfffe
	s_or_b32 exec_lo, exec_lo, s9
	s_wait_loadcnt 0x0
	v_bfe_i32 v13, v1, 0, 16
	s_delay_alu instid0(VALU_DEP_1) | instskip(NEXT) | instid1(VALU_DEP_1)
	v_add_nc_u32_e32 v13, 0x8000, v13
	v_and_b32_e32 v13, v13, v30
	s_delay_alu instid0(VALU_DEP_1)
	v_cmp_eq_u32_e32 vcc_lo, v13, v22
	s_cmp_lg_u32 vcc_lo, 0
	s_cselect_b32 s9, -1, 0
	s_wait_alu 0xfffe
	s_and_b32 s9, s0, s9
	s_wait_alu 0xfffe
	s_and_saveexec_b32 s14, s9
	s_cbranch_execz .LBB34_18
; %bb.15:                               ;   in Loop: Header=BB34_12 Depth=2
	s_mov_b32 s17, exec_lo
	s_bcnt1_i32_b32 s15, vcc_lo
	s_wait_alu 0xfffe
	v_mbcnt_lo_u32_b32 v4, s17, 0
	s_mov_b32 s16, exec_lo
                                        ; implicit-def: $vgpr13
	s_delay_alu instid0(VALU_DEP_1)
	v_cmpx_eq_u32_e32 0, v4
; %bb.16:                               ;   in Loop: Header=BB34_12 Depth=2
	s_bcnt1_i32_b32 s9, s17
	s_wait_alu 0xfffe
	s_mul_i32 s9, s15, s9
	s_wait_alu 0xfffe
	v_mov_b32_e32 v13, s9
	ds_add_rtn_u32 v13, v7, v13 offset:4104
; %bb.17:                               ;   in Loop: Header=BB34_12 Depth=2
	s_or_b32 exec_lo, exec_lo, s16
	s_wait_dscnt 0x0
	v_readfirstlane_b32 s9, v13
	s_wait_alu 0xf1ff
	s_delay_alu instid0(VALU_DEP_1)
	v_mad_u32_u24 v4, s15, v4, s9
.LBB34_18:                              ;   in Loop: Header=BB34_12 Depth=2
	s_wait_alu 0xfffe
	s_or_b32 exec_lo, exec_lo, s14
	ds_bpermute_b32 v4, v7, v4
	s_and_saveexec_b32 s9, vcc_lo
	s_cbranch_execz .LBB34_11
; %bb.19:                               ;   in Loop: Header=BB34_12 Depth=2
	v_and_b32_e32 v13, vcc_lo, v20
	s_delay_alu instid0(VALU_DEP_1) | instskip(NEXT) | instid1(VALU_DEP_1)
	v_bcnt_u32_b32 v13, v13, 0
	v_lshlrev_b32_e32 v13, 1, v13
	s_wait_dscnt 0x0
	s_delay_alu instid0(VALU_DEP_1)
	v_lshl_add_u32 v4, v4, 1, v13
	ds_store_b16 v4, v1
	s_branch .LBB34_11
.LBB34_20:                              ;   in Loop: Header=BB34_7 Depth=1
	s_mov_b32 s10, -1
	s_mov_b32 s9, 0
.LBB34_21:                              ;   in Loop: Header=BB34_7 Depth=1
	s_wait_alu 0xfffe
	s_and_b32 vcc_lo, exec_lo, s10
	s_wait_alu 0xfffe
	s_cbranch_vccz .LBB34_32
.LBB34_22:                              ;   in Loop: Header=BB34_7 Depth=1
	v_mov_b32_e32 v1, 0
	s_and_saveexec_b32 s9, s3
	s_cbranch_execz .LBB34_24
; %bb.23:                               ;   in Loop: Header=BB34_7 Depth=1
	global_load_u16 v1, v[8:9], off
.LBB34_24:                              ;   in Loop: Header=BB34_7 Depth=1
	s_wait_alu 0xfffe
	s_or_b32 exec_lo, exec_lo, s9
	s_and_saveexec_b32 s9, s4
	s_cbranch_execz .LBB34_29
; %bb.25:                               ;   in Loop: Header=BB34_7 Depth=1
	s_load_u16 s10, s[66:67], 0x0
	s_mov_b32 s13, 0
	s_wait_kmcnt 0x0
	v_dual_mov_b32 v3, v0 :: v_dual_add_nc_u32 v2, s10, v0
	s_lshl_b32 s11, s10, 1
	s_mul_i32 s12, s39, s10
	s_delay_alu instid0(VALU_DEP_1)
	v_mul_lo_u32 v6, s39, v2
	v_mov_b32_e32 v2, v17
	s_branch .LBB34_27
.LBB34_26:                              ;   in Loop: Header=BB34_27 Depth=2
	s_wait_alu 0xfffe
	s_or_b32 exec_lo, exec_lo, s14
	v_cmp_le_i32_e32 vcc_lo, s36, v3
	s_wait_loadcnt 0x0
	ds_store_b16 v2, v1
	v_dual_mov_b32 v1, v4 :: v_dual_add_nc_u32 v2, s11, v2
	v_add_nc_u32_e32 v6, s12, v6
	s_or_b32 s13, vcc_lo, s13
	s_wait_alu 0xfffe
	s_and_not1_b32 exec_lo, exec_lo, s13
	s_cbranch_execz .LBB34_29
.LBB34_27:                              ;   Parent Loop BB34_7 Depth=1
                                        ; =>  This Inner Loop Header: Depth=2
	v_dual_mov_b32 v4, 0 :: v_dual_add_nc_u32 v3, s10, v3
	s_mov_b32 s14, exec_lo
	s_delay_alu instid0(VALU_DEP_1)
	v_cmpx_gt_u32_e64 s36, v3
	s_cbranch_execz .LBB34_26
; %bb.28:                               ;   in Loop: Header=BB34_27 Depth=2
	s_delay_alu instid0(VALU_DEP_4) | instskip(NEXT) | instid1(VALU_DEP_1)
	v_lshlrev_b64_e32 v[13:14], 1, v[6:7]
	v_add_co_u32 v13, vcc_lo, s60, v13
	s_wait_alu 0xfffd
	s_delay_alu instid0(VALU_DEP_2)
	v_add_co_ci_u32_e64 v14, null, s61, v14, vcc_lo
	global_load_u16 v4, v[13:14], off
	s_branch .LBB34_26
.LBB34_29:                              ;   in Loop: Header=BB34_7 Depth=1
	s_wait_alu 0xfffe
	s_or_b32 exec_lo, exec_lo, s9
	s_wait_loadcnt_dscnt 0x0
	s_barrier_signal -1
	s_barrier_wait -1
	global_inv scope:SCOPE_SE
	s_and_saveexec_b32 s9, s2
; %bb.30:                               ;   in Loop: Header=BB34_7 Depth=1
	v_mov_b32_e32 v1, s36
	ds_store_b32 v7, v1 offset:4096
; %bb.31:                               ;   in Loop: Header=BB34_7 Depth=1
	s_wait_alu 0xfffe
	s_or_b32 exec_lo, exec_lo, s9
	s_mov_b32 s9, -1
	s_wait_loadcnt_dscnt 0x0
	s_barrier_signal -1
	s_barrier_wait -1
.LBB34_32:                              ;   in Loop: Header=BB34_7 Depth=1
	s_wait_alu 0xfffe
	s_and_b32 vcc_lo, exec_lo, s9
	s_wait_alu 0xfffe
	s_cbranch_vccz .LBB34_34
; %bb.33:                               ;   in Loop: Header=BB34_7 Depth=1
	s_wait_loadcnt 0x0
	global_inv scope:SCOPE_SE
	ds_load_b32 v1, v7 offset:4096
	s_wait_dscnt 0x0
	v_readfirstlane_b32 s58, v1
.LBB34_34:                              ;   in Loop: Header=BB34_7 Depth=1
	s_delay_alu instid0(VALU_DEP_1)
	s_cmp_lt_i32 s58, 1
	s_mov_b32 s9, -1
                                        ; implicit-def: $vgpr1
	s_cbranch_scc1 .LBB34_44
; %bb.35:                               ;   in Loop: Header=BB34_7 Depth=1
	s_wait_alu 0xfffe
	s_and_b32 vcc_lo, exec_lo, s9
	s_wait_alu 0xfffe
	s_cbranch_vccnz .LBB34_57
.LBB34_36:                              ;   in Loop: Header=BB34_7 Depth=1
	v_lshlrev_b32_e32 v6, 7, v29
	s_and_saveexec_b32 s9, s0
.LBB34_37:                              ;   in Loop: Header=BB34_7 Depth=1
	s_delay_alu instid0(VALU_DEP_1)
	v_lshl_add_u32 v13, v6, 2, v21
	ds_store_b128 v13, v[1:4]
.LBB34_38:                              ;   in Loop: Header=BB34_7 Depth=1
	s_wait_alu 0xfffe
	s_or_b32 exec_lo, exec_lo, s9
	s_wait_loadcnt_dscnt 0x0
	s_barrier_signal -1
	s_barrier_wait -1
	global_inv scope:SCOPE_SE
	s_and_saveexec_b32 s9, s74
	s_cbranch_execz .LBB34_73
; %bb.39:                               ;   in Loop: Header=BB34_7 Depth=1
	v_mov_b32_e32 v1, 0
	s_and_not1_b32 vcc_lo, exec_lo, s76
	s_wait_alu 0xfffe
	s_cbranch_vccnz .LBB34_72
; %bb.40:                               ;   in Loop: Header=BB34_7 Depth=1
	s_and_not1_b32 vcc_lo, exec_lo, s78
	s_wait_alu 0xfffe
	s_cbranch_vccnz .LBB34_69
; %bb.41:                               ;   in Loop: Header=BB34_7 Depth=1
	v_lshl_add_u32 v2, v29, 9, v28
	v_mov_b32_e32 v1, 0
	s_mov_b32 s10, 0
.LBB34_42:                              ;   Parent Loop BB34_7 Depth=1
                                        ; =>  This Inner Loop Header: Depth=2
	ds_load_2addr_b32 v[3:4], v2 offset1:4
	ds_load_2addr_b32 v[13:14], v2 offset0:8 offset1:12
	ds_load_2addr_b32 v[33:34], v2 offset0:16 offset1:20
	;; [unrolled: 1-line block ×3, first 2 shown]
	v_add_nc_u32_e32 v2, 0x80, v2
	s_wait_alu 0xfffe
	s_add_co_i32 s10, s10, 8
	s_wait_alu 0xfffe
	s_cmp_eq_u32 s79, s10
	s_wait_dscnt 0x3
	v_add3_u32 v1, v3, v1, v4
	s_wait_dscnt 0x2
	s_delay_alu instid0(VALU_DEP_1) | instskip(SKIP_1) | instid1(VALU_DEP_1)
	v_add3_u32 v1, v13, v1, v14
	s_wait_dscnt 0x1
	v_add3_u32 v1, v33, v1, v34
	s_wait_dscnt 0x0
	s_delay_alu instid0(VALU_DEP_1)
	v_add3_u32 v1, v35, v1, v36
	s_cbranch_scc0 .LBB34_42
; %bb.43:                               ;   in Loop: Header=BB34_7 Depth=1
	s_mov_b32 s10, s79
	s_and_not1_b32 vcc_lo, exec_lo, s80
	s_wait_alu 0xfffe
	s_cbranch_vccz .LBB34_70
	s_branch .LBB34_72
.LBB34_44:                              ;   in Loop: Header=BB34_7 Depth=1
	v_dual_mov_b32 v1, 0 :: v_dual_mov_b32 v2, 0
	v_dual_mov_b32 v3, 0 :: v_dual_mov_b32 v4, 0
	s_and_saveexec_b32 s93, s5
	s_cbranch_execnz .LBB34_47
; %bb.45:                               ;   in Loop: Header=BB34_7 Depth=1
	s_wait_alu 0xfffe
	s_or_b32 exec_lo, exec_lo, s93
	v_mov_b32_e32 v33, 0
	s_and_saveexec_b32 s9, s6
	s_cbranch_execnz .LBB34_50
.LBB34_46:                              ;   in Loop: Header=BB34_7 Depth=1
	s_wait_alu 0xfffe
	s_or_b32 exec_lo, exec_lo, s9
	s_and_saveexec_b32 s13, s7
	s_cbranch_execnz .LBB34_51
	s_branch .LBB34_56
.LBB34_47:                              ;   in Loop: Header=BB34_7 Depth=1
	v_mov_b32_e32 v6, v16
	s_mov_b32 s94, 0
	s_mov_b32 s95, 0
	s_mov_b32 s96, 0
	s_mov_b32 s97, 0
	s_mov_b32 s98, 0
	s_mov_b32 s99, 0
.LBB34_48:                              ;   Parent Loop BB34_7 Depth=1
                                        ; =>  This Inner Loop Header: Depth=2
	s_wait_alu 0xfffe
	v_add_nc_u32_e32 v1, s95, v25
	v_add_nc_u32_e32 v3, s95, v12
	;; [unrolled: 1-line block ×4, first 2 shown]
	s_add_co_i32 s95, s95, s83
	v_ashrrev_i32_e32 v2, 31, v1
	v_ashrrev_i32_e32 v4, 31, v3
	;; [unrolled: 1-line block ×4, first 2 shown]
	s_delay_alu instid0(VALU_DEP_4) | instskip(NEXT) | instid1(VALU_DEP_4)
	v_lshlrev_b64_e32 v[1:2], 1, v[1:2]
	v_lshlrev_b64_e32 v[3:4], 1, v[3:4]
	s_delay_alu instid0(VALU_DEP_4) | instskip(NEXT) | instid1(VALU_DEP_4)
	v_lshlrev_b64_e32 v[13:14], 1, v[13:14]
	v_lshlrev_b64_e32 v[33:34], 1, v[33:34]
	s_delay_alu instid0(VALU_DEP_4)
	v_add_co_u32 v1, vcc_lo, s60, v1
	s_wait_alu 0xfffd
	v_add_co_ci_u32_e64 v2, null, s61, v2, vcc_lo
	v_add_co_u32 v3, vcc_lo, s60, v3
	s_wait_alu 0xfffd
	v_add_co_ci_u32_e64 v4, null, s61, v4, vcc_lo
	;; [unrolled: 3-line block ×4, first 2 shown]
	s_clause 0x3
	global_load_i16 v1, v[1:2], off
	global_load_i16 v2, v[3:4], off
	;; [unrolled: 1-line block ×4, first 2 shown]
	s_wait_loadcnt 0x3
	v_add_nc_u32_e32 v1, 0x8000, v1
	s_wait_loadcnt 0x2
	v_add_nc_u32_e32 v2, 0x8000, v2
	;; [unrolled: 2-line block ×4, first 2 shown]
	v_and_b32_e32 v13, v1, v30
	v_bfe_u32 v1, v1, s92, 2
	v_and_b32_e32 v14, v2, v30
	v_bfe_u32 v2, v2, s92, 2
	;; [unrolled: 2-line block ×3, first 2 shown]
	v_cmp_eq_u32_e64 s9, v13, v22
	v_cmp_eq_u32_e64 s13, 0, v1
	v_and_b32_e32 v34, v4, v30
	v_bfe_u32 v4, v4, s92, 2
	v_cmp_eq_u32_e64 s10, v14, v22
	v_cmp_eq_u32_e64 s14, 0, v2
	;; [unrolled: 1-line block ×4, first 2 shown]
	s_and_b32 s13, s9, s13
	v_cmp_eq_u32_e64 s12, v34, v22
	v_cmp_eq_u32_e64 s16, 0, v4
	;; [unrolled: 1-line block ×5, first 2 shown]
	s_wait_alu 0xfffe
	v_cndmask_b32_e64 v1, 0, 1, s13
	s_and_b32 s13, s10, s14
	v_cmp_eq_u32_e64 s18, 1, v2
	v_cmp_eq_u32_e64 s22, 2, v2
	v_cmp_eq_u32_e64 s26, 3, v2
	s_wait_alu 0xfffe
	v_cndmask_b32_e64 v2, 0, 1, s13
	s_and_b32 s13, s11, s15
	v_cmp_eq_u32_e64 s19, 1, v3
	v_cmp_eq_u32_e64 s23, 2, v3
	v_cmp_eq_u32_e64 s27, 3, v3
	;; [unrolled: 6-line block ×3, first 2 shown]
	s_wait_alu 0xfffe
	v_cndmask_b32_e64 v4, 0, 1, s13
	s_and_b32 s13, s9, s17
	s_wait_alu 0xfffe
	v_cndmask_b32_e64 v13, 0, 1, s13
	s_and_b32 s13, s10, s18
	;; [unrolled: 3-line block ×4, first 2 shown]
	v_cmp_ne_u32_e64 s14, 0, v14
	s_wait_alu 0xfffe
	v_cndmask_b32_e64 v34, 0, 1, s13
	s_and_b32 s13, s9, s21
	s_and_b32 s9, s9, s25
	s_wait_alu 0xfffe
	v_cndmask_b32_e64 v35, 0, 1, s13
	v_cndmask_b32_e64 v39, 0, 1, s9
	s_and_b32 s9, s10, s26
	s_and_b32 s13, s10, s22
	s_wait_alu 0xfffe
	v_cndmask_b32_e64 v40, 0, 1, s9
	s_and_b32 s9, s11, s27
	v_cndmask_b32_e64 v36, 0, 1, s13
	s_wait_alu 0xfffe
	v_cndmask_b32_e64 v41, 0, 1, s9
	s_and_b32 s9, s12, s28
	s_and_b32 s13, s11, s23
	s_wait_alu 0xfffe
	v_cndmask_b32_e64 v42, 0, 1, s9
	v_cmp_ne_u32_e64 s9, 0, v1
	v_cmp_ne_u32_e64 s10, 0, v2
	v_cndmask_b32_e64 v37, 0, 1, s13
	s_and_b32 s13, s12, s24
	v_cmp_ne_u32_e64 s11, 0, v3
	s_wait_alu 0xfffe
	v_cndmask_b32_e64 v38, 0, 1, s13
	v_cmp_ne_u32_e64 s13, 0, v13
	v_cmp_ne_u32_e64 s17, 0, v35
	;; [unrolled: 1-line block ×3, first 2 shown]
	s_bcnt1_i32_b32 s9, s9
	v_cmp_ne_u32_e64 s12, 0, v4
	v_cmp_ne_u32_e64 s18, 0, v36
	;; [unrolled: 1-line block ×3, first 2 shown]
	s_bcnt1_i32_b32 s10, s10
	s_wait_alu 0xfffe
	s_add_co_i32 s9, s9, s99
	v_cmp_ne_u32_e64 s15, 0, v33
	v_cmp_ne_u32_e64 s19, 0, v37
	;; [unrolled: 1-line block ×3, first 2 shown]
	s_bcnt1_i32_b32 s11, s11
	s_wait_alu 0xfffe
	s_add_co_i32 s9, s9, s10
	s_bcnt1_i32_b32 s13, s13
	s_bcnt1_i32_b32 s17, s17
	;; [unrolled: 1-line block ×3, first 2 shown]
	v_cmp_ne_u32_e64 s16, 0, v34
	v_cmp_ne_u32_e64 s20, 0, v38
	;; [unrolled: 1-line block ×3, first 2 shown]
	s_bcnt1_i32_b32 s12, s12
	s_wait_alu 0xfffe
	s_add_co_i32 s9, s9, s11
	s_bcnt1_i32_b32 s14, s14
	s_bcnt1_i32_b32 s18, s18
	;; [unrolled: 1-line block ×3, first 2 shown]
	s_add_co_i32 s13, s13, s98
	s_add_co_i32 s17, s17, s97
	s_add_co_i32 s21, s21, s96
	s_wait_alu 0xfffe
	s_add_co_i32 s99, s9, s12
	s_wait_alu 0xfffe
	v_dual_mov_b32 v1, s99 :: v_dual_add_nc_u32 v6, s51, v6
	s_bcnt1_i32_b32 s15, s15
	s_bcnt1_i32_b32 s19, s19
	;; [unrolled: 1-line block ×3, first 2 shown]
	s_add_co_i32 s10, s13, s14
	s_add_co_i32 s13, s17, s18
	;; [unrolled: 1-line block ×3, first 2 shown]
	s_bcnt1_i32_b32 s16, s16
	s_bcnt1_i32_b32 s20, s20
	;; [unrolled: 1-line block ×3, first 2 shown]
	s_wait_alu 0xfffe
	s_add_co_i32 s10, s10, s15
	s_add_co_i32 s11, s13, s19
	;; [unrolled: 1-line block ×3, first 2 shown]
	v_cmp_le_i32_e32 vcc_lo, s81, v6
	s_wait_alu 0xfffe
	s_add_co_i32 s98, s10, s16
	s_add_co_i32 s97, s11, s20
	;; [unrolled: 1-line block ×3, first 2 shown]
	s_wait_alu 0xfffe
	v_dual_mov_b32 v2, s98 :: v_dual_mov_b32 v3, s97
	v_mov_b32_e32 v4, s96
	s_or_b32 s94, vcc_lo, s94
	s_wait_alu 0xfffe
	s_and_not1_b32 exec_lo, exec_lo, s94
	s_cbranch_execnz .LBB34_48
; %bb.49:                               ;   in Loop: Header=BB34_7 Depth=1
	s_or_b32 exec_lo, exec_lo, s94
	s_delay_alu instid0(SALU_CYCLE_1)
	s_or_b32 exec_lo, exec_lo, s93
	v_mov_b32_e32 v33, 0
	s_and_saveexec_b32 s9, s6
	s_cbranch_execz .LBB34_46
.LBB34_50:                              ;   in Loop: Header=BB34_7 Depth=1
	global_load_u16 v33, v[10:11], off
	s_wait_alu 0xfffe
	s_or_b32 exec_lo, exec_lo, s9
	s_and_saveexec_b32 s13, s7
	s_cbranch_execz .LBB34_56
.LBB34_51:                              ;   in Loop: Header=BB34_7 Depth=1
	v_dual_mov_b32 v13, v26 :: v_dual_mov_b32 v6, v19
	s_mov_b32 s14, 0
	s_branch .LBB34_53
.LBB34_52:                              ;   in Loop: Header=BB34_53 Depth=2
	s_wait_alu 0xfffe
	s_or_b32 exec_lo, exec_lo, s9
	s_wait_loadcnt 0x0
	v_bfe_i32 v33, v33, 0, 16
	v_add_nc_u32_e32 v13, s73, v13
	s_delay_alu instid0(VALU_DEP_2) | instskip(NEXT) | instid1(VALU_DEP_1)
	v_add_nc_u32_e32 v33, 0x8000, v33
	v_and_b32_e32 v34, v33, v30
	v_bfe_u32 v33, v33, s92, 2
	s_delay_alu instid0(VALU_DEP_2) | instskip(NEXT) | instid1(VALU_DEP_2)
	v_cmp_eq_u32_e32 vcc_lo, v34, v22
	v_cmp_eq_u32_e64 s9, 0, v33
	v_cmp_eq_u32_e64 s10, 1, v33
	;; [unrolled: 1-line block ×4, first 2 shown]
	s_and_b32 s9, vcc_lo, s9
	s_wait_alu 0xfffe
	v_cndmask_b32_e64 v33, 0, 1, s9
	s_and_b32 s9, vcc_lo, s10
	s_wait_alu 0xfffe
	v_cndmask_b32_e64 v34, 0, 1, s9
	;; [unrolled: 3-line block ×3, first 2 shown]
	s_and_b32 s9, vcc_lo, s12
	v_cmp_ne_u32_e32 vcc_lo, 0, v33
	s_wait_alu 0xfffe
	v_cndmask_b32_e64 v36, 0, 1, s9
	v_cmp_ne_u32_e64 s9, 0, v34
	v_cmp_ne_u32_e64 s10, 0, v35
	v_cmp_le_i32_e64 s12, s36, v6
	s_bcnt1_i32_b32 s15, vcc_lo
	v_cmp_ne_u32_e64 s11, 0, v36
	s_bcnt1_i32_b32 s9, s9
	s_bcnt1_i32_b32 s10, s10
	s_wait_alu 0xfffe
	v_add_nc_u32_e32 v1, s15, v1
	v_add_nc_u32_e32 v2, s9, v2
	s_bcnt1_i32_b32 s11, s11
	v_add_nc_u32_e32 v3, s10, v3
	s_wait_alu 0xfffe
	v_dual_mov_b32 v33, v14 :: v_dual_add_nc_u32 v4, s11, v4
	s_or_b32 s14, s12, s14
	s_wait_alu 0xfffe
	s_and_not1_b32 exec_lo, exec_lo, s14
	s_cbranch_execz .LBB34_55
.LBB34_53:                              ;   Parent Loop BB34_7 Depth=1
                                        ; =>  This Inner Loop Header: Depth=2
	s_delay_alu instid0(VALU_DEP_1) | instskip(SKIP_2) | instid1(VALU_DEP_2)
	v_add_nc_u32_e32 v6, s49, v6
	v_mov_b32_e32 v14, 0
	s_mov_b32 s9, exec_lo
	v_cmpx_gt_u32_e64 s36, v6
	s_cbranch_execz .LBB34_52
; %bb.54:                               ;   in Loop: Header=BB34_53 Depth=2
	v_ashrrev_i32_e32 v14, 31, v13
	s_delay_alu instid0(VALU_DEP_1) | instskip(NEXT) | instid1(VALU_DEP_1)
	v_lshlrev_b64_e32 v[34:35], 1, v[13:14]
	v_add_co_u32 v34, vcc_lo, s60, v34
	s_wait_alu 0xfffd
	s_delay_alu instid0(VALU_DEP_2)
	v_add_co_ci_u32_e64 v35, null, s61, v35, vcc_lo
	global_load_u16 v14, v[34:35], off
	s_branch .LBB34_52
.LBB34_55:                              ;   in Loop: Header=BB34_7 Depth=1
	s_or_b32 exec_lo, exec_lo, s14
.LBB34_56:                              ;   in Loop: Header=BB34_7 Depth=1
	s_wait_alu 0xfffe
	s_or_b32 exec_lo, exec_lo, s13
	s_branch .LBB34_36
.LBB34_57:                              ;   in Loop: Header=BB34_7 Depth=1
	s_mul_u64 s[10:11], s[58:59], s[62:63]
	v_dual_mov_b32 v1, 0 :: v_dual_mov_b32 v2, 0
	s_wait_alu 0xfffe
	s_mul_i32 s9, s11, s51
	v_dual_mov_b32 v3, 0 :: v_dual_mov_b32 v4, 0
	s_wait_alu 0xfffe
	s_sub_co_i32 s9, s58, s9
	s_mov_b32 s94, exec_lo
	s_wait_alu 0xfffe
	s_sub_co_i32 s10, s9, s51
	s_cmp_ge_u32 s9, s51
	s_wait_alu 0xfffe
	s_cselect_b32 s9, s10, s9
	s_wait_alu 0xfffe
	s_sub_co_i32 s10, s9, s51
	s_cmp_ge_u32 s9, s51
	s_wait_alu 0xfffe
	s_cselect_b32 s9, s10, s9
	s_wait_alu 0xfffe
	s_sub_co_i32 s93, s58, s9
	s_wait_alu 0xfffe
	v_cmpx_gt_u32_e64 s93, v16
	s_cbranch_execz .LBB34_61
; %bb.58:                               ;   in Loop: Header=BB34_7 Depth=1
	v_dual_mov_b32 v6, v27 :: v_dual_mov_b32 v13, v16
	s_mov_b32 s95, 0
	s_mov_b32 s96, 0
	;; [unrolled: 1-line block ×5, first 2 shown]
.LBB34_59:                              ;   Parent Loop BB34_7 Depth=1
                                        ; =>  This Inner Loop Header: Depth=2
	ds_load_b64 v[1:2], v6
	s_wait_dscnt 0x0
	v_bfe_i32 v3, v1, 0, 16
	v_ashrrev_i32_e32 v1, 16, v1
	v_bfe_i32 v4, v2, 0, 16
	v_ashrrev_i32_e32 v2, 16, v2
	s_delay_alu instid0(VALU_DEP_4) | instskip(NEXT) | instid1(VALU_DEP_4)
	v_add_nc_u32_e32 v3, 0x8000, v3
	v_add_nc_u32_e32 v1, 0x8000, v1
	s_delay_alu instid0(VALU_DEP_4) | instskip(NEXT) | instid1(VALU_DEP_4)
	v_add_nc_u32_e32 v4, 0x8000, v4
	v_add_nc_u32_e32 v2, 0x8000, v2
	s_delay_alu instid0(VALU_DEP_4)
	v_and_b32_e32 v14, v3, v30
	v_bfe_u32 v3, v3, s92, 2
	s_wait_loadcnt 0x0
	v_and_b32_e32 v33, v1, v30
	v_bfe_u32 v1, v1, s92, 2
	v_and_b32_e32 v34, v4, v30
	v_bfe_u32 v4, v4, s92, 2
	v_cmp_eq_u32_e64 s9, v14, v22
	v_cmp_eq_u32_e64 s13, 0, v3
	v_and_b32_e32 v35, v2, v30
	v_bfe_u32 v2, v2, s92, 2
	v_cmp_eq_u32_e64 s10, v33, v22
	v_cmp_eq_u32_e64 s14, 0, v1
	;; [unrolled: 1-line block ×4, first 2 shown]
	s_and_b32 s13, s9, s13
	v_cmp_eq_u32_e64 s12, v35, v22
	v_cmp_eq_u32_e64 s16, 0, v2
	;; [unrolled: 1-line block ×5, first 2 shown]
	s_wait_alu 0xfffe
	v_cndmask_b32_e64 v1, 0, 1, s13
	s_and_b32 s13, s10, s14
	v_cmp_eq_u32_e64 s17, 1, v3
	v_cmp_eq_u32_e64 s20, 1, v2
	;; [unrolled: 1-line block ×4, first 2 shown]
	s_wait_alu 0xfffe
	v_cndmask_b32_e64 v2, 0, 1, s13
	s_and_b32 s13, s11, s15
	v_cmp_eq_u32_e64 s21, 2, v3
	v_cmp_eq_u32_e64 s25, 3, v3
	s_wait_alu 0xfffe
	v_cndmask_b32_e64 v3, 0, 1, s13
	s_and_b32 s13, s12, s16
	v_cmp_eq_u32_e64 s19, 1, v4
	v_cmp_eq_u32_e64 s23, 2, v4
	;; [unrolled: 1-line block ×3, first 2 shown]
	s_wait_alu 0xfffe
	v_cndmask_b32_e64 v4, 0, 1, s13
	s_and_b32 s13, s9, s17
	s_wait_alu 0xfffe
	v_cndmask_b32_e64 v14, 0, 1, s13
	s_and_b32 s13, s10, s18
	;; [unrolled: 3-line block ×4, first 2 shown]
	v_cmp_ne_u32_e64 s14, 0, v33
	s_wait_alu 0xfffe
	v_cndmask_b32_e64 v35, 0, 1, s13
	s_and_b32 s13, s9, s21
	s_and_b32 s9, s9, s25
	s_wait_alu 0xfffe
	v_cndmask_b32_e64 v36, 0, 1, s13
	s_and_b32 s13, s10, s22
	v_cndmask_b32_e64 v40, 0, 1, s9
	s_and_b32 s9, s10, s26
	s_wait_alu 0xfffe
	v_cndmask_b32_e64 v37, 0, 1, s13
	s_and_b32 s13, s11, s23
	v_cndmask_b32_e64 v41, 0, 1, s9
	;; [unrolled: 5-line block ×3, first 2 shown]
	s_and_b32 s9, s12, s28
	s_wait_alu 0xfffe
	v_cndmask_b32_e64 v39, 0, 1, s13
	v_cndmask_b32_e64 v43, 0, 1, s9
	v_cmp_ne_u32_e64 s9, 0, v1
	v_cmp_ne_u32_e64 s13, 0, v14
	;; [unrolled: 1-line block ×6, first 2 shown]
	s_bcnt1_i32_b32 s9, s9
	s_bcnt1_i32_b32 s13, s13
	v_cmp_ne_u32_e64 s16, 0, v35
	v_cmp_ne_u32_e64 s18, 0, v37
	;; [unrolled: 1-line block ×3, first 2 shown]
	s_bcnt1_i32_b32 s10, s10
	s_bcnt1_i32_b32 s14, s14
	s_wait_alu 0xfffe
	s_add_co_i32 s9, s9, s99
	s_add_co_i32 s13, s13, s98
	v_cmp_ne_u32_e64 s11, 0, v3
	v_cmp_ne_u32_e64 s19, 0, v38
	;; [unrolled: 1-line block ×3, first 2 shown]
	s_bcnt1_i32_b32 s15, s15
	s_wait_alu 0xfffe
	s_add_co_i32 s9, s9, s10
	s_add_co_i32 s10, s13, s14
	s_bcnt1_i32_b32 s17, s17
	s_bcnt1_i32_b32 s21, s21
	v_cmp_ne_u32_e64 s12, 0, v4
	v_cmp_ne_u32_e64 s20, 0, v39
	;; [unrolled: 1-line block ×3, first 2 shown]
	s_bcnt1_i32_b32 s16, s16
	s_wait_alu 0xfffe
	s_add_co_i32 s10, s10, s15
	s_bcnt1_i32_b32 s18, s18
	s_bcnt1_i32_b32 s22, s22
	s_add_co_i32 s17, s17, s97
	s_add_co_i32 s21, s21, s96
	s_wait_alu 0xfffe
	s_add_co_i32 s98, s10, s16
	s_wait_alu 0xfffe
	v_dual_mov_b32 v2, s98 :: v_dual_add_nc_u32 v13, s51, v13
	s_bcnt1_i32_b32 s11, s11
	s_bcnt1_i32_b32 s19, s19
	;; [unrolled: 1-line block ×3, first 2 shown]
	s_add_co_i32 s13, s17, s18
	s_add_co_i32 s14, s21, s22
	s_bcnt1_i32_b32 s12, s12
	s_bcnt1_i32_b32 s20, s20
	;; [unrolled: 1-line block ×3, first 2 shown]
	s_wait_alu 0xfffe
	s_add_co_i32 s9, s9, s11
	s_add_co_i32 s11, s13, s19
	;; [unrolled: 1-line block ×3, first 2 shown]
	v_cmp_le_i32_e32 vcc_lo, s93, v13
	s_wait_alu 0xfffe
	s_add_co_i32 s99, s9, s12
	s_add_co_i32 s97, s11, s20
	;; [unrolled: 1-line block ×3, first 2 shown]
	s_wait_alu 0xfffe
	v_dual_mov_b32 v1, s99 :: v_dual_add_nc_u32 v6, s84, v6
	v_dual_mov_b32 v3, s97 :: v_dual_mov_b32 v4, s96
	s_or_b32 s95, vcc_lo, s95
	s_wait_alu 0xfffe
	s_and_not1_b32 exec_lo, exec_lo, s95
	s_cbranch_execnz .LBB34_59
; %bb.60:                               ;   in Loop: Header=BB34_7 Depth=1
	s_or_b32 exec_lo, exec_lo, s95
.LBB34_61:                              ;   in Loop: Header=BB34_7 Depth=1
	s_delay_alu instid0(SALU_CYCLE_1) | instskip(SKIP_2) | instid1(VALU_DEP_1)
	s_or_b32 exec_lo, exec_lo, s94
	v_add_nc_u32_e32 v6, s93, v0
	s_mov_b32 s14, exec_lo
	v_cmpx_gt_i32_e64 s58, v6
	s_cbranch_execz .LBB34_65
; %bb.62:                               ;   in Loop: Header=BB34_7 Depth=1
	v_lshlrev_b32_e32 v13, 1, v6
	s_mov_b32 s15, 0
.LBB34_63:                              ;   Parent Loop BB34_7 Depth=1
                                        ; =>  This Inner Loop Header: Depth=2
	ds_load_i16 v14, v13
	v_add_nc_u32_e32 v6, s49, v6
	v_add_nc_u32_e32 v13, s85, v13
	s_delay_alu instid0(VALU_DEP_2) | instskip(SKIP_3) | instid1(VALU_DEP_1)
	v_cmp_le_i32_e32 vcc_lo, s58, v6
	s_wait_dscnt 0x0
	v_add_nc_u32_e32 v14, 0x8000, v14
	s_wait_loadcnt 0x0
	v_and_b32_e32 v33, v14, v30
	v_bfe_u32 v14, v14, s92, 2
	s_delay_alu instid0(VALU_DEP_2) | instskip(NEXT) | instid1(VALU_DEP_2)
	v_cmp_eq_u32_e64 s9, v33, v22
	v_cmp_eq_u32_e64 s10, 0, v14
	;; [unrolled: 1-line block ×5, first 2 shown]
	s_and_b32 s10, s9, s10
	s_wait_alu 0xfffe
	v_cndmask_b32_e64 v14, 0, 1, s10
	s_and_b32 s10, s9, s11
	s_wait_alu 0xfffe
	v_cndmask_b32_e64 v33, 0, 1, s10
	s_and_b32 s10, s9, s12
	s_and_b32 s9, s9, s13
	s_wait_alu 0xfffe
	v_cndmask_b32_e64 v34, 0, 1, s10
	v_cndmask_b32_e64 v35, 0, 1, s9
	v_cmp_ne_u32_e64 s9, 0, v14
	v_cmp_ne_u32_e64 s10, 0, v33
	s_delay_alu instid0(VALU_DEP_4) | instskip(NEXT) | instid1(VALU_DEP_4)
	v_cmp_ne_u32_e64 s11, 0, v34
	v_cmp_ne_u32_e64 s12, 0, v35
	s_bcnt1_i32_b32 s9, s9
	s_bcnt1_i32_b32 s10, s10
	s_wait_alu 0xfffe
	v_add_nc_u32_e32 v1, s9, v1
	s_bcnt1_i32_b32 s11, s11
	s_bcnt1_i32_b32 s12, s12
	v_add_nc_u32_e32 v2, s10, v2
	s_wait_alu 0xfffe
	v_add_nc_u32_e32 v3, s11, v3
	v_add_nc_u32_e32 v4, s12, v4
	s_or_b32 s15, vcc_lo, s15
	s_wait_alu 0xfffe
	s_and_not1_b32 exec_lo, exec_lo, s15
	s_cbranch_execnz .LBB34_63
; %bb.64:                               ;   in Loop: Header=BB34_7 Depth=1
	s_or_b32 exec_lo, exec_lo, s15
.LBB34_65:                              ;   in Loop: Header=BB34_7 Depth=1
	s_wait_alu 0xfffe
	s_or_b32 exec_lo, exec_lo, s14
	v_lshlrev_b32_e32 v6, 7, v29
	s_and_saveexec_b32 s9, s0
	s_cbranch_execnz .LBB34_37
	s_branch .LBB34_38
.LBB34_66:                              ;   in Loop: Header=BB34_7 Depth=1
	s_or_b32 exec_lo, exec_lo, s12
	s_wait_dscnt 0x0
	s_barrier_signal -1
	s_barrier_wait -1
	global_inv scope:SCOPE_SE
	s_and_saveexec_b32 s9, s2
	s_cbranch_execz .LBB34_68
; %bb.67:                               ;   in Loop: Header=BB34_7 Depth=1
	ds_load_b32 v1, v7 offset:4104
	s_wait_dscnt 0x0
	ds_store_b32 v7, v1 offset:4096
.LBB34_68:                              ;   in Loop: Header=BB34_7 Depth=1
	s_wait_alu 0xfffe
	s_or_b32 exec_lo, exec_lo, s9
	s_wait_loadcnt_dscnt 0x0
	s_barrier_signal -1
	s_mov_b32 s9, -1
	s_barrier_wait -1
	s_and_b32 vcc_lo, exec_lo, s10
	s_wait_alu 0xfffe
	s_cbranch_vccnz .LBB34_22
	s_branch .LBB34_32
.LBB34_69:                              ;   in Loop: Header=BB34_7 Depth=1
	v_mov_b32_e32 v1, 0
	s_mov_b32 s10, 0
	s_and_not1_b32 vcc_lo, exec_lo, s80
	s_wait_alu 0xfffe
	s_cbranch_vccnz .LBB34_72
.LBB34_70:                              ;   in Loop: Header=BB34_7 Depth=1
	v_lshlrev_b32_e32 v2, 9, v29
	s_lshl_b32 s10, s10, 4
	s_wait_alu 0xfffe
	s_delay_alu instid0(VALU_DEP_1)
	v_add3_u32 v2, v2, s10, v28
	s_mov_b32 s10, s77
.LBB34_71:                              ;   Parent Loop BB34_7 Depth=1
                                        ; =>  This Inner Loop Header: Depth=2
	ds_load_b32 v3, v2
	v_add_nc_u32_e32 v2, 16, v2
	s_wait_alu 0xfffe
	s_add_co_i32 s10, s10, -1
	s_wait_alu 0xfffe
	s_cmp_lg_u32 s10, 0
	s_wait_dscnt 0x0
	v_add_nc_u32_e32 v1, v3, v1
	s_cbranch_scc1 .LBB34_71
.LBB34_72:                              ;   in Loop: Header=BB34_7 Depth=1
	v_add_lshl_u32 v2, v6, v15, 2
	ds_store_b32 v2, v1 offset:3072
.LBB34_73:                              ;   in Loop: Header=BB34_7 Depth=1
	s_wait_alu 0xfffe
	s_or_b32 exec_lo, exec_lo, s9
	v_lshlrev_b32_e32 v1, 2, v6
	s_wait_loadcnt_dscnt 0x0
	s_barrier_signal -1
	s_barrier_wait -1
	global_inv scope:SCOPE_SE
	ds_load_b128 v[1:4], v1 offset:3072
	s_lshl_b32 s10, 3, s92
	v_cmp_eq_u32_e32 vcc_lo, 1, v32
	s_wait_alu 0xfffe
	s_not_b32 s17, s10
	s_mov_b32 s13, -1
	s_mov_b32 s15, -1
                                        ; implicit-def: $sgpr20
                                        ; implicit-def: $sgpr18
	s_wait_dscnt 0x0
	v_readfirstlane_b32 s12, v1
	v_readfirstlane_b32 s19, v2
	;; [unrolled: 1-line block ×4, first 2 shown]
	s_cmp_eq_u32 s12, 1
	s_cselect_b32 s11, -1, 0
	s_wait_alu 0xfffe
	s_and_b32 s14, s11, vcc_lo
	s_wait_alu 0xfffe
	s_and_saveexec_b32 s11, s14
	s_cbranch_execz .LBB34_99
; %bb.74:                               ;   in Loop: Header=BB34_7 Depth=1
	ds_load_b32 v1, v7 offset:4096
	s_wait_loadcnt_dscnt 0x0
	s_barrier_signal -1
	s_barrier_wait -1
	global_inv scope:SCOPE_SE
	v_readfirstlane_b32 s15, v1
	s_and_saveexec_b32 s18, s1
; %bb.75:                               ;   in Loop: Header=BB34_7 Depth=1
	ds_store_b16 v18, v7
; %bb.76:                               ;   in Loop: Header=BB34_7 Depth=1
	s_wait_alu 0xfffe
	s_or_b32 exec_lo, exec_lo, s18
	v_and_b32_e32 v22, s17, v22
	v_or_b32_e32 v30, s10, v30
	s_mov_b32 s18, -1
	s_mov_b32 s20, 0
	s_cmp_lt_i32 s15, 1
	s_mov_b32 s21, 0
	s_mov_b32 s22, -1
	s_wait_loadcnt_dscnt 0x0
	s_barrier_signal -1
	s_barrier_wait -1
	global_inv scope:SCOPE_SE
                                        ; implicit-def: $vgpr31
	s_cbranch_scc0 .LBB34_87
; %bb.77:                               ;   in Loop: Header=BB34_7 Depth=1
	s_mov_b32 s22, 0
                                        ; implicit-def: $vgpr31
	s_and_saveexec_b32 s23, s8
	s_cbranch_execz .LBB34_86
; %bb.78:                               ;   in Loop: Header=BB34_7 Depth=1
	v_mov_b32_e32 v1, v5
	v_mov_b32_e32 v3, v0
                                        ; implicit-def: $sgpr24
	s_branch .LBB34_81
.LBB34_79:                              ;   in Loop: Header=BB34_81 Depth=2
	s_wait_alu 0xfffe
	s_or_b32 exec_lo, exec_lo, s25
	s_wait_loadcnt_dscnt 0x0
	s_barrier_signal -1
	s_barrier_wait -1
	global_inv scope:SCOPE_SE
	ds_load_b32 v2, v7 offset:3072
	s_mov_b32 s25, -1
	s_mov_b32 s26, -1
	s_wait_loadcnt_dscnt 0x0
	s_barrier_signal -1
	s_barrier_wait -1
	global_inv scope:SCOPE_SE
	v_and_b32_e32 v4, 0xffff, v2
	s_delay_alu instid0(VALU_DEP_1)
	v_cmp_ne_u32_e32 vcc_lo, 0, v4
	s_cbranch_vccz .LBB34_84
.LBB34_80:                              ;   in Loop: Header=BB34_81 Depth=2
	s_wait_alu 0xfffe
	s_and_b32 s25, exec_lo, s25
	s_wait_alu 0xfffe
	s_or_b32 s21, s25, s21
	s_and_not1_b32 s24, s24, exec_lo
	s_and_b32 s25, s26, exec_lo
	s_wait_alu 0xfffe
	s_or_b32 s24, s24, s25
	s_and_not1_b32 exec_lo, exec_lo, s21
	s_cbranch_execz .LBB34_85
.LBB34_81:                              ;   Parent Loop BB34_7 Depth=1
                                        ; =>  This Inner Loop Header: Depth=2
	s_mov_b32 s25, exec_lo
	s_delay_alu instid0(VALU_DEP_1)
	v_cmpx_gt_i32_e64 s36, v3
	s_cbranch_execz .LBB34_79
; %bb.82:                               ;   in Loop: Header=BB34_81 Depth=2
	v_ashrrev_i32_e32 v2, 31, v1
	s_delay_alu instid0(VALU_DEP_1) | instskip(NEXT) | instid1(VALU_DEP_1)
	v_lshlrev_b64_e32 v[13:14], 1, v[1:2]
	v_add_co_u32 v13, vcc_lo, s60, v13
	s_wait_alu 0xfffd
	s_delay_alu instid0(VALU_DEP_2) | instskip(SKIP_3) | instid1(VALU_DEP_1)
	v_add_co_ci_u32_e64 v14, null, s61, v14, vcc_lo
	global_load_u16 v2, v[13:14], off
	s_wait_loadcnt 0x0
	v_bfe_i32 v4, v2, 0, 16
	v_add_nc_u32_e32 v4, 0x8000, v4
	s_delay_alu instid0(VALU_DEP_1) | instskip(NEXT) | instid1(VALU_DEP_1)
	v_and_b32_e32 v4, v4, v30
	v_cmp_eq_u32_e32 vcc_lo, v4, v22
	s_and_b32 exec_lo, exec_lo, vcc_lo
	s_cbranch_execz .LBB34_79
; %bb.83:                               ;   in Loop: Header=BB34_81 Depth=2
	v_perm_b32 v2, v2, 1, 0x5040100
	ds_store_b32 v7, v2 offset:3072
	s_branch .LBB34_79
.LBB34_84:                              ;   in Loop: Header=BB34_81 Depth=2
	v_add_nc_u32_e32 v3, s49, v3
	v_add_nc_u32_e32 v1, s73, v1
	s_mov_b32 s26, 0
	s_delay_alu instid0(VALU_DEP_2)
	v_cmp_le_i32_e32 vcc_lo, s82, v3
	s_or_not1_b32 s25, vcc_lo, exec_lo
	s_branch .LBB34_80
.LBB34_85:                              ;   in Loop: Header=BB34_7 Depth=1
	s_or_b32 exec_lo, exec_lo, s21
	v_lshrrev_b32_e32 v31, 16, v2
	s_wait_alu 0xfffe
	s_and_b32 s21, s24, exec_lo
.LBB34_86:                              ;   in Loop: Header=BB34_7 Depth=1
	s_wait_alu 0xfffe
	s_or_b32 exec_lo, exec_lo, s23
.LBB34_87:                              ;   in Loop: Header=BB34_7 Depth=1
	s_wait_alu 0xfffe
	s_and_b32 vcc_lo, exec_lo, s22
	s_wait_alu 0xfffe
	s_cbranch_vccz .LBB34_98
; %bb.88:                               ;   in Loop: Header=BB34_7 Depth=1
	s_add_co_i32 s20, s15, s56
                                        ; implicit-def: $vgpr31
	s_wait_alu 0xfffe
	s_abs_i32 s58, s20
	s_wait_alu 0xfffe
	s_mul_u64 s[22:23], s[58:59], s[64:65]
	s_ashr_i32 s22, s20, 31
	s_wait_alu 0xfffe
	s_mul_i32 s18, s23, s49
	s_wait_alu 0xfffe
	s_sub_co_i32 s18, s58, s18
	s_wait_alu 0xfffe
	s_sub_co_i32 s23, s18, s49
	s_cmp_ge_u32 s18, s49
	s_wait_alu 0xfffe
	s_cselect_b32 s18, s23, s18
	s_wait_alu 0xfffe
	s_sub_co_i32 s23, s18, s49
	s_cmp_ge_u32 s18, s49
	s_wait_alu 0xfffe
	s_cselect_b32 s18, s23, s18
	s_wait_alu 0xfffe
	s_xor_b32 s18, s18, s22
	s_wait_alu 0xfffe
	s_sub_co_i32 s18, s22, s18
	s_wait_alu 0xfffe
	s_add_co_i32 s20, s20, s18
	s_mov_b32 s18, exec_lo
	s_wait_alu 0xfffe
	v_cmpx_gt_i32_e64 s20, v0
	s_cbranch_execz .LBB34_97
; %bb.89:                               ;   in Loop: Header=BB34_7 Depth=1
	v_dual_mov_b32 v1, v17 :: v_dual_mov_b32 v2, v0
	s_mov_b32 s22, 0
                                        ; implicit-def: $sgpr23
	s_branch .LBB34_92
.LBB34_90:                              ;   in Loop: Header=BB34_92 Depth=2
	s_wait_alu 0xfffe
	s_or_b32 exec_lo, exec_lo, s24
	s_wait_loadcnt_dscnt 0x0
	s_barrier_signal -1
	s_barrier_wait -1
	global_inv scope:SCOPE_SE
	ds_load_b32 v3, v7 offset:3072
	s_mov_b32 s24, -1
	s_mov_b32 s25, -1
	s_wait_loadcnt_dscnt 0x0
	s_barrier_signal -1
	s_barrier_wait -1
	global_inv scope:SCOPE_SE
	v_and_b32_e32 v4, 0xffff, v3
	s_delay_alu instid0(VALU_DEP_1)
	v_cmp_ne_u32_e32 vcc_lo, 0, v4
	s_cbranch_vccz .LBB34_95
.LBB34_91:                              ;   in Loop: Header=BB34_92 Depth=2
	s_wait_alu 0xfffe
	s_and_b32 s24, exec_lo, s24
	s_wait_alu 0xfffe
	s_or_b32 s22, s24, s22
	s_and_not1_b32 s23, s23, exec_lo
	s_and_b32 s24, s25, exec_lo
	s_wait_alu 0xfffe
	s_or_b32 s23, s23, s24
	s_and_not1_b32 exec_lo, exec_lo, s22
	s_cbranch_execz .LBB34_96
.LBB34_92:                              ;   Parent Loop BB34_7 Depth=1
                                        ; =>  This Inner Loop Header: Depth=2
	s_mov_b32 s24, exec_lo
	s_delay_alu instid0(VALU_DEP_1)
	v_cmpx_gt_i32_e64 s15, v2
	s_cbranch_execz .LBB34_90
; %bb.93:                               ;   in Loop: Header=BB34_92 Depth=2
	ds_load_u16 v3, v1
	s_wait_dscnt 0x0
	v_bfe_i32 v4, v3, 0, 16
	s_delay_alu instid0(VALU_DEP_1) | instskip(NEXT) | instid1(VALU_DEP_1)
	v_add_nc_u32_e32 v4, 0x8000, v4
	v_and_b32_e32 v4, v4, v30
	s_delay_alu instid0(VALU_DEP_1)
	v_cmp_eq_u32_e32 vcc_lo, v4, v22
	s_and_b32 exec_lo, exec_lo, vcc_lo
	s_cbranch_execz .LBB34_90
; %bb.94:                               ;   in Loop: Header=BB34_92 Depth=2
	v_perm_b32 v3, v3, 1, 0x5040100
	ds_store_b32 v7, v3 offset:3072
	s_branch .LBB34_90
.LBB34_95:                              ;   in Loop: Header=BB34_92 Depth=2
	v_add_nc_u32_e32 v2, s49, v2
	v_add_nc_u32_e32 v1, s85, v1
	s_mov_b32 s25, 0
	s_delay_alu instid0(VALU_DEP_2)
	v_cmp_le_i32_e32 vcc_lo, s20, v2
	s_or_not1_b32 s24, vcc_lo, exec_lo
	s_branch .LBB34_91
.LBB34_96:                              ;   in Loop: Header=BB34_7 Depth=1
	s_or_b32 exec_lo, exec_lo, s22
	s_delay_alu instid0(SALU_CYCLE_1)
	s_and_not1_b32 s15, s21, exec_lo
	s_wait_alu 0xfffe
	s_and_b32 s20, s23, exec_lo
	v_lshrrev_b32_e32 v31, 16, v3
	s_wait_alu 0xfffe
	s_or_b32 s21, s15, s20
.LBB34_97:                              ;   in Loop: Header=BB34_7 Depth=1
	s_or_b32 exec_lo, exec_lo, s18
	s_mov_b32 s18, 0
	s_mov_b32 s20, -1
.LBB34_98:                              ;   in Loop: Header=BB34_7 Depth=1
	s_wait_alu 0xfffe
	s_or_not1_b32 s15, s21, exec_lo
.LBB34_99:                              ;   in Loop: Header=BB34_7 Depth=1
	s_wait_alu 0xfffe
	s_or_b32 exec_lo, exec_lo, s11
	v_readfirstlane_b32 s21, v0
	s_and_not1_b32 s11, s90, exec_lo
	s_and_b32 s20, s20, exec_lo
	s_and_not1_b32 s22, s88, exec_lo
	s_and_b32 s18, s18, exec_lo
	s_and_not1_b32 s87, s87, exec_lo
	s_wait_alu 0xfffe
	s_or_b32 s90, s11, s20
	s_or_b32 s88, s22, s18
                                        ; implicit-def: $vgpr4
	s_and_saveexec_b32 s11, s15
	s_cbranch_execz .LBB34_6
; %bb.100:                              ;   in Loop: Header=BB34_7 Depth=1
	v_dual_mov_b32 v4, 1 :: v_dual_mov_b32 v3, 1
	s_xor_b32 s14, s14, -1
	s_mov_b32 s20, 0
	s_wait_alu 0xfffe
	s_and_saveexec_b32 s13, s14
	s_cbranch_execz .LBB34_109
; %bb.101:                              ;   in Loop: Header=BB34_7 Depth=1
	s_mov_b32 s14, exec_lo
	v_cmpx_ge_i32_e64 s12, v32
	s_wait_alu 0xfffe
	s_xor_b32 s14, exec_lo, s14
	s_cbranch_execz .LBB34_106
; %bb.102:                              ;   in Loop: Header=BB34_7 Depth=1
	ds_load_b32 v1, v7 offset:4096
	v_and_b32_e32 v22, s17, v22
	v_or_b32_e32 v30, s10, v30
	s_wait_dscnt 0x0
	v_cmp_ne_u32_e32 vcc_lo, 0, v1
	s_cbranch_vccnz .LBB34_106
; %bb.103:                              ;   in Loop: Header=BB34_7 Depth=1
	s_and_saveexec_b32 s15, s2
; %bb.104:                              ;   in Loop: Header=BB34_7 Depth=1
	v_mov_b32_e32 v1, s12
	ds_store_b32 v7, v1 offset:4100
; %bb.105:                              ;   in Loop: Header=BB34_7 Depth=1
	s_wait_alu 0xfffe
	s_or_b32 exec_lo, exec_lo, s15
	s_wait_loadcnt_dscnt 0x0
	s_barrier_signal -1
	s_barrier_wait -1
	global_inv scope:SCOPE_SE
.LBB34_106:                             ;   in Loop: Header=BB34_7 Depth=1
	s_wait_alu 0xfffe
	s_or_saveexec_b32 s14, s14
	v_mov_b32_e32 v3, 8
	s_mov_b32 s15, 0
	s_wait_alu 0xfffe
	s_xor_b32 exec_lo, exec_lo, s14
; %bb.107:                              ;   in Loop: Header=BB34_7 Depth=1
	v_subrev_nc_u32_e32 v32, s12, v32
	v_mov_b32_e32 v3, 0
	s_mov_b32 s15, exec_lo
; %bb.108:                              ;   in Loop: Header=BB34_7 Depth=1
	s_or_b32 exec_lo, exec_lo, s14
	s_delay_alu instid0(VALU_DEP_2)
	v_mov_b32_e32 v4, v32
	s_wait_alu 0xfffe
	s_and_b32 s20, s15, exec_lo
.LBB34_109:                             ;   in Loop: Header=BB34_7 Depth=1
	s_wait_alu 0xfffe
	s_or_b32 exec_lo, exec_lo, s13
	s_mov_b32 s12, -1
	s_mov_b32 s18, -1
                                        ; implicit-def: $sgpr14
                                        ; implicit-def: $sgpr15
	s_and_saveexec_b32 s13, s20
	s_wait_alu 0xfffe
	s_xor_b32 s13, exec_lo, s13
	s_cbranch_execz .LBB34_226
; %bb.110:                              ;   in Loop: Header=BB34_7 Depth=1
	v_cmp_eq_u32_e32 vcc_lo, 1, v4
	s_cmp_eq_u32 s19, 1
	s_mov_b32 s21, -1
	s_cselect_b32 s14, -1, 0
                                        ; implicit-def: $sgpr15
	s_wait_alu 0xfffe
	s_and_b32 s20, s14, vcc_lo
                                        ; implicit-def: $sgpr14
	s_wait_alu 0xfffe
	s_and_saveexec_b32 s18, s20
	s_cbranch_execz .LBB34_136
; %bb.111:                              ;   in Loop: Header=BB34_7 Depth=1
	ds_load_b32 v1, v7 offset:4096
	s_wait_loadcnt_dscnt 0x0
	s_barrier_signal -1
	s_barrier_wait -1
	global_inv scope:SCOPE_SE
	v_readfirstlane_b32 s21, v1
	s_and_saveexec_b32 s14, s1
; %bb.112:                              ;   in Loop: Header=BB34_7 Depth=1
	ds_store_b16 v18, v7
; %bb.113:                              ;   in Loop: Header=BB34_7 Depth=1
	s_wait_alu 0xfffe
	s_or_b32 exec_lo, exec_lo, s14
	s_lshl_b32 s14, 1, s92
	v_or_b32_e32 v30, s10, v30
	s_wait_alu 0xfffe
	v_and_or_b32 v22, v22, s17, s14
	s_mov_b32 s14, -1
	s_mov_b32 s15, 0
	s_cmp_gt_i32 s21, 0
	s_mov_b32 s22, 0
	s_mov_b32 s23, -1
	s_wait_loadcnt_dscnt 0x0
	s_barrier_signal -1
	s_barrier_wait -1
	global_inv scope:SCOPE_SE
                                        ; implicit-def: $vgpr31
	s_cbranch_scc1 .LBB34_124
; %bb.114:                              ;   in Loop: Header=BB34_7 Depth=1
	s_mov_b32 s23, 0
                                        ; implicit-def: $vgpr31
	s_and_saveexec_b32 s24, s8
	s_cbranch_execz .LBB34_123
; %bb.115:                              ;   in Loop: Header=BB34_7 Depth=1
	v_dual_mov_b32 v1, v5 :: v_dual_mov_b32 v6, v0
                                        ; implicit-def: $sgpr25
	s_branch .LBB34_118
.LBB34_116:                             ;   in Loop: Header=BB34_118 Depth=2
	s_wait_alu 0xfffe
	s_or_b32 exec_lo, exec_lo, s26
	s_wait_loadcnt_dscnt 0x0
	s_barrier_signal -1
	s_barrier_wait -1
	global_inv scope:SCOPE_SE
	ds_load_b32 v2, v7 offset:3072
	s_mov_b32 s26, -1
	s_mov_b32 s27, -1
	s_wait_loadcnt_dscnt 0x0
	s_barrier_signal -1
	s_barrier_wait -1
	global_inv scope:SCOPE_SE
	v_and_b32_e32 v13, 0xffff, v2
	s_delay_alu instid0(VALU_DEP_1)
	v_cmp_ne_u32_e32 vcc_lo, 0, v13
	s_cbranch_vccz .LBB34_121
.LBB34_117:                             ;   in Loop: Header=BB34_118 Depth=2
	s_wait_alu 0xfffe
	s_and_b32 s26, exec_lo, s26
	s_wait_alu 0xfffe
	s_or_b32 s22, s26, s22
	s_and_not1_b32 s25, s25, exec_lo
	s_and_b32 s26, s27, exec_lo
	s_wait_alu 0xfffe
	s_or_b32 s25, s25, s26
	s_and_not1_b32 exec_lo, exec_lo, s22
	s_cbranch_execz .LBB34_122
.LBB34_118:                             ;   Parent Loop BB34_7 Depth=1
                                        ; =>  This Inner Loop Header: Depth=2
	s_mov_b32 s26, exec_lo
	s_delay_alu instid0(VALU_DEP_1)
	v_cmpx_gt_i32_e64 s36, v6
	s_cbranch_execz .LBB34_116
; %bb.119:                              ;   in Loop: Header=BB34_118 Depth=2
	v_ashrrev_i32_e32 v2, 31, v1
	s_delay_alu instid0(VALU_DEP_1) | instskip(NEXT) | instid1(VALU_DEP_1)
	v_lshlrev_b64_e32 v[13:14], 1, v[1:2]
	v_add_co_u32 v13, vcc_lo, s60, v13
	s_wait_alu 0xfffd
	s_delay_alu instid0(VALU_DEP_2) | instskip(SKIP_3) | instid1(VALU_DEP_1)
	v_add_co_ci_u32_e64 v14, null, s61, v14, vcc_lo
	global_load_u16 v2, v[13:14], off
	s_wait_loadcnt 0x0
	v_bfe_i32 v13, v2, 0, 16
	v_add_nc_u32_e32 v13, 0x8000, v13
	s_delay_alu instid0(VALU_DEP_1) | instskip(NEXT) | instid1(VALU_DEP_1)
	v_and_b32_e32 v13, v13, v30
	v_cmp_eq_u32_e32 vcc_lo, v13, v22
	s_and_b32 exec_lo, exec_lo, vcc_lo
	s_cbranch_execz .LBB34_116
; %bb.120:                              ;   in Loop: Header=BB34_118 Depth=2
	v_perm_b32 v2, v2, 1, 0x5040100
	ds_store_b32 v7, v2 offset:3072
	s_branch .LBB34_116
.LBB34_121:                             ;   in Loop: Header=BB34_118 Depth=2
	v_add_nc_u32_e32 v6, s49, v6
	v_add_nc_u32_e32 v1, s73, v1
	s_mov_b32 s27, 0
	s_delay_alu instid0(VALU_DEP_2)
	v_cmp_le_i32_e32 vcc_lo, s82, v6
	s_or_not1_b32 s26, vcc_lo, exec_lo
	s_branch .LBB34_117
.LBB34_122:                             ;   in Loop: Header=BB34_7 Depth=1
	s_or_b32 exec_lo, exec_lo, s22
	v_lshrrev_b32_e32 v31, 16, v2
	s_wait_alu 0xfffe
	s_and_b32 s22, s25, exec_lo
.LBB34_123:                             ;   in Loop: Header=BB34_7 Depth=1
	s_wait_alu 0xfffe
	s_or_b32 exec_lo, exec_lo, s24
.LBB34_124:                             ;   in Loop: Header=BB34_7 Depth=1
	s_wait_alu 0xfffe
	s_and_b32 vcc_lo, exec_lo, s23
	s_wait_alu 0xfffe
	s_cbranch_vccz .LBB34_135
; %bb.125:                              ;   in Loop: Header=BB34_7 Depth=1
	s_add_co_i32 s23, s21, s56
                                        ; implicit-def: $vgpr31
	s_wait_alu 0xfffe
	s_abs_i32 s58, s23
	s_wait_alu 0xfffe
	s_mul_u64 s[14:15], s[58:59], s[64:65]
	s_wait_alu 0xfffe
	s_mul_i32 s14, s15, s49
	s_ashr_i32 s15, s23, 31
	s_wait_alu 0xfffe
	s_sub_co_i32 s14, s58, s14
	s_wait_alu 0xfffe
	s_sub_co_i32 s24, s14, s49
	s_cmp_ge_u32 s14, s49
	s_wait_alu 0xfffe
	s_cselect_b32 s14, s24, s14
	s_wait_alu 0xfffe
	s_sub_co_i32 s24, s14, s49
	s_cmp_ge_u32 s14, s49
	s_wait_alu 0xfffe
	s_cselect_b32 s14, s24, s14
	s_wait_alu 0xfffe
	s_xor_b32 s14, s14, s15
	s_wait_alu 0xfffe
	s_sub_co_i32 s14, s15, s14
	s_wait_alu 0xfffe
	s_add_co_i32 s15, s23, s14
	s_mov_b32 s14, exec_lo
	s_wait_alu 0xfffe
	v_cmpx_gt_i32_e64 s15, v0
	s_cbranch_execz .LBB34_134
; %bb.126:                              ;   in Loop: Header=BB34_7 Depth=1
	v_dual_mov_b32 v1, v17 :: v_dual_mov_b32 v2, v0
	s_mov_b32 s23, 0
                                        ; implicit-def: $sgpr24
	s_branch .LBB34_129
.LBB34_127:                             ;   in Loop: Header=BB34_129 Depth=2
	s_wait_alu 0xfffe
	s_or_b32 exec_lo, exec_lo, s25
	s_wait_loadcnt_dscnt 0x0
	s_barrier_signal -1
	s_barrier_wait -1
	global_inv scope:SCOPE_SE
	ds_load_b32 v6, v7 offset:3072
	s_mov_b32 s25, -1
	s_mov_b32 s26, -1
	s_wait_loadcnt_dscnt 0x0
	s_barrier_signal -1
	s_barrier_wait -1
	global_inv scope:SCOPE_SE
	v_and_b32_e32 v13, 0xffff, v6
	s_delay_alu instid0(VALU_DEP_1)
	v_cmp_eq_u32_e32 vcc_lo, 0, v13
	s_cbranch_vccnz .LBB34_132
.LBB34_128:                             ;   in Loop: Header=BB34_129 Depth=2
	s_wait_alu 0xfffe
	s_and_b32 s25, exec_lo, s25
	s_wait_alu 0xfffe
	s_or_b32 s23, s25, s23
	s_and_not1_b32 s24, s24, exec_lo
	s_and_b32 s25, s26, exec_lo
	s_wait_alu 0xfffe
	s_or_b32 s24, s24, s25
	s_and_not1_b32 exec_lo, exec_lo, s23
	s_cbranch_execz .LBB34_133
.LBB34_129:                             ;   Parent Loop BB34_7 Depth=1
                                        ; =>  This Inner Loop Header: Depth=2
	s_mov_b32 s25, exec_lo
	s_delay_alu instid0(VALU_DEP_1)
	v_cmpx_gt_i32_e64 s21, v2
	s_cbranch_execz .LBB34_127
; %bb.130:                              ;   in Loop: Header=BB34_129 Depth=2
	ds_load_u16 v6, v1
	s_wait_dscnt 0x0
	v_bfe_i32 v13, v6, 0, 16
	s_delay_alu instid0(VALU_DEP_1) | instskip(NEXT) | instid1(VALU_DEP_1)
	v_add_nc_u32_e32 v13, 0x8000, v13
	v_and_b32_e32 v13, v13, v30
	s_delay_alu instid0(VALU_DEP_1)
	v_cmp_eq_u32_e32 vcc_lo, v13, v22
	s_and_b32 exec_lo, exec_lo, vcc_lo
	s_cbranch_execz .LBB34_127
; %bb.131:                              ;   in Loop: Header=BB34_129 Depth=2
	v_perm_b32 v6, v6, 1, 0x5040100
	ds_store_b32 v7, v6 offset:3072
	s_branch .LBB34_127
.LBB34_132:                             ;   in Loop: Header=BB34_129 Depth=2
	v_add_nc_u32_e32 v2, s49, v2
	v_add_nc_u32_e32 v1, s85, v1
	s_mov_b32 s26, 0
	s_delay_alu instid0(VALU_DEP_2)
	v_cmp_le_i32_e32 vcc_lo, s15, v2
	s_or_not1_b32 s25, vcc_lo, exec_lo
	s_branch .LBB34_128
.LBB34_133:                             ;   in Loop: Header=BB34_7 Depth=1
	s_or_b32 exec_lo, exec_lo, s23
	v_lshrrev_b32_e32 v31, 16, v6
	s_and_not1_b32 s15, s22, exec_lo
	s_wait_alu 0xfffe
	s_and_b32 s21, s24, exec_lo
	s_wait_alu 0xfffe
	s_or_b32 s22, s15, s21
.LBB34_134:                             ;   in Loop: Header=BB34_7 Depth=1
	s_or_b32 exec_lo, exec_lo, s14
	s_mov_b32 s14, 0
	s_mov_b32 s15, -1
.LBB34_135:                             ;   in Loop: Header=BB34_7 Depth=1
	s_wait_alu 0xfffe
	s_or_not1_b32 s21, s22, exec_lo
.LBB34_136:                             ;   in Loop: Header=BB34_7 Depth=1
	s_wait_alu 0xfffe
	s_or_b32 exec_lo, exec_lo, s18
	s_mov_b32 s22, 0
	s_and_saveexec_b32 s18, s21
	s_cbranch_execz .LBB34_225
; %bb.137:                              ;   in Loop: Header=BB34_7 Depth=1
	v_dual_mov_b32 v6, 1 :: v_dual_mov_b32 v3, 1
	s_xor_b32 s21, s20, -1
	s_mov_b32 s23, 0
	s_wait_alu 0xfffe
	s_and_saveexec_b32 s20, s21
	s_cbranch_execz .LBB34_146
; %bb.138:                              ;   in Loop: Header=BB34_7 Depth=1
	s_mov_b32 s21, exec_lo
	v_cmpx_ge_i32_e64 s19, v4
	s_wait_alu 0xfffe
	s_xor_b32 s21, exec_lo, s21
	s_cbranch_execz .LBB34_143
; %bb.139:                              ;   in Loop: Header=BB34_7 Depth=1
	ds_load_b32 v1, v7 offset:4096
	s_lshl_b32 s22, 1, s92
	v_or_b32_e32 v30, s10, v30
	s_wait_alu 0xfffe
	v_and_or_b32 v22, v22, s17, s22
	s_wait_dscnt 0x0
	v_cmp_ne_u32_e32 vcc_lo, 0, v1
	s_cbranch_vccnz .LBB34_143
; %bb.140:                              ;   in Loop: Header=BB34_7 Depth=1
	s_and_saveexec_b32 s22, s2
; %bb.141:                              ;   in Loop: Header=BB34_7 Depth=1
	v_mov_b32_e32 v1, s19
	ds_store_b32 v7, v1 offset:4100
; %bb.142:                              ;   in Loop: Header=BB34_7 Depth=1
	s_wait_alu 0xfffe
	s_or_b32 exec_lo, exec_lo, s22
	s_wait_loadcnt_dscnt 0x0
	s_barrier_signal -1
	s_barrier_wait -1
	global_inv scope:SCOPE_SE
.LBB34_143:                             ;   in Loop: Header=BB34_7 Depth=1
	s_wait_alu 0xfffe
	s_or_saveexec_b32 s21, s21
	v_mov_b32_e32 v3, 8
	s_mov_b32 s22, 0
	s_wait_alu 0xfffe
	s_xor_b32 exec_lo, exec_lo, s21
; %bb.144:                              ;   in Loop: Header=BB34_7 Depth=1
	v_subrev_nc_u32_e32 v4, s19, v4
	v_mov_b32_e32 v3, 0
	s_mov_b32 s22, exec_lo
; %bb.145:                              ;   in Loop: Header=BB34_7 Depth=1
	s_or_b32 exec_lo, exec_lo, s21
	s_delay_alu instid0(VALU_DEP_2)
	v_mov_b32_e32 v6, v4
	s_wait_alu 0xfffe
	s_and_b32 s23, s22, exec_lo
.LBB34_146:                             ;   in Loop: Header=BB34_7 Depth=1
	s_wait_alu 0xfffe
	s_or_b32 exec_lo, exec_lo, s20
	s_mov_b32 s22, -1
                                        ; implicit-def: $sgpr20
                                        ; implicit-def: $sgpr21
	s_and_saveexec_b32 s19, s23
	s_cbranch_execz .LBB34_224
; %bb.147:                              ;   in Loop: Header=BB34_7 Depth=1
	v_cmp_eq_u32_e32 vcc_lo, 1, v6
	s_cmp_eq_u32 s16, 1
	s_mov_b32 s24, -1
	s_cselect_b32 s20, -1, 0
                                        ; implicit-def: $sgpr21
	s_wait_alu 0xfffe
	s_and_b32 s23, s20, vcc_lo
                                        ; implicit-def: $sgpr20
	s_wait_alu 0xfffe
	s_and_saveexec_b32 s22, s23
	s_cbranch_execz .LBB34_173
; %bb.148:                              ;   in Loop: Header=BB34_7 Depth=1
	ds_load_b32 v1, v7 offset:4096
	s_wait_loadcnt_dscnt 0x0
	s_barrier_signal -1
	s_barrier_wait -1
	global_inv scope:SCOPE_SE
	v_readfirstlane_b32 s24, v1
	s_and_saveexec_b32 s20, s1
; %bb.149:                              ;   in Loop: Header=BB34_7 Depth=1
	ds_store_b16 v18, v7
; %bb.150:                              ;   in Loop: Header=BB34_7 Depth=1
	s_wait_alu 0xfffe
	s_or_b32 exec_lo, exec_lo, s20
	s_lshl_b32 s20, 2, s92
	v_or_b32_e32 v30, s10, v30
	s_wait_alu 0xfffe
	v_and_or_b32 v22, v22, s17, s20
	s_mov_b32 s20, -1
	s_mov_b32 s21, 0
	s_cmp_gt_i32 s24, 0
	s_mov_b32 s25, 0
	s_mov_b32 s26, -1
	s_wait_loadcnt_dscnt 0x0
	s_barrier_signal -1
	s_barrier_wait -1
	global_inv scope:SCOPE_SE
                                        ; implicit-def: $vgpr31
	s_cbranch_scc1 .LBB34_161
; %bb.151:                              ;   in Loop: Header=BB34_7 Depth=1
	s_mov_b32 s26, 0
                                        ; implicit-def: $vgpr31
	s_and_saveexec_b32 s27, s8
	s_cbranch_execz .LBB34_160
; %bb.152:                              ;   in Loop: Header=BB34_7 Depth=1
	v_dual_mov_b32 v1, v5 :: v_dual_mov_b32 v4, v0
                                        ; implicit-def: $sgpr28
	s_branch .LBB34_155
.LBB34_153:                             ;   in Loop: Header=BB34_155 Depth=2
	s_wait_alu 0xfffe
	s_or_b32 exec_lo, exec_lo, s58
	s_wait_loadcnt_dscnt 0x0
	s_barrier_signal -1
	s_barrier_wait -1
	global_inv scope:SCOPE_SE
	ds_load_b32 v2, v7 offset:3072
	s_mov_b32 s58, -1
	s_mov_b32 s93, -1
	s_wait_loadcnt_dscnt 0x0
	s_barrier_signal -1
	s_barrier_wait -1
	global_inv scope:SCOPE_SE
	v_and_b32_e32 v13, 0xffff, v2
	s_delay_alu instid0(VALU_DEP_1)
	v_cmp_ne_u32_e32 vcc_lo, 0, v13
	s_cbranch_vccz .LBB34_158
.LBB34_154:                             ;   in Loop: Header=BB34_155 Depth=2
	s_wait_alu 0xfffe
	s_and_b32 s58, exec_lo, s58
	s_wait_alu 0xfffe
	s_or_b32 s25, s58, s25
	s_and_not1_b32 s28, s28, exec_lo
	s_and_b32 s58, s93, exec_lo
	s_wait_alu 0xfffe
	s_or_b32 s28, s28, s58
	s_and_not1_b32 exec_lo, exec_lo, s25
	s_cbranch_execz .LBB34_159
.LBB34_155:                             ;   Parent Loop BB34_7 Depth=1
                                        ; =>  This Inner Loop Header: Depth=2
	s_mov_b32 s58, exec_lo
	s_delay_alu instid0(VALU_DEP_1)
	v_cmpx_gt_i32_e64 s36, v4
	s_cbranch_execz .LBB34_153
; %bb.156:                              ;   in Loop: Header=BB34_155 Depth=2
	v_ashrrev_i32_e32 v2, 31, v1
	s_delay_alu instid0(VALU_DEP_1) | instskip(NEXT) | instid1(VALU_DEP_1)
	v_lshlrev_b64_e32 v[13:14], 1, v[1:2]
	v_add_co_u32 v13, vcc_lo, s60, v13
	s_wait_alu 0xfffd
	s_delay_alu instid0(VALU_DEP_2) | instskip(SKIP_3) | instid1(VALU_DEP_1)
	v_add_co_ci_u32_e64 v14, null, s61, v14, vcc_lo
	global_load_u16 v2, v[13:14], off
	s_wait_loadcnt 0x0
	v_bfe_i32 v13, v2, 0, 16
	v_add_nc_u32_e32 v13, 0x8000, v13
	s_delay_alu instid0(VALU_DEP_1) | instskip(NEXT) | instid1(VALU_DEP_1)
	v_and_b32_e32 v13, v13, v30
	v_cmp_eq_u32_e32 vcc_lo, v13, v22
	s_and_b32 exec_lo, exec_lo, vcc_lo
	s_cbranch_execz .LBB34_153
; %bb.157:                              ;   in Loop: Header=BB34_155 Depth=2
	v_perm_b32 v2, v2, 1, 0x5040100
	ds_store_b32 v7, v2 offset:3072
	s_branch .LBB34_153
.LBB34_158:                             ;   in Loop: Header=BB34_155 Depth=2
	v_add_nc_u32_e32 v4, s49, v4
	v_add_nc_u32_e32 v1, s73, v1
	s_mov_b32 s93, 0
	s_delay_alu instid0(VALU_DEP_2)
	v_cmp_le_i32_e32 vcc_lo, s82, v4
	s_or_not1_b32 s58, vcc_lo, exec_lo
	s_branch .LBB34_154
.LBB34_159:                             ;   in Loop: Header=BB34_7 Depth=1
	s_or_b32 exec_lo, exec_lo, s25
	v_lshrrev_b32_e32 v31, 16, v2
	s_and_b32 s25, s28, exec_lo
.LBB34_160:                             ;   in Loop: Header=BB34_7 Depth=1
	s_wait_alu 0xfffe
	s_or_b32 exec_lo, exec_lo, s27
.LBB34_161:                             ;   in Loop: Header=BB34_7 Depth=1
	s_wait_alu 0xfffe
	s_and_b32 vcc_lo, exec_lo, s26
	s_wait_alu 0xfffe
	s_cbranch_vccz .LBB34_172
; %bb.162:                              ;   in Loop: Header=BB34_7 Depth=1
	s_add_co_i32 s26, s24, s56
                                        ; implicit-def: $vgpr31
	s_wait_alu 0xfffe
	s_abs_i32 s58, s26
	s_wait_alu 0xfffe
	s_mul_u64 s[20:21], s[58:59], s[64:65]
	s_wait_alu 0xfffe
	s_mul_i32 s20, s21, s49
	s_ashr_i32 s21, s26, 31
	s_wait_alu 0xfffe
	s_sub_co_i32 s20, s58, s20
	s_wait_alu 0xfffe
	s_sub_co_i32 s27, s20, s49
	s_cmp_ge_u32 s20, s49
	s_wait_alu 0xfffe
	s_cselect_b32 s20, s27, s20
	s_wait_alu 0xfffe
	s_sub_co_i32 s27, s20, s49
	s_cmp_ge_u32 s20, s49
	s_wait_alu 0xfffe
	s_cselect_b32 s20, s27, s20
	s_wait_alu 0xfffe
	s_xor_b32 s20, s20, s21
	s_wait_alu 0xfffe
	s_sub_co_i32 s20, s21, s20
	s_wait_alu 0xfffe
	s_add_co_i32 s21, s26, s20
	s_mov_b32 s20, exec_lo
	s_wait_alu 0xfffe
	v_cmpx_gt_i32_e64 s21, v0
	s_cbranch_execz .LBB34_171
; %bb.163:                              ;   in Loop: Header=BB34_7 Depth=1
	v_dual_mov_b32 v1, v17 :: v_dual_mov_b32 v2, v0
	s_mov_b32 s26, 0
                                        ; implicit-def: $sgpr27
	s_branch .LBB34_166
.LBB34_164:                             ;   in Loop: Header=BB34_166 Depth=2
	s_or_b32 exec_lo, exec_lo, s28
	s_wait_loadcnt_dscnt 0x0
	s_barrier_signal -1
	s_barrier_wait -1
	global_inv scope:SCOPE_SE
	ds_load_b32 v4, v7 offset:3072
	s_mov_b32 s28, -1
	s_mov_b32 s58, -1
	s_wait_loadcnt_dscnt 0x0
	s_barrier_signal -1
	s_barrier_wait -1
	global_inv scope:SCOPE_SE
	v_and_b32_e32 v13, 0xffff, v4
	s_delay_alu instid0(VALU_DEP_1)
	v_cmp_eq_u32_e32 vcc_lo, 0, v13
	s_cbranch_vccnz .LBB34_169
.LBB34_165:                             ;   in Loop: Header=BB34_166 Depth=2
	s_and_b32 s28, exec_lo, s28
	s_wait_alu 0xfffe
	s_or_b32 s26, s28, s26
	s_and_not1_b32 s27, s27, exec_lo
	s_and_b32 s28, s58, exec_lo
	s_wait_alu 0xfffe
	s_or_b32 s27, s27, s28
	s_and_not1_b32 exec_lo, exec_lo, s26
	s_cbranch_execz .LBB34_170
.LBB34_166:                             ;   Parent Loop BB34_7 Depth=1
                                        ; =>  This Inner Loop Header: Depth=2
	s_mov_b32 s28, exec_lo
	s_delay_alu instid0(VALU_DEP_1)
	v_cmpx_gt_i32_e64 s24, v2
	s_cbranch_execz .LBB34_164
; %bb.167:                              ;   in Loop: Header=BB34_166 Depth=2
	ds_load_u16 v4, v1
	s_wait_dscnt 0x0
	v_bfe_i32 v13, v4, 0, 16
	s_delay_alu instid0(VALU_DEP_1) | instskip(NEXT) | instid1(VALU_DEP_1)
	v_add_nc_u32_e32 v13, 0x8000, v13
	v_and_b32_e32 v13, v13, v30
	s_delay_alu instid0(VALU_DEP_1)
	v_cmp_eq_u32_e32 vcc_lo, v13, v22
	s_and_b32 exec_lo, exec_lo, vcc_lo
	s_cbranch_execz .LBB34_164
; %bb.168:                              ;   in Loop: Header=BB34_166 Depth=2
	v_perm_b32 v4, v4, 1, 0x5040100
	ds_store_b32 v7, v4 offset:3072
	s_branch .LBB34_164
.LBB34_169:                             ;   in Loop: Header=BB34_166 Depth=2
	v_add_nc_u32_e32 v2, s49, v2
	v_add_nc_u32_e32 v1, s85, v1
	s_mov_b32 s58, 0
	s_delay_alu instid0(VALU_DEP_2)
	v_cmp_le_i32_e32 vcc_lo, s21, v2
	s_or_not1_b32 s28, vcc_lo, exec_lo
	s_branch .LBB34_165
.LBB34_170:                             ;   in Loop: Header=BB34_7 Depth=1
	s_or_b32 exec_lo, exec_lo, s26
	v_lshrrev_b32_e32 v31, 16, v4
	s_and_not1_b32 s21, s25, exec_lo
	s_wait_alu 0xfffe
	s_and_b32 s24, s27, exec_lo
	s_wait_alu 0xfffe
	s_or_b32 s25, s21, s24
.LBB34_171:                             ;   in Loop: Header=BB34_7 Depth=1
	s_or_b32 exec_lo, exec_lo, s20
	s_mov_b32 s20, 0
	s_mov_b32 s21, -1
.LBB34_172:                             ;   in Loop: Header=BB34_7 Depth=1
	s_wait_alu 0xfffe
	s_or_not1_b32 s24, s25, exec_lo
.LBB34_173:                             ;   in Loop: Header=BB34_7 Depth=1
	s_wait_alu 0xfffe
	s_or_b32 exec_lo, exec_lo, s22
	s_mov_b32 s25, 0
	s_and_saveexec_b32 s22, s24
	s_cbranch_execz .LBB34_223
; %bb.174:                              ;   in Loop: Header=BB34_7 Depth=1
	v_dual_mov_b32 v4, 1 :: v_dual_mov_b32 v3, 1
	s_xor_b32 s24, s23, -1
	s_wait_alu 0xfffe
	s_and_saveexec_b32 s23, s24
	s_cbranch_execz .LBB34_183
; %bb.175:                              ;   in Loop: Header=BB34_7 Depth=1
	s_mov_b32 s24, exec_lo
	v_cmpx_ge_i32_e64 s16, v6
	s_wait_alu 0xfffe
	s_xor_b32 s24, exec_lo, s24
	s_cbranch_execz .LBB34_180
; %bb.176:                              ;   in Loop: Header=BB34_7 Depth=1
	ds_load_b32 v1, v7 offset:4096
	s_lshl_b32 s25, 2, s92
	v_or_b32_e32 v30, s10, v30
	s_wait_alu 0xfffe
	v_and_or_b32 v22, v22, s17, s25
	s_wait_dscnt 0x0
	v_cmp_ne_u32_e32 vcc_lo, 0, v1
	s_cbranch_vccnz .LBB34_180
; %bb.177:                              ;   in Loop: Header=BB34_7 Depth=1
	s_and_saveexec_b32 s17, s2
; %bb.178:                              ;   in Loop: Header=BB34_7 Depth=1
	v_mov_b32_e32 v1, s16
	ds_store_b32 v7, v1 offset:4100
; %bb.179:                              ;   in Loop: Header=BB34_7 Depth=1
	s_wait_alu 0xfffe
	s_or_b32 exec_lo, exec_lo, s17
	s_wait_loadcnt_dscnt 0x0
	s_barrier_signal -1
	s_barrier_wait -1
	global_inv scope:SCOPE_SE
.LBB34_180:                             ;   in Loop: Header=BB34_7 Depth=1
	s_wait_alu 0xfffe
	s_or_saveexec_b32 s17, s24
	v_mov_b32_e32 v3, 8
	s_mov_b32 s24, 0
	s_wait_alu 0xfffe
	s_xor_b32 exec_lo, exec_lo, s17
; %bb.181:                              ;   in Loop: Header=BB34_7 Depth=1
	v_subrev_nc_u32_e32 v6, s16, v6
	v_mov_b32_e32 v3, 0
	s_mov_b32 s24, exec_lo
; %bb.182:                              ;   in Loop: Header=BB34_7 Depth=1
	s_or_b32 exec_lo, exec_lo, s17
	s_delay_alu instid0(VALU_DEP_2)
	v_mov_b32_e32 v4, v6
	s_wait_alu 0xfffe
	s_and_b32 s25, s24, exec_lo
.LBB34_183:                             ;   in Loop: Header=BB34_7 Depth=1
	s_wait_alu 0xfffe
	s_or_b32 exec_lo, exec_lo, s23
	s_mov_b32 s17, -1
                                        ; implicit-def: $sgpr24
                                        ; implicit-def: $sgpr23
	s_and_saveexec_b32 s16, s25
	s_cbranch_execz .LBB34_222
; %bb.184:                              ;   in Loop: Header=BB34_7 Depth=1
	v_cmp_eq_u32_e32 vcc_lo, 1, v4
	s_cmp_eq_u32 s9, 1
	s_mov_b32 s26, -1
	s_cselect_b32 s17, -1, 0
                                        ; implicit-def: $sgpr24
                                        ; implicit-def: $sgpr23
	s_wait_alu 0xfffe
	s_and_b32 s17, s17, vcc_lo
	s_wait_alu 0xfffe
	s_and_saveexec_b32 s25, s17
	s_cbranch_execz .LBB34_210
; %bb.185:                              ;   in Loop: Header=BB34_7 Depth=1
	ds_load_b32 v1, v7 offset:4096
	s_wait_loadcnt_dscnt 0x0
	s_barrier_signal -1
	s_barrier_wait -1
	global_inv scope:SCOPE_SE
	v_readfirstlane_b32 s26, v1
	s_and_saveexec_b32 s23, s1
; %bb.186:                              ;   in Loop: Header=BB34_7 Depth=1
	ds_store_b16 v18, v7
; %bb.187:                              ;   in Loop: Header=BB34_7 Depth=1
	s_wait_alu 0xfffe
	s_or_b32 exec_lo, exec_lo, s23
	v_or_b32_e32 v22, s10, v22
	v_or_b32_e32 v30, s10, v30
	s_mov_b32 s23, -1
	s_mov_b32 s24, 0
	s_cmp_gt_i32 s26, 0
	s_mov_b32 s27, 0
	s_mov_b32 s28, -1
	s_wait_loadcnt_dscnt 0x0
	s_barrier_signal -1
	s_barrier_wait -1
	global_inv scope:SCOPE_SE
                                        ; implicit-def: $vgpr31
	s_cbranch_scc1 .LBB34_198
; %bb.188:                              ;   in Loop: Header=BB34_7 Depth=1
	s_mov_b32 s28, 0
                                        ; implicit-def: $vgpr31
	s_and_saveexec_b32 s58, s8
	s_cbranch_execz .LBB34_197
; %bb.189:                              ;   in Loop: Header=BB34_7 Depth=1
	v_dual_mov_b32 v1, v5 :: v_dual_mov_b32 v6, v0
                                        ; implicit-def: $sgpr93
	s_branch .LBB34_192
.LBB34_190:                             ;   in Loop: Header=BB34_192 Depth=2
	s_wait_alu 0xfffe
	s_or_b32 exec_lo, exec_lo, s94
	s_wait_loadcnt_dscnt 0x0
	s_barrier_signal -1
	s_barrier_wait -1
	global_inv scope:SCOPE_SE
	ds_load_b32 v2, v7 offset:3072
	s_mov_b32 s94, -1
	s_mov_b32 s95, -1
	s_wait_loadcnt_dscnt 0x0
	s_barrier_signal -1
	s_barrier_wait -1
	global_inv scope:SCOPE_SE
	v_and_b32_e32 v13, 0xffff, v2
	s_delay_alu instid0(VALU_DEP_1)
	v_cmp_ne_u32_e32 vcc_lo, 0, v13
	s_cbranch_vccz .LBB34_195
.LBB34_191:                             ;   in Loop: Header=BB34_192 Depth=2
	s_wait_alu 0xfffe
	s_and_b32 s94, exec_lo, s94
	s_wait_alu 0xfffe
	s_or_b32 s27, s94, s27
	s_and_not1_b32 s93, s93, exec_lo
	s_and_b32 s94, s95, exec_lo
	s_wait_alu 0xfffe
	s_or_b32 s93, s93, s94
	s_and_not1_b32 exec_lo, exec_lo, s27
	s_cbranch_execz .LBB34_196
.LBB34_192:                             ;   Parent Loop BB34_7 Depth=1
                                        ; =>  This Inner Loop Header: Depth=2
	s_mov_b32 s94, exec_lo
	s_delay_alu instid0(VALU_DEP_1)
	v_cmpx_gt_i32_e64 s36, v6
	s_cbranch_execz .LBB34_190
; %bb.193:                              ;   in Loop: Header=BB34_192 Depth=2
	v_ashrrev_i32_e32 v2, 31, v1
	s_delay_alu instid0(VALU_DEP_1) | instskip(NEXT) | instid1(VALU_DEP_1)
	v_lshlrev_b64_e32 v[13:14], 1, v[1:2]
	v_add_co_u32 v13, vcc_lo, s60, v13
	s_wait_alu 0xfffd
	s_delay_alu instid0(VALU_DEP_2) | instskip(SKIP_3) | instid1(VALU_DEP_1)
	v_add_co_ci_u32_e64 v14, null, s61, v14, vcc_lo
	global_load_u16 v2, v[13:14], off
	s_wait_loadcnt 0x0
	v_bfe_i32 v13, v2, 0, 16
	v_add_nc_u32_e32 v13, 0x8000, v13
	s_delay_alu instid0(VALU_DEP_1) | instskip(NEXT) | instid1(VALU_DEP_1)
	v_and_b32_e32 v13, v13, v30
	v_cmp_eq_u32_e32 vcc_lo, v13, v22
	s_and_b32 exec_lo, exec_lo, vcc_lo
	s_cbranch_execz .LBB34_190
; %bb.194:                              ;   in Loop: Header=BB34_192 Depth=2
	v_perm_b32 v2, v2, 1, 0x5040100
	ds_store_b32 v7, v2 offset:3072
	s_branch .LBB34_190
.LBB34_195:                             ;   in Loop: Header=BB34_192 Depth=2
	v_add_nc_u32_e32 v6, s49, v6
	v_add_nc_u32_e32 v1, s73, v1
	s_mov_b32 s95, 0
	s_delay_alu instid0(VALU_DEP_2)
	v_cmp_le_i32_e32 vcc_lo, s82, v6
	s_or_not1_b32 s94, vcc_lo, exec_lo
	s_branch .LBB34_191
.LBB34_196:                             ;   in Loop: Header=BB34_7 Depth=1
	s_or_b32 exec_lo, exec_lo, s27
	v_lshrrev_b32_e32 v31, 16, v2
	s_wait_alu 0xfffe
	s_and_b32 s27, s93, exec_lo
.LBB34_197:                             ;   in Loop: Header=BB34_7 Depth=1
	s_wait_alu 0xfffe
	s_or_b32 exec_lo, exec_lo, s58
.LBB34_198:                             ;   in Loop: Header=BB34_7 Depth=1
	s_delay_alu instid0(SALU_CYCLE_1)
	s_and_b32 vcc_lo, exec_lo, s28
	s_wait_alu 0xfffe
	s_cbranch_vccz .LBB34_209
; %bb.199:                              ;   in Loop: Header=BB34_7 Depth=1
	s_add_co_i32 s24, s26, s56
                                        ; implicit-def: $vgpr31
	s_wait_alu 0xfffe
	s_abs_i32 s58, s24
	s_ashr_i32 s28, s24, 31
	s_wait_alu 0xfffe
	s_mul_u64 s[94:95], s[58:59], s[64:65]
	s_wait_alu 0xfffe
	s_mul_i32 s23, s95, s49
	s_wait_alu 0xfffe
	s_sub_co_i32 s23, s58, s23
	s_wait_alu 0xfffe
	s_sub_co_i32 s58, s23, s49
	s_cmp_ge_u32 s23, s49
	s_wait_alu 0xfffe
	s_cselect_b32 s23, s58, s23
	s_wait_alu 0xfffe
	s_sub_co_i32 s58, s23, s49
	s_cmp_ge_u32 s23, s49
	s_wait_alu 0xfffe
	s_cselect_b32 s23, s58, s23
	s_wait_alu 0xfffe
	s_xor_b32 s23, s23, s28
	s_wait_alu 0xfffe
	s_sub_co_i32 s23, s28, s23
	s_wait_alu 0xfffe
	s_add_co_i32 s24, s24, s23
	s_mov_b32 s23, exec_lo
	s_wait_alu 0xfffe
	v_cmpx_gt_i32_e64 s24, v0
	s_cbranch_execz .LBB34_208
; %bb.200:                              ;   in Loop: Header=BB34_7 Depth=1
	v_dual_mov_b32 v1, v17 :: v_dual_mov_b32 v2, v0
	s_mov_b32 s28, 0
                                        ; implicit-def: $sgpr58
	s_branch .LBB34_203
.LBB34_201:                             ;   in Loop: Header=BB34_203 Depth=2
	s_wait_alu 0xfffe
	s_or_b32 exec_lo, exec_lo, s93
	s_wait_loadcnt_dscnt 0x0
	s_barrier_signal -1
	s_barrier_wait -1
	global_inv scope:SCOPE_SE
	ds_load_b32 v6, v7 offset:3072
	s_mov_b32 s93, -1
	s_mov_b32 s94, -1
	s_wait_loadcnt_dscnt 0x0
	s_barrier_signal -1
	s_barrier_wait -1
	global_inv scope:SCOPE_SE
	v_and_b32_e32 v13, 0xffff, v6
	s_delay_alu instid0(VALU_DEP_1)
	v_cmp_eq_u32_e32 vcc_lo, 0, v13
	s_cbranch_vccnz .LBB34_206
.LBB34_202:                             ;   in Loop: Header=BB34_203 Depth=2
	s_wait_alu 0xfffe
	s_and_b32 s93, exec_lo, s93
	s_wait_alu 0xfffe
	s_or_b32 s28, s93, s28
	s_and_not1_b32 s58, s58, exec_lo
	s_and_b32 s93, s94, exec_lo
	s_wait_alu 0xfffe
	s_or_b32 s58, s58, s93
	s_and_not1_b32 exec_lo, exec_lo, s28
	s_cbranch_execz .LBB34_207
.LBB34_203:                             ;   Parent Loop BB34_7 Depth=1
                                        ; =>  This Inner Loop Header: Depth=2
	s_mov_b32 s93, exec_lo
	s_delay_alu instid0(VALU_DEP_1)
	v_cmpx_gt_i32_e64 s26, v2
	s_cbranch_execz .LBB34_201
; %bb.204:                              ;   in Loop: Header=BB34_203 Depth=2
	ds_load_u16 v6, v1
	s_wait_dscnt 0x0
	v_bfe_i32 v13, v6, 0, 16
	s_delay_alu instid0(VALU_DEP_1) | instskip(NEXT) | instid1(VALU_DEP_1)
	v_add_nc_u32_e32 v13, 0x8000, v13
	v_and_b32_e32 v13, v13, v30
	s_delay_alu instid0(VALU_DEP_1)
	v_cmp_eq_u32_e32 vcc_lo, v13, v22
	s_and_b32 exec_lo, exec_lo, vcc_lo
	s_cbranch_execz .LBB34_201
; %bb.205:                              ;   in Loop: Header=BB34_203 Depth=2
	v_perm_b32 v6, v6, 1, 0x5040100
	ds_store_b32 v7, v6 offset:3072
	s_branch .LBB34_201
.LBB34_206:                             ;   in Loop: Header=BB34_203 Depth=2
	v_add_nc_u32_e32 v2, s49, v2
	v_add_nc_u32_e32 v1, s85, v1
	s_mov_b32 s94, 0
	s_delay_alu instid0(VALU_DEP_2)
	v_cmp_le_i32_e32 vcc_lo, s24, v2
	s_or_not1_b32 s93, vcc_lo, exec_lo
	s_branch .LBB34_202
.LBB34_207:                             ;   in Loop: Header=BB34_7 Depth=1
	s_or_b32 exec_lo, exec_lo, s28
	v_lshrrev_b32_e32 v31, 16, v6
	s_and_not1_b32 s24, s27, exec_lo
	s_wait_alu 0xfffe
	s_and_b32 s26, s58, exec_lo
	s_wait_alu 0xfffe
	s_or_b32 s27, s24, s26
.LBB34_208:                             ;   in Loop: Header=BB34_7 Depth=1
	s_or_b32 exec_lo, exec_lo, s23
	s_mov_b32 s23, 0
	s_mov_b32 s24, -1
.LBB34_209:                             ;   in Loop: Header=BB34_7 Depth=1
	s_wait_alu 0xfffe
	s_or_not1_b32 s26, s27, exec_lo
.LBB34_210:                             ;   in Loop: Header=BB34_7 Depth=1
	s_wait_alu 0xfffe
	s_or_b32 exec_lo, exec_lo, s25
	s_mov_b32 s27, 0
	s_and_saveexec_b32 s25, s26
	s_cbranch_execz .LBB34_221
; %bb.211:                              ;   in Loop: Header=BB34_7 Depth=1
	v_mov_b32_e32 v3, 1
	v_mov_b32_e32 v1, 1
	s_xor_b32 s26, s17, -1
	s_wait_alu 0xfffe
	s_and_saveexec_b32 s17, s26
	s_cbranch_execz .LBB34_220
; %bb.212:                              ;   in Loop: Header=BB34_7 Depth=1
	s_mov_b32 s26, exec_lo
	v_cmpx_ge_i32_e64 s9, v4
	s_wait_alu 0xfffe
	s_xor_b32 s26, exec_lo, s26
	s_cbranch_execz .LBB34_217
; %bb.213:                              ;   in Loop: Header=BB34_7 Depth=1
	ds_load_b32 v1, v7 offset:4096
	v_or_b32_e32 v22, s10, v22
	v_or_b32_e32 v30, s10, v30
	s_wait_dscnt 0x0
	v_cmp_ne_u32_e32 vcc_lo, 0, v1
	s_cbranch_vccnz .LBB34_217
; %bb.214:                              ;   in Loop: Header=BB34_7 Depth=1
	s_and_saveexec_b32 s10, s2
; %bb.215:                              ;   in Loop: Header=BB34_7 Depth=1
	v_mov_b32_e32 v1, s9
	ds_store_b32 v7, v1 offset:4100
; %bb.216:                              ;   in Loop: Header=BB34_7 Depth=1
	s_wait_alu 0xfffe
	s_or_b32 exec_lo, exec_lo, s10
	s_wait_loadcnt_dscnt 0x0
	s_barrier_signal -1
	s_barrier_wait -1
	global_inv scope:SCOPE_SE
.LBB34_217:                             ;   in Loop: Header=BB34_7 Depth=1
	s_wait_alu 0xfffe
	s_and_not1_saveexec_b32 s10, s26
; %bb.218:                              ;   in Loop: Header=BB34_7 Depth=1
	v_subrev_nc_u32_e32 v4, s9, v4
; %bb.219:                              ;   in Loop: Header=BB34_7 Depth=1
	s_wait_alu 0xfffe
	s_or_b32 exec_lo, exec_lo, s10
	v_mov_b32_e32 v3, 8
	s_delay_alu instid0(VALU_DEP_2)
	v_mov_b32_e32 v1, v4
.LBB34_220:                             ;   in Loop: Header=BB34_7 Depth=1
	s_wait_alu 0xfffe
	s_or_b32 exec_lo, exec_lo, s17
	s_delay_alu instid0(VALU_DEP_1)
	v_mov_b32_e32 v4, v1
	s_mov_b32 s27, exec_lo
.LBB34_221:                             ;   in Loop: Header=BB34_7 Depth=1
	s_wait_alu 0xfffe
	s_or_b32 exec_lo, exec_lo, s25
	s_delay_alu instid0(SALU_CYCLE_1)
	s_or_not1_b32 s17, s27, exec_lo
.LBB34_222:                             ;   in Loop: Header=BB34_7 Depth=1
	s_wait_alu 0xfffe
	s_or_b32 exec_lo, exec_lo, s16
	v_mov_b32_e32 v6, v4
	s_and_not1_b32 s9, s21, exec_lo
	s_and_b32 s10, s24, exec_lo
	s_and_not1_b32 s16, s20, exec_lo
	s_and_b32 s20, s23, exec_lo
	s_wait_alu 0xfffe
	s_or_b32 s21, s9, s10
	s_or_b32 s20, s16, s20
	s_and_b32 s25, s17, exec_lo
.LBB34_223:                             ;   in Loop: Header=BB34_7 Depth=1
	s_wait_alu 0xfffe
	s_or_b32 exec_lo, exec_lo, s22
	s_delay_alu instid0(SALU_CYCLE_1)
	s_or_not1_b32 s22, s25, exec_lo
.LBB34_224:                             ;   in Loop: Header=BB34_7 Depth=1
	s_wait_alu 0xfffe
	s_or_b32 exec_lo, exec_lo, s19
	v_mov_b32_e32 v4, v6
	s_and_not1_b32 s9, s15, exec_lo
	s_and_b32 s10, s21, exec_lo
	s_and_not1_b32 s14, s14, exec_lo
	s_and_b32 s16, s20, exec_lo
	s_wait_alu 0xfffe
	s_or_b32 s15, s9, s10
	s_or_b32 s14, s14, s16
	s_and_b32 s22, s22, exec_lo
.LBB34_225:                             ;   in Loop: Header=BB34_7 Depth=1
	s_wait_alu 0xfffe
	s_or_b32 exec_lo, exec_lo, s18
	s_delay_alu instid0(SALU_CYCLE_1)
	s_or_not1_b32 s18, s22, exec_lo
.LBB34_226:                             ;   in Loop: Header=BB34_7 Depth=1
	s_wait_alu 0xfffe
	s_or_b32 exec_lo, exec_lo, s13
	s_mov_b32 s10, 0
                                        ; implicit-def: $sgpr21
	s_and_saveexec_b32 s9, s18
	s_wait_alu 0xfffe
	s_xor_b32 s9, exec_lo, s9
	s_cbranch_execz .LBB34_5
; %bb.227:                              ;   in Loop: Header=BB34_7 Depth=1
	v_and_b32_e32 v1, 7, v3
	s_mov_b32 s12, -1
	s_mov_b32 s10, -1
	s_mov_b32 s13, exec_lo
                                        ; implicit-def: $sgpr21
	s_delay_alu instid0(VALU_DEP_1)
	v_cmpx_eq_u32_e32 0, v1
	s_cbranch_execz .LBB34_4
; %bb.228:                              ;   in Loop: Header=BB34_7 Depth=1
	s_add_co_i32 s21, s92, -2
	s_cmp_eq_u32 s92, 0
	v_xor_b32_e32 v29, 1, v29
	s_cselect_b32 s12, -1, 0
	s_xor_b32 s10, exec_lo, -1
	s_wait_alu 0xfffe
	s_or_not1_b32 s12, s12, exec_lo
	s_branch .LBB34_4
.LBB34_229:
	s_or_b32 exec_lo, exec_lo, s37
	s_xor_b32 s4, s91, -1
	s_xor_b32 s0, s89, -1
	;; [unrolled: 1-line block ×3, first 2 shown]
	s_mov_b32 s1, 0
	s_and_saveexec_b32 s5, s0
	s_wait_alu 0xfffe
	s_xor_b32 s0, exec_lo, s5
	s_cbranch_execnz .LBB34_234
; %bb.230:
	s_and_not1_saveexec_b32 s0, s0
	s_cbranch_execnz .LBB34_254
.LBB34_231:
	s_or_b32 exec_lo, exec_lo, s0
	s_and_saveexec_b32 s0, s1
.LBB34_232:
	; divergent unreachable
.LBB34_233:
	s_endpgm
.LBB34_234:
	s_and_saveexec_b32 s1, s4
	s_delay_alu instid0(SALU_CYCLE_1)
	s_xor_b32 s1, exec_lo, s1
	s_cbranch_execz .LBB34_252
; %bb.235:
	s_and_saveexec_b32 s4, s3
	s_wait_alu 0xfffe
	s_xor_b32 s3, exec_lo, s4
; %bb.236:
	v_xor_b32_e32 v31, 0xffff8000, v22
; %bb.237:
	s_wait_alu 0xfffe
	s_or_b32 exec_lo, exec_lo, s3
	s_and_saveexec_b32 s3, s2
; %bb.238:
	v_dual_mov_b32 v1, 0 :: v_dual_mov_b32 v2, s36
	ds_store_b32 v1, v2 offset:4108
; %bb.239:
	s_wait_alu 0xfffe
	s_or_b32 exec_lo, exec_lo, s3
	v_mov_b32_e32 v1, 0
	s_wait_loadcnt_dscnt 0x0
	s_barrier_signal -1
	s_barrier_wait -1
	global_inv scope:SCOPE_SE
	ds_load_b32 v1, v1 offset:4108
	s_mov_b32 s3, exec_lo
	s_wait_dscnt 0x0
	v_min_i32_e32 v1, s36, v1
	s_delay_alu instid0(VALU_DEP_1)
	v_cmpx_lt_i32_e64 v0, v1
	s_cbranch_execz .LBB34_249
; %bb.240:
	s_mov_b32 s4, 0
                                        ; implicit-def: $sgpr5
                                        ; implicit-def: $sgpr7
                                        ; implicit-def: $sgpr6
	s_branch .LBB34_242
.LBB34_241:                             ;   in Loop: Header=BB34_242 Depth=1
	s_wait_alu 0xfffe
	s_or_b32 exec_lo, exec_lo, s8
	s_delay_alu instid0(SALU_CYCLE_1)
	s_and_b32 s8, exec_lo, s7
	s_wait_alu 0xfffe
	s_or_b32 s4, s8, s4
	s_and_not1_b32 s5, s5, exec_lo
	s_and_b32 s8, s6, exec_lo
	s_wait_alu 0xfffe
	s_or_b32 s5, s5, s8
	s_and_not1_b32 exec_lo, exec_lo, s4
	s_cbranch_execz .LBB34_244
.LBB34_242:                             ; =>This Inner Loop Header: Depth=1
	v_ashrrev_i32_e32 v6, 31, v5
	s_or_b32 s6, s6, exec_lo
	s_or_b32 s7, s7, exec_lo
	s_mov_b32 s8, exec_lo
	s_delay_alu instid0(VALU_DEP_1) | instskip(NEXT) | instid1(VALU_DEP_1)
	v_lshlrev_b64_e32 v[2:3], 1, v[5:6]
	v_add_co_u32 v2, vcc_lo, s60, v2
	s_wait_alu 0xfffd
	s_delay_alu instid0(VALU_DEP_2)
	v_add_co_ci_u32_e64 v3, null, s61, v3, vcc_lo
	global_load_u16 v3, v[2:3], off
	v_mov_b32_e32 v2, v0
                                        ; implicit-def: $vgpr0
	s_wait_loadcnt 0x0
	v_cmpx_ne_u16_e64 v3, v31
	s_cbranch_execz .LBB34_241
; %bb.243:                              ;   in Loop: Header=BB34_242 Depth=1
	s_delay_alu instid0(VALU_DEP_2) | instskip(SKIP_3) | instid1(VALU_DEP_2)
	v_add_nc_u32_e32 v0, s49, v2
	v_add_nc_u32_e32 v5, s73, v5
	s_and_not1_b32 s7, s7, exec_lo
	s_and_not1_b32 s6, s6, exec_lo
	v_cmp_ge_i32_e32 vcc_lo, v0, v1
	s_and_b32 s9, vcc_lo, exec_lo
	s_wait_alu 0xfffe
	s_or_b32 s7, s7, s9
	s_branch .LBB34_241
.LBB34_244:
	s_or_b32 exec_lo, exec_lo, s4
	s_wait_alu 0xfffe
	s_and_saveexec_b32 s4, s5
	s_wait_alu 0xfffe
	s_xor_b32 s4, exec_lo, s4
	s_cbranch_execz .LBB34_249
; %bb.245:
	s_mov_b32 s5, exec_lo
	s_brev_b32 s4, -2
.LBB34_246:                             ; =>This Inner Loop Header: Depth=1
	s_wait_alu 0xfffe
	s_ctz_i32_b32 s6, s5
	s_wait_alu 0xfffe
	v_readlane_b32 s7, v2, s6
	s_lshl_b32 s6, 1, s6
	s_wait_alu 0xfffe
	s_and_not1_b32 s5, s5, s6
	s_min_i32 s4, s4, s7
	s_wait_alu 0xfffe
	s_cmp_lg_u32 s5, 0
	s_cbranch_scc1 .LBB34_246
; %bb.247:
	v_mbcnt_lo_u32_b32 v0, exec_lo, 0
	s_mov_b32 s5, exec_lo
	s_delay_alu instid0(VALU_DEP_1)
	v_cmpx_eq_u32_e32 0, v0
	s_wait_alu 0xfffe
	s_xor_b32 s5, exec_lo, s5
; %bb.248:
	v_dual_mov_b32 v0, 0 :: v_dual_mov_b32 v1, s4
	ds_min_i32 v0, v1 offset:4108
.LBB34_249:
	s_wait_alu 0xfffe
	s_or_b32 exec_lo, exec_lo, s3
	s_wait_loadcnt_dscnt 0x0
	s_barrier_signal -1
	s_barrier_wait -1
	global_inv scope:SCOPE_SE
	s_and_saveexec_b32 s3, s2
	s_cbranch_execz .LBB34_251
; %bb.250:
	s_mul_i32 s4, s57, s68
	s_mul_i32 s2, s43, s31
	s_wait_alu 0xfffe
	s_sub_co_i32 s4, s48, s4
	s_sub_co_i32 s2, s33, s2
	s_xor_b32 s5, s71, s72
	s_add_co_i32 s6, s57, 1
	s_wait_alu 0xfffe
	s_sub_co_i32 s7, s4, s68
	s_cmp_ge_u32 s4, s68
	s_wait_kmcnt 0x0
	s_mul_i32 s2, s2, s46
	s_cselect_b32 s6, s6, s57
	s_wait_alu 0xfffe
	s_cselect_b32 s4, s7, s4
	s_add_co_i32 s7, s6, 1
	s_wait_alu 0xfffe
	s_cmp_ge_u32 s4, s68
	v_mov_b32_e32 v2, 0
	s_cselect_b32 s4, s7, s6
	s_mul_i32 s7, s29, s38
	s_wait_alu 0xfffe
	s_xor_b32 s4, s4, s5
	s_mul_i32 s6, s47, s35
	s_wait_alu 0xfffe
	s_sub_co_i32 s4, s4, s5
	s_sub_co_i32 s6, s33, s6
	s_wait_alu 0xfffe
	s_mul_i32 s5, s4, s30
	s_mul_i32 s4, s4, s44
	s_wait_alu 0xfffe
	s_sub_co_i32 s5, s43, s5
	s_xor_b32 s8, s69, s70
	s_wait_alu 0xfffe
	s_mul_i32 s5, s5, s45
	ds_load_b32 v0, v2 offset:4108
	s_wait_alu 0xfffe
	s_add_co_i32 s2, s5, s2
	s_sub_co_i32 s5, s50, s7
	s_wait_alu 0xfffe
	s_add_co_i32 s4, s2, s4
	s_add_co_i32 s2, s29, 1
	s_sub_co_i32 s7, s5, s38
	s_cmp_ge_u32 s5, s38
	s_mul_i32 s6, s6, s42
	s_wait_alu 0xfffe
	s_cselect_b32 s2, s2, s29
	s_cselect_b32 s5, s7, s5
	s_wait_alu 0xfffe
	s_add_co_i32 s7, s2, 1
	s_cmp_ge_u32 s5, s38
	s_wait_alu 0xfffe
	s_cselect_b32 s2, s7, s2
	s_wait_alu 0xfffe
	s_xor_b32 s2, s2, s8
	s_wait_alu 0xfffe
	s_sub_co_i32 s2, s2, s8
	s_wait_alu 0xfffe
	s_mul_i32 s5, s2, s34
	s_mul_i32 s2, s2, s40
	s_wait_alu 0xfffe
	s_sub_co_i32 s5, s47, s5
	s_wait_dscnt 0x0
	v_ashrrev_i32_e32 v1, 31, v0
	s_wait_alu 0xfffe
	s_mul_i32 s5, s5, s41
	s_wait_alu 0xfffe
	s_add_co_i32 s5, s5, s6
	s_wait_alu 0xfffe
	s_add_co_i32 s6, s5, s2
	s_ashr_i32 s5, s4, 31
	s_wait_alu 0xfffe
	s_ashr_i32 s7, s6, 31
	s_lshl_b64 s[4:5], s[4:5], 1
	s_wait_alu 0xfffe
	s_lshl_b64 s[6:7], s[6:7], 3
	s_add_nc_u64 s[4:5], s[54:55], s[4:5]
	s_wait_alu 0xfffe
	s_add_nc_u64 s[6:7], s[52:53], s[6:7]
	s_clause 0x1
	global_store_b64 v2, v[0:1], s[6:7]
	global_store_b16 v2, v31, s[4:5]
.LBB34_251:
	s_wait_alu 0xfffe
	s_or_b32 exec_lo, exec_lo, s3
.LBB34_252:
	s_or_saveexec_b32 s1, s1
	s_mov_b32 s2, 0
	s_xor_b32 exec_lo, exec_lo, s1
	s_cbranch_execnz .LBB34_255
.LBB34_253:
	s_or_b32 exec_lo, exec_lo, s1
	s_wait_alu 0xfffe
	s_and_b32 s1, s2, exec_lo
	s_and_not1_saveexec_b32 s0, s0
	s_cbranch_execz .LBB34_231
.LBB34_254:
	s_or_b32 s1, s1, exec_lo
	s_trap 2
	s_or_b32 exec_lo, exec_lo, s0
	s_and_saveexec_b32 s0, s1
	s_cbranch_execnz .LBB34_232
	s_branch .LBB34_233
.LBB34_255:
	s_mov_b32 s2, exec_lo
	s_trap 2
	s_branch .LBB34_253
	.section	.rodata,"a",@progbits
	.p2align	6, 0x0
	.amdhsa_kernel _ZN2at6native12_GLOBAL__N_114gatherKthValueIsiLi3EEEvNS_4cuda6detail10TensorInfoIKT_T0_EES8_S8_S8_S8_NS5_IS6_S8_EENS5_IlS8_EE
		.amdhsa_group_segment_fixed_size 4112
		.amdhsa_private_segment_fixed_size 0
		.amdhsa_kernarg_size 920
		.amdhsa_user_sgpr_count 2
		.amdhsa_user_sgpr_dispatch_ptr 0
		.amdhsa_user_sgpr_queue_ptr 0
		.amdhsa_user_sgpr_kernarg_segment_ptr 1
		.amdhsa_user_sgpr_dispatch_id 0
		.amdhsa_user_sgpr_private_segment_size 0
		.amdhsa_wavefront_size32 1
		.amdhsa_uses_dynamic_stack 0
		.amdhsa_enable_private_segment 0
		.amdhsa_system_sgpr_workgroup_id_x 1
		.amdhsa_system_sgpr_workgroup_id_y 1
		.amdhsa_system_sgpr_workgroup_id_z 1
		.amdhsa_system_sgpr_workgroup_info 0
		.amdhsa_system_vgpr_workitem_id 0
		.amdhsa_next_free_vgpr 44
		.amdhsa_next_free_sgpr 100
		.amdhsa_reserve_vcc 1
		.amdhsa_float_round_mode_32 0
		.amdhsa_float_round_mode_16_64 0
		.amdhsa_float_denorm_mode_32 3
		.amdhsa_float_denorm_mode_16_64 3
		.amdhsa_fp16_overflow 0
		.amdhsa_workgroup_processor_mode 1
		.amdhsa_memory_ordered 1
		.amdhsa_forward_progress 1
		.amdhsa_inst_pref_size 94
		.amdhsa_round_robin_scheduling 0
		.amdhsa_exception_fp_ieee_invalid_op 0
		.amdhsa_exception_fp_denorm_src 0
		.amdhsa_exception_fp_ieee_div_zero 0
		.amdhsa_exception_fp_ieee_overflow 0
		.amdhsa_exception_fp_ieee_underflow 0
		.amdhsa_exception_fp_ieee_inexact 0
		.amdhsa_exception_int_div_zero 0
	.end_amdhsa_kernel
	.section	.text._ZN2at6native12_GLOBAL__N_114gatherKthValueIsiLi3EEEvNS_4cuda6detail10TensorInfoIKT_T0_EES8_S8_S8_S8_NS5_IS6_S8_EENS5_IlS8_EE,"axG",@progbits,_ZN2at6native12_GLOBAL__N_114gatherKthValueIsiLi3EEEvNS_4cuda6detail10TensorInfoIKT_T0_EES8_S8_S8_S8_NS5_IS6_S8_EENS5_IlS8_EE,comdat
.Lfunc_end34:
	.size	_ZN2at6native12_GLOBAL__N_114gatherKthValueIsiLi3EEEvNS_4cuda6detail10TensorInfoIKT_T0_EES8_S8_S8_S8_NS5_IS6_S8_EENS5_IlS8_EE, .Lfunc_end34-_ZN2at6native12_GLOBAL__N_114gatherKthValueIsiLi3EEEvNS_4cuda6detail10TensorInfoIKT_T0_EES8_S8_S8_S8_NS5_IS6_S8_EENS5_IlS8_EE
                                        ; -- End function
	.set _ZN2at6native12_GLOBAL__N_114gatherKthValueIsiLi3EEEvNS_4cuda6detail10TensorInfoIKT_T0_EES8_S8_S8_S8_NS5_IS6_S8_EENS5_IlS8_EE.num_vgpr, 44
	.set _ZN2at6native12_GLOBAL__N_114gatherKthValueIsiLi3EEEvNS_4cuda6detail10TensorInfoIKT_T0_EES8_S8_S8_S8_NS5_IS6_S8_EENS5_IlS8_EE.num_agpr, 0
	.set _ZN2at6native12_GLOBAL__N_114gatherKthValueIsiLi3EEEvNS_4cuda6detail10TensorInfoIKT_T0_EES8_S8_S8_S8_NS5_IS6_S8_EENS5_IlS8_EE.numbered_sgpr, 100
	.set _ZN2at6native12_GLOBAL__N_114gatherKthValueIsiLi3EEEvNS_4cuda6detail10TensorInfoIKT_T0_EES8_S8_S8_S8_NS5_IS6_S8_EENS5_IlS8_EE.num_named_barrier, 0
	.set _ZN2at6native12_GLOBAL__N_114gatherKthValueIsiLi3EEEvNS_4cuda6detail10TensorInfoIKT_T0_EES8_S8_S8_S8_NS5_IS6_S8_EENS5_IlS8_EE.private_seg_size, 0
	.set _ZN2at6native12_GLOBAL__N_114gatherKthValueIsiLi3EEEvNS_4cuda6detail10TensorInfoIKT_T0_EES8_S8_S8_S8_NS5_IS6_S8_EENS5_IlS8_EE.uses_vcc, 1
	.set _ZN2at6native12_GLOBAL__N_114gatherKthValueIsiLi3EEEvNS_4cuda6detail10TensorInfoIKT_T0_EES8_S8_S8_S8_NS5_IS6_S8_EENS5_IlS8_EE.uses_flat_scratch, 0
	.set _ZN2at6native12_GLOBAL__N_114gatherKthValueIsiLi3EEEvNS_4cuda6detail10TensorInfoIKT_T0_EES8_S8_S8_S8_NS5_IS6_S8_EENS5_IlS8_EE.has_dyn_sized_stack, 0
	.set _ZN2at6native12_GLOBAL__N_114gatherKthValueIsiLi3EEEvNS_4cuda6detail10TensorInfoIKT_T0_EES8_S8_S8_S8_NS5_IS6_S8_EENS5_IlS8_EE.has_recursion, 0
	.set _ZN2at6native12_GLOBAL__N_114gatherKthValueIsiLi3EEEvNS_4cuda6detail10TensorInfoIKT_T0_EES8_S8_S8_S8_NS5_IS6_S8_EENS5_IlS8_EE.has_indirect_call, 0
	.section	.AMDGPU.csdata,"",@progbits
; Kernel info:
; codeLenInByte = 12024
; TotalNumSgprs: 102
; NumVgprs: 44
; ScratchSize: 0
; MemoryBound: 0
; FloatMode: 240
; IeeeMode: 1
; LDSByteSize: 4112 bytes/workgroup (compile time only)
; SGPRBlocks: 0
; VGPRBlocks: 5
; NumSGPRsForWavesPerEU: 102
; NumVGPRsForWavesPerEU: 44
; Occupancy: 16
; WaveLimiterHint : 1
; COMPUTE_PGM_RSRC2:SCRATCH_EN: 0
; COMPUTE_PGM_RSRC2:USER_SGPR: 2
; COMPUTE_PGM_RSRC2:TRAP_HANDLER: 0
; COMPUTE_PGM_RSRC2:TGID_X_EN: 1
; COMPUTE_PGM_RSRC2:TGID_Y_EN: 1
; COMPUTE_PGM_RSRC2:TGID_Z_EN: 1
; COMPUTE_PGM_RSRC2:TIDIG_COMP_CNT: 0
	.section	.text._ZN2at6native12_GLOBAL__N_114gatherKthValueIsiLin1EEEvNS_4cuda6detail10TensorInfoIKT_T0_EES8_S8_S8_S8_NS5_IS6_S8_EENS5_IlS8_EE,"axG",@progbits,_ZN2at6native12_GLOBAL__N_114gatherKthValueIsiLin1EEEvNS_4cuda6detail10TensorInfoIKT_T0_EES8_S8_S8_S8_NS5_IS6_S8_EENS5_IlS8_EE,comdat
	.globl	_ZN2at6native12_GLOBAL__N_114gatherKthValueIsiLin1EEEvNS_4cuda6detail10TensorInfoIKT_T0_EES8_S8_S8_S8_NS5_IS6_S8_EENS5_IlS8_EE ; -- Begin function _ZN2at6native12_GLOBAL__N_114gatherKthValueIsiLin1EEEvNS_4cuda6detail10TensorInfoIKT_T0_EES8_S8_S8_S8_NS5_IS6_S8_EENS5_IlS8_EE
	.p2align	8
	.type	_ZN2at6native12_GLOBAL__N_114gatherKthValueIsiLin1EEEvNS_4cuda6detail10TensorInfoIKT_T0_EES8_S8_S8_S8_NS5_IS6_S8_EENS5_IlS8_EE,@function
_ZN2at6native12_GLOBAL__N_114gatherKthValueIsiLin1EEEvNS_4cuda6detail10TensorInfoIKT_T0_EES8_S8_S8_S8_NS5_IS6_S8_EENS5_IlS8_EE: ; @_ZN2at6native12_GLOBAL__N_114gatherKthValueIsiLin1EEEvNS_4cuda6detail10TensorInfoIKT_T0_EES8_S8_S8_S8_NS5_IS6_S8_EENS5_IlS8_EE
; %bb.0:
	s_clause 0x1
	s_load_b64 s[4:5], s[0:1], 0x298
	s_load_b128 s[36:39], s[0:1], 0xd8
	s_lshr_b32 s2, ttmp7, 16
	s_and_b32 s3, ttmp7, 0xffff
	s_wait_kmcnt 0x0
	s_mul_i32 s2, s5, s2
	s_delay_alu instid0(SALU_CYCLE_1) | instskip(NEXT) | instid1(SALU_CYCLE_1)
	s_add_co_i32 s2, s2, s3
	s_mul_i32 s2, s2, s4
	s_delay_alu instid0(SALU_CYCLE_1) | instskip(NEXT) | instid1(SALU_CYCLE_1)
	s_add_co_i32 s33, s2, ttmp9
	s_cmp_ge_i32 s33, s38
	s_cbranch_scc1 .LBB35_242
; %bb.1:
	s_load_b32 s6, s[0:1], 0xd0
	s_mov_b32 s3, 0
	s_mov_b32 s5, s33
	s_wait_kmcnt 0x0
	s_cmp_lt_i32 s6, 2
	s_cbranch_scc1 .LBB35_4
; %bb.2:
	s_add_co_i32 s2, s6, -1
	s_mov_b32 s5, s33
	s_lshl_b64 s[8:9], s[2:3], 2
	s_add_co_i32 s2, s6, 1
	s_add_nc_u64 s[8:9], s[0:1], s[8:9]
	s_delay_alu instid0(SALU_CYCLE_1)
	s_add_nc_u64 s[6:7], s[8:9], 8
.LBB35_3:                               ; =>This Inner Loop Header: Depth=1
	s_clause 0x1
	s_load_b32 s8, s[6:7], 0x0
	s_load_b32 s9, s[6:7], 0x64
	s_mov_b32 s13, s5
	s_add_nc_u64 s[6:7], s[6:7], -4
	s_wait_kmcnt 0x0
	s_abs_i32 s10, s8
	s_wait_alu 0xfffe
	s_cvt_f32_u32 s11, s10
	s_sub_co_i32 s12, 0, s10
	s_wait_alu 0xfffe
	s_delay_alu instid0(SALU_CYCLE_1) | instskip(NEXT) | instid1(TRANS32_DEP_1)
	v_rcp_iflag_f32_e32 v1, s11
	v_readfirstlane_b32 s11, v1
	s_mul_f32 s11, s11, 0x4f7ffffe
	s_wait_alu 0xfffe
	s_delay_alu instid0(SALU_CYCLE_2) | instskip(SKIP_1) | instid1(SALU_CYCLE_2)
	s_cvt_u32_f32 s11, s11
	s_wait_alu 0xfffe
	s_mul_i32 s12, s12, s11
	s_delay_alu instid0(SALU_CYCLE_1)
	s_mul_hi_u32 s5, s11, s12
	s_abs_i32 s12, s13
	s_add_co_i32 s11, s11, s5
	s_wait_alu 0xfffe
	s_mul_hi_u32 s5, s12, s11
	s_xor_b32 s11, s13, s8
	s_mul_i32 s14, s5, s10
	s_wait_alu 0xfffe
	s_ashr_i32 s11, s11, 31
	s_sub_co_i32 s12, s12, s14
	s_add_co_i32 s14, s5, 1
	s_sub_co_i32 s15, s12, s10
	s_cmp_ge_u32 s12, s10
	s_cselect_b32 s5, s14, s5
	s_cselect_b32 s12, s15, s12
	s_add_co_i32 s14, s5, 1
	s_cmp_ge_u32 s12, s10
	s_cselect_b32 s5, s14, s5
	s_add_co_i32 s2, s2, -1
	s_wait_alu 0xfffe
	s_xor_b32 s5, s5, s11
	s_delay_alu instid0(SALU_CYCLE_1) | instskip(NEXT) | instid1(SALU_CYCLE_1)
	s_sub_co_i32 s5, s5, s11
	s_mul_i32 s8, s5, s8
	s_delay_alu instid0(SALU_CYCLE_1) | instskip(NEXT) | instid1(SALU_CYCLE_1)
	s_sub_co_i32 s8, s13, s8
	s_mul_i32 s8, s9, s8
	s_delay_alu instid0(SALU_CYCLE_1)
	s_add_co_i32 s3, s8, s3
	s_cmp_gt_u32 s2, 2
	s_cbranch_scc1 .LBB35_3
.LBB35_4:
	s_load_b32 s2, s[0:1], 0x1b8
	s_add_nc_u64 s[10:11], s[0:1], 0x298
	s_add_nc_u64 s[6:7], s[0:1], 0xe8
	s_mov_b32 s29, 0
	s_mov_b32 s38, s33
	s_wait_kmcnt 0x0
	s_cmp_lt_i32 s2, 2
	s_cbranch_scc1 .LBB35_7
; %bb.5:
	s_add_co_i32 s28, s2, -1
	s_add_co_i32 s2, s2, 1
	s_lshl_b64 s[8:9], s[28:29], 2
	s_mov_b32 s38, s33
	s_add_nc_u64 s[8:9], s[6:7], s[8:9]
	s_delay_alu instid0(SALU_CYCLE_1)
	s_add_nc_u64 s[8:9], s[8:9], 8
.LBB35_6:                               ; =>This Inner Loop Header: Depth=1
	s_clause 0x1
	s_load_b32 s12, s[8:9], 0x0
	s_load_b32 s13, s[8:9], 0x64
	s_abs_i32 s18, s38
	s_mov_b32 s17, s38
	s_add_nc_u64 s[8:9], s[8:9], -4
	s_wait_kmcnt 0x0
	s_abs_i32 s14, s12
	s_wait_alu 0xfffe
	s_cvt_f32_u32 s15, s14
	s_sub_co_i32 s16, 0, s14
	s_wait_alu 0xfffe
	s_delay_alu instid0(SALU_CYCLE_1) | instskip(NEXT) | instid1(TRANS32_DEP_1)
	v_rcp_iflag_f32_e32 v1, s15
	v_readfirstlane_b32 s15, v1
	s_mul_f32 s15, s15, 0x4f7ffffe
	s_wait_alu 0xfffe
	s_delay_alu instid0(SALU_CYCLE_2) | instskip(SKIP_1) | instid1(SALU_CYCLE_2)
	s_cvt_u32_f32 s15, s15
	s_wait_alu 0xfffe
	s_mul_i32 s16, s16, s15
	s_delay_alu instid0(SALU_CYCLE_1) | instskip(NEXT) | instid1(SALU_CYCLE_1)
	s_mul_hi_u32 s16, s15, s16
	s_add_co_i32 s15, s15, s16
	s_xor_b32 s16, s38, s12
	s_wait_alu 0xfffe
	s_mul_hi_u32 s15, s18, s15
	s_ashr_i32 s16, s16, 31
	s_wait_alu 0xfffe
	s_mul_i32 s19, s15, s14
	s_delay_alu instid0(SALU_CYCLE_1)
	s_sub_co_i32 s18, s18, s19
	s_add_co_i32 s19, s15, 1
	s_sub_co_i32 s20, s18, s14
	s_cmp_ge_u32 s18, s14
	s_cselect_b32 s15, s19, s15
	s_cselect_b32 s18, s20, s18
	s_wait_alu 0xfffe
	s_add_co_i32 s19, s15, 1
	s_cmp_ge_u32 s18, s14
	s_cselect_b32 s14, s19, s15
	s_add_co_i32 s2, s2, -1
	s_wait_alu 0xfffe
	s_xor_b32 s14, s14, s16
	s_wait_alu 0xfffe
	s_sub_co_i32 s38, s14, s16
	s_delay_alu instid0(SALU_CYCLE_1) | instskip(NEXT) | instid1(SALU_CYCLE_1)
	s_mul_i32 s12, s38, s12
	s_sub_co_i32 s12, s17, s12
	s_delay_alu instid0(SALU_CYCLE_1) | instskip(NEXT) | instid1(SALU_CYCLE_1)
	s_mul_i32 s12, s13, s12
	s_add_co_i32 s29, s12, s29
	s_cmp_gt_u32 s2, 2
	s_cbranch_scc1 .LBB35_6
.LBB35_7:
	s_clause 0x1
	s_load_b32 s12, s[0:1], 0x6c
	s_load_b32 s2, s[0:1], 0x290
	s_mov_b32 s31, 0
	s_wait_kmcnt 0x0
	s_cmp_lt_i32 s2, 2
	s_cbranch_scc1 .LBB35_10
; %bb.8:
	s_add_co_i32 s30, s2, -1
	s_add_nc_u64 s[8:9], s[0:1], 0x1c0
	s_lshl_b64 s[14:15], s[30:31], 2
	s_add_co_i32 s2, s2, 1
	s_wait_alu 0xfffe
	s_add_nc_u64 s[8:9], s[8:9], s[14:15]
	s_delay_alu instid0(SALU_CYCLE_1)
	s_add_nc_u64 s[8:9], s[8:9], 8
.LBB35_9:                               ; =>This Inner Loop Header: Depth=1
	s_clause 0x1
	s_load_b32 s13, s[8:9], 0x0
	s_load_b32 s14, s[8:9], 0x64
	s_abs_i32 s19, s33
	s_mov_b32 s18, s33
	s_add_nc_u64 s[8:9], s[8:9], -4
	s_wait_kmcnt 0x0
	s_abs_i32 s15, s13
	s_wait_alu 0xfffe
	s_cvt_f32_u32 s16, s15
	s_sub_co_i32 s17, 0, s15
	s_wait_alu 0xfffe
	s_delay_alu instid0(SALU_CYCLE_1) | instskip(NEXT) | instid1(TRANS32_DEP_1)
	v_rcp_iflag_f32_e32 v1, s16
	v_readfirstlane_b32 s16, v1
	s_mul_f32 s16, s16, 0x4f7ffffe
	s_wait_alu 0xfffe
	s_delay_alu instid0(SALU_CYCLE_2) | instskip(SKIP_1) | instid1(SALU_CYCLE_2)
	s_cvt_u32_f32 s16, s16
	s_wait_alu 0xfffe
	s_mul_i32 s17, s17, s16
	s_wait_alu 0xfffe
	s_mul_hi_u32 s17, s16, s17
	s_wait_alu 0xfffe
	s_add_co_i32 s16, s16, s17
	s_xor_b32 s17, s33, s13
	s_wait_alu 0xfffe
	s_mul_hi_u32 s16, s19, s16
	s_ashr_i32 s17, s17, 31
	s_wait_alu 0xfffe
	s_mul_i32 s20, s16, s15
	s_delay_alu instid0(SALU_CYCLE_1)
	s_sub_co_i32 s19, s19, s20
	s_add_co_i32 s20, s16, 1
	s_sub_co_i32 s21, s19, s15
	s_cmp_ge_u32 s19, s15
	s_cselect_b32 s16, s20, s16
	s_cselect_b32 s19, s21, s19
	s_wait_alu 0xfffe
	s_add_co_i32 s20, s16, 1
	s_cmp_ge_u32 s19, s15
	s_cselect_b32 s15, s20, s16
	s_add_co_i32 s2, s2, -1
	s_wait_alu 0xfffe
	s_xor_b32 s15, s15, s17
	s_wait_alu 0xfffe
	s_sub_co_i32 s33, s15, s17
	s_delay_alu instid0(SALU_CYCLE_1) | instskip(NEXT) | instid1(SALU_CYCLE_1)
	s_mul_i32 s13, s33, s13
	s_sub_co_i32 s13, s18, s13
	s_delay_alu instid0(SALU_CYCLE_1) | instskip(NEXT) | instid1(SALU_CYCLE_1)
	s_mul_i32 s13, s14, s13
	s_add_co_i32 s31, s13, s31
	s_cmp_gt_u32 s2, 2
	s_cbranch_scc1 .LBB35_9
.LBB35_10:
	s_clause 0x1
	s_load_b32 s30, s[6:7], 0x6c
	s_load_b64 s[6:7], s[0:1], 0x0
	v_cmp_eq_u32_e64 s2, 0, v0
	s_mov_b32 s43, 0
	s_and_saveexec_b32 s8, s2
; %bb.11:
	v_dual_mov_b32 v1, 0 :: v_dual_mov_b32 v2, s36
	s_delay_alu instid0(VALU_DEP_1)
	v_mov_b32_e32 v3, v1
	ds_store_b96 v1, v[1:3] offset:4096
; %bb.12:
	s_or_b32 exec_lo, exec_lo, s8
	s_wait_dscnt 0x0
	s_barrier_signal -1
	s_barrier_wait -1
	global_inv scope:SCOPE_SE
	s_load_b32 s13, s[10:11], 0xc
	s_clause 0x2
	s_load_b32 s52, s[0:1], 0x22c
	s_load_b64 s[34:35], s[0:1], 0xe8
	s_load_b64 s[40:41], s[0:1], 0x1c0
	v_mbcnt_lo_u32_b32 v15, -1, 0
	v_cmp_gt_u32_e32 vcc_lo, 32, v0
	s_mul_i32 s0, s12, s5
	v_dual_mov_b32 v7, 0 :: v_dual_lshlrev_b32 v16, 2, v0
	s_delay_alu instid0(VALU_DEP_3)
	v_cmp_gt_i32_e64 s1, 4, v15
	s_add_co_i32 s8, s0, s3
	v_mul_lo_u32 v5, s39, v0
	s_ashr_i32 s9, s8, 31
	v_dual_mov_b32 v6, v7 :: v_dual_lshlrev_b32 v17, 1, v0
	s_and_b32 s54, vcc_lo, s1
	s_lshl_b64 s[8:9], s[8:9], 1
	v_cmp_gt_u32_e64 s0, 2, v0
	s_wait_kmcnt 0x0
	s_add_nc_u64 s[44:45], s[6:7], s[8:9]
	v_dual_mov_b32 v31, 0 :: v_dual_add_nc_u32 v18, 0xc00, v17
	s_and_b32 s53, s13, 0xffff
	s_bfe_u32 s3, s13, 0xb0005
	s_lshl_b32 s55, s53, 2
	s_add_co_i32 s56, s53, -1
	s_cvt_f32_u32 s1, s55
	s_add_co_i32 s65, s56, s36
	s_cmp_gt_i32 s36, 0x600
	s_cvt_f32_u32 s12, s53
	v_rcp_iflag_f32_e32 v1, s1
	s_cselect_b32 s58, -1, 0
	s_cmp_gt_u32 s53, 31
	v_rcp_iflag_f32_e32 v4, s12
	s_cselect_b32 s59, -1, 0
	s_cmp_lt_u32 ttmp9, s4
	v_cmp_gt_u32_e64 s1, s36, v0
	s_cselect_b32 s42, 12, 18
	s_add_co_i32 s4, s3, -1
	s_bfe_u32 s60, s53, 0x30005
	v_readfirstlane_b32 s5, v1
	s_and_b32 s4, s4, 0xffff
	v_lshlrev_b64_e64 v[1:2], v15, -1
	s_cmp_gt_u32 s4, 6
	v_lshlrev_b64_e32 v[2:3], 1, v[5:6]
	s_mul_f32 s4, s5, 0x4f7ffffe
	s_cselect_b32 s61, -1, 0
	s_and_b32 s62, s3, 0x7f8
	s_cmp_lg_u32 s60, 0
	s_cvt_u32_f32 s5, s4
	s_cselect_b32 s63, -1, 0
	s_sub_co_i32 s4, 0, s55
	v_not_b32_e32 v20, v1
	s_mul_i32 s4, s4, s5
	v_add_co_u32 v8, vcc_lo, s44, v2
	s_mul_hi_u32 s13, s5, s4
	v_lshrrev_b32_e32 v2, 1, v0
	s_wait_alu 0xfffe
	s_add_co_i32 s46, s5, s13
	v_add_co_ci_u32_e64 v9, null, s45, v3, vcc_lo
	s_mul_hi_u32 s5, s36, s46
	v_or_b32_e32 v3, 3, v16
	s_mul_i32 s5, s5, s55
	v_cmp_gt_i32_e64 s3, s36, v0
	s_sub_co_i32 s5, s36, s5
	v_cmp_eq_u32_e64 s4, 0, v15
	s_sub_co_i32 s12, s5, s55
	s_cmp_ge_u32 s5, s55
	v_mul_lo_u32 v24, s39, v3
	s_wait_alu 0xfffe
	s_cselect_b32 s5, s12, s5
	v_readfirstlane_b32 s12, v4
	s_sub_co_i32 s13, s5, s55
	s_cmp_ge_u32 s5, s55
	v_mov_b32_e32 v32, s37
	s_wait_alu 0xfffe
	s_cselect_b32 s9, s13, s5
	s_mul_f32 s5, s12, 0x4f7ffffe
	s_sub_co_i32 s64, s36, s9
	s_sub_co_i32 s6, 0, s53
	v_add_nc_u32_e32 v19, s64, v0
	s_cvt_u32_f32 s5, s5
	s_abs_i32 s7, s65
	s_mov_b32 s12, s39
	v_dual_mov_b32 v22, 0 :: v_dual_lshlrev_b32 v25, 2, v5
	v_mul_lo_u32 v1, v19, s39
	s_mul_i32 s6, s6, s5
	s_wait_alu 0xfffe
	v_mad_co_u64_u32 v[12:13], null, s39, v16, s[12:13]
	s_mul_hi_u32 s6, s5, s6
	v_dual_mov_b32 v30, 0 :: v_dual_lshlrev_b32 v27, 3, v0
	s_add_co_i32 s48, s5, s6
	s_movk_i32 s5, 0x1f0
	s_mul_hi_u32 s6, s7, s48
	v_and_or_b32 v21, v2, s5, 0xc00
	v_ashrrev_i32_e32 v2, 31, v1
	s_mul_i32 s6, s6, s53
	v_lshl_or_b32 v28, v15, 2, 0xc00
	s_sub_co_i32 s5, s7, s6
	s_ashr_i32 s7, s65, 31
	v_lshlrev_b64_e32 v[1:2], 1, v[1:2]
	s_wait_alu 0xfffe
	s_sub_co_i32 s6, s5, s53
	s_cmp_ge_u32 s5, s53
	v_mov_b32_e32 v29, 0
	s_cselect_b32 s6, s6, s5
	v_cmp_gt_i32_e64 s5, s64, v16
	v_add_co_u32 v10, vcc_lo, s44, v1
	v_add3_u32 v1, s53, s36, v0
	s_sub_co_i32 s8, s6, s53
	s_cmp_ge_u32 s6, s53
	s_wait_alu 0xfffd
	v_add_co_ci_u32_e64 v11, null, s45, v2, vcc_lo
	s_cselect_b32 s8, s8, s6
	v_or_b32_e32 v2, 2, v16
	v_subrev_nc_u32_e32 v1, s9, v1
	s_xor_b32 s8, s8, s7
	v_cmp_gt_u32_e64 s6, s36, v19
	s_wait_alu 0xfffe
	s_sub_co_i32 s8, s7, s8
	v_mul_lo_u32 v23, s39, v2
	v_mul_lo_u32 v26, s39, v1
	s_wait_alu 0xfffe
	s_add_co_i32 s65, s65, s8
	v_cmp_gt_i32_e64 s7, s36, v19
	s_wait_alu 0xfffe
	v_cmp_gt_i32_e64 s8, s65, v0
	s_mul_i32 s57, s39, s53
	s_mov_b32 s47, s43
	s_mov_b32 s49, s43
	s_lshl_b32 s66, s57, 2
	s_lshl_b32 s67, s53, 3
	;; [unrolled: 1-line block ×3, first 2 shown]
	s_mov_b32 s75, 14
	s_add_nc_u64 s[50:51], s[10:11], s[42:43]
	s_mov_b32 s37, 0
                                        ; implicit-def: $sgpr72
                                        ; implicit-def: $sgpr74
                                        ; implicit-def: $sgpr69
                                        ; implicit-def: $sgpr71
                                        ; implicit-def: $sgpr73
                                        ; implicit-def: $sgpr70
	s_branch .LBB35_16
.LBB35_13:                              ;   in Loop: Header=BB35_16 Depth=1
	s_wait_alu 0xfffe
	s_or_b32 exec_lo, exec_lo, s13
	s_delay_alu instid0(SALU_CYCLE_1)
	s_and_b32 s10, s10, exec_lo
	s_and_not1_b32 s15, s15, exec_lo
	s_and_not1_b32 s14, s14, exec_lo
	s_or_not1_b32 s12, s12, exec_lo
.LBB35_14:                              ;   in Loop: Header=BB35_16 Depth=1
	s_wait_alu 0xfffe
	s_or_b32 exec_lo, exec_lo, s9
	s_delay_alu instid0(SALU_CYCLE_1)
	s_and_not1_b32 s9, s70, exec_lo
	s_and_b32 s10, s10, exec_lo
	s_and_not1_b32 s13, s71, exec_lo
	s_wait_alu 0xfffe
	s_or_b32 s70, s9, s10
	s_and_not1_b32 s9, s73, exec_lo
	s_and_b32 s10, s15, exec_lo
	s_and_b32 s14, s14, exec_lo
	s_wait_alu 0xfffe
	s_or_b32 s73, s9, s10
	s_or_b32 s71, s13, s14
	s_or_not1_b32 s13, s12, exec_lo
.LBB35_15:                              ;   in Loop: Header=BB35_16 Depth=1
	s_wait_alu 0xfffe
	s_or_b32 exec_lo, exec_lo, s11
	s_delay_alu instid0(SALU_CYCLE_1)
	s_and_b32 s9, exec_lo, s13
	v_mov_b32_e32 v32, v4
	s_wait_alu 0xfffe
	s_or_b32 s37, s9, s37
	s_and_not1_b32 s9, s69, exec_lo
	s_and_b32 s10, s70, exec_lo
	s_and_not1_b32 s11, s74, exec_lo
	s_wait_alu 0xfffe
	s_or_b32 s69, s9, s10
	s_and_b32 s9, s73, exec_lo
	s_and_not1_b32 s10, s72, exec_lo
	s_and_b32 s12, s71, exec_lo
	s_wait_alu 0xfffe
	s_or_b32 s74, s11, s9
	s_or_b32 s72, s10, s12
	s_mov_b32 s75, s21
	s_and_not1_b32 exec_lo, exec_lo, s37
	s_cbranch_execz .LBB35_238
.LBB35_16:                              ; =>This Loop Header: Depth=1
                                        ;     Child Loop BB35_21 Depth 2
                                        ;     Child Loop BB35_36 Depth 2
	;; [unrolled: 1-line block ×16, first 2 shown]
	ds_load_b64 v[1:2], v7 offset:4096
	s_wait_dscnt 0x0
	v_readfirstlane_b32 s42, v1
	s_cmp_gt_i32 s42, 0
	s_cbranch_scc1 .LBB35_43
; %bb.17:                               ;   in Loop: Header=BB35_16 Depth=1
	s_and_b32 vcc_lo, exec_lo, s58
	s_wait_alu 0xfffe
	s_cbranch_vccz .LBB35_29
; %bb.18:                               ;   in Loop: Header=BB35_16 Depth=1
	v_cmp_gt_i32_e32 vcc_lo, 0x601, v2
	s_mov_b32 s10, 0
	s_mov_b32 s9, 0
	s_cbranch_vccz .LBB35_30
; %bb.19:                               ;   in Loop: Header=BB35_16 Depth=1
	global_load_u16 v1, v[8:9], off
	s_load_u16 s11, s[50:51], 0x0
	s_mov_b32 s12, 0
	s_wait_kmcnt 0x0
	v_add_nc_u32_e32 v2, s11, v0
	s_mul_i32 s13, s39, s11
	s_delay_alu instid0(VALU_DEP_1)
	v_mul_lo_u32 v6, s39, v2
	v_mov_b32_e32 v2, v0
	s_branch .LBB35_21
.LBB35_20:                              ;   in Loop: Header=BB35_21 Depth=2
	s_wait_alu 0xfffe
	s_or_b32 exec_lo, exec_lo, s9
	v_cmp_le_i32_e32 vcc_lo, s36, v2
	v_dual_mov_b32 v1, v3 :: v_dual_add_nc_u32 v6, s13, v6
	s_or_b32 s12, vcc_lo, s12
	s_wait_alu 0xfffe
	s_and_not1_b32 exec_lo, exec_lo, s12
	s_cbranch_execz .LBB35_75
.LBB35_21:                              ;   Parent Loop BB35_16 Depth=1
                                        ; =>  This Inner Loop Header: Depth=2
	s_delay_alu instid0(VALU_DEP_1) | instskip(SKIP_3) | instid1(VALU_DEP_2)
	v_dual_mov_b32 v3, 0 :: v_dual_add_nc_u32 v2, s11, v2
	s_wait_dscnt 0x0
	v_mov_b32_e32 v4, 0
	s_mov_b32 s9, exec_lo
	v_cmpx_gt_u32_e64 s36, v2
	s_cbranch_execz .LBB35_23
; %bb.22:                               ;   in Loop: Header=BB35_21 Depth=2
	v_lshlrev_b64_e32 v[13:14], 1, v[6:7]
	s_delay_alu instid0(VALU_DEP_1) | instskip(SKIP_1) | instid1(VALU_DEP_2)
	v_add_co_u32 v13, vcc_lo, s44, v13
	s_wait_alu 0xfffd
	v_add_co_ci_u32_e64 v14, null, s45, v14, vcc_lo
	global_load_u16 v3, v[13:14], off
.LBB35_23:                              ;   in Loop: Header=BB35_21 Depth=2
	s_wait_alu 0xfffe
	s_or_b32 exec_lo, exec_lo, s9
	s_wait_loadcnt 0x0
	v_bfe_i32 v13, v1, 0, 16
	s_delay_alu instid0(VALU_DEP_1) | instskip(NEXT) | instid1(VALU_DEP_1)
	v_add_nc_u32_e32 v13, 0x8000, v13
	v_and_b32_e32 v13, v13, v30
	s_delay_alu instid0(VALU_DEP_1)
	v_cmp_eq_u32_e32 vcc_lo, v13, v22
	s_cmp_lg_u32 vcc_lo, 0
	s_cselect_b32 s9, -1, 0
	s_wait_alu 0xfffe
	s_and_b32 s9, s4, s9
	s_wait_alu 0xfffe
	s_and_saveexec_b32 s14, s9
	s_cbranch_execz .LBB35_27
; %bb.24:                               ;   in Loop: Header=BB35_21 Depth=2
	s_mov_b32 s17, exec_lo
	s_bcnt1_i32_b32 s15, vcc_lo
	s_wait_alu 0xfffe
	v_mbcnt_lo_u32_b32 v4, s17, 0
	s_mov_b32 s16, exec_lo
                                        ; implicit-def: $vgpr13
	s_delay_alu instid0(VALU_DEP_1)
	v_cmpx_eq_u32_e32 0, v4
; %bb.25:                               ;   in Loop: Header=BB35_21 Depth=2
	s_bcnt1_i32_b32 s9, s17
	s_wait_alu 0xfffe
	s_mul_i32 s9, s15, s9
	s_wait_alu 0xfffe
	v_mov_b32_e32 v13, s9
	ds_add_rtn_u32 v13, v7, v13 offset:4104
; %bb.26:                               ;   in Loop: Header=BB35_21 Depth=2
	s_or_b32 exec_lo, exec_lo, s16
	s_wait_dscnt 0x0
	v_readfirstlane_b32 s9, v13
	s_wait_alu 0xf1ff
	s_delay_alu instid0(VALU_DEP_1)
	v_mad_u32_u24 v4, s15, v4, s9
.LBB35_27:                              ;   in Loop: Header=BB35_21 Depth=2
	s_wait_alu 0xfffe
	s_or_b32 exec_lo, exec_lo, s14
	ds_bpermute_b32 v4, v7, v4
	s_and_saveexec_b32 s9, vcc_lo
	s_cbranch_execz .LBB35_20
; %bb.28:                               ;   in Loop: Header=BB35_21 Depth=2
	v_and_b32_e32 v13, vcc_lo, v20
	s_delay_alu instid0(VALU_DEP_1) | instskip(NEXT) | instid1(VALU_DEP_1)
	v_bcnt_u32_b32 v13, v13, 0
	v_lshlrev_b32_e32 v13, 1, v13
	s_wait_dscnt 0x0
	s_delay_alu instid0(VALU_DEP_1)
	v_lshl_add_u32 v4, v4, 1, v13
	ds_store_b16 v4, v1
	s_branch .LBB35_20
.LBB35_29:                              ;   in Loop: Header=BB35_16 Depth=1
	s_mov_b32 s10, -1
	s_mov_b32 s9, 0
.LBB35_30:                              ;   in Loop: Header=BB35_16 Depth=1
	s_wait_alu 0xfffe
	s_and_b32 vcc_lo, exec_lo, s10
	s_wait_alu 0xfffe
	s_cbranch_vccz .LBB35_41
.LBB35_31:                              ;   in Loop: Header=BB35_16 Depth=1
	v_mov_b32_e32 v1, 0
	s_and_saveexec_b32 s9, s1
	s_cbranch_execz .LBB35_33
; %bb.32:                               ;   in Loop: Header=BB35_16 Depth=1
	global_load_u16 v1, v[8:9], off
.LBB35_33:                              ;   in Loop: Header=BB35_16 Depth=1
	s_wait_alu 0xfffe
	s_or_b32 exec_lo, exec_lo, s9
	s_and_saveexec_b32 s9, s3
	s_cbranch_execz .LBB35_38
; %bb.34:                               ;   in Loop: Header=BB35_16 Depth=1
	s_load_u16 s10, s[50:51], 0x0
	s_mov_b32 s13, 0
	s_wait_kmcnt 0x0
	v_dual_mov_b32 v3, v0 :: v_dual_add_nc_u32 v2, s10, v0
	s_lshl_b32 s11, s10, 1
	s_mul_i32 s12, s39, s10
	s_delay_alu instid0(VALU_DEP_1)
	v_mul_lo_u32 v6, s39, v2
	v_mov_b32_e32 v2, v17
	s_branch .LBB35_36
.LBB35_35:                              ;   in Loop: Header=BB35_36 Depth=2
	s_wait_alu 0xfffe
	s_or_b32 exec_lo, exec_lo, s14
	v_cmp_le_i32_e32 vcc_lo, s36, v3
	s_wait_loadcnt 0x0
	ds_store_b16 v2, v1
	v_dual_mov_b32 v1, v4 :: v_dual_add_nc_u32 v2, s11, v2
	v_add_nc_u32_e32 v6, s12, v6
	s_or_b32 s13, vcc_lo, s13
	s_wait_alu 0xfffe
	s_and_not1_b32 exec_lo, exec_lo, s13
	s_cbranch_execz .LBB35_38
.LBB35_36:                              ;   Parent Loop BB35_16 Depth=1
                                        ; =>  This Inner Loop Header: Depth=2
	v_dual_mov_b32 v4, 0 :: v_dual_add_nc_u32 v3, s10, v3
	s_mov_b32 s14, exec_lo
	s_delay_alu instid0(VALU_DEP_1)
	v_cmpx_gt_u32_e64 s36, v3
	s_cbranch_execz .LBB35_35
; %bb.37:                               ;   in Loop: Header=BB35_36 Depth=2
	s_delay_alu instid0(VALU_DEP_4) | instskip(NEXT) | instid1(VALU_DEP_1)
	v_lshlrev_b64_e32 v[13:14], 1, v[6:7]
	v_add_co_u32 v13, vcc_lo, s44, v13
	s_wait_alu 0xfffd
	s_delay_alu instid0(VALU_DEP_2)
	v_add_co_ci_u32_e64 v14, null, s45, v14, vcc_lo
	global_load_u16 v4, v[13:14], off
	s_branch .LBB35_35
.LBB35_38:                              ;   in Loop: Header=BB35_16 Depth=1
	s_wait_alu 0xfffe
	s_or_b32 exec_lo, exec_lo, s9
	s_wait_loadcnt_dscnt 0x0
	s_barrier_signal -1
	s_barrier_wait -1
	global_inv scope:SCOPE_SE
	s_and_saveexec_b32 s9, s2
; %bb.39:                               ;   in Loop: Header=BB35_16 Depth=1
	v_mov_b32_e32 v1, s36
	ds_store_b32 v7, v1 offset:4096
; %bb.40:                               ;   in Loop: Header=BB35_16 Depth=1
	s_wait_alu 0xfffe
	s_or_b32 exec_lo, exec_lo, s9
	s_mov_b32 s9, -1
	s_wait_loadcnt_dscnt 0x0
	s_barrier_signal -1
	s_barrier_wait -1
.LBB35_41:                              ;   in Loop: Header=BB35_16 Depth=1
	s_wait_alu 0xfffe
	s_and_b32 vcc_lo, exec_lo, s9
	s_wait_alu 0xfffe
	s_cbranch_vccz .LBB35_43
; %bb.42:                               ;   in Loop: Header=BB35_16 Depth=1
	s_wait_loadcnt 0x0
	global_inv scope:SCOPE_SE
	ds_load_b32 v1, v7 offset:4096
	s_wait_dscnt 0x0
	v_readfirstlane_b32 s42, v1
.LBB35_43:                              ;   in Loop: Header=BB35_16 Depth=1
	s_delay_alu instid0(VALU_DEP_1)
	s_cmp_lt_i32 s42, 1
	s_mov_b32 s9, -1
                                        ; implicit-def: $vgpr1
	s_cbranch_scc1 .LBB35_53
; %bb.44:                               ;   in Loop: Header=BB35_16 Depth=1
	s_wait_alu 0xfffe
	s_and_b32 vcc_lo, exec_lo, s9
	s_wait_alu 0xfffe
	s_cbranch_vccnz .LBB35_66
.LBB35_45:                              ;   in Loop: Header=BB35_16 Depth=1
	v_lshlrev_b32_e32 v6, 7, v29
	s_and_saveexec_b32 s9, s4
.LBB35_46:                              ;   in Loop: Header=BB35_16 Depth=1
	s_delay_alu instid0(VALU_DEP_1)
	v_lshl_add_u32 v13, v6, 2, v21
	ds_store_b128 v13, v[1:4]
.LBB35_47:                              ;   in Loop: Header=BB35_16 Depth=1
	s_wait_alu 0xfffe
	s_or_b32 exec_lo, exec_lo, s9
	s_wait_loadcnt_dscnt 0x0
	s_barrier_signal -1
	s_barrier_wait -1
	global_inv scope:SCOPE_SE
	s_and_saveexec_b32 s9, s54
	s_cbranch_execz .LBB35_82
; %bb.48:                               ;   in Loop: Header=BB35_16 Depth=1
	v_mov_b32_e32 v1, 0
	s_and_not1_b32 vcc_lo, exec_lo, s59
	s_wait_alu 0xfffe
	s_cbranch_vccnz .LBB35_81
; %bb.49:                               ;   in Loop: Header=BB35_16 Depth=1
	s_and_not1_b32 vcc_lo, exec_lo, s61
	s_wait_alu 0xfffe
	s_cbranch_vccnz .LBB35_78
; %bb.50:                               ;   in Loop: Header=BB35_16 Depth=1
	v_lshl_add_u32 v2, v29, 9, v28
	v_mov_b32_e32 v1, 0
	s_mov_b32 s10, 0
.LBB35_51:                              ;   Parent Loop BB35_16 Depth=1
                                        ; =>  This Inner Loop Header: Depth=2
	ds_load_2addr_b32 v[3:4], v2 offset1:4
	ds_load_2addr_b32 v[13:14], v2 offset0:8 offset1:12
	ds_load_2addr_b32 v[33:34], v2 offset0:16 offset1:20
	;; [unrolled: 1-line block ×3, first 2 shown]
	v_add_nc_u32_e32 v2, 0x80, v2
	s_wait_alu 0xfffe
	s_add_co_i32 s10, s10, 8
	s_wait_alu 0xfffe
	s_cmp_eq_u32 s62, s10
	s_wait_dscnt 0x3
	v_add3_u32 v1, v3, v1, v4
	s_wait_dscnt 0x2
	s_delay_alu instid0(VALU_DEP_1) | instskip(SKIP_1) | instid1(VALU_DEP_1)
	v_add3_u32 v1, v13, v1, v14
	s_wait_dscnt 0x1
	v_add3_u32 v1, v33, v1, v34
	s_wait_dscnt 0x0
	s_delay_alu instid0(VALU_DEP_1)
	v_add3_u32 v1, v35, v1, v36
	s_cbranch_scc0 .LBB35_51
; %bb.52:                               ;   in Loop: Header=BB35_16 Depth=1
	s_mov_b32 s10, s62
	s_and_not1_b32 vcc_lo, exec_lo, s63
	s_wait_alu 0xfffe
	s_cbranch_vccz .LBB35_79
	s_branch .LBB35_81
.LBB35_53:                              ;   in Loop: Header=BB35_16 Depth=1
	v_dual_mov_b32 v1, 0 :: v_dual_mov_b32 v2, 0
	v_dual_mov_b32 v3, 0 :: v_dual_mov_b32 v4, 0
	s_and_saveexec_b32 s76, s5
	s_cbranch_execnz .LBB35_56
; %bb.54:                               ;   in Loop: Header=BB35_16 Depth=1
	s_wait_alu 0xfffe
	s_or_b32 exec_lo, exec_lo, s76
	v_mov_b32_e32 v33, 0
	s_and_saveexec_b32 s9, s6
	s_cbranch_execnz .LBB35_59
.LBB35_55:                              ;   in Loop: Header=BB35_16 Depth=1
	s_wait_alu 0xfffe
	s_or_b32 exec_lo, exec_lo, s9
	s_and_saveexec_b32 s13, s7
	s_cbranch_execnz .LBB35_60
	s_branch .LBB35_65
.LBB35_56:                              ;   in Loop: Header=BB35_16 Depth=1
	v_mov_b32_e32 v6, v16
	s_mov_b32 s77, 0
	s_mov_b32 s78, 0
	;; [unrolled: 1-line block ×6, first 2 shown]
.LBB35_57:                              ;   Parent Loop BB35_16 Depth=1
                                        ; =>  This Inner Loop Header: Depth=2
	s_wait_alu 0xfffe
	v_add_nc_u32_e32 v1, s78, v25
	v_add_nc_u32_e32 v3, s78, v12
	;; [unrolled: 1-line block ×4, first 2 shown]
	s_add_co_i32 s78, s78, s66
	v_ashrrev_i32_e32 v2, 31, v1
	v_ashrrev_i32_e32 v4, 31, v3
	;; [unrolled: 1-line block ×4, first 2 shown]
	s_delay_alu instid0(VALU_DEP_4) | instskip(NEXT) | instid1(VALU_DEP_4)
	v_lshlrev_b64_e32 v[1:2], 1, v[1:2]
	v_lshlrev_b64_e32 v[3:4], 1, v[3:4]
	s_delay_alu instid0(VALU_DEP_4) | instskip(NEXT) | instid1(VALU_DEP_4)
	v_lshlrev_b64_e32 v[13:14], 1, v[13:14]
	v_lshlrev_b64_e32 v[33:34], 1, v[33:34]
	s_delay_alu instid0(VALU_DEP_4)
	v_add_co_u32 v1, vcc_lo, s44, v1
	s_wait_alu 0xfffd
	v_add_co_ci_u32_e64 v2, null, s45, v2, vcc_lo
	v_add_co_u32 v3, vcc_lo, s44, v3
	s_wait_alu 0xfffd
	v_add_co_ci_u32_e64 v4, null, s45, v4, vcc_lo
	v_add_co_u32 v13, vcc_lo, s44, v13
	s_wait_alu 0xfffd
	v_add_co_ci_u32_e64 v14, null, s45, v14, vcc_lo
	v_add_co_u32 v33, vcc_lo, s44, v33
	s_wait_alu 0xfffd
	v_add_co_ci_u32_e64 v34, null, s45, v34, vcc_lo
	s_clause 0x3
	global_load_i16 v1, v[1:2], off
	global_load_i16 v2, v[3:4], off
	;; [unrolled: 1-line block ×4, first 2 shown]
	s_wait_loadcnt 0x3
	v_add_nc_u32_e32 v1, 0x8000, v1
	s_wait_loadcnt 0x2
	v_add_nc_u32_e32 v2, 0x8000, v2
	;; [unrolled: 2-line block ×4, first 2 shown]
	v_and_b32_e32 v13, v1, v30
	v_bfe_u32 v1, v1, s75, 2
	v_and_b32_e32 v14, v2, v30
	v_bfe_u32 v2, v2, s75, 2
	;; [unrolled: 2-line block ×3, first 2 shown]
	v_cmp_eq_u32_e64 s9, v13, v22
	v_cmp_eq_u32_e64 s13, 0, v1
	v_and_b32_e32 v34, v4, v30
	v_bfe_u32 v4, v4, s75, 2
	v_cmp_eq_u32_e64 s10, v14, v22
	v_cmp_eq_u32_e64 s14, 0, v2
	;; [unrolled: 1-line block ×4, first 2 shown]
	s_and_b32 s13, s9, s13
	v_cmp_eq_u32_e64 s12, v34, v22
	v_cmp_eq_u32_e64 s16, 0, v4
	;; [unrolled: 1-line block ×5, first 2 shown]
	s_wait_alu 0xfffe
	v_cndmask_b32_e64 v1, 0, 1, s13
	s_and_b32 s13, s10, s14
	v_cmp_eq_u32_e64 s18, 1, v2
	v_cmp_eq_u32_e64 s22, 2, v2
	v_cmp_eq_u32_e64 s26, 3, v2
	s_wait_alu 0xfffe
	v_cndmask_b32_e64 v2, 0, 1, s13
	s_and_b32 s13, s11, s15
	v_cmp_eq_u32_e64 s19, 1, v3
	v_cmp_eq_u32_e64 s23, 2, v3
	v_cmp_eq_u32_e64 s27, 3, v3
	;; [unrolled: 6-line block ×3, first 2 shown]
	s_wait_alu 0xfffe
	v_cndmask_b32_e64 v4, 0, 1, s13
	s_and_b32 s13, s9, s17
	s_wait_alu 0xfffe
	v_cndmask_b32_e64 v13, 0, 1, s13
	s_and_b32 s13, s10, s18
	;; [unrolled: 3-line block ×4, first 2 shown]
	v_cmp_ne_u32_e64 s14, 0, v14
	s_wait_alu 0xfffe
	v_cndmask_b32_e64 v34, 0, 1, s13
	s_and_b32 s13, s9, s21
	s_and_b32 s9, s9, s25
	s_wait_alu 0xfffe
	v_cndmask_b32_e64 v35, 0, 1, s13
	v_cndmask_b32_e64 v39, 0, 1, s9
	s_and_b32 s9, s10, s26
	s_and_b32 s13, s10, s22
	s_wait_alu 0xfffe
	v_cndmask_b32_e64 v40, 0, 1, s9
	s_and_b32 s9, s11, s27
	v_cndmask_b32_e64 v36, 0, 1, s13
	s_wait_alu 0xfffe
	v_cndmask_b32_e64 v41, 0, 1, s9
	s_and_b32 s9, s12, s28
	s_and_b32 s13, s11, s23
	s_wait_alu 0xfffe
	v_cndmask_b32_e64 v42, 0, 1, s9
	v_cmp_ne_u32_e64 s9, 0, v1
	v_cmp_ne_u32_e64 s10, 0, v2
	v_cndmask_b32_e64 v37, 0, 1, s13
	s_and_b32 s13, s12, s24
	v_cmp_ne_u32_e64 s11, 0, v3
	s_wait_alu 0xfffe
	v_cndmask_b32_e64 v38, 0, 1, s13
	v_cmp_ne_u32_e64 s13, 0, v13
	v_cmp_ne_u32_e64 s17, 0, v35
	;; [unrolled: 1-line block ×3, first 2 shown]
	s_bcnt1_i32_b32 s9, s9
	v_cmp_ne_u32_e64 s12, 0, v4
	v_cmp_ne_u32_e64 s18, 0, v36
	;; [unrolled: 1-line block ×3, first 2 shown]
	s_bcnt1_i32_b32 s10, s10
	s_wait_alu 0xfffe
	s_add_co_i32 s9, s9, s82
	v_cmp_ne_u32_e64 s15, 0, v33
	v_cmp_ne_u32_e64 s19, 0, v37
	;; [unrolled: 1-line block ×3, first 2 shown]
	s_bcnt1_i32_b32 s11, s11
	s_wait_alu 0xfffe
	s_add_co_i32 s9, s9, s10
	s_bcnt1_i32_b32 s13, s13
	s_bcnt1_i32_b32 s17, s17
	;; [unrolled: 1-line block ×3, first 2 shown]
	v_cmp_ne_u32_e64 s16, 0, v34
	v_cmp_ne_u32_e64 s20, 0, v38
	;; [unrolled: 1-line block ×3, first 2 shown]
	s_bcnt1_i32_b32 s12, s12
	s_wait_alu 0xfffe
	s_add_co_i32 s9, s9, s11
	s_bcnt1_i32_b32 s14, s14
	s_bcnt1_i32_b32 s18, s18
	;; [unrolled: 1-line block ×3, first 2 shown]
	s_add_co_i32 s13, s13, s81
	s_add_co_i32 s17, s17, s80
	;; [unrolled: 1-line block ×3, first 2 shown]
	s_wait_alu 0xfffe
	s_add_co_i32 s82, s9, s12
	s_wait_alu 0xfffe
	v_dual_mov_b32 v1, s82 :: v_dual_add_nc_u32 v6, s55, v6
	s_bcnt1_i32_b32 s15, s15
	s_bcnt1_i32_b32 s19, s19
	;; [unrolled: 1-line block ×3, first 2 shown]
	s_add_co_i32 s10, s13, s14
	s_add_co_i32 s13, s17, s18
	;; [unrolled: 1-line block ×3, first 2 shown]
	s_bcnt1_i32_b32 s16, s16
	s_bcnt1_i32_b32 s20, s20
	;; [unrolled: 1-line block ×3, first 2 shown]
	s_wait_alu 0xfffe
	s_add_co_i32 s10, s10, s15
	s_add_co_i32 s11, s13, s19
	;; [unrolled: 1-line block ×3, first 2 shown]
	v_cmp_le_i32_e32 vcc_lo, s64, v6
	s_wait_alu 0xfffe
	s_add_co_i32 s81, s10, s16
	s_add_co_i32 s80, s11, s20
	;; [unrolled: 1-line block ×3, first 2 shown]
	s_wait_alu 0xfffe
	v_dual_mov_b32 v2, s81 :: v_dual_mov_b32 v3, s80
	v_mov_b32_e32 v4, s79
	s_or_b32 s77, vcc_lo, s77
	s_wait_alu 0xfffe
	s_and_not1_b32 exec_lo, exec_lo, s77
	s_cbranch_execnz .LBB35_57
; %bb.58:                               ;   in Loop: Header=BB35_16 Depth=1
	s_or_b32 exec_lo, exec_lo, s77
	s_delay_alu instid0(SALU_CYCLE_1)
	s_or_b32 exec_lo, exec_lo, s76
	v_mov_b32_e32 v33, 0
	s_and_saveexec_b32 s9, s6
	s_cbranch_execz .LBB35_55
.LBB35_59:                              ;   in Loop: Header=BB35_16 Depth=1
	global_load_u16 v33, v[10:11], off
	s_wait_alu 0xfffe
	s_or_b32 exec_lo, exec_lo, s9
	s_and_saveexec_b32 s13, s7
	s_cbranch_execz .LBB35_65
.LBB35_60:                              ;   in Loop: Header=BB35_16 Depth=1
	v_dual_mov_b32 v13, v26 :: v_dual_mov_b32 v6, v19
	s_mov_b32 s14, 0
	s_branch .LBB35_62
.LBB35_61:                              ;   in Loop: Header=BB35_62 Depth=2
	s_wait_alu 0xfffe
	s_or_b32 exec_lo, exec_lo, s9
	s_wait_loadcnt 0x0
	v_bfe_i32 v33, v33, 0, 16
	v_add_nc_u32_e32 v13, s57, v13
	s_delay_alu instid0(VALU_DEP_2) | instskip(NEXT) | instid1(VALU_DEP_1)
	v_add_nc_u32_e32 v33, 0x8000, v33
	v_and_b32_e32 v34, v33, v30
	v_bfe_u32 v33, v33, s75, 2
	s_delay_alu instid0(VALU_DEP_2) | instskip(NEXT) | instid1(VALU_DEP_2)
	v_cmp_eq_u32_e32 vcc_lo, v34, v22
	v_cmp_eq_u32_e64 s9, 0, v33
	v_cmp_eq_u32_e64 s10, 1, v33
	;; [unrolled: 1-line block ×4, first 2 shown]
	s_and_b32 s9, vcc_lo, s9
	s_wait_alu 0xfffe
	v_cndmask_b32_e64 v33, 0, 1, s9
	s_and_b32 s9, vcc_lo, s10
	s_wait_alu 0xfffe
	v_cndmask_b32_e64 v34, 0, 1, s9
	;; [unrolled: 3-line block ×3, first 2 shown]
	s_and_b32 s9, vcc_lo, s12
	v_cmp_ne_u32_e32 vcc_lo, 0, v33
	s_wait_alu 0xfffe
	v_cndmask_b32_e64 v36, 0, 1, s9
	v_cmp_ne_u32_e64 s9, 0, v34
	v_cmp_ne_u32_e64 s10, 0, v35
	v_cmp_le_i32_e64 s12, s36, v6
	s_bcnt1_i32_b32 s15, vcc_lo
	v_cmp_ne_u32_e64 s11, 0, v36
	s_bcnt1_i32_b32 s9, s9
	s_bcnt1_i32_b32 s10, s10
	s_wait_alu 0xfffe
	v_add_nc_u32_e32 v1, s15, v1
	v_add_nc_u32_e32 v2, s9, v2
	s_bcnt1_i32_b32 s11, s11
	v_add_nc_u32_e32 v3, s10, v3
	s_wait_alu 0xfffe
	v_dual_mov_b32 v33, v14 :: v_dual_add_nc_u32 v4, s11, v4
	s_or_b32 s14, s12, s14
	s_wait_alu 0xfffe
	s_and_not1_b32 exec_lo, exec_lo, s14
	s_cbranch_execz .LBB35_64
.LBB35_62:                              ;   Parent Loop BB35_16 Depth=1
                                        ; =>  This Inner Loop Header: Depth=2
	s_delay_alu instid0(VALU_DEP_1) | instskip(SKIP_2) | instid1(VALU_DEP_2)
	v_add_nc_u32_e32 v6, s53, v6
	v_mov_b32_e32 v14, 0
	s_mov_b32 s9, exec_lo
	v_cmpx_gt_u32_e64 s36, v6
	s_cbranch_execz .LBB35_61
; %bb.63:                               ;   in Loop: Header=BB35_62 Depth=2
	v_ashrrev_i32_e32 v14, 31, v13
	s_delay_alu instid0(VALU_DEP_1) | instskip(NEXT) | instid1(VALU_DEP_1)
	v_lshlrev_b64_e32 v[34:35], 1, v[13:14]
	v_add_co_u32 v34, vcc_lo, s44, v34
	s_wait_alu 0xfffd
	s_delay_alu instid0(VALU_DEP_2)
	v_add_co_ci_u32_e64 v35, null, s45, v35, vcc_lo
	global_load_u16 v14, v[34:35], off
	s_branch .LBB35_61
.LBB35_64:                              ;   in Loop: Header=BB35_16 Depth=1
	s_or_b32 exec_lo, exec_lo, s14
.LBB35_65:                              ;   in Loop: Header=BB35_16 Depth=1
	s_wait_alu 0xfffe
	s_or_b32 exec_lo, exec_lo, s13
	s_branch .LBB35_45
.LBB35_66:                              ;   in Loop: Header=BB35_16 Depth=1
	s_mul_u64 s[10:11], s[42:43], s[46:47]
	v_dual_mov_b32 v1, 0 :: v_dual_mov_b32 v2, 0
	s_wait_alu 0xfffe
	s_mul_i32 s9, s11, s55
	v_dual_mov_b32 v3, 0 :: v_dual_mov_b32 v4, 0
	s_wait_alu 0xfffe
	s_sub_co_i32 s9, s42, s9
	s_mov_b32 s77, exec_lo
	s_wait_alu 0xfffe
	s_sub_co_i32 s10, s9, s55
	s_cmp_ge_u32 s9, s55
	s_wait_alu 0xfffe
	s_cselect_b32 s9, s10, s9
	s_wait_alu 0xfffe
	s_sub_co_i32 s10, s9, s55
	s_cmp_ge_u32 s9, s55
	s_wait_alu 0xfffe
	s_cselect_b32 s9, s10, s9
	s_wait_alu 0xfffe
	s_sub_co_i32 s76, s42, s9
	s_wait_alu 0xfffe
	v_cmpx_gt_u32_e64 s76, v16
	s_cbranch_execz .LBB35_70
; %bb.67:                               ;   in Loop: Header=BB35_16 Depth=1
	v_dual_mov_b32 v6, v27 :: v_dual_mov_b32 v13, v16
	s_mov_b32 s78, 0
	s_mov_b32 s79, 0
	;; [unrolled: 1-line block ×5, first 2 shown]
.LBB35_68:                              ;   Parent Loop BB35_16 Depth=1
                                        ; =>  This Inner Loop Header: Depth=2
	ds_load_b64 v[1:2], v6
	s_wait_dscnt 0x0
	v_bfe_i32 v3, v1, 0, 16
	v_ashrrev_i32_e32 v1, 16, v1
	v_bfe_i32 v4, v2, 0, 16
	v_ashrrev_i32_e32 v2, 16, v2
	s_delay_alu instid0(VALU_DEP_4) | instskip(NEXT) | instid1(VALU_DEP_4)
	v_add_nc_u32_e32 v3, 0x8000, v3
	v_add_nc_u32_e32 v1, 0x8000, v1
	s_delay_alu instid0(VALU_DEP_4) | instskip(NEXT) | instid1(VALU_DEP_4)
	v_add_nc_u32_e32 v4, 0x8000, v4
	v_add_nc_u32_e32 v2, 0x8000, v2
	s_delay_alu instid0(VALU_DEP_4)
	v_and_b32_e32 v14, v3, v30
	v_bfe_u32 v3, v3, s75, 2
	s_wait_loadcnt 0x0
	v_and_b32_e32 v33, v1, v30
	v_bfe_u32 v1, v1, s75, 2
	v_and_b32_e32 v34, v4, v30
	v_bfe_u32 v4, v4, s75, 2
	v_cmp_eq_u32_e64 s9, v14, v22
	v_cmp_eq_u32_e64 s13, 0, v3
	v_and_b32_e32 v35, v2, v30
	v_bfe_u32 v2, v2, s75, 2
	v_cmp_eq_u32_e64 s10, v33, v22
	v_cmp_eq_u32_e64 s14, 0, v1
	;; [unrolled: 1-line block ×4, first 2 shown]
	s_and_b32 s13, s9, s13
	v_cmp_eq_u32_e64 s12, v35, v22
	v_cmp_eq_u32_e64 s16, 0, v2
	;; [unrolled: 1-line block ×5, first 2 shown]
	s_wait_alu 0xfffe
	v_cndmask_b32_e64 v1, 0, 1, s13
	s_and_b32 s13, s10, s14
	v_cmp_eq_u32_e64 s17, 1, v3
	v_cmp_eq_u32_e64 s20, 1, v2
	;; [unrolled: 1-line block ×4, first 2 shown]
	s_wait_alu 0xfffe
	v_cndmask_b32_e64 v2, 0, 1, s13
	s_and_b32 s13, s11, s15
	v_cmp_eq_u32_e64 s21, 2, v3
	v_cmp_eq_u32_e64 s25, 3, v3
	s_wait_alu 0xfffe
	v_cndmask_b32_e64 v3, 0, 1, s13
	s_and_b32 s13, s12, s16
	v_cmp_eq_u32_e64 s19, 1, v4
	v_cmp_eq_u32_e64 s23, 2, v4
	;; [unrolled: 1-line block ×3, first 2 shown]
	s_wait_alu 0xfffe
	v_cndmask_b32_e64 v4, 0, 1, s13
	s_and_b32 s13, s9, s17
	s_wait_alu 0xfffe
	v_cndmask_b32_e64 v14, 0, 1, s13
	s_and_b32 s13, s10, s18
	;; [unrolled: 3-line block ×4, first 2 shown]
	v_cmp_ne_u32_e64 s14, 0, v33
	s_wait_alu 0xfffe
	v_cndmask_b32_e64 v35, 0, 1, s13
	s_and_b32 s13, s9, s21
	s_and_b32 s9, s9, s25
	s_wait_alu 0xfffe
	v_cndmask_b32_e64 v36, 0, 1, s13
	s_and_b32 s13, s10, s22
	v_cndmask_b32_e64 v40, 0, 1, s9
	s_and_b32 s9, s10, s26
	s_wait_alu 0xfffe
	v_cndmask_b32_e64 v37, 0, 1, s13
	s_and_b32 s13, s11, s23
	v_cndmask_b32_e64 v41, 0, 1, s9
	s_and_b32 s9, s11, s27
	s_wait_alu 0xfffe
	v_cndmask_b32_e64 v38, 0, 1, s13
	s_and_b32 s13, s12, s24
	v_cndmask_b32_e64 v42, 0, 1, s9
	s_and_b32 s9, s12, s28
	s_wait_alu 0xfffe
	v_cndmask_b32_e64 v39, 0, 1, s13
	v_cndmask_b32_e64 v43, 0, 1, s9
	v_cmp_ne_u32_e64 s9, 0, v1
	v_cmp_ne_u32_e64 s13, 0, v14
	v_cmp_ne_u32_e64 s10, 0, v2
	v_cmp_ne_u32_e64 s15, 0, v34
	v_cmp_ne_u32_e64 s17, 0, v36
	v_cmp_ne_u32_e64 s21, 0, v40
	s_bcnt1_i32_b32 s9, s9
	s_bcnt1_i32_b32 s13, s13
	v_cmp_ne_u32_e64 s16, 0, v35
	v_cmp_ne_u32_e64 s18, 0, v37
	;; [unrolled: 1-line block ×3, first 2 shown]
	s_bcnt1_i32_b32 s10, s10
	s_bcnt1_i32_b32 s14, s14
	s_wait_alu 0xfffe
	s_add_co_i32 s9, s9, s82
	s_add_co_i32 s13, s13, s81
	v_cmp_ne_u32_e64 s11, 0, v3
	v_cmp_ne_u32_e64 s19, 0, v38
	;; [unrolled: 1-line block ×3, first 2 shown]
	s_bcnt1_i32_b32 s15, s15
	s_wait_alu 0xfffe
	s_add_co_i32 s9, s9, s10
	s_add_co_i32 s10, s13, s14
	s_bcnt1_i32_b32 s17, s17
	s_bcnt1_i32_b32 s21, s21
	v_cmp_ne_u32_e64 s12, 0, v4
	v_cmp_ne_u32_e64 s20, 0, v39
	;; [unrolled: 1-line block ×3, first 2 shown]
	s_bcnt1_i32_b32 s16, s16
	s_wait_alu 0xfffe
	s_add_co_i32 s10, s10, s15
	s_bcnt1_i32_b32 s18, s18
	s_bcnt1_i32_b32 s22, s22
	s_add_co_i32 s17, s17, s80
	s_add_co_i32 s21, s21, s79
	s_wait_alu 0xfffe
	s_add_co_i32 s81, s10, s16
	s_wait_alu 0xfffe
	v_dual_mov_b32 v2, s81 :: v_dual_add_nc_u32 v13, s55, v13
	s_bcnt1_i32_b32 s11, s11
	s_bcnt1_i32_b32 s19, s19
	;; [unrolled: 1-line block ×3, first 2 shown]
	s_add_co_i32 s13, s17, s18
	s_add_co_i32 s14, s21, s22
	s_bcnt1_i32_b32 s12, s12
	s_bcnt1_i32_b32 s20, s20
	;; [unrolled: 1-line block ×3, first 2 shown]
	s_wait_alu 0xfffe
	s_add_co_i32 s9, s9, s11
	s_add_co_i32 s11, s13, s19
	;; [unrolled: 1-line block ×3, first 2 shown]
	v_cmp_le_i32_e32 vcc_lo, s76, v13
	s_wait_alu 0xfffe
	s_add_co_i32 s82, s9, s12
	s_add_co_i32 s80, s11, s20
	;; [unrolled: 1-line block ×3, first 2 shown]
	s_wait_alu 0xfffe
	v_dual_mov_b32 v1, s82 :: v_dual_add_nc_u32 v6, s67, v6
	v_dual_mov_b32 v3, s80 :: v_dual_mov_b32 v4, s79
	s_or_b32 s78, vcc_lo, s78
	s_wait_alu 0xfffe
	s_and_not1_b32 exec_lo, exec_lo, s78
	s_cbranch_execnz .LBB35_68
; %bb.69:                               ;   in Loop: Header=BB35_16 Depth=1
	s_or_b32 exec_lo, exec_lo, s78
.LBB35_70:                              ;   in Loop: Header=BB35_16 Depth=1
	s_delay_alu instid0(SALU_CYCLE_1) | instskip(SKIP_2) | instid1(VALU_DEP_1)
	s_or_b32 exec_lo, exec_lo, s77
	v_add_nc_u32_e32 v6, s76, v0
	s_mov_b32 s14, exec_lo
	v_cmpx_gt_i32_e64 s42, v6
	s_cbranch_execz .LBB35_74
; %bb.71:                               ;   in Loop: Header=BB35_16 Depth=1
	v_lshlrev_b32_e32 v13, 1, v6
	s_mov_b32 s15, 0
.LBB35_72:                              ;   Parent Loop BB35_16 Depth=1
                                        ; =>  This Inner Loop Header: Depth=2
	ds_load_i16 v14, v13
	v_add_nc_u32_e32 v6, s53, v6
	v_add_nc_u32_e32 v13, s68, v13
	s_delay_alu instid0(VALU_DEP_2) | instskip(SKIP_3) | instid1(VALU_DEP_1)
	v_cmp_le_i32_e32 vcc_lo, s42, v6
	s_wait_dscnt 0x0
	v_add_nc_u32_e32 v14, 0x8000, v14
	s_wait_loadcnt 0x0
	v_and_b32_e32 v33, v14, v30
	v_bfe_u32 v14, v14, s75, 2
	s_delay_alu instid0(VALU_DEP_2) | instskip(NEXT) | instid1(VALU_DEP_2)
	v_cmp_eq_u32_e64 s9, v33, v22
	v_cmp_eq_u32_e64 s10, 0, v14
	;; [unrolled: 1-line block ×5, first 2 shown]
	s_and_b32 s10, s9, s10
	s_wait_alu 0xfffe
	v_cndmask_b32_e64 v14, 0, 1, s10
	s_and_b32 s10, s9, s11
	s_wait_alu 0xfffe
	v_cndmask_b32_e64 v33, 0, 1, s10
	s_and_b32 s10, s9, s12
	s_and_b32 s9, s9, s13
	s_wait_alu 0xfffe
	v_cndmask_b32_e64 v34, 0, 1, s10
	v_cndmask_b32_e64 v35, 0, 1, s9
	v_cmp_ne_u32_e64 s9, 0, v14
	v_cmp_ne_u32_e64 s10, 0, v33
	s_delay_alu instid0(VALU_DEP_4) | instskip(NEXT) | instid1(VALU_DEP_4)
	v_cmp_ne_u32_e64 s11, 0, v34
	v_cmp_ne_u32_e64 s12, 0, v35
	s_bcnt1_i32_b32 s9, s9
	s_bcnt1_i32_b32 s10, s10
	s_wait_alu 0xfffe
	v_add_nc_u32_e32 v1, s9, v1
	s_bcnt1_i32_b32 s11, s11
	s_bcnt1_i32_b32 s12, s12
	v_add_nc_u32_e32 v2, s10, v2
	s_wait_alu 0xfffe
	v_add_nc_u32_e32 v3, s11, v3
	v_add_nc_u32_e32 v4, s12, v4
	s_or_b32 s15, vcc_lo, s15
	s_wait_alu 0xfffe
	s_and_not1_b32 exec_lo, exec_lo, s15
	s_cbranch_execnz .LBB35_72
; %bb.73:                               ;   in Loop: Header=BB35_16 Depth=1
	s_or_b32 exec_lo, exec_lo, s15
.LBB35_74:                              ;   in Loop: Header=BB35_16 Depth=1
	s_wait_alu 0xfffe
	s_or_b32 exec_lo, exec_lo, s14
	v_lshlrev_b32_e32 v6, 7, v29
	s_and_saveexec_b32 s9, s4
	s_cbranch_execnz .LBB35_46
	s_branch .LBB35_47
.LBB35_75:                              ;   in Loop: Header=BB35_16 Depth=1
	s_or_b32 exec_lo, exec_lo, s12
	s_wait_dscnt 0x0
	s_barrier_signal -1
	s_barrier_wait -1
	global_inv scope:SCOPE_SE
	s_and_saveexec_b32 s9, s2
	s_cbranch_execz .LBB35_77
; %bb.76:                               ;   in Loop: Header=BB35_16 Depth=1
	ds_load_b32 v1, v7 offset:4104
	s_wait_dscnt 0x0
	ds_store_b32 v7, v1 offset:4096
.LBB35_77:                              ;   in Loop: Header=BB35_16 Depth=1
	s_wait_alu 0xfffe
	s_or_b32 exec_lo, exec_lo, s9
	s_wait_loadcnt_dscnt 0x0
	s_barrier_signal -1
	s_mov_b32 s9, -1
	s_barrier_wait -1
	s_and_b32 vcc_lo, exec_lo, s10
	s_wait_alu 0xfffe
	s_cbranch_vccnz .LBB35_31
	s_branch .LBB35_41
.LBB35_78:                              ;   in Loop: Header=BB35_16 Depth=1
	v_mov_b32_e32 v1, 0
	s_mov_b32 s10, 0
	s_and_not1_b32 vcc_lo, exec_lo, s63
	s_wait_alu 0xfffe
	s_cbranch_vccnz .LBB35_81
.LBB35_79:                              ;   in Loop: Header=BB35_16 Depth=1
	v_lshlrev_b32_e32 v2, 9, v29
	s_lshl_b32 s10, s10, 4
	s_wait_alu 0xfffe
	s_delay_alu instid0(VALU_DEP_1)
	v_add3_u32 v2, v2, s10, v28
	s_mov_b32 s10, s60
.LBB35_80:                              ;   Parent Loop BB35_16 Depth=1
                                        ; =>  This Inner Loop Header: Depth=2
	ds_load_b32 v3, v2
	v_add_nc_u32_e32 v2, 16, v2
	s_wait_alu 0xfffe
	s_add_co_i32 s10, s10, -1
	s_wait_alu 0xfffe
	s_cmp_lg_u32 s10, 0
	s_wait_dscnt 0x0
	v_add_nc_u32_e32 v1, v3, v1
	s_cbranch_scc1 .LBB35_80
.LBB35_81:                              ;   in Loop: Header=BB35_16 Depth=1
	v_add_lshl_u32 v2, v6, v15, 2
	ds_store_b32 v2, v1 offset:3072
.LBB35_82:                              ;   in Loop: Header=BB35_16 Depth=1
	s_wait_alu 0xfffe
	s_or_b32 exec_lo, exec_lo, s9
	v_lshlrev_b32_e32 v1, 2, v6
	s_wait_loadcnt_dscnt 0x0
	s_barrier_signal -1
	s_barrier_wait -1
	global_inv scope:SCOPE_SE
	ds_load_b128 v[1:4], v1 offset:3072
	s_lshl_b32 s10, 3, s75
	v_cmp_eq_u32_e32 vcc_lo, 1, v32
	s_wait_alu 0xfffe
	s_not_b32 s17, s10
	s_mov_b32 s13, -1
	s_mov_b32 s15, -1
                                        ; implicit-def: $sgpr20
                                        ; implicit-def: $sgpr18
	s_wait_dscnt 0x0
	v_readfirstlane_b32 s12, v1
	v_readfirstlane_b32 s19, v2
	;; [unrolled: 1-line block ×4, first 2 shown]
	s_cmp_eq_u32 s12, 1
	s_cselect_b32 s11, -1, 0
	s_wait_alu 0xfffe
	s_and_b32 s14, s11, vcc_lo
	s_wait_alu 0xfffe
	s_and_saveexec_b32 s11, s14
	s_cbranch_execz .LBB35_108
; %bb.83:                               ;   in Loop: Header=BB35_16 Depth=1
	ds_load_b32 v1, v7 offset:4096
	s_wait_loadcnt_dscnt 0x0
	s_barrier_signal -1
	s_barrier_wait -1
	global_inv scope:SCOPE_SE
	v_readfirstlane_b32 s15, v1
	s_and_saveexec_b32 s18, s0
; %bb.84:                               ;   in Loop: Header=BB35_16 Depth=1
	ds_store_b16 v18, v7
; %bb.85:                               ;   in Loop: Header=BB35_16 Depth=1
	s_wait_alu 0xfffe
	s_or_b32 exec_lo, exec_lo, s18
	v_and_b32_e32 v22, s17, v22
	v_or_b32_e32 v30, s10, v30
	s_mov_b32 s18, -1
	s_mov_b32 s20, 0
	s_cmp_lt_i32 s15, 1
	s_mov_b32 s21, 0
	s_mov_b32 s22, -1
	s_wait_loadcnt_dscnt 0x0
	s_barrier_signal -1
	s_barrier_wait -1
	global_inv scope:SCOPE_SE
                                        ; implicit-def: $vgpr31
	s_cbranch_scc0 .LBB35_96
; %bb.86:                               ;   in Loop: Header=BB35_16 Depth=1
	s_mov_b32 s22, 0
                                        ; implicit-def: $vgpr31
	s_and_saveexec_b32 s23, s8
	s_cbranch_execz .LBB35_95
; %bb.87:                               ;   in Loop: Header=BB35_16 Depth=1
	v_mov_b32_e32 v1, v5
	v_mov_b32_e32 v3, v0
                                        ; implicit-def: $sgpr24
	s_branch .LBB35_90
.LBB35_88:                              ;   in Loop: Header=BB35_90 Depth=2
	s_wait_alu 0xfffe
	s_or_b32 exec_lo, exec_lo, s25
	s_wait_loadcnt_dscnt 0x0
	s_barrier_signal -1
	s_barrier_wait -1
	global_inv scope:SCOPE_SE
	ds_load_b32 v2, v7 offset:3072
	s_mov_b32 s25, -1
	s_mov_b32 s26, -1
	s_wait_loadcnt_dscnt 0x0
	s_barrier_signal -1
	s_barrier_wait -1
	global_inv scope:SCOPE_SE
	v_and_b32_e32 v4, 0xffff, v2
	s_delay_alu instid0(VALU_DEP_1)
	v_cmp_ne_u32_e32 vcc_lo, 0, v4
	s_cbranch_vccz .LBB35_93
.LBB35_89:                              ;   in Loop: Header=BB35_90 Depth=2
	s_wait_alu 0xfffe
	s_and_b32 s25, exec_lo, s25
	s_wait_alu 0xfffe
	s_or_b32 s21, s25, s21
	s_and_not1_b32 s24, s24, exec_lo
	s_and_b32 s25, s26, exec_lo
	s_wait_alu 0xfffe
	s_or_b32 s24, s24, s25
	s_and_not1_b32 exec_lo, exec_lo, s21
	s_cbranch_execz .LBB35_94
.LBB35_90:                              ;   Parent Loop BB35_16 Depth=1
                                        ; =>  This Inner Loop Header: Depth=2
	s_mov_b32 s25, exec_lo
	s_delay_alu instid0(VALU_DEP_1)
	v_cmpx_gt_i32_e64 s36, v3
	s_cbranch_execz .LBB35_88
; %bb.91:                               ;   in Loop: Header=BB35_90 Depth=2
	v_ashrrev_i32_e32 v2, 31, v1
	s_delay_alu instid0(VALU_DEP_1) | instskip(NEXT) | instid1(VALU_DEP_1)
	v_lshlrev_b64_e32 v[13:14], 1, v[1:2]
	v_add_co_u32 v13, vcc_lo, s44, v13
	s_wait_alu 0xfffd
	s_delay_alu instid0(VALU_DEP_2) | instskip(SKIP_3) | instid1(VALU_DEP_1)
	v_add_co_ci_u32_e64 v14, null, s45, v14, vcc_lo
	global_load_u16 v2, v[13:14], off
	s_wait_loadcnt 0x0
	v_bfe_i32 v4, v2, 0, 16
	v_add_nc_u32_e32 v4, 0x8000, v4
	s_delay_alu instid0(VALU_DEP_1) | instskip(NEXT) | instid1(VALU_DEP_1)
	v_and_b32_e32 v4, v4, v30
	v_cmp_eq_u32_e32 vcc_lo, v4, v22
	s_and_b32 exec_lo, exec_lo, vcc_lo
	s_cbranch_execz .LBB35_88
; %bb.92:                               ;   in Loop: Header=BB35_90 Depth=2
	v_perm_b32 v2, v2, 1, 0x5040100
	ds_store_b32 v7, v2 offset:3072
	s_branch .LBB35_88
.LBB35_93:                              ;   in Loop: Header=BB35_90 Depth=2
	v_add_nc_u32_e32 v3, s53, v3
	v_add_nc_u32_e32 v1, s57, v1
	s_mov_b32 s26, 0
	s_delay_alu instid0(VALU_DEP_2)
	v_cmp_le_i32_e32 vcc_lo, s65, v3
	s_or_not1_b32 s25, vcc_lo, exec_lo
	s_branch .LBB35_89
.LBB35_94:                              ;   in Loop: Header=BB35_16 Depth=1
	s_or_b32 exec_lo, exec_lo, s21
	v_lshrrev_b32_e32 v31, 16, v2
	s_wait_alu 0xfffe
	s_and_b32 s21, s24, exec_lo
.LBB35_95:                              ;   in Loop: Header=BB35_16 Depth=1
	s_wait_alu 0xfffe
	s_or_b32 exec_lo, exec_lo, s23
.LBB35_96:                              ;   in Loop: Header=BB35_16 Depth=1
	s_wait_alu 0xfffe
	s_and_b32 vcc_lo, exec_lo, s22
	s_wait_alu 0xfffe
	s_cbranch_vccz .LBB35_107
; %bb.97:                               ;   in Loop: Header=BB35_16 Depth=1
	s_add_co_i32 s20, s15, s56
                                        ; implicit-def: $vgpr31
	s_wait_alu 0xfffe
	s_abs_i32 s42, s20
	s_wait_alu 0xfffe
	s_mul_u64 s[22:23], s[42:43], s[48:49]
	s_ashr_i32 s22, s20, 31
	s_wait_alu 0xfffe
	s_mul_i32 s18, s23, s53
	s_wait_alu 0xfffe
	s_sub_co_i32 s18, s42, s18
	s_wait_alu 0xfffe
	s_sub_co_i32 s23, s18, s53
	s_cmp_ge_u32 s18, s53
	s_wait_alu 0xfffe
	s_cselect_b32 s18, s23, s18
	s_wait_alu 0xfffe
	s_sub_co_i32 s23, s18, s53
	s_cmp_ge_u32 s18, s53
	s_wait_alu 0xfffe
	s_cselect_b32 s18, s23, s18
	s_wait_alu 0xfffe
	s_xor_b32 s18, s18, s22
	s_wait_alu 0xfffe
	s_sub_co_i32 s18, s22, s18
	s_wait_alu 0xfffe
	s_add_co_i32 s20, s20, s18
	s_mov_b32 s18, exec_lo
	s_wait_alu 0xfffe
	v_cmpx_gt_i32_e64 s20, v0
	s_cbranch_execz .LBB35_106
; %bb.98:                               ;   in Loop: Header=BB35_16 Depth=1
	v_dual_mov_b32 v1, v17 :: v_dual_mov_b32 v2, v0
	s_mov_b32 s22, 0
                                        ; implicit-def: $sgpr23
	s_branch .LBB35_101
.LBB35_99:                              ;   in Loop: Header=BB35_101 Depth=2
	s_wait_alu 0xfffe
	s_or_b32 exec_lo, exec_lo, s24
	s_wait_loadcnt_dscnt 0x0
	s_barrier_signal -1
	s_barrier_wait -1
	global_inv scope:SCOPE_SE
	ds_load_b32 v3, v7 offset:3072
	s_mov_b32 s24, -1
	s_mov_b32 s25, -1
	s_wait_loadcnt_dscnt 0x0
	s_barrier_signal -1
	s_barrier_wait -1
	global_inv scope:SCOPE_SE
	v_and_b32_e32 v4, 0xffff, v3
	s_delay_alu instid0(VALU_DEP_1)
	v_cmp_ne_u32_e32 vcc_lo, 0, v4
	s_cbranch_vccz .LBB35_104
.LBB35_100:                             ;   in Loop: Header=BB35_101 Depth=2
	s_wait_alu 0xfffe
	s_and_b32 s24, exec_lo, s24
	s_wait_alu 0xfffe
	s_or_b32 s22, s24, s22
	s_and_not1_b32 s23, s23, exec_lo
	s_and_b32 s24, s25, exec_lo
	s_wait_alu 0xfffe
	s_or_b32 s23, s23, s24
	s_and_not1_b32 exec_lo, exec_lo, s22
	s_cbranch_execz .LBB35_105
.LBB35_101:                             ;   Parent Loop BB35_16 Depth=1
                                        ; =>  This Inner Loop Header: Depth=2
	s_mov_b32 s24, exec_lo
	s_delay_alu instid0(VALU_DEP_1)
	v_cmpx_gt_i32_e64 s15, v2
	s_cbranch_execz .LBB35_99
; %bb.102:                              ;   in Loop: Header=BB35_101 Depth=2
	ds_load_u16 v3, v1
	s_wait_dscnt 0x0
	v_bfe_i32 v4, v3, 0, 16
	s_delay_alu instid0(VALU_DEP_1) | instskip(NEXT) | instid1(VALU_DEP_1)
	v_add_nc_u32_e32 v4, 0x8000, v4
	v_and_b32_e32 v4, v4, v30
	s_delay_alu instid0(VALU_DEP_1)
	v_cmp_eq_u32_e32 vcc_lo, v4, v22
	s_and_b32 exec_lo, exec_lo, vcc_lo
	s_cbranch_execz .LBB35_99
; %bb.103:                              ;   in Loop: Header=BB35_101 Depth=2
	v_perm_b32 v3, v3, 1, 0x5040100
	ds_store_b32 v7, v3 offset:3072
	s_branch .LBB35_99
.LBB35_104:                             ;   in Loop: Header=BB35_101 Depth=2
	v_add_nc_u32_e32 v2, s53, v2
	v_add_nc_u32_e32 v1, s68, v1
	s_mov_b32 s25, 0
	s_delay_alu instid0(VALU_DEP_2)
	v_cmp_le_i32_e32 vcc_lo, s20, v2
	s_or_not1_b32 s24, vcc_lo, exec_lo
	s_branch .LBB35_100
.LBB35_105:                             ;   in Loop: Header=BB35_16 Depth=1
	s_or_b32 exec_lo, exec_lo, s22
	s_delay_alu instid0(SALU_CYCLE_1)
	s_and_not1_b32 s15, s21, exec_lo
	s_wait_alu 0xfffe
	s_and_b32 s20, s23, exec_lo
	v_lshrrev_b32_e32 v31, 16, v3
	s_wait_alu 0xfffe
	s_or_b32 s21, s15, s20
.LBB35_106:                             ;   in Loop: Header=BB35_16 Depth=1
	s_or_b32 exec_lo, exec_lo, s18
	s_mov_b32 s18, 0
	s_mov_b32 s20, -1
.LBB35_107:                             ;   in Loop: Header=BB35_16 Depth=1
	s_wait_alu 0xfffe
	s_or_not1_b32 s15, s21, exec_lo
.LBB35_108:                             ;   in Loop: Header=BB35_16 Depth=1
	s_wait_alu 0xfffe
	s_or_b32 exec_lo, exec_lo, s11
	v_readfirstlane_b32 s21, v0
	s_and_not1_b32 s11, s73, exec_lo
	s_and_b32 s20, s20, exec_lo
	s_and_not1_b32 s22, s71, exec_lo
	s_and_b32 s18, s18, exec_lo
	s_and_not1_b32 s70, s70, exec_lo
	s_wait_alu 0xfffe
	s_or_b32 s73, s11, s20
	s_or_b32 s71, s22, s18
                                        ; implicit-def: $vgpr4
	s_and_saveexec_b32 s11, s15
	s_cbranch_execz .LBB35_15
; %bb.109:                              ;   in Loop: Header=BB35_16 Depth=1
	v_dual_mov_b32 v4, 1 :: v_dual_mov_b32 v3, 1
	s_xor_b32 s14, s14, -1
	s_mov_b32 s20, 0
	s_wait_alu 0xfffe
	s_and_saveexec_b32 s13, s14
	s_cbranch_execz .LBB35_118
; %bb.110:                              ;   in Loop: Header=BB35_16 Depth=1
	s_mov_b32 s14, exec_lo
	v_cmpx_ge_i32_e64 s12, v32
	s_wait_alu 0xfffe
	s_xor_b32 s14, exec_lo, s14
	s_cbranch_execz .LBB35_115
; %bb.111:                              ;   in Loop: Header=BB35_16 Depth=1
	ds_load_b32 v1, v7 offset:4096
	v_and_b32_e32 v22, s17, v22
	v_or_b32_e32 v30, s10, v30
	s_wait_dscnt 0x0
	v_cmp_ne_u32_e32 vcc_lo, 0, v1
	s_cbranch_vccnz .LBB35_115
; %bb.112:                              ;   in Loop: Header=BB35_16 Depth=1
	s_and_saveexec_b32 s15, s2
; %bb.113:                              ;   in Loop: Header=BB35_16 Depth=1
	v_mov_b32_e32 v1, s12
	ds_store_b32 v7, v1 offset:4100
; %bb.114:                              ;   in Loop: Header=BB35_16 Depth=1
	s_wait_alu 0xfffe
	s_or_b32 exec_lo, exec_lo, s15
	s_wait_loadcnt_dscnt 0x0
	s_barrier_signal -1
	s_barrier_wait -1
	global_inv scope:SCOPE_SE
.LBB35_115:                             ;   in Loop: Header=BB35_16 Depth=1
	s_wait_alu 0xfffe
	s_or_saveexec_b32 s14, s14
	v_mov_b32_e32 v3, 8
	s_mov_b32 s15, 0
	s_wait_alu 0xfffe
	s_xor_b32 exec_lo, exec_lo, s14
; %bb.116:                              ;   in Loop: Header=BB35_16 Depth=1
	v_subrev_nc_u32_e32 v32, s12, v32
	v_mov_b32_e32 v3, 0
	s_mov_b32 s15, exec_lo
; %bb.117:                              ;   in Loop: Header=BB35_16 Depth=1
	s_or_b32 exec_lo, exec_lo, s14
	s_delay_alu instid0(VALU_DEP_2)
	v_mov_b32_e32 v4, v32
	s_wait_alu 0xfffe
	s_and_b32 s20, s15, exec_lo
.LBB35_118:                             ;   in Loop: Header=BB35_16 Depth=1
	s_wait_alu 0xfffe
	s_or_b32 exec_lo, exec_lo, s13
	s_mov_b32 s12, -1
	s_mov_b32 s18, -1
                                        ; implicit-def: $sgpr14
                                        ; implicit-def: $sgpr15
	s_and_saveexec_b32 s13, s20
	s_wait_alu 0xfffe
	s_xor_b32 s13, exec_lo, s13
	s_cbranch_execz .LBB35_235
; %bb.119:                              ;   in Loop: Header=BB35_16 Depth=1
	v_cmp_eq_u32_e32 vcc_lo, 1, v4
	s_cmp_eq_u32 s19, 1
	s_mov_b32 s21, -1
	s_cselect_b32 s14, -1, 0
                                        ; implicit-def: $sgpr15
	s_wait_alu 0xfffe
	s_and_b32 s20, s14, vcc_lo
                                        ; implicit-def: $sgpr14
	s_wait_alu 0xfffe
	s_and_saveexec_b32 s18, s20
	s_cbranch_execz .LBB35_145
; %bb.120:                              ;   in Loop: Header=BB35_16 Depth=1
	ds_load_b32 v1, v7 offset:4096
	s_wait_loadcnt_dscnt 0x0
	s_barrier_signal -1
	s_barrier_wait -1
	global_inv scope:SCOPE_SE
	v_readfirstlane_b32 s21, v1
	s_and_saveexec_b32 s14, s0
; %bb.121:                              ;   in Loop: Header=BB35_16 Depth=1
	ds_store_b16 v18, v7
; %bb.122:                              ;   in Loop: Header=BB35_16 Depth=1
	s_wait_alu 0xfffe
	s_or_b32 exec_lo, exec_lo, s14
	s_lshl_b32 s14, 1, s75
	v_or_b32_e32 v30, s10, v30
	s_wait_alu 0xfffe
	v_and_or_b32 v22, v22, s17, s14
	s_mov_b32 s14, -1
	s_mov_b32 s15, 0
	s_cmp_gt_i32 s21, 0
	s_mov_b32 s22, 0
	s_mov_b32 s23, -1
	s_wait_loadcnt_dscnt 0x0
	s_barrier_signal -1
	s_barrier_wait -1
	global_inv scope:SCOPE_SE
                                        ; implicit-def: $vgpr31
	s_cbranch_scc1 .LBB35_133
; %bb.123:                              ;   in Loop: Header=BB35_16 Depth=1
	s_mov_b32 s23, 0
                                        ; implicit-def: $vgpr31
	s_and_saveexec_b32 s24, s8
	s_cbranch_execz .LBB35_132
; %bb.124:                              ;   in Loop: Header=BB35_16 Depth=1
	v_dual_mov_b32 v1, v5 :: v_dual_mov_b32 v6, v0
                                        ; implicit-def: $sgpr25
	s_branch .LBB35_127
.LBB35_125:                             ;   in Loop: Header=BB35_127 Depth=2
	s_wait_alu 0xfffe
	s_or_b32 exec_lo, exec_lo, s26
	s_wait_loadcnt_dscnt 0x0
	s_barrier_signal -1
	s_barrier_wait -1
	global_inv scope:SCOPE_SE
	ds_load_b32 v2, v7 offset:3072
	s_mov_b32 s26, -1
	s_mov_b32 s27, -1
	s_wait_loadcnt_dscnt 0x0
	s_barrier_signal -1
	s_barrier_wait -1
	global_inv scope:SCOPE_SE
	v_and_b32_e32 v13, 0xffff, v2
	s_delay_alu instid0(VALU_DEP_1)
	v_cmp_ne_u32_e32 vcc_lo, 0, v13
	s_cbranch_vccz .LBB35_130
.LBB35_126:                             ;   in Loop: Header=BB35_127 Depth=2
	s_wait_alu 0xfffe
	s_and_b32 s26, exec_lo, s26
	s_wait_alu 0xfffe
	s_or_b32 s22, s26, s22
	s_and_not1_b32 s25, s25, exec_lo
	s_and_b32 s26, s27, exec_lo
	s_wait_alu 0xfffe
	s_or_b32 s25, s25, s26
	s_and_not1_b32 exec_lo, exec_lo, s22
	s_cbranch_execz .LBB35_131
.LBB35_127:                             ;   Parent Loop BB35_16 Depth=1
                                        ; =>  This Inner Loop Header: Depth=2
	s_mov_b32 s26, exec_lo
	s_delay_alu instid0(VALU_DEP_1)
	v_cmpx_gt_i32_e64 s36, v6
	s_cbranch_execz .LBB35_125
; %bb.128:                              ;   in Loop: Header=BB35_127 Depth=2
	v_ashrrev_i32_e32 v2, 31, v1
	s_delay_alu instid0(VALU_DEP_1) | instskip(NEXT) | instid1(VALU_DEP_1)
	v_lshlrev_b64_e32 v[13:14], 1, v[1:2]
	v_add_co_u32 v13, vcc_lo, s44, v13
	s_wait_alu 0xfffd
	s_delay_alu instid0(VALU_DEP_2) | instskip(SKIP_3) | instid1(VALU_DEP_1)
	v_add_co_ci_u32_e64 v14, null, s45, v14, vcc_lo
	global_load_u16 v2, v[13:14], off
	s_wait_loadcnt 0x0
	v_bfe_i32 v13, v2, 0, 16
	v_add_nc_u32_e32 v13, 0x8000, v13
	s_delay_alu instid0(VALU_DEP_1) | instskip(NEXT) | instid1(VALU_DEP_1)
	v_and_b32_e32 v13, v13, v30
	v_cmp_eq_u32_e32 vcc_lo, v13, v22
	s_and_b32 exec_lo, exec_lo, vcc_lo
	s_cbranch_execz .LBB35_125
; %bb.129:                              ;   in Loop: Header=BB35_127 Depth=2
	v_perm_b32 v2, v2, 1, 0x5040100
	ds_store_b32 v7, v2 offset:3072
	s_branch .LBB35_125
.LBB35_130:                             ;   in Loop: Header=BB35_127 Depth=2
	v_add_nc_u32_e32 v6, s53, v6
	v_add_nc_u32_e32 v1, s57, v1
	s_mov_b32 s27, 0
	s_delay_alu instid0(VALU_DEP_2)
	v_cmp_le_i32_e32 vcc_lo, s65, v6
	s_or_not1_b32 s26, vcc_lo, exec_lo
	s_branch .LBB35_126
.LBB35_131:                             ;   in Loop: Header=BB35_16 Depth=1
	s_or_b32 exec_lo, exec_lo, s22
	v_lshrrev_b32_e32 v31, 16, v2
	s_wait_alu 0xfffe
	s_and_b32 s22, s25, exec_lo
.LBB35_132:                             ;   in Loop: Header=BB35_16 Depth=1
	s_wait_alu 0xfffe
	s_or_b32 exec_lo, exec_lo, s24
.LBB35_133:                             ;   in Loop: Header=BB35_16 Depth=1
	s_wait_alu 0xfffe
	s_and_b32 vcc_lo, exec_lo, s23
	s_wait_alu 0xfffe
	s_cbranch_vccz .LBB35_144
; %bb.134:                              ;   in Loop: Header=BB35_16 Depth=1
	s_add_co_i32 s23, s21, s56
                                        ; implicit-def: $vgpr31
	s_wait_alu 0xfffe
	s_abs_i32 s42, s23
	s_wait_alu 0xfffe
	s_mul_u64 s[14:15], s[42:43], s[48:49]
	s_wait_alu 0xfffe
	s_mul_i32 s14, s15, s53
	s_ashr_i32 s15, s23, 31
	s_wait_alu 0xfffe
	s_sub_co_i32 s14, s42, s14
	s_wait_alu 0xfffe
	s_sub_co_i32 s24, s14, s53
	s_cmp_ge_u32 s14, s53
	s_wait_alu 0xfffe
	s_cselect_b32 s14, s24, s14
	s_wait_alu 0xfffe
	s_sub_co_i32 s24, s14, s53
	s_cmp_ge_u32 s14, s53
	s_wait_alu 0xfffe
	s_cselect_b32 s14, s24, s14
	s_wait_alu 0xfffe
	s_xor_b32 s14, s14, s15
	s_wait_alu 0xfffe
	s_sub_co_i32 s14, s15, s14
	s_wait_alu 0xfffe
	s_add_co_i32 s15, s23, s14
	s_mov_b32 s14, exec_lo
	s_wait_alu 0xfffe
	v_cmpx_gt_i32_e64 s15, v0
	s_cbranch_execz .LBB35_143
; %bb.135:                              ;   in Loop: Header=BB35_16 Depth=1
	v_dual_mov_b32 v1, v17 :: v_dual_mov_b32 v2, v0
	s_mov_b32 s23, 0
                                        ; implicit-def: $sgpr24
	s_branch .LBB35_138
.LBB35_136:                             ;   in Loop: Header=BB35_138 Depth=2
	s_wait_alu 0xfffe
	s_or_b32 exec_lo, exec_lo, s25
	s_wait_loadcnt_dscnt 0x0
	s_barrier_signal -1
	s_barrier_wait -1
	global_inv scope:SCOPE_SE
	ds_load_b32 v6, v7 offset:3072
	s_mov_b32 s25, -1
	s_mov_b32 s26, -1
	s_wait_loadcnt_dscnt 0x0
	s_barrier_signal -1
	s_barrier_wait -1
	global_inv scope:SCOPE_SE
	v_and_b32_e32 v13, 0xffff, v6
	s_delay_alu instid0(VALU_DEP_1)
	v_cmp_eq_u32_e32 vcc_lo, 0, v13
	s_cbranch_vccnz .LBB35_141
.LBB35_137:                             ;   in Loop: Header=BB35_138 Depth=2
	s_wait_alu 0xfffe
	s_and_b32 s25, exec_lo, s25
	s_wait_alu 0xfffe
	s_or_b32 s23, s25, s23
	s_and_not1_b32 s24, s24, exec_lo
	s_and_b32 s25, s26, exec_lo
	s_wait_alu 0xfffe
	s_or_b32 s24, s24, s25
	s_and_not1_b32 exec_lo, exec_lo, s23
	s_cbranch_execz .LBB35_142
.LBB35_138:                             ;   Parent Loop BB35_16 Depth=1
                                        ; =>  This Inner Loop Header: Depth=2
	s_mov_b32 s25, exec_lo
	s_delay_alu instid0(VALU_DEP_1)
	v_cmpx_gt_i32_e64 s21, v2
	s_cbranch_execz .LBB35_136
; %bb.139:                              ;   in Loop: Header=BB35_138 Depth=2
	ds_load_u16 v6, v1
	s_wait_dscnt 0x0
	v_bfe_i32 v13, v6, 0, 16
	s_delay_alu instid0(VALU_DEP_1) | instskip(NEXT) | instid1(VALU_DEP_1)
	v_add_nc_u32_e32 v13, 0x8000, v13
	v_and_b32_e32 v13, v13, v30
	s_delay_alu instid0(VALU_DEP_1)
	v_cmp_eq_u32_e32 vcc_lo, v13, v22
	s_and_b32 exec_lo, exec_lo, vcc_lo
	s_cbranch_execz .LBB35_136
; %bb.140:                              ;   in Loop: Header=BB35_138 Depth=2
	v_perm_b32 v6, v6, 1, 0x5040100
	ds_store_b32 v7, v6 offset:3072
	s_branch .LBB35_136
.LBB35_141:                             ;   in Loop: Header=BB35_138 Depth=2
	v_add_nc_u32_e32 v2, s53, v2
	v_add_nc_u32_e32 v1, s68, v1
	s_mov_b32 s26, 0
	s_delay_alu instid0(VALU_DEP_2)
	v_cmp_le_i32_e32 vcc_lo, s15, v2
	s_or_not1_b32 s25, vcc_lo, exec_lo
	s_branch .LBB35_137
.LBB35_142:                             ;   in Loop: Header=BB35_16 Depth=1
	s_or_b32 exec_lo, exec_lo, s23
	v_lshrrev_b32_e32 v31, 16, v6
	s_and_not1_b32 s15, s22, exec_lo
	s_wait_alu 0xfffe
	s_and_b32 s21, s24, exec_lo
	s_wait_alu 0xfffe
	s_or_b32 s22, s15, s21
.LBB35_143:                             ;   in Loop: Header=BB35_16 Depth=1
	s_or_b32 exec_lo, exec_lo, s14
	s_mov_b32 s14, 0
	s_mov_b32 s15, -1
.LBB35_144:                             ;   in Loop: Header=BB35_16 Depth=1
	s_wait_alu 0xfffe
	s_or_not1_b32 s21, s22, exec_lo
.LBB35_145:                             ;   in Loop: Header=BB35_16 Depth=1
	s_wait_alu 0xfffe
	s_or_b32 exec_lo, exec_lo, s18
	s_mov_b32 s22, 0
	s_and_saveexec_b32 s18, s21
	s_cbranch_execz .LBB35_234
; %bb.146:                              ;   in Loop: Header=BB35_16 Depth=1
	v_dual_mov_b32 v6, 1 :: v_dual_mov_b32 v3, 1
	s_xor_b32 s21, s20, -1
	s_mov_b32 s23, 0
	s_wait_alu 0xfffe
	s_and_saveexec_b32 s20, s21
	s_cbranch_execz .LBB35_155
; %bb.147:                              ;   in Loop: Header=BB35_16 Depth=1
	s_mov_b32 s21, exec_lo
	v_cmpx_ge_i32_e64 s19, v4
	s_wait_alu 0xfffe
	s_xor_b32 s21, exec_lo, s21
	s_cbranch_execz .LBB35_152
; %bb.148:                              ;   in Loop: Header=BB35_16 Depth=1
	ds_load_b32 v1, v7 offset:4096
	s_lshl_b32 s22, 1, s75
	v_or_b32_e32 v30, s10, v30
	s_wait_alu 0xfffe
	v_and_or_b32 v22, v22, s17, s22
	s_wait_dscnt 0x0
	v_cmp_ne_u32_e32 vcc_lo, 0, v1
	s_cbranch_vccnz .LBB35_152
; %bb.149:                              ;   in Loop: Header=BB35_16 Depth=1
	s_and_saveexec_b32 s22, s2
; %bb.150:                              ;   in Loop: Header=BB35_16 Depth=1
	v_mov_b32_e32 v1, s19
	ds_store_b32 v7, v1 offset:4100
; %bb.151:                              ;   in Loop: Header=BB35_16 Depth=1
	s_wait_alu 0xfffe
	s_or_b32 exec_lo, exec_lo, s22
	s_wait_loadcnt_dscnt 0x0
	s_barrier_signal -1
	s_barrier_wait -1
	global_inv scope:SCOPE_SE
.LBB35_152:                             ;   in Loop: Header=BB35_16 Depth=1
	s_wait_alu 0xfffe
	s_or_saveexec_b32 s21, s21
	v_mov_b32_e32 v3, 8
	s_mov_b32 s22, 0
	s_wait_alu 0xfffe
	s_xor_b32 exec_lo, exec_lo, s21
; %bb.153:                              ;   in Loop: Header=BB35_16 Depth=1
	v_subrev_nc_u32_e32 v4, s19, v4
	v_mov_b32_e32 v3, 0
	s_mov_b32 s22, exec_lo
; %bb.154:                              ;   in Loop: Header=BB35_16 Depth=1
	s_or_b32 exec_lo, exec_lo, s21
	s_delay_alu instid0(VALU_DEP_2)
	v_mov_b32_e32 v6, v4
	s_wait_alu 0xfffe
	s_and_b32 s23, s22, exec_lo
.LBB35_155:                             ;   in Loop: Header=BB35_16 Depth=1
	s_wait_alu 0xfffe
	s_or_b32 exec_lo, exec_lo, s20
	s_mov_b32 s22, -1
                                        ; implicit-def: $sgpr20
                                        ; implicit-def: $sgpr21
	s_and_saveexec_b32 s19, s23
	s_cbranch_execz .LBB35_233
; %bb.156:                              ;   in Loop: Header=BB35_16 Depth=1
	v_cmp_eq_u32_e32 vcc_lo, 1, v6
	s_cmp_eq_u32 s16, 1
	s_mov_b32 s24, -1
	s_cselect_b32 s20, -1, 0
                                        ; implicit-def: $sgpr21
	s_wait_alu 0xfffe
	s_and_b32 s23, s20, vcc_lo
                                        ; implicit-def: $sgpr20
	s_wait_alu 0xfffe
	s_and_saveexec_b32 s22, s23
	s_cbranch_execz .LBB35_182
; %bb.157:                              ;   in Loop: Header=BB35_16 Depth=1
	ds_load_b32 v1, v7 offset:4096
	s_wait_loadcnt_dscnt 0x0
	s_barrier_signal -1
	s_barrier_wait -1
	global_inv scope:SCOPE_SE
	v_readfirstlane_b32 s24, v1
	s_and_saveexec_b32 s20, s0
; %bb.158:                              ;   in Loop: Header=BB35_16 Depth=1
	ds_store_b16 v18, v7
; %bb.159:                              ;   in Loop: Header=BB35_16 Depth=1
	s_wait_alu 0xfffe
	s_or_b32 exec_lo, exec_lo, s20
	s_lshl_b32 s20, 2, s75
	v_or_b32_e32 v30, s10, v30
	s_wait_alu 0xfffe
	v_and_or_b32 v22, v22, s17, s20
	s_mov_b32 s20, -1
	s_mov_b32 s21, 0
	s_cmp_gt_i32 s24, 0
	s_mov_b32 s25, 0
	s_mov_b32 s26, -1
	s_wait_loadcnt_dscnt 0x0
	s_barrier_signal -1
	s_barrier_wait -1
	global_inv scope:SCOPE_SE
                                        ; implicit-def: $vgpr31
	s_cbranch_scc1 .LBB35_170
; %bb.160:                              ;   in Loop: Header=BB35_16 Depth=1
	s_mov_b32 s26, 0
                                        ; implicit-def: $vgpr31
	s_and_saveexec_b32 s27, s8
	s_cbranch_execz .LBB35_169
; %bb.161:                              ;   in Loop: Header=BB35_16 Depth=1
	v_dual_mov_b32 v1, v5 :: v_dual_mov_b32 v4, v0
                                        ; implicit-def: $sgpr28
	s_branch .LBB35_164
.LBB35_162:                             ;   in Loop: Header=BB35_164 Depth=2
	s_wait_alu 0xfffe
	s_or_b32 exec_lo, exec_lo, s42
	s_wait_loadcnt_dscnt 0x0
	s_barrier_signal -1
	s_barrier_wait -1
	global_inv scope:SCOPE_SE
	ds_load_b32 v2, v7 offset:3072
	s_mov_b32 s42, -1
	s_mov_b32 s76, -1
	s_wait_loadcnt_dscnt 0x0
	s_barrier_signal -1
	s_barrier_wait -1
	global_inv scope:SCOPE_SE
	v_and_b32_e32 v13, 0xffff, v2
	s_delay_alu instid0(VALU_DEP_1)
	v_cmp_ne_u32_e32 vcc_lo, 0, v13
	s_cbranch_vccz .LBB35_167
.LBB35_163:                             ;   in Loop: Header=BB35_164 Depth=2
	s_wait_alu 0xfffe
	s_and_b32 s42, exec_lo, s42
	s_wait_alu 0xfffe
	s_or_b32 s25, s42, s25
	s_and_not1_b32 s28, s28, exec_lo
	s_and_b32 s42, s76, exec_lo
	s_wait_alu 0xfffe
	s_or_b32 s28, s28, s42
	s_and_not1_b32 exec_lo, exec_lo, s25
	s_cbranch_execz .LBB35_168
.LBB35_164:                             ;   Parent Loop BB35_16 Depth=1
                                        ; =>  This Inner Loop Header: Depth=2
	s_mov_b32 s42, exec_lo
	s_delay_alu instid0(VALU_DEP_1)
	v_cmpx_gt_i32_e64 s36, v4
	s_cbranch_execz .LBB35_162
; %bb.165:                              ;   in Loop: Header=BB35_164 Depth=2
	v_ashrrev_i32_e32 v2, 31, v1
	s_delay_alu instid0(VALU_DEP_1) | instskip(NEXT) | instid1(VALU_DEP_1)
	v_lshlrev_b64_e32 v[13:14], 1, v[1:2]
	v_add_co_u32 v13, vcc_lo, s44, v13
	s_wait_alu 0xfffd
	s_delay_alu instid0(VALU_DEP_2) | instskip(SKIP_3) | instid1(VALU_DEP_1)
	v_add_co_ci_u32_e64 v14, null, s45, v14, vcc_lo
	global_load_u16 v2, v[13:14], off
	s_wait_loadcnt 0x0
	v_bfe_i32 v13, v2, 0, 16
	v_add_nc_u32_e32 v13, 0x8000, v13
	s_delay_alu instid0(VALU_DEP_1) | instskip(NEXT) | instid1(VALU_DEP_1)
	v_and_b32_e32 v13, v13, v30
	v_cmp_eq_u32_e32 vcc_lo, v13, v22
	s_and_b32 exec_lo, exec_lo, vcc_lo
	s_cbranch_execz .LBB35_162
; %bb.166:                              ;   in Loop: Header=BB35_164 Depth=2
	v_perm_b32 v2, v2, 1, 0x5040100
	ds_store_b32 v7, v2 offset:3072
	s_branch .LBB35_162
.LBB35_167:                             ;   in Loop: Header=BB35_164 Depth=2
	v_add_nc_u32_e32 v4, s53, v4
	v_add_nc_u32_e32 v1, s57, v1
	s_mov_b32 s76, 0
	s_delay_alu instid0(VALU_DEP_2)
	v_cmp_le_i32_e32 vcc_lo, s65, v4
	s_or_not1_b32 s42, vcc_lo, exec_lo
	s_branch .LBB35_163
.LBB35_168:                             ;   in Loop: Header=BB35_16 Depth=1
	s_or_b32 exec_lo, exec_lo, s25
	v_lshrrev_b32_e32 v31, 16, v2
	s_and_b32 s25, s28, exec_lo
.LBB35_169:                             ;   in Loop: Header=BB35_16 Depth=1
	s_wait_alu 0xfffe
	s_or_b32 exec_lo, exec_lo, s27
.LBB35_170:                             ;   in Loop: Header=BB35_16 Depth=1
	s_wait_alu 0xfffe
	s_and_b32 vcc_lo, exec_lo, s26
	s_wait_alu 0xfffe
	s_cbranch_vccz .LBB35_181
; %bb.171:                              ;   in Loop: Header=BB35_16 Depth=1
	s_add_co_i32 s26, s24, s56
                                        ; implicit-def: $vgpr31
	s_wait_alu 0xfffe
	s_abs_i32 s42, s26
	s_wait_alu 0xfffe
	s_mul_u64 s[20:21], s[42:43], s[48:49]
	s_wait_alu 0xfffe
	s_mul_i32 s20, s21, s53
	s_ashr_i32 s21, s26, 31
	s_wait_alu 0xfffe
	s_sub_co_i32 s20, s42, s20
	s_wait_alu 0xfffe
	s_sub_co_i32 s27, s20, s53
	s_cmp_ge_u32 s20, s53
	s_wait_alu 0xfffe
	s_cselect_b32 s20, s27, s20
	s_wait_alu 0xfffe
	s_sub_co_i32 s27, s20, s53
	s_cmp_ge_u32 s20, s53
	s_wait_alu 0xfffe
	s_cselect_b32 s20, s27, s20
	s_wait_alu 0xfffe
	s_xor_b32 s20, s20, s21
	s_wait_alu 0xfffe
	s_sub_co_i32 s20, s21, s20
	s_wait_alu 0xfffe
	s_add_co_i32 s21, s26, s20
	s_mov_b32 s20, exec_lo
	s_wait_alu 0xfffe
	v_cmpx_gt_i32_e64 s21, v0
	s_cbranch_execz .LBB35_180
; %bb.172:                              ;   in Loop: Header=BB35_16 Depth=1
	v_dual_mov_b32 v1, v17 :: v_dual_mov_b32 v2, v0
	s_mov_b32 s26, 0
                                        ; implicit-def: $sgpr27
	s_branch .LBB35_175
.LBB35_173:                             ;   in Loop: Header=BB35_175 Depth=2
	s_or_b32 exec_lo, exec_lo, s28
	s_wait_loadcnt_dscnt 0x0
	s_barrier_signal -1
	s_barrier_wait -1
	global_inv scope:SCOPE_SE
	ds_load_b32 v4, v7 offset:3072
	s_mov_b32 s28, -1
	s_mov_b32 s42, -1
	s_wait_loadcnt_dscnt 0x0
	s_barrier_signal -1
	s_barrier_wait -1
	global_inv scope:SCOPE_SE
	v_and_b32_e32 v13, 0xffff, v4
	s_delay_alu instid0(VALU_DEP_1)
	v_cmp_eq_u32_e32 vcc_lo, 0, v13
	s_cbranch_vccnz .LBB35_178
.LBB35_174:                             ;   in Loop: Header=BB35_175 Depth=2
	s_and_b32 s28, exec_lo, s28
	s_wait_alu 0xfffe
	s_or_b32 s26, s28, s26
	s_and_not1_b32 s27, s27, exec_lo
	s_and_b32 s28, s42, exec_lo
	s_wait_alu 0xfffe
	s_or_b32 s27, s27, s28
	s_and_not1_b32 exec_lo, exec_lo, s26
	s_cbranch_execz .LBB35_179
.LBB35_175:                             ;   Parent Loop BB35_16 Depth=1
                                        ; =>  This Inner Loop Header: Depth=2
	s_mov_b32 s28, exec_lo
	s_delay_alu instid0(VALU_DEP_1)
	v_cmpx_gt_i32_e64 s24, v2
	s_cbranch_execz .LBB35_173
; %bb.176:                              ;   in Loop: Header=BB35_175 Depth=2
	ds_load_u16 v4, v1
	s_wait_dscnt 0x0
	v_bfe_i32 v13, v4, 0, 16
	s_delay_alu instid0(VALU_DEP_1) | instskip(NEXT) | instid1(VALU_DEP_1)
	v_add_nc_u32_e32 v13, 0x8000, v13
	v_and_b32_e32 v13, v13, v30
	s_delay_alu instid0(VALU_DEP_1)
	v_cmp_eq_u32_e32 vcc_lo, v13, v22
	s_and_b32 exec_lo, exec_lo, vcc_lo
	s_cbranch_execz .LBB35_173
; %bb.177:                              ;   in Loop: Header=BB35_175 Depth=2
	v_perm_b32 v4, v4, 1, 0x5040100
	ds_store_b32 v7, v4 offset:3072
	s_branch .LBB35_173
.LBB35_178:                             ;   in Loop: Header=BB35_175 Depth=2
	v_add_nc_u32_e32 v2, s53, v2
	v_add_nc_u32_e32 v1, s68, v1
	s_mov_b32 s42, 0
	s_delay_alu instid0(VALU_DEP_2)
	v_cmp_le_i32_e32 vcc_lo, s21, v2
	s_or_not1_b32 s28, vcc_lo, exec_lo
	s_branch .LBB35_174
.LBB35_179:                             ;   in Loop: Header=BB35_16 Depth=1
	s_or_b32 exec_lo, exec_lo, s26
	v_lshrrev_b32_e32 v31, 16, v4
	s_and_not1_b32 s21, s25, exec_lo
	s_wait_alu 0xfffe
	s_and_b32 s24, s27, exec_lo
	s_wait_alu 0xfffe
	s_or_b32 s25, s21, s24
.LBB35_180:                             ;   in Loop: Header=BB35_16 Depth=1
	s_or_b32 exec_lo, exec_lo, s20
	s_mov_b32 s20, 0
	s_mov_b32 s21, -1
.LBB35_181:                             ;   in Loop: Header=BB35_16 Depth=1
	s_wait_alu 0xfffe
	s_or_not1_b32 s24, s25, exec_lo
.LBB35_182:                             ;   in Loop: Header=BB35_16 Depth=1
	s_wait_alu 0xfffe
	s_or_b32 exec_lo, exec_lo, s22
	s_mov_b32 s25, 0
	s_and_saveexec_b32 s22, s24
	s_cbranch_execz .LBB35_232
; %bb.183:                              ;   in Loop: Header=BB35_16 Depth=1
	v_dual_mov_b32 v4, 1 :: v_dual_mov_b32 v3, 1
	s_xor_b32 s24, s23, -1
	s_wait_alu 0xfffe
	s_and_saveexec_b32 s23, s24
	s_cbranch_execz .LBB35_192
; %bb.184:                              ;   in Loop: Header=BB35_16 Depth=1
	s_mov_b32 s24, exec_lo
	v_cmpx_ge_i32_e64 s16, v6
	s_wait_alu 0xfffe
	s_xor_b32 s24, exec_lo, s24
	s_cbranch_execz .LBB35_189
; %bb.185:                              ;   in Loop: Header=BB35_16 Depth=1
	ds_load_b32 v1, v7 offset:4096
	s_lshl_b32 s25, 2, s75
	v_or_b32_e32 v30, s10, v30
	s_wait_alu 0xfffe
	v_and_or_b32 v22, v22, s17, s25
	s_wait_dscnt 0x0
	v_cmp_ne_u32_e32 vcc_lo, 0, v1
	s_cbranch_vccnz .LBB35_189
; %bb.186:                              ;   in Loop: Header=BB35_16 Depth=1
	s_and_saveexec_b32 s17, s2
; %bb.187:                              ;   in Loop: Header=BB35_16 Depth=1
	v_mov_b32_e32 v1, s16
	ds_store_b32 v7, v1 offset:4100
; %bb.188:                              ;   in Loop: Header=BB35_16 Depth=1
	s_wait_alu 0xfffe
	s_or_b32 exec_lo, exec_lo, s17
	s_wait_loadcnt_dscnt 0x0
	s_barrier_signal -1
	s_barrier_wait -1
	global_inv scope:SCOPE_SE
.LBB35_189:                             ;   in Loop: Header=BB35_16 Depth=1
	s_wait_alu 0xfffe
	s_or_saveexec_b32 s17, s24
	v_mov_b32_e32 v3, 8
	s_mov_b32 s24, 0
	s_wait_alu 0xfffe
	s_xor_b32 exec_lo, exec_lo, s17
; %bb.190:                              ;   in Loop: Header=BB35_16 Depth=1
	v_subrev_nc_u32_e32 v6, s16, v6
	v_mov_b32_e32 v3, 0
	s_mov_b32 s24, exec_lo
; %bb.191:                              ;   in Loop: Header=BB35_16 Depth=1
	s_or_b32 exec_lo, exec_lo, s17
	s_delay_alu instid0(VALU_DEP_2)
	v_mov_b32_e32 v4, v6
	s_wait_alu 0xfffe
	s_and_b32 s25, s24, exec_lo
.LBB35_192:                             ;   in Loop: Header=BB35_16 Depth=1
	s_wait_alu 0xfffe
	s_or_b32 exec_lo, exec_lo, s23
	s_mov_b32 s17, -1
                                        ; implicit-def: $sgpr24
                                        ; implicit-def: $sgpr23
	s_and_saveexec_b32 s16, s25
	s_cbranch_execz .LBB35_231
; %bb.193:                              ;   in Loop: Header=BB35_16 Depth=1
	v_cmp_eq_u32_e32 vcc_lo, 1, v4
	s_cmp_eq_u32 s9, 1
	s_mov_b32 s26, -1
	s_cselect_b32 s17, -1, 0
                                        ; implicit-def: $sgpr24
                                        ; implicit-def: $sgpr23
	s_wait_alu 0xfffe
	s_and_b32 s17, s17, vcc_lo
	s_wait_alu 0xfffe
	s_and_saveexec_b32 s25, s17
	s_cbranch_execz .LBB35_219
; %bb.194:                              ;   in Loop: Header=BB35_16 Depth=1
	ds_load_b32 v1, v7 offset:4096
	s_wait_loadcnt_dscnt 0x0
	s_barrier_signal -1
	s_barrier_wait -1
	global_inv scope:SCOPE_SE
	v_readfirstlane_b32 s26, v1
	s_and_saveexec_b32 s23, s0
; %bb.195:                              ;   in Loop: Header=BB35_16 Depth=1
	ds_store_b16 v18, v7
; %bb.196:                              ;   in Loop: Header=BB35_16 Depth=1
	s_wait_alu 0xfffe
	s_or_b32 exec_lo, exec_lo, s23
	v_or_b32_e32 v22, s10, v22
	v_or_b32_e32 v30, s10, v30
	s_mov_b32 s23, -1
	s_mov_b32 s24, 0
	s_cmp_gt_i32 s26, 0
	s_mov_b32 s27, 0
	s_mov_b32 s28, -1
	s_wait_loadcnt_dscnt 0x0
	s_barrier_signal -1
	s_barrier_wait -1
	global_inv scope:SCOPE_SE
                                        ; implicit-def: $vgpr31
	s_cbranch_scc1 .LBB35_207
; %bb.197:                              ;   in Loop: Header=BB35_16 Depth=1
	s_mov_b32 s28, 0
                                        ; implicit-def: $vgpr31
	s_and_saveexec_b32 s42, s8
	s_cbranch_execz .LBB35_206
; %bb.198:                              ;   in Loop: Header=BB35_16 Depth=1
	v_dual_mov_b32 v1, v5 :: v_dual_mov_b32 v6, v0
                                        ; implicit-def: $sgpr76
	s_branch .LBB35_201
.LBB35_199:                             ;   in Loop: Header=BB35_201 Depth=2
	s_wait_alu 0xfffe
	s_or_b32 exec_lo, exec_lo, s77
	s_wait_loadcnt_dscnt 0x0
	s_barrier_signal -1
	s_barrier_wait -1
	global_inv scope:SCOPE_SE
	ds_load_b32 v2, v7 offset:3072
	s_mov_b32 s77, -1
	s_mov_b32 s78, -1
	s_wait_loadcnt_dscnt 0x0
	s_barrier_signal -1
	s_barrier_wait -1
	global_inv scope:SCOPE_SE
	v_and_b32_e32 v13, 0xffff, v2
	s_delay_alu instid0(VALU_DEP_1)
	v_cmp_ne_u32_e32 vcc_lo, 0, v13
	s_cbranch_vccz .LBB35_204
.LBB35_200:                             ;   in Loop: Header=BB35_201 Depth=2
	s_wait_alu 0xfffe
	s_and_b32 s77, exec_lo, s77
	s_wait_alu 0xfffe
	s_or_b32 s27, s77, s27
	s_and_not1_b32 s76, s76, exec_lo
	s_and_b32 s77, s78, exec_lo
	s_wait_alu 0xfffe
	s_or_b32 s76, s76, s77
	s_and_not1_b32 exec_lo, exec_lo, s27
	s_cbranch_execz .LBB35_205
.LBB35_201:                             ;   Parent Loop BB35_16 Depth=1
                                        ; =>  This Inner Loop Header: Depth=2
	s_mov_b32 s77, exec_lo
	s_delay_alu instid0(VALU_DEP_1)
	v_cmpx_gt_i32_e64 s36, v6
	s_cbranch_execz .LBB35_199
; %bb.202:                              ;   in Loop: Header=BB35_201 Depth=2
	v_ashrrev_i32_e32 v2, 31, v1
	s_delay_alu instid0(VALU_DEP_1) | instskip(NEXT) | instid1(VALU_DEP_1)
	v_lshlrev_b64_e32 v[13:14], 1, v[1:2]
	v_add_co_u32 v13, vcc_lo, s44, v13
	s_wait_alu 0xfffd
	s_delay_alu instid0(VALU_DEP_2) | instskip(SKIP_3) | instid1(VALU_DEP_1)
	v_add_co_ci_u32_e64 v14, null, s45, v14, vcc_lo
	global_load_u16 v2, v[13:14], off
	s_wait_loadcnt 0x0
	v_bfe_i32 v13, v2, 0, 16
	v_add_nc_u32_e32 v13, 0x8000, v13
	s_delay_alu instid0(VALU_DEP_1) | instskip(NEXT) | instid1(VALU_DEP_1)
	v_and_b32_e32 v13, v13, v30
	v_cmp_eq_u32_e32 vcc_lo, v13, v22
	s_and_b32 exec_lo, exec_lo, vcc_lo
	s_cbranch_execz .LBB35_199
; %bb.203:                              ;   in Loop: Header=BB35_201 Depth=2
	v_perm_b32 v2, v2, 1, 0x5040100
	ds_store_b32 v7, v2 offset:3072
	s_branch .LBB35_199
.LBB35_204:                             ;   in Loop: Header=BB35_201 Depth=2
	v_add_nc_u32_e32 v6, s53, v6
	v_add_nc_u32_e32 v1, s57, v1
	s_mov_b32 s78, 0
	s_delay_alu instid0(VALU_DEP_2)
	v_cmp_le_i32_e32 vcc_lo, s65, v6
	s_or_not1_b32 s77, vcc_lo, exec_lo
	s_branch .LBB35_200
.LBB35_205:                             ;   in Loop: Header=BB35_16 Depth=1
	s_or_b32 exec_lo, exec_lo, s27
	v_lshrrev_b32_e32 v31, 16, v2
	s_wait_alu 0xfffe
	s_and_b32 s27, s76, exec_lo
.LBB35_206:                             ;   in Loop: Header=BB35_16 Depth=1
	s_wait_alu 0xfffe
	s_or_b32 exec_lo, exec_lo, s42
.LBB35_207:                             ;   in Loop: Header=BB35_16 Depth=1
	s_delay_alu instid0(SALU_CYCLE_1)
	s_and_b32 vcc_lo, exec_lo, s28
	s_wait_alu 0xfffe
	s_cbranch_vccz .LBB35_218
; %bb.208:                              ;   in Loop: Header=BB35_16 Depth=1
	s_add_co_i32 s24, s26, s56
                                        ; implicit-def: $vgpr31
	s_wait_alu 0xfffe
	s_abs_i32 s42, s24
	s_ashr_i32 s28, s24, 31
	s_wait_alu 0xfffe
	s_mul_u64 s[76:77], s[42:43], s[48:49]
	s_wait_alu 0xfffe
	s_mul_i32 s23, s77, s53
	s_wait_alu 0xfffe
	s_sub_co_i32 s23, s42, s23
	s_wait_alu 0xfffe
	s_sub_co_i32 s42, s23, s53
	s_cmp_ge_u32 s23, s53
	s_wait_alu 0xfffe
	s_cselect_b32 s23, s42, s23
	s_wait_alu 0xfffe
	s_sub_co_i32 s42, s23, s53
	s_cmp_ge_u32 s23, s53
	s_wait_alu 0xfffe
	s_cselect_b32 s23, s42, s23
	s_wait_alu 0xfffe
	s_xor_b32 s23, s23, s28
	s_wait_alu 0xfffe
	s_sub_co_i32 s23, s28, s23
	s_wait_alu 0xfffe
	s_add_co_i32 s24, s24, s23
	s_mov_b32 s23, exec_lo
	s_wait_alu 0xfffe
	v_cmpx_gt_i32_e64 s24, v0
	s_cbranch_execz .LBB35_217
; %bb.209:                              ;   in Loop: Header=BB35_16 Depth=1
	v_dual_mov_b32 v1, v17 :: v_dual_mov_b32 v2, v0
	s_mov_b32 s28, 0
                                        ; implicit-def: $sgpr42
	s_branch .LBB35_212
.LBB35_210:                             ;   in Loop: Header=BB35_212 Depth=2
	s_wait_alu 0xfffe
	s_or_b32 exec_lo, exec_lo, s76
	s_wait_loadcnt_dscnt 0x0
	s_barrier_signal -1
	s_barrier_wait -1
	global_inv scope:SCOPE_SE
	ds_load_b32 v6, v7 offset:3072
	s_mov_b32 s76, -1
	s_mov_b32 s77, -1
	s_wait_loadcnt_dscnt 0x0
	s_barrier_signal -1
	s_barrier_wait -1
	global_inv scope:SCOPE_SE
	v_and_b32_e32 v13, 0xffff, v6
	s_delay_alu instid0(VALU_DEP_1)
	v_cmp_eq_u32_e32 vcc_lo, 0, v13
	s_cbranch_vccnz .LBB35_215
.LBB35_211:                             ;   in Loop: Header=BB35_212 Depth=2
	s_wait_alu 0xfffe
	s_and_b32 s76, exec_lo, s76
	s_wait_alu 0xfffe
	s_or_b32 s28, s76, s28
	s_and_not1_b32 s42, s42, exec_lo
	s_and_b32 s76, s77, exec_lo
	s_wait_alu 0xfffe
	s_or_b32 s42, s42, s76
	s_and_not1_b32 exec_lo, exec_lo, s28
	s_cbranch_execz .LBB35_216
.LBB35_212:                             ;   Parent Loop BB35_16 Depth=1
                                        ; =>  This Inner Loop Header: Depth=2
	s_mov_b32 s76, exec_lo
	s_delay_alu instid0(VALU_DEP_1)
	v_cmpx_gt_i32_e64 s26, v2
	s_cbranch_execz .LBB35_210
; %bb.213:                              ;   in Loop: Header=BB35_212 Depth=2
	ds_load_u16 v6, v1
	s_wait_dscnt 0x0
	v_bfe_i32 v13, v6, 0, 16
	s_delay_alu instid0(VALU_DEP_1) | instskip(NEXT) | instid1(VALU_DEP_1)
	v_add_nc_u32_e32 v13, 0x8000, v13
	v_and_b32_e32 v13, v13, v30
	s_delay_alu instid0(VALU_DEP_1)
	v_cmp_eq_u32_e32 vcc_lo, v13, v22
	s_and_b32 exec_lo, exec_lo, vcc_lo
	s_cbranch_execz .LBB35_210
; %bb.214:                              ;   in Loop: Header=BB35_212 Depth=2
	v_perm_b32 v6, v6, 1, 0x5040100
	ds_store_b32 v7, v6 offset:3072
	s_branch .LBB35_210
.LBB35_215:                             ;   in Loop: Header=BB35_212 Depth=2
	v_add_nc_u32_e32 v2, s53, v2
	v_add_nc_u32_e32 v1, s68, v1
	s_mov_b32 s77, 0
	s_delay_alu instid0(VALU_DEP_2)
	v_cmp_le_i32_e32 vcc_lo, s24, v2
	s_or_not1_b32 s76, vcc_lo, exec_lo
	s_branch .LBB35_211
.LBB35_216:                             ;   in Loop: Header=BB35_16 Depth=1
	s_or_b32 exec_lo, exec_lo, s28
	v_lshrrev_b32_e32 v31, 16, v6
	s_and_not1_b32 s24, s27, exec_lo
	s_wait_alu 0xfffe
	s_and_b32 s26, s42, exec_lo
	s_wait_alu 0xfffe
	s_or_b32 s27, s24, s26
.LBB35_217:                             ;   in Loop: Header=BB35_16 Depth=1
	s_or_b32 exec_lo, exec_lo, s23
	s_mov_b32 s23, 0
	s_mov_b32 s24, -1
.LBB35_218:                             ;   in Loop: Header=BB35_16 Depth=1
	s_wait_alu 0xfffe
	s_or_not1_b32 s26, s27, exec_lo
.LBB35_219:                             ;   in Loop: Header=BB35_16 Depth=1
	s_wait_alu 0xfffe
	s_or_b32 exec_lo, exec_lo, s25
	s_mov_b32 s27, 0
	s_and_saveexec_b32 s25, s26
	s_cbranch_execz .LBB35_230
; %bb.220:                              ;   in Loop: Header=BB35_16 Depth=1
	v_mov_b32_e32 v3, 1
	v_mov_b32_e32 v1, 1
	s_xor_b32 s26, s17, -1
	s_wait_alu 0xfffe
	s_and_saveexec_b32 s17, s26
	s_cbranch_execz .LBB35_229
; %bb.221:                              ;   in Loop: Header=BB35_16 Depth=1
	s_mov_b32 s26, exec_lo
	v_cmpx_ge_i32_e64 s9, v4
	s_wait_alu 0xfffe
	s_xor_b32 s26, exec_lo, s26
	s_cbranch_execz .LBB35_226
; %bb.222:                              ;   in Loop: Header=BB35_16 Depth=1
	ds_load_b32 v1, v7 offset:4096
	v_or_b32_e32 v22, s10, v22
	v_or_b32_e32 v30, s10, v30
	s_wait_dscnt 0x0
	v_cmp_ne_u32_e32 vcc_lo, 0, v1
	s_cbranch_vccnz .LBB35_226
; %bb.223:                              ;   in Loop: Header=BB35_16 Depth=1
	s_and_saveexec_b32 s10, s2
; %bb.224:                              ;   in Loop: Header=BB35_16 Depth=1
	v_mov_b32_e32 v1, s9
	ds_store_b32 v7, v1 offset:4100
; %bb.225:                              ;   in Loop: Header=BB35_16 Depth=1
	s_wait_alu 0xfffe
	s_or_b32 exec_lo, exec_lo, s10
	s_wait_loadcnt_dscnt 0x0
	s_barrier_signal -1
	s_barrier_wait -1
	global_inv scope:SCOPE_SE
.LBB35_226:                             ;   in Loop: Header=BB35_16 Depth=1
	s_wait_alu 0xfffe
	s_and_not1_saveexec_b32 s10, s26
; %bb.227:                              ;   in Loop: Header=BB35_16 Depth=1
	v_subrev_nc_u32_e32 v4, s9, v4
; %bb.228:                              ;   in Loop: Header=BB35_16 Depth=1
	s_wait_alu 0xfffe
	s_or_b32 exec_lo, exec_lo, s10
	v_mov_b32_e32 v3, 8
	s_delay_alu instid0(VALU_DEP_2)
	v_mov_b32_e32 v1, v4
.LBB35_229:                             ;   in Loop: Header=BB35_16 Depth=1
	s_wait_alu 0xfffe
	s_or_b32 exec_lo, exec_lo, s17
	s_delay_alu instid0(VALU_DEP_1)
	v_mov_b32_e32 v4, v1
	s_mov_b32 s27, exec_lo
.LBB35_230:                             ;   in Loop: Header=BB35_16 Depth=1
	s_wait_alu 0xfffe
	s_or_b32 exec_lo, exec_lo, s25
	s_delay_alu instid0(SALU_CYCLE_1)
	s_or_not1_b32 s17, s27, exec_lo
.LBB35_231:                             ;   in Loop: Header=BB35_16 Depth=1
	s_wait_alu 0xfffe
	s_or_b32 exec_lo, exec_lo, s16
	v_mov_b32_e32 v6, v4
	s_and_not1_b32 s9, s21, exec_lo
	s_and_b32 s10, s24, exec_lo
	s_and_not1_b32 s16, s20, exec_lo
	s_and_b32 s20, s23, exec_lo
	s_wait_alu 0xfffe
	s_or_b32 s21, s9, s10
	s_or_b32 s20, s16, s20
	s_and_b32 s25, s17, exec_lo
.LBB35_232:                             ;   in Loop: Header=BB35_16 Depth=1
	s_wait_alu 0xfffe
	s_or_b32 exec_lo, exec_lo, s22
	s_delay_alu instid0(SALU_CYCLE_1)
	s_or_not1_b32 s22, s25, exec_lo
.LBB35_233:                             ;   in Loop: Header=BB35_16 Depth=1
	s_wait_alu 0xfffe
	s_or_b32 exec_lo, exec_lo, s19
	v_mov_b32_e32 v4, v6
	s_and_not1_b32 s9, s15, exec_lo
	s_and_b32 s10, s21, exec_lo
	s_and_not1_b32 s14, s14, exec_lo
	s_and_b32 s16, s20, exec_lo
	s_wait_alu 0xfffe
	s_or_b32 s15, s9, s10
	s_or_b32 s14, s14, s16
	s_and_b32 s22, s22, exec_lo
.LBB35_234:                             ;   in Loop: Header=BB35_16 Depth=1
	s_wait_alu 0xfffe
	s_or_b32 exec_lo, exec_lo, s18
	s_delay_alu instid0(SALU_CYCLE_1)
	s_or_not1_b32 s18, s22, exec_lo
.LBB35_235:                             ;   in Loop: Header=BB35_16 Depth=1
	s_wait_alu 0xfffe
	s_or_b32 exec_lo, exec_lo, s13
	s_mov_b32 s10, 0
                                        ; implicit-def: $sgpr21
	s_and_saveexec_b32 s9, s18
	s_wait_alu 0xfffe
	s_xor_b32 s9, exec_lo, s9
	s_cbranch_execz .LBB35_14
; %bb.236:                              ;   in Loop: Header=BB35_16 Depth=1
	v_and_b32_e32 v1, 7, v3
	s_mov_b32 s12, -1
	s_mov_b32 s10, -1
	s_mov_b32 s13, exec_lo
                                        ; implicit-def: $sgpr21
	s_delay_alu instid0(VALU_DEP_1)
	v_cmpx_eq_u32_e32 0, v1
	s_cbranch_execz .LBB35_13
; %bb.237:                              ;   in Loop: Header=BB35_16 Depth=1
	s_add_co_i32 s21, s75, -2
	s_cmp_eq_u32 s75, 0
	v_xor_b32_e32 v29, 1, v29
	s_cselect_b32 s12, -1, 0
	s_xor_b32 s10, exec_lo, -1
	s_wait_alu 0xfffe
	s_or_not1_b32 s12, s12, exec_lo
	s_branch .LBB35_13
.LBB35_238:
	s_or_b32 exec_lo, exec_lo, s37
	s_wait_alu 0xfffe
	s_xor_b32 s4, s74, -1
	s_xor_b32 s0, s72, -1
	;; [unrolled: 1-line block ×3, first 2 shown]
	s_mov_b32 s1, 0
	s_wait_alu 0xfffe
	s_and_saveexec_b32 s5, s0
	s_wait_alu 0xfffe
	s_xor_b32 s0, exec_lo, s5
	s_cbranch_execnz .LBB35_243
; %bb.239:
	s_wait_alu 0xfffe
	s_and_not1_saveexec_b32 s0, s0
	s_cbranch_execnz .LBB35_263
.LBB35_240:
	s_wait_alu 0xfffe
	s_or_b32 exec_lo, exec_lo, s0
	s_and_saveexec_b32 s0, s1
.LBB35_241:
	; divergent unreachable
.LBB35_242:
	s_endpgm
.LBB35_243:
	s_and_saveexec_b32 s1, s4
	s_wait_alu 0xfffe
	s_xor_b32 s1, exec_lo, s1
	s_cbranch_execz .LBB35_261
; %bb.244:
	s_and_saveexec_b32 s4, s3
	s_wait_alu 0xfffe
	s_xor_b32 s3, exec_lo, s4
; %bb.245:
	v_xor_b32_e32 v31, 0xffff8000, v22
; %bb.246:
	s_or_b32 exec_lo, exec_lo, s3
	s_and_saveexec_b32 s3, s2
; %bb.247:
	v_dual_mov_b32 v1, 0 :: v_dual_mov_b32 v2, s36
	ds_store_b32 v1, v2 offset:4108
; %bb.248:
	s_or_b32 exec_lo, exec_lo, s3
	v_mov_b32_e32 v1, 0
	s_wait_loadcnt_dscnt 0x0
	s_barrier_signal -1
	s_barrier_wait -1
	global_inv scope:SCOPE_SE
	ds_load_b32 v1, v1 offset:4108
	s_mov_b32 s3, exec_lo
	s_wait_dscnt 0x0
	v_min_i32_e32 v1, s36, v1
	s_delay_alu instid0(VALU_DEP_1)
	v_cmpx_lt_i32_e64 v0, v1
	s_cbranch_execz .LBB35_258
; %bb.249:
	s_mov_b32 s4, 0
                                        ; implicit-def: $sgpr5
                                        ; implicit-def: $sgpr7
                                        ; implicit-def: $sgpr6
	s_branch .LBB35_251
.LBB35_250:                             ;   in Loop: Header=BB35_251 Depth=1
	s_wait_alu 0xfffe
	s_or_b32 exec_lo, exec_lo, s8
	s_delay_alu instid0(SALU_CYCLE_1)
	s_and_b32 s8, exec_lo, s7
	s_wait_alu 0xfffe
	s_or_b32 s4, s8, s4
	s_and_not1_b32 s5, s5, exec_lo
	s_and_b32 s8, s6, exec_lo
	s_wait_alu 0xfffe
	s_or_b32 s5, s5, s8
	s_and_not1_b32 exec_lo, exec_lo, s4
	s_cbranch_execz .LBB35_253
.LBB35_251:                             ; =>This Inner Loop Header: Depth=1
	v_ashrrev_i32_e32 v6, 31, v5
	s_or_b32 s6, s6, exec_lo
	s_or_b32 s7, s7, exec_lo
	s_mov_b32 s8, exec_lo
	s_delay_alu instid0(VALU_DEP_1) | instskip(NEXT) | instid1(VALU_DEP_1)
	v_lshlrev_b64_e32 v[2:3], 1, v[5:6]
	v_add_co_u32 v2, vcc_lo, s44, v2
	s_wait_alu 0xfffd
	s_delay_alu instid0(VALU_DEP_2)
	v_add_co_ci_u32_e64 v3, null, s45, v3, vcc_lo
	global_load_u16 v3, v[2:3], off
	v_mov_b32_e32 v2, v0
                                        ; implicit-def: $vgpr0
	s_wait_loadcnt 0x0
	v_cmpx_ne_u16_e64 v3, v31
	s_cbranch_execz .LBB35_250
; %bb.252:                              ;   in Loop: Header=BB35_251 Depth=1
	s_delay_alu instid0(VALU_DEP_2) | instskip(SKIP_3) | instid1(VALU_DEP_2)
	v_add_nc_u32_e32 v0, s53, v2
	v_add_nc_u32_e32 v5, s57, v5
	s_and_not1_b32 s7, s7, exec_lo
	s_and_not1_b32 s6, s6, exec_lo
	v_cmp_ge_i32_e32 vcc_lo, v0, v1
	s_and_b32 s9, vcc_lo, exec_lo
	s_wait_alu 0xfffe
	s_or_b32 s7, s7, s9
	s_branch .LBB35_250
.LBB35_253:
	s_or_b32 exec_lo, exec_lo, s4
	s_wait_alu 0xfffe
	s_and_saveexec_b32 s4, s5
	s_wait_alu 0xfffe
	s_xor_b32 s4, exec_lo, s4
	s_cbranch_execz .LBB35_258
; %bb.254:
	s_mov_b32 s5, exec_lo
	s_brev_b32 s4, -2
.LBB35_255:                             ; =>This Inner Loop Header: Depth=1
	s_wait_alu 0xfffe
	s_ctz_i32_b32 s6, s5
	s_wait_alu 0xfffe
	v_readlane_b32 s7, v2, s6
	s_lshl_b32 s6, 1, s6
	s_wait_alu 0xfffe
	s_and_not1_b32 s5, s5, s6
	s_min_i32 s4, s4, s7
	s_wait_alu 0xfffe
	s_cmp_lg_u32 s5, 0
	s_cbranch_scc1 .LBB35_255
; %bb.256:
	v_mbcnt_lo_u32_b32 v0, exec_lo, 0
	s_mov_b32 s5, exec_lo
	s_delay_alu instid0(VALU_DEP_1)
	v_cmpx_eq_u32_e32 0, v0
	s_wait_alu 0xfffe
	s_xor_b32 s5, exec_lo, s5
; %bb.257:
	v_dual_mov_b32 v0, 0 :: v_dual_mov_b32 v1, s4
	ds_min_i32 v0, v1 offset:4108
.LBB35_258:
	s_or_b32 exec_lo, exec_lo, s3
	s_wait_loadcnt_dscnt 0x0
	s_barrier_signal -1
	s_barrier_wait -1
	global_inv scope:SCOPE_SE
	s_and_saveexec_b32 s3, s2
	s_cbranch_execz .LBB35_260
; %bb.259:
	v_mov_b32_e32 v2, 0
	s_mul_i32 s5, s52, s33
	s_mul_i32 s2, s30, s38
	s_wait_alu 0xfffe
	s_add_co_i32 s6, s5, s31
	s_add_co_i32 s4, s2, s29
	ds_load_b32 v0, v2 offset:4108
	s_wait_alu 0xfffe
	s_ashr_i32 s7, s6, 31
	s_ashr_i32 s5, s4, 31
	s_wait_alu 0xfffe
	s_lshl_b64 s[6:7], s[6:7], 3
	s_lshl_b64 s[4:5], s[4:5], 1
	s_wait_alu 0xfffe
	s_add_nc_u64 s[6:7], s[40:41], s[6:7]
	s_add_nc_u64 s[4:5], s[34:35], s[4:5]
	s_wait_dscnt 0x0
	v_ashrrev_i32_e32 v1, 31, v0
	s_clause 0x1
	global_store_b64 v2, v[0:1], s[6:7]
	global_store_b16 v2, v31, s[4:5]
.LBB35_260:
	s_or_b32 exec_lo, exec_lo, s3
.LBB35_261:
	s_wait_alu 0xfffe
	s_or_saveexec_b32 s1, s1
	s_mov_b32 s2, 0
	s_wait_alu 0xfffe
	s_xor_b32 exec_lo, exec_lo, s1
	s_cbranch_execnz .LBB35_264
.LBB35_262:
	s_or_b32 exec_lo, exec_lo, s1
	s_delay_alu instid0(SALU_CYCLE_1)
	s_and_b32 s1, s2, exec_lo
	s_and_not1_saveexec_b32 s0, s0
	s_cbranch_execz .LBB35_240
.LBB35_263:
	s_wait_alu 0xfffe
	s_or_b32 s1, s1, exec_lo
	s_trap 2
	s_or_b32 exec_lo, exec_lo, s0
	s_wait_alu 0xfffe
	s_and_saveexec_b32 s0, s1
	s_cbranch_execnz .LBB35_241
	s_branch .LBB35_242
.LBB35_264:
	s_mov_b32 s2, exec_lo
	s_trap 2
	s_branch .LBB35_262
	.section	.rodata,"a",@progbits
	.p2align	6, 0x0
	.amdhsa_kernel _ZN2at6native12_GLOBAL__N_114gatherKthValueIsiLin1EEEvNS_4cuda6detail10TensorInfoIKT_T0_EES8_S8_S8_S8_NS5_IS6_S8_EENS5_IlS8_EE
		.amdhsa_group_segment_fixed_size 4112
		.amdhsa_private_segment_fixed_size 0
		.amdhsa_kernarg_size 920
		.amdhsa_user_sgpr_count 2
		.amdhsa_user_sgpr_dispatch_ptr 0
		.amdhsa_user_sgpr_queue_ptr 0
		.amdhsa_user_sgpr_kernarg_segment_ptr 1
		.amdhsa_user_sgpr_dispatch_id 0
		.amdhsa_user_sgpr_private_segment_size 0
		.amdhsa_wavefront_size32 1
		.amdhsa_uses_dynamic_stack 0
		.amdhsa_enable_private_segment 0
		.amdhsa_system_sgpr_workgroup_id_x 1
		.amdhsa_system_sgpr_workgroup_id_y 1
		.amdhsa_system_sgpr_workgroup_id_z 1
		.amdhsa_system_sgpr_workgroup_info 0
		.amdhsa_system_vgpr_workitem_id 0
		.amdhsa_next_free_vgpr 44
		.amdhsa_next_free_sgpr 83
		.amdhsa_reserve_vcc 1
		.amdhsa_float_round_mode_32 0
		.amdhsa_float_round_mode_16_64 0
		.amdhsa_float_denorm_mode_32 3
		.amdhsa_float_denorm_mode_16_64 3
		.amdhsa_fp16_overflow 0
		.amdhsa_workgroup_processor_mode 1
		.amdhsa_memory_ordered 1
		.amdhsa_forward_progress 1
		.amdhsa_inst_pref_size 93
		.amdhsa_round_robin_scheduling 0
		.amdhsa_exception_fp_ieee_invalid_op 0
		.amdhsa_exception_fp_denorm_src 0
		.amdhsa_exception_fp_ieee_div_zero 0
		.amdhsa_exception_fp_ieee_overflow 0
		.amdhsa_exception_fp_ieee_underflow 0
		.amdhsa_exception_fp_ieee_inexact 0
		.amdhsa_exception_int_div_zero 0
	.end_amdhsa_kernel
	.section	.text._ZN2at6native12_GLOBAL__N_114gatherKthValueIsiLin1EEEvNS_4cuda6detail10TensorInfoIKT_T0_EES8_S8_S8_S8_NS5_IS6_S8_EENS5_IlS8_EE,"axG",@progbits,_ZN2at6native12_GLOBAL__N_114gatherKthValueIsiLin1EEEvNS_4cuda6detail10TensorInfoIKT_T0_EES8_S8_S8_S8_NS5_IS6_S8_EENS5_IlS8_EE,comdat
.Lfunc_end35:
	.size	_ZN2at6native12_GLOBAL__N_114gatherKthValueIsiLin1EEEvNS_4cuda6detail10TensorInfoIKT_T0_EES8_S8_S8_S8_NS5_IS6_S8_EENS5_IlS8_EE, .Lfunc_end35-_ZN2at6native12_GLOBAL__N_114gatherKthValueIsiLin1EEEvNS_4cuda6detail10TensorInfoIKT_T0_EES8_S8_S8_S8_NS5_IS6_S8_EENS5_IlS8_EE
                                        ; -- End function
	.set _ZN2at6native12_GLOBAL__N_114gatherKthValueIsiLin1EEEvNS_4cuda6detail10TensorInfoIKT_T0_EES8_S8_S8_S8_NS5_IS6_S8_EENS5_IlS8_EE.num_vgpr, 44
	.set _ZN2at6native12_GLOBAL__N_114gatherKthValueIsiLin1EEEvNS_4cuda6detail10TensorInfoIKT_T0_EES8_S8_S8_S8_NS5_IS6_S8_EENS5_IlS8_EE.num_agpr, 0
	.set _ZN2at6native12_GLOBAL__N_114gatherKthValueIsiLin1EEEvNS_4cuda6detail10TensorInfoIKT_T0_EES8_S8_S8_S8_NS5_IS6_S8_EENS5_IlS8_EE.numbered_sgpr, 83
	.set _ZN2at6native12_GLOBAL__N_114gatherKthValueIsiLin1EEEvNS_4cuda6detail10TensorInfoIKT_T0_EES8_S8_S8_S8_NS5_IS6_S8_EENS5_IlS8_EE.num_named_barrier, 0
	.set _ZN2at6native12_GLOBAL__N_114gatherKthValueIsiLin1EEEvNS_4cuda6detail10TensorInfoIKT_T0_EES8_S8_S8_S8_NS5_IS6_S8_EENS5_IlS8_EE.private_seg_size, 0
	.set _ZN2at6native12_GLOBAL__N_114gatherKthValueIsiLin1EEEvNS_4cuda6detail10TensorInfoIKT_T0_EES8_S8_S8_S8_NS5_IS6_S8_EENS5_IlS8_EE.uses_vcc, 1
	.set _ZN2at6native12_GLOBAL__N_114gatherKthValueIsiLin1EEEvNS_4cuda6detail10TensorInfoIKT_T0_EES8_S8_S8_S8_NS5_IS6_S8_EENS5_IlS8_EE.uses_flat_scratch, 0
	.set _ZN2at6native12_GLOBAL__N_114gatherKthValueIsiLin1EEEvNS_4cuda6detail10TensorInfoIKT_T0_EES8_S8_S8_S8_NS5_IS6_S8_EENS5_IlS8_EE.has_dyn_sized_stack, 0
	.set _ZN2at6native12_GLOBAL__N_114gatherKthValueIsiLin1EEEvNS_4cuda6detail10TensorInfoIKT_T0_EES8_S8_S8_S8_NS5_IS6_S8_EENS5_IlS8_EE.has_recursion, 0
	.set _ZN2at6native12_GLOBAL__N_114gatherKthValueIsiLin1EEEvNS_4cuda6detail10TensorInfoIKT_T0_EES8_S8_S8_S8_NS5_IS6_S8_EENS5_IlS8_EE.has_indirect_call, 0
	.section	.AMDGPU.csdata,"",@progbits
; Kernel info:
; codeLenInByte = 11848
; TotalNumSgprs: 85
; NumVgprs: 44
; ScratchSize: 0
; MemoryBound: 0
; FloatMode: 240
; IeeeMode: 1
; LDSByteSize: 4112 bytes/workgroup (compile time only)
; SGPRBlocks: 0
; VGPRBlocks: 5
; NumSGPRsForWavesPerEU: 85
; NumVGPRsForWavesPerEU: 44
; Occupancy: 16
; WaveLimiterHint : 1
; COMPUTE_PGM_RSRC2:SCRATCH_EN: 0
; COMPUTE_PGM_RSRC2:USER_SGPR: 2
; COMPUTE_PGM_RSRC2:TRAP_HANDLER: 0
; COMPUTE_PGM_RSRC2:TGID_X_EN: 1
; COMPUTE_PGM_RSRC2:TGID_Y_EN: 1
; COMPUTE_PGM_RSRC2:TGID_Z_EN: 1
; COMPUTE_PGM_RSRC2:TIDIG_COMP_CNT: 0
	.section	.text._ZN2at6native12_GLOBAL__N_114gatherKthValueIslLi1EEEvNS_4cuda6detail10TensorInfoIKT_T0_EES8_S8_S8_S8_NS5_IS6_S8_EENS5_IlS8_EE,"axG",@progbits,_ZN2at6native12_GLOBAL__N_114gatherKthValueIslLi1EEEvNS_4cuda6detail10TensorInfoIKT_T0_EES8_S8_S8_S8_NS5_IS6_S8_EENS5_IlS8_EE,comdat
	.globl	_ZN2at6native12_GLOBAL__N_114gatherKthValueIslLi1EEEvNS_4cuda6detail10TensorInfoIKT_T0_EES8_S8_S8_S8_NS5_IS6_S8_EENS5_IlS8_EE ; -- Begin function _ZN2at6native12_GLOBAL__N_114gatherKthValueIslLi1EEEvNS_4cuda6detail10TensorInfoIKT_T0_EES8_S8_S8_S8_NS5_IS6_S8_EENS5_IlS8_EE
	.p2align	8
	.type	_ZN2at6native12_GLOBAL__N_114gatherKthValueIslLi1EEEvNS_4cuda6detail10TensorInfoIKT_T0_EES8_S8_S8_S8_NS5_IS6_S8_EENS5_IlS8_EE,@function
_ZN2at6native12_GLOBAL__N_114gatherKthValueIslLi1EEEvNS_4cuda6detail10TensorInfoIKT_T0_EES8_S8_S8_S8_NS5_IS6_S8_EENS5_IlS8_EE: ; @_ZN2at6native12_GLOBAL__N_114gatherKthValueIslLi1EEEvNS_4cuda6detail10TensorInfoIKT_T0_EES8_S8_S8_S8_NS5_IS6_S8_EENS5_IlS8_EE
; %bb.0:
	s_clause 0x1
	s_load_b64 s[4:5], s[0:1], 0x500
	s_load_b256 s[36:43], s[0:1], 0x1a0
	s_lshr_b32 s2, ttmp7, 16
	s_and_b32 s3, ttmp7, 0xffff
	s_mov_b32 s27, 0
	s_wait_kmcnt 0x0
	s_mul_i32 s2, s5, s2
	s_delay_alu instid0(SALU_CYCLE_1) | instskip(NEXT) | instid1(SALU_CYCLE_1)
	s_add_co_i32 s2, s2, s3
	s_mul_i32 s2, s2, s4
	s_delay_alu instid0(SALU_CYCLE_1) | instskip(NEXT) | instid1(SALU_CYCLE_1)
	s_add_co_i32 s26, s2, ttmp9
	v_cmp_le_i64_e64 s2, s[40:41], s[26:27]
	s_and_b32 vcc_lo, exec_lo, s2
	s_cbranch_vccnz .LBB36_273
; %bb.1:
	s_clause 0x1
	s_load_b64 s[10:11], s[0:1], 0xd0
	s_load_b64 s[8:9], s[0:1], 0x0
	v_cmp_eq_u32_e64 s2, 0, v0
	s_add_nc_u64 s[6:7], s[0:1], 0x500
	s_and_saveexec_b32 s3, s2
	s_cbranch_execz .LBB36_3
; %bb.2:
	v_dual_mov_b32 v1, 0 :: v_dual_mov_b32 v4, s37
	s_delay_alu instid0(VALU_DEP_1)
	v_dual_mov_b32 v3, s36 :: v_dual_mov_b32 v2, v1
	ds_store_b32 v1, v1 offset:5136
	ds_store_b128 v1, v[1:4] offset:5120
.LBB36_3:
	s_or_b32 exec_lo, exec_lo, s3
	v_lshlrev_b32_e32 v37, 3, v0
	v_mbcnt_lo_u32_b32 v32, -1, 0
	v_dual_mov_b32 v3, 0 :: v_dual_lshlrev_b32 v14, 2, v0
	v_mad_co_u64_u32 v[4:5], null, s42, v0, 0
	s_delay_alu instid0(VALU_DEP_4)
	v_or_b32_e32 v25, 4, v37
	v_or_b32_e32 v26, 2, v37
	v_lshlrev_b64_e64 v[8:9], v32, -1
	s_wait_kmcnt 0x0
	s_mul_u64 s[10:11], s[10:11], s[26:27]
	s_clause 0x3
	s_load_b64 s[34:35], s[0:1], 0x430
	s_load_b64 s[28:29], s[0:1], 0x360
	;; [unrolled: 1-line block ×4, first 2 shown]
	v_mad_co_u64_u32 v[21:22], null, s42, v25, 0
	v_mad_co_u64_u32 v[23:24], null, s42, v26, 0
	v_mov_b32_e32 v15, v3
	v_not_b32_e32 v35, v8
	v_cmp_gt_u32_e32 vcc_lo, 32, v0
	v_cmp_gt_i32_e64 s0, 4, v32
	v_mov_b32_e32 v8, v22
	s_lshl_b64 s[10:11], s[10:11], 1
	v_mov_b32_e32 v9, v24
	s_add_nc_u64 s[48:49], s[8:9], s[10:11]
	s_and_b32 s33, vcc_lo, s0
	s_wait_dscnt 0x0
	s_barrier_signal -1
	v_mad_co_u64_u32 v[24:25], null, s43, v25, v[8:9]
	s_barrier_wait -1
	global_inv scope:SCOPE_SE
	s_load_b32 s5, s[6:7], 0xc
	s_movk_i32 s8, 0x3e0
	s_mov_b32 s51, 0
	v_and_or_b32 v36, v0, s8, 0xc00
	v_mov_b32_e32 v38, v24
	v_or_b32_e32 v10, 6, v37
	v_cmp_lt_i64_e64 s82, 0x600, s[36:37]
	s_mov_b32 s45, s51
	v_cmp_eq_u32_e64 s1, 0, v32
	v_cmp_gt_u32_e64 s3, 2, v0
	v_mad_co_u64_u32 v[19:20], null, s42, v10, 0
	v_lshlrev_b32_e32 v33, 1, v0
	v_mov_b32_e32 v1, v5
	v_lshl_or_b32 v42, v32, 3, 0xc00
	v_mov_b32_e32 v45, 0
	s_mov_b32 s84, s42
	v_add_nc_u32_e32 v34, 0xc00, v33
	v_mad_co_u64_u32 v[1:2], null, s43, v0, v[1:2]
	v_add_nc_u32_e32 v2, 2, v0
	s_wait_kmcnt 0x0
	s_and_b32 s44, s5, 0xffff
	s_bfe_u32 s5, s5, 0xb0005
	s_cmp_gt_u32 s44, 31
	s_add_nc_u64 s[52:53], s[44:45], -1
	s_cselect_b32 s83, -1, 0
	v_mov_b32_e32 v5, v1
	s_cmp_lt_u32 ttmp9, s4
	s_add_nc_u64 s[54:55], s[52:53], s[36:37]
	s_cselect_b32 s50, 12, 18
	s_add_co_i32 s8, s5, -1
	v_lshlrev_b64_e32 v[6:7], 1, v[4:5]
	s_wait_alu 0xfffe
	s_and_b32 s8, s8, 0xffff
	s_bfe_u32 s85, s44, 0x30005
	s_wait_alu 0xfffe
	s_cmp_gt_u32 s8, 6
	v_add_co_u32 v40, s8, s36, v0
	v_add_co_u32 v12, vcc_lo, s48, v6
	s_delay_alu instid0(VALU_DEP_1)
	v_add_co_ci_u32_e64 v13, null, s49, v7, vcc_lo
	v_cmp_gt_i64_e32 vcc_lo, s[36:37], v[2:3]
	v_not_b32_e32 v6, v0
	s_cselect_b32 s87, -1, 0
	s_and_b32 s88, s5, 0x7f8
	s_cmp_lg_u32 s85, 0
	v_lshlrev_b64_e32 v[24:25], 3, v[4:5]
	s_wait_alu 0xfffd
	v_cndmask_b32_e64 v2, v2, s36, vcc_lo
	v_cndmask_b32_e64 v7, 0, s37, vcc_lo
	s_cselect_b32 s89, -1, 0
	s_lshl_b64 s[56:57], s[42:43], 1
	v_add_co_ci_u32_e64 v41, null, s37, 0, s8
	v_add_co_u32 v6, vcc_lo, v2, v6
	v_mov_b32_e32 v1, v3
	s_wait_alu 0xfffd
	v_add_co_ci_u32_e64 v7, null, -1, v7, vcc_lo
	s_delay_alu instid0(VALU_DEP_3) | instskip(SKIP_2) | instid1(VALU_DEP_4)
	v_and_b32_e32 v16, -2, v6
	v_mul_lo_u32 v43, 0, s56
	v_cmp_gt_i64_e64 s0, s[36:37], v[0:1]
	v_cmp_lt_u64_e64 s4, 1, v[6:7]
	s_mul_u64 s[8:9], s[42:43], s[44:45]
	v_add_co_u32 v18, vcc_lo, v16, v0
	s_wait_alu 0xfffd
	v_add_co_ci_u32_e64 v2, null, 0, v7, vcc_lo
	v_mov_b32_e32 v2, v20
	s_mov_b32 s86, s43
	s_lshl_b64 s[58:59], s[42:43], 3
	v_mov_b32_e32 v44, 0
	s_wait_alu 0xfffe
	s_lshl_b64 s[46:47], s[8:9], 1
	v_mad_co_u64_u32 v[10:11], null, s43, v10, v[2:3]
	v_mov_b32_e32 v17, v7
	s_lshl_b32 s90, s44, 1
	s_mov_b32 s91, 14
	v_mov_b32_e32 v20, 0
	s_mov_b32 s92, 0
	s_mov_b32 s93, 0
	s_delay_alu instid0(VALU_DEP_3)
	v_mad_co_u64_u32 v[8:9], null, s43, v26, v[9:10]
	v_mov_b32_e32 v22, v10
	v_cmp_ne_u64_e64 s5, v[6:7], v[16:17]
	v_dual_mov_b32 v26, s38 :: v_dual_mov_b32 v27, s39
	s_add_nc_u64 s[38:39], s[6:7], s[50:51]
                                        ; implicit-def: $sgpr97
                                        ; implicit-def: $sgpr99
                                        ; implicit-def: $sgpr94
                                        ; implicit-def: $sgpr96
                                        ; implicit-def: $sgpr98
                                        ; implicit-def: $sgpr95
	v_mov_b32_e32 v39, v8
	s_branch .LBB36_7
.LBB36_4:                               ;   in Loop: Header=BB36_7 Depth=1
	s_wait_alu 0xfffe
	s_or_b32 exec_lo, exec_lo, s9
	s_delay_alu instid0(SALU_CYCLE_1)
	s_and_b32 s7, s7, exec_lo
	s_and_not1_b32 s22, s22, exec_lo
	s_and_not1_b32 s21, s21, exec_lo
	s_or_not1_b32 s18, s8, exec_lo
.LBB36_5:                               ;   in Loop: Header=BB36_7 Depth=1
	s_wait_alu 0xfffe
	s_or_b32 exec_lo, exec_lo, s6
	s_delay_alu instid0(SALU_CYCLE_1)
	s_and_not1_b32 s6, s95, exec_lo
	s_and_b32 s7, s7, exec_lo
	s_and_not1_b32 s8, s96, exec_lo
	s_wait_alu 0xfffe
	s_or_b32 s95, s6, s7
	s_and_not1_b32 s6, s98, exec_lo
	s_and_b32 s7, s22, exec_lo
	s_and_b32 s9, s21, exec_lo
	s_wait_alu 0xfffe
	s_or_b32 s98, s6, s7
	s_or_b32 s96, s8, s9
	s_or_not1_b32 s18, s18, exec_lo
.LBB36_6:                               ;   in Loop: Header=BB36_7 Depth=1
	s_wait_alu 0xfffe
	s_or_b32 exec_lo, exec_lo, s17
	s_delay_alu instid0(SALU_CYCLE_1)
	s_and_b32 s6, exec_lo, s18
	v_dual_mov_b32 v27, v9 :: v_dual_mov_b32 v26, v8
	s_wait_alu 0xfffe
	s_or_b32 s92, s6, s92
	s_and_not1_b32 s6, s94, exec_lo
	s_and_b32 s7, s95, exec_lo
	s_and_not1_b32 s8, s99, exec_lo
	s_wait_alu 0xfffe
	s_or_b32 s94, s6, s7
	s_and_b32 s6, s98, exec_lo
	s_and_not1_b32 s7, s97, exec_lo
	s_and_b32 s9, s96, exec_lo
	s_wait_alu 0xfffe
	s_or_b32 s99, s8, s6
	s_or_b32 s97, s7, s9
	s_and_not1_b32 exec_lo, exec_lo, s92
	s_cbranch_execz .LBB36_269
.LBB36_7:                               ; =>This Loop Header: Depth=1
                                        ;     Child Loop BB36_12 Depth 2
                                        ;     Child Loop BB36_26 Depth 2
	;; [unrolled: 1-line block ×17, first 2 shown]
	ds_load_b128 v[4:7], v3 offset:5120
	s_wait_dscnt 0x0
	v_readfirstlane_b32 s61, v5
	v_readfirstlane_b32 s60, v4
	s_wait_alu 0xf1ff
	s_delay_alu instid0(VALU_DEP_1)
	v_cmp_gt_i64_e64 s6, s[60:61], 0
	s_and_b32 vcc_lo, exec_lo, s6
	s_wait_alu 0xfffe
	s_cbranch_vccnz .LBB36_39
; %bb.8:                                ;   in Loop: Header=BB36_7 Depth=1
	s_and_b32 vcc_lo, exec_lo, s82
	s_wait_alu 0xfffe
	s_cbranch_vccz .LBB36_20
; %bb.9:                                ;   in Loop: Header=BB36_7 Depth=1
	v_cmp_gt_i64_e32 vcc_lo, 0x601, v[6:7]
	s_mov_b32 s8, 0
	s_mov_b32 s6, 0
	s_cbranch_vccz .LBB36_21
; %bb.10:                               ;   in Loop: Header=BB36_7 Depth=1
	global_load_u16 v2, v3, s[38:39]
	global_load_u16 v8, v[12:13], off
	s_mov_b32 s9, 0
	s_wait_loadcnt 0x1
	v_and_b32_e32 v2, 0xffff, v2
	s_delay_alu instid0(VALU_DEP_1) | instskip(SKIP_3) | instid1(VALU_DEP_3)
	v_add_co_u32 v4, s6, v0, v2
	s_wait_alu 0xf1fe
	v_add_co_ci_u32_e64 v5, null, 0, 0, s6
	v_mul_lo_u32 v6, v2, s57
	v_mul_lo_u32 v10, s57, v4
	v_mul_hi_u32 v11, v2, s56
	s_delay_alu instid0(VALU_DEP_4) | instskip(SKIP_2) | instid1(VALU_DEP_2)
	v_mul_lo_u32 v7, s56, v5
	v_mad_co_u64_u32 v[4:5], null, s56, v4, s[48:49]
	v_add_nc_u32_e32 v6, v6, v43
	v_add3_u32 v5, v10, v5, v7
	s_delay_alu instid0(VALU_DEP_2)
	v_dual_mov_b32 v7, v1 :: v_dual_add_nc_u32 v10, v6, v11
	v_mul_lo_u32 v9, v2, s56
	v_mov_b32_e32 v6, v0
	s_branch .LBB36_12
.LBB36_11:                              ;   in Loop: Header=BB36_12 Depth=2
	s_wait_alu 0xfffe
	s_or_b32 exec_lo, exec_lo, s7
	v_add_co_u32 v4, vcc_lo, v4, v9
	s_wait_alu 0xfffd
	v_add_co_ci_u32_e64 v5, null, v5, v10, vcc_lo
	v_mov_b32_e32 v8, v11
	s_and_not1_b32 exec_lo, exec_lo, s9
	s_cbranch_execz .LBB36_73
.LBB36_12:                              ;   Parent Loop BB36_7 Depth=1
                                        ; =>  This Inner Loop Header: Depth=2
	s_delay_alu instid0(VALU_DEP_1)
	v_add_co_u32 v6, vcc_lo, v6, v2
	s_wait_alu 0xfffd
	v_add_co_ci_u32_e64 v7, null, 0, v7, vcc_lo
	s_wait_dscnt 0x0
	v_dual_mov_b32 v28, 0 :: v_dual_mov_b32 v11, 0
	s_mov_b32 s7, exec_lo
	s_delay_alu instid0(VALU_DEP_2)
	v_cmp_le_i64_e32 vcc_lo, s[36:37], v[6:7]
	v_cmpx_gt_i64_e64 s[36:37], v[6:7]
	s_cbranch_execz .LBB36_14
; %bb.13:                               ;   in Loop: Header=BB36_12 Depth=2
	global_load_u16 v11, v[4:5], off
.LBB36_14:                              ;   in Loop: Header=BB36_12 Depth=2
	s_wait_alu 0xfffe
	s_or_b32 exec_lo, exec_lo, s7
	s_wait_loadcnt 0x0
	v_bfe_i32 v29, v8, 0, 16
	s_delay_alu instid0(VALU_DEP_1) | instskip(NEXT) | instid1(VALU_DEP_1)
	v_add_nc_u32_e32 v29, 0x8000, v29
	v_and_b32_e32 v29, v29, v44
	s_delay_alu instid0(VALU_DEP_1)
	v_cmp_eq_u32_e64 s6, v29, v20
	s_cmp_lg_u32 s6, 0
	s_cselect_b32 s7, -1, 0
	s_wait_alu 0xfffe
	s_and_b32 s7, s1, s7
	s_wait_alu 0xfffe
	s_and_saveexec_b32 s10, s7
	s_cbranch_execz .LBB36_18
; %bb.15:                               ;   in Loop: Header=BB36_12 Depth=2
	s_mov_b32 s13, exec_lo
	s_bcnt1_i32_b32 s11, s6
	s_wait_alu 0xfffe
	v_mbcnt_lo_u32_b32 v28, s13, 0
	s_mov_b32 s12, exec_lo
                                        ; implicit-def: $vgpr29
	s_delay_alu instid0(VALU_DEP_1)
	v_cmpx_eq_u32_e32 0, v28
; %bb.16:                               ;   in Loop: Header=BB36_12 Depth=2
	s_bcnt1_i32_b32 s7, s13
	s_wait_alu 0xfffe
	s_mul_i32 s7, s11, s7
	s_wait_alu 0xfffe
	v_mov_b32_e32 v29, s7
	ds_add_rtn_u32 v29, v3, v29 offset:5136
; %bb.17:                               ;   in Loop: Header=BB36_12 Depth=2
	s_or_b32 exec_lo, exec_lo, s12
	s_wait_dscnt 0x0
	v_readfirstlane_b32 s7, v29
	s_wait_alu 0xf1ff
	s_delay_alu instid0(VALU_DEP_1)
	v_mad_u32_u24 v28, s11, v28, s7
.LBB36_18:                              ;   in Loop: Header=BB36_12 Depth=2
	s_wait_alu 0xfffe
	s_or_b32 exec_lo, exec_lo, s10
	ds_bpermute_b32 v28, v3, v28
	s_and_b32 s7, exec_lo, vcc_lo
	s_wait_alu 0xfffe
	s_or_b32 s9, s7, s9
	s_and_saveexec_b32 s7, s6
	s_cbranch_execz .LBB36_11
; %bb.19:                               ;   in Loop: Header=BB36_12 Depth=2
	v_and_b32_e32 v29, s6, v35
	s_delay_alu instid0(VALU_DEP_1) | instskip(NEXT) | instid1(VALU_DEP_1)
	v_bcnt_u32_b32 v29, v29, 0
	v_lshlrev_b32_e32 v29, 1, v29
	s_wait_dscnt 0x0
	s_delay_alu instid0(VALU_DEP_1)
	v_lshl_add_u32 v28, v28, 1, v29
	ds_store_b16 v28, v8
	s_branch .LBB36_11
.LBB36_20:                              ;   in Loop: Header=BB36_7 Depth=1
	s_mov_b32 s8, -1
	s_mov_b32 s6, 0
.LBB36_21:                              ;   in Loop: Header=BB36_7 Depth=1
	s_wait_alu 0xfffe
	s_and_b32 vcc_lo, exec_lo, s8
	s_wait_alu 0xfffe
	s_cbranch_vccz .LBB36_37
.LBB36_22:                              ;   in Loop: Header=BB36_7 Depth=1
	s_and_saveexec_b32 s7, s0
	s_cbranch_execz .LBB36_34
; %bb.23:                               ;   in Loop: Header=BB36_7 Depth=1
	global_load_u16 v4, v3, s[38:39]
	global_load_u16 v28, v[12:13], off
	v_mov_b32_e32 v6, v0
	s_mov_b32 s12, exec_lo
	s_wait_loadcnt 0x1
	v_and_b32_e32 v2, 0xffff, v4
	v_readfirstlane_b32 s6, v4
	s_delay_alu instid0(VALU_DEP_2) | instskip(NEXT) | instid1(VALU_DEP_1)
	v_add_nc_u32_e32 v2, v2, v0
	v_cmpx_gt_i64_e64 s[36:37], v[2:3]
	s_cbranch_execz .LBB36_33
; %bb.24:                               ;   in Loop: Header=BB36_7 Depth=1
	s_and_b32 s50, s6, 0xffff
	v_dual_mov_b32 v9, v1 :: v_dual_mov_b32 v8, v0
	s_wait_alu 0xfffe
	s_cmp_eq_u32 s50, 1
	v_dual_mov_b32 v5, v3 :: v_dual_mov_b32 v4, v2
	s_cselect_b32 s6, -1, 0
                                        ; implicit-def: $vgpr6_vgpr7
	s_wait_alu 0xfffe
	s_and_b32 s9, s4, s6
	s_mov_b32 s6, -1
	s_wait_alu 0xfffe
	s_and_saveexec_b32 s8, s9
	s_cbranch_execz .LBB36_28
; %bb.25:                               ;   in Loop: Header=BB36_7 Depth=1
	v_add_co_u32 v4, s6, v2, 1
	s_wait_alu 0xf1ff
	v_add_co_ci_u32_e64 v5, null, 0, 0, s6
	s_wait_loadcnt 0x0
	v_dual_mov_b32 v8, v16 :: v_dual_lshlrev_b32 v11, 16, v28
	v_dual_mov_b32 v9, v17 :: v_dual_mov_b32 v10, v33
	s_delay_alu instid0(VALU_DEP_3)
	v_mov_b32_e32 v7, v5
	v_dual_mov_b32 v6, v4 :: v_dual_mov_b32 v5, v3
	v_mov_b32_e32 v4, v2
	s_mov_b32 s9, 0
.LBB36_26:                              ;   Parent Loop BB36_7 Depth=1
                                        ; =>  This Inner Loop Header: Depth=2
	s_delay_alu instid0(VALU_DEP_2) | instskip(NEXT) | instid1(VALU_DEP_2)
	v_mul_lo_u32 v46, v5, s84
	v_mul_lo_u32 v47, v4, s86
	v_mad_co_u64_u32 v[28:29], null, v4, s84, 0
	v_mul_lo_u32 v48, v7, s42
	v_mul_lo_u32 v49, v6, s43
	v_mad_co_u64_u32 v[30:31], null, v6, s42, 0
	s_delay_alu instid0(VALU_DEP_4) | instskip(NEXT) | instid1(VALU_DEP_2)
	v_add3_u32 v29, v29, v47, v46
	v_add3_u32 v31, v31, v49, v48
	s_delay_alu instid0(VALU_DEP_2) | instskip(NEXT) | instid1(VALU_DEP_2)
	v_lshlrev_b64_e32 v[28:29], 1, v[28:29]
	v_lshlrev_b64_e32 v[30:31], 1, v[30:31]
	s_delay_alu instid0(VALU_DEP_2) | instskip(SKIP_1) | instid1(VALU_DEP_3)
	v_add_co_u32 v28, vcc_lo, s48, v28
	s_wait_alu 0xfffd
	v_add_co_ci_u32_e64 v29, null, s49, v29, vcc_lo
	s_delay_alu instid0(VALU_DEP_3)
	v_add_co_u32 v30, vcc_lo, s48, v30
	s_wait_alu 0xfffd
	v_add_co_ci_u32_e64 v31, null, s49, v31, vcc_lo
	s_clause 0x1
	global_load_u16 v29, v[28:29], off
	global_load_u16 v28, v[30:31], off
	v_add_co_u32 v8, vcc_lo, v8, -2
	s_wait_alu 0xfffd
	v_add_co_ci_u32_e64 v9, null, -1, v9, vcc_lo
	v_add_co_u32 v6, vcc_lo, v6, 2
	s_wait_alu 0xfffd
	v_add_co_ci_u32_e64 v7, null, 0, v7, vcc_lo
	s_delay_alu instid0(VALU_DEP_3) | instskip(SKIP_4) | instid1(VALU_DEP_3)
	v_cmp_eq_u64_e64 s6, 0, v[8:9]
	v_add_co_u32 v4, vcc_lo, v4, 2
	s_wait_alu 0xfffd
	v_add_co_ci_u32_e64 v5, null, 0, v5, vcc_lo
	s_wait_alu 0xfffe
	s_or_b32 s9, s6, s9
	s_wait_loadcnt 0x1
	v_alignbit_b32 v11, v29, v11, 16
	s_wait_loadcnt 0x0
	v_perm_b32 v29, v28, v29, 0x5040100
	ds_store_b32 v10, v11
	v_dual_mov_b32 v11, v29 :: v_dual_add_nc_u32 v10, 4, v10
	s_wait_alu 0xfffe
	s_and_not1_b32 exec_lo, exec_lo, s9
	s_cbranch_execnz .LBB36_26
; %bb.27:                               ;   in Loop: Header=BB36_7 Depth=1
	s_or_b32 exec_lo, exec_lo, s9
	v_add_co_u32 v4, vcc_lo, v2, v16
	s_wait_alu 0xfffd
	v_add_co_ci_u32_e64 v5, null, 0, v17, vcc_lo
	v_dual_mov_b32 v8, v18 :: v_dual_mov_b32 v9, v19
	s_delay_alu instid0(VALU_DEP_3)
	v_add_co_u32 v6, vcc_lo, v4, -1
	s_or_not1_b32 s6, s5, exec_lo
	s_wait_alu 0xfffd
	v_add_co_ci_u32_e64 v2, null, -1, v5, vcc_lo
.LBB36_28:                              ;   in Loop: Header=BB36_7 Depth=1
	s_wait_alu 0xfffe
	s_or_b32 exec_lo, exec_lo, s8
	s_and_saveexec_b32 s13, s6
	s_cbranch_execz .LBB36_32
; %bb.29:                               ;   in Loop: Header=BB36_7 Depth=1
	v_mad_co_u64_u32 v[10:11], null, s56, v4, s[48:49]
	v_mul_lo_u32 v2, s56, v5
	v_mul_lo_u32 v6, s57, v4
	s_sub_nc_u64 s[8:9], 0, s[50:51]
	s_mul_u64 s[10:11], s[56:57], s[50:51]
	s_mov_b32 s14, 0
	s_delay_alu instid0(VALU_DEP_1)
	v_add3_u32 v11, v6, v11, v2
.LBB36_30:                              ;   Parent Loop BB36_7 Depth=1
                                        ; =>  This Inner Loop Header: Depth=2
	global_load_u16 v2, v[10:11], off
	v_dual_mov_b32 v7, v5 :: v_dual_mov_b32 v6, v4
	v_lshlrev_b32_e32 v8, 1, v8
	s_wait_alu 0xfffe
	v_add_co_u32 v10, vcc_lo, v10, s10
	s_wait_alu 0xfffd
	v_add_co_ci_u32_e64 v11, null, s11, v11, vcc_lo
	v_add_co_u32 v4, s6, v6, s50
	s_wait_alu 0xf1ff
	v_add_co_ci_u32_e64 v5, null, 0, v7, s6
	s_wait_loadcnt 0x1
	ds_store_b16 v8, v28
	v_dual_mov_b32 v9, v7 :: v_dual_mov_b32 v8, v6
	v_cmp_le_i64_e32 vcc_lo, s[36:37], v[4:5]
	v_add_co_u32 v6, s6, s8, v4
	s_wait_alu 0xf1ff
	v_add_co_ci_u32_e64 v7, null, s9, v5, s6
	s_or_b32 s14, vcc_lo, s14
	s_wait_loadcnt 0x0
	v_mov_b32_e32 v28, v2
	s_wait_alu 0xfffe
	s_and_not1_b32 exec_lo, exec_lo, s14
	s_cbranch_execnz .LBB36_30
; %bb.31:                               ;   in Loop: Header=BB36_7 Depth=1
	s_or_b32 exec_lo, exec_lo, s14
	v_mov_b32_e32 v28, v2
.LBB36_32:                              ;   in Loop: Header=BB36_7 Depth=1
	s_wait_alu 0xfffe
	s_or_b32 exec_lo, exec_lo, s13
.LBB36_33:                              ;   in Loop: Header=BB36_7 Depth=1
	s_wait_alu 0xfffe
	s_or_b32 exec_lo, exec_lo, s12
	v_lshlrev_b32_e32 v2, 1, v6
	s_wait_loadcnt 0x0
	ds_store_b16 v2, v28
.LBB36_34:                              ;   in Loop: Header=BB36_7 Depth=1
	s_wait_alu 0xfffe
	s_or_b32 exec_lo, exec_lo, s7
	s_wait_loadcnt_dscnt 0x0
	s_barrier_signal -1
	s_barrier_wait -1
	global_inv scope:SCOPE_SE
	s_and_saveexec_b32 s6, s2
; %bb.35:                               ;   in Loop: Header=BB36_7 Depth=1
	v_dual_mov_b32 v4, s36 :: v_dual_mov_b32 v5, s37
	ds_store_b64 v3, v[4:5] offset:5120
; %bb.36:                               ;   in Loop: Header=BB36_7 Depth=1
	s_wait_alu 0xfffe
	s_or_b32 exec_lo, exec_lo, s6
	s_mov_b32 s6, -1
	s_wait_loadcnt_dscnt 0x0
	s_barrier_signal -1
	s_barrier_wait -1
.LBB36_37:                              ;   in Loop: Header=BB36_7 Depth=1
	s_wait_alu 0xfffe
	s_and_b32 vcc_lo, exec_lo, s6
	s_wait_alu 0xfffe
	s_cbranch_vccz .LBB36_39
; %bb.38:                               ;   in Loop: Header=BB36_7 Depth=1
	s_wait_loadcnt 0x0
	global_inv scope:SCOPE_SE
	ds_load_b64 v[4:5], v3 offset:5120
	s_wait_dscnt 0x0
	v_readfirstlane_b32 s60, v4
.LBB36_39:                              ;   in Loop: Header=BB36_7 Depth=1
	s_delay_alu instid0(VALU_DEP_1)
	s_cmp_lt_i32 s60, 1
	s_mov_b32 s6, -1
                                        ; implicit-def: $vgpr4_vgpr5
                                        ; implicit-def: $vgpr8_vgpr9
	s_cbranch_scc1 .LBB36_49
; %bb.40:                               ;   in Loop: Header=BB36_7 Depth=1
	s_wait_alu 0xfffe
	s_and_b32 vcc_lo, exec_lo, s6
	s_wait_alu 0xfffe
	s_cbranch_vccnz .LBB36_63
.LBB36_41:                              ;   in Loop: Header=BB36_7 Depth=1
	s_lshl_b32 s6, s93, 7
	s_and_saveexec_b32 s7, s1
	s_cbranch_execz .LBB36_43
.LBB36_42:                              ;   in Loop: Header=BB36_7 Depth=1
	s_wait_alu 0xfffe
	v_lshl_add_u32 v2, s6, 3, v36
	ds_store_b128 v2, v[4:7]
	ds_store_b128 v2, v[8:11] offset:16
.LBB36_43:                              ;   in Loop: Header=BB36_7 Depth=1
	s_wait_alu 0xfffe
	s_or_b32 exec_lo, exec_lo, s7
	s_wait_loadcnt_dscnt 0x0
	s_barrier_signal -1
	s_barrier_wait -1
	global_inv scope:SCOPE_SE
	s_and_saveexec_b32 s7, s33
	s_cbranch_execz .LBB36_80
; %bb.44:                               ;   in Loop: Header=BB36_7 Depth=1
	v_mov_b32_e32 v4, 0
	v_mov_b32_e32 v5, 0
	s_and_not1_b32 vcc_lo, exec_lo, s83
	s_wait_alu 0xfffe
	s_cbranch_vccnz .LBB36_79
; %bb.45:                               ;   in Loop: Header=BB36_7 Depth=1
	v_mov_b32_e32 v4, 0
	v_mov_b32_e32 v5, 0
	s_and_not1_b32 vcc_lo, exec_lo, s87
	s_wait_alu 0xfffe
	s_cbranch_vccnz .LBB36_76
; %bb.46:                               ;   in Loop: Header=BB36_7 Depth=1
	v_lshl_add_u32 v2, s93, 10, v42
	s_mov_b32 s8, 0
.LBB36_47:                              ;   Parent Loop BB36_7 Depth=1
                                        ; =>  This Inner Loop Header: Depth=2
	ds_load_2addr_b64 v[6:9], v2 offset1:4
	ds_load_2addr_b64 v[28:31], v2 offset0:8 offset1:12
	ds_load_2addr_b64 v[46:49], v2 offset0:16 offset1:20
	s_wait_alu 0xfffe
	s_add_co_i32 s8, s8, 8
	s_wait_alu 0xfffe
	s_cmp_eq_u32 s88, s8
	s_wait_dscnt 0x2
	v_add_co_u32 v4, vcc_lo, v6, v4
	s_wait_alu 0xfffd
	v_add_co_ci_u32_e64 v5, null, v7, v5, vcc_lo
	s_delay_alu instid0(VALU_DEP_2) | instskip(SKIP_1) | instid1(VALU_DEP_2)
	v_add_co_u32 v8, vcc_lo, v8, v4
	s_wait_alu 0xfffd
	v_add_co_ci_u32_e64 v9, null, v9, v5, vcc_lo
	ds_load_2addr_b64 v[4:7], v2 offset0:24 offset1:28
	s_wait_dscnt 0x2
	v_add_co_u32 v8, vcc_lo, v28, v8
	s_wait_alu 0xfffd
	v_add_co_ci_u32_e64 v9, null, v29, v9, vcc_lo
	v_add_nc_u32_e32 v2, 0x100, v2
	s_delay_alu instid0(VALU_DEP_3) | instskip(SKIP_1) | instid1(VALU_DEP_3)
	v_add_co_u32 v8, vcc_lo, v30, v8
	s_wait_alu 0xfffd
	v_add_co_ci_u32_e64 v9, null, v31, v9, vcc_lo
	s_wait_dscnt 0x1
	s_delay_alu instid0(VALU_DEP_2) | instskip(SKIP_1) | instid1(VALU_DEP_2)
	v_add_co_u32 v8, vcc_lo, v46, v8
	s_wait_alu 0xfffd
	v_add_co_ci_u32_e64 v9, null, v47, v9, vcc_lo
	s_delay_alu instid0(VALU_DEP_2) | instskip(SKIP_1) | instid1(VALU_DEP_2)
	v_add_co_u32 v8, vcc_lo, v48, v8
	s_wait_alu 0xfffd
	v_add_co_ci_u32_e64 v9, null, v49, v9, vcc_lo
	s_wait_dscnt 0x0
	s_delay_alu instid0(VALU_DEP_2) | instskip(SKIP_1) | instid1(VALU_DEP_2)
	v_add_co_u32 v4, vcc_lo, v4, v8
	s_wait_alu 0xfffd
	v_add_co_ci_u32_e64 v5, null, v5, v9, vcc_lo
	s_delay_alu instid0(VALU_DEP_2) | instskip(SKIP_1) | instid1(VALU_DEP_2)
	v_add_co_u32 v4, vcc_lo, v6, v4
	s_wait_alu 0xfffd
	v_add_co_ci_u32_e64 v5, null, v7, v5, vcc_lo
	s_cbranch_scc0 .LBB36_47
; %bb.48:                               ;   in Loop: Header=BB36_7 Depth=1
	s_mov_b32 s8, s88
	s_and_not1_b32 vcc_lo, exec_lo, s89
	s_wait_alu 0xfffe
	s_cbranch_vccz .LBB36_77
	s_branch .LBB36_79
.LBB36_49:                              ;   in Loop: Header=BB36_7 Depth=1
	global_load_u16 v2, v3, s[38:39]
	s_mov_b32 s7, s37
	s_wait_loadcnt 0x0
	v_readfirstlane_b32 s6, v2
	s_wait_alu 0xfffe
	s_and_b32 s62, s6, 0xffff
	s_mov_b32 s6, s51
	s_wait_alu 0xfffe
	s_lshl_b32 s64, s62, 2
	s_cmp_lg_u64 s[6:7], 0
	s_cbranch_scc0 .LBB36_72
; %bb.50:                               ;   in Loop: Header=BB36_7 Depth=1
	s_mov_b32 s65, s51
	s_wait_alu 0xfffe
	s_add_nc_u64 s[6:7], s[64:65], 0
	s_wait_alu 0xfffe
	s_xor_b64 s[6:7], s[6:7], 0
	s_wait_alu 0xfffe
	s_cvt_f32_u32 s8, s6
	s_cvt_f32_u32 s9, s7
	s_sub_nc_u64 s[10:11], 0, s[6:7]
	s_wait_alu 0xfffe
	s_delay_alu instid0(SALU_CYCLE_1) | instskip(SKIP_1) | instid1(SALU_CYCLE_2)
	s_fmamk_f32 s8, s9, 0x4f800000, s8
	s_wait_alu 0xfffe
	v_s_rcp_f32 s8, s8
	s_delay_alu instid0(TRANS32_DEP_1) | instskip(SKIP_1) | instid1(SALU_CYCLE_2)
	s_mul_f32 s8, s8, 0x5f7ffffc
	s_wait_alu 0xfffe
	s_mul_f32 s9, s8, 0x2f800000
	s_wait_alu 0xfffe
	s_delay_alu instid0(SALU_CYCLE_2) | instskip(SKIP_1) | instid1(SALU_CYCLE_2)
	s_trunc_f32 s9, s9
	s_wait_alu 0xfffe
	s_fmamk_f32 s8, s9, 0xcf800000, s8
	s_cvt_u32_f32 s9, s9
	s_wait_alu 0xfffe
	s_delay_alu instid0(SALU_CYCLE_1) | instskip(SKIP_1) | instid1(SALU_CYCLE_2)
	s_cvt_u32_f32 s8, s8
	s_wait_alu 0xfffe
	s_mul_u64 s[12:13], s[10:11], s[8:9]
	s_wait_alu 0xfffe
	s_mul_hi_u32 s15, s8, s13
	s_mul_i32 s14, s8, s13
	s_mul_hi_u32 s50, s8, s12
	s_mul_i32 s17, s9, s12
	s_wait_alu 0xfffe
	s_add_nc_u64 s[14:15], s[50:51], s[14:15]
	s_mul_hi_u32 s16, s9, s12
	s_mul_hi_u32 s18, s9, s13
	s_mul_i32 s12, s9, s13
	s_wait_alu 0xfffe
	s_add_co_u32 s13, s14, s17
	s_add_co_ci_u32 s50, s15, s16
	s_add_co_ci_u32 s13, s18, 0
	s_wait_alu 0xfffe
	s_add_nc_u64 s[12:13], s[50:51], s[12:13]
	s_wait_alu 0xfffe
	s_add_co_u32 s8, s8, s12
	s_cselect_b32 s12, -1, 0
	s_wait_alu 0xfffe
	s_cmp_lg_u32 s12, 0
	s_add_co_ci_u32 s9, s9, s13
	s_wait_alu 0xfffe
	s_mul_u64 s[10:11], s[10:11], s[8:9]
	s_wait_alu 0xfffe
	s_mul_hi_u32 s13, s8, s11
	s_mul_i32 s12, s8, s11
	s_mul_hi_u32 s50, s8, s10
	s_mul_i32 s15, s9, s10
	s_wait_alu 0xfffe
	s_add_nc_u64 s[12:13], s[50:51], s[12:13]
	s_mul_hi_u32 s14, s9, s10
	s_mul_hi_u32 s16, s9, s11
	s_mul_i32 s10, s9, s11
	s_wait_alu 0xfffe
	s_add_co_u32 s11, s12, s15
	s_add_co_ci_u32 s50, s13, s14
	s_add_co_ci_u32 s11, s16, 0
	s_wait_alu 0xfffe
	s_add_nc_u64 s[10:11], s[50:51], s[10:11]
	s_wait_alu 0xfffe
	s_add_co_u32 s14, s8, s10
	s_cselect_b32 s8, -1, 0
	s_wait_alu 0xfffe
	s_cmp_lg_u32 s8, 0
	s_add_co_ci_u32 s15, s9, s11
	s_ashr_i32 s8, s37, 31
	s_wait_alu 0xfffe
	s_mov_b32 s9, s8
	s_wait_alu 0xfffe
	s_add_nc_u64 s[10:11], s[36:37], s[8:9]
	s_wait_alu 0xfffe
	s_xor_b64 s[10:11], s[10:11], s[8:9]
	s_wait_alu 0xfffe
	s_mul_hi_u32 s13, s10, s15
	s_mul_i32 s12, s10, s15
	s_mul_hi_u32 s50, s10, s14
	s_mul_i32 s18, s11, s14
	s_wait_alu 0xfffe
	s_add_nc_u64 s[12:13], s[50:51], s[12:13]
	s_mul_hi_u32 s17, s11, s14
	s_mul_hi_u32 s16, s11, s15
	s_wait_alu 0xfffe
	s_add_co_u32 s12, s12, s18
	s_add_co_ci_u32 s50, s13, s17
	s_mul_i32 s14, s11, s15
	s_add_co_ci_u32 s15, s16, 0
	s_wait_alu 0xfffe
	s_add_nc_u64 s[12:13], s[50:51], s[14:15]
	s_wait_alu 0xfffe
	s_mul_u64 s[12:13], s[6:7], s[12:13]
	s_wait_alu 0xfffe
	s_sub_co_u32 s10, s10, s12
	s_cselect_b32 s12, -1, 0
	s_sub_co_i32 s14, s11, s13
	s_wait_alu 0xfffe
	s_cmp_lg_u32 s12, 0
	s_sub_co_ci_u32 s14, s14, s7
	s_sub_co_u32 s15, s10, s6
	s_cselect_b32 s16, -1, 0
	s_wait_alu 0xfffe
	s_cmp_lg_u32 s16, 0
	s_sub_co_ci_u32 s17, s14, 0
	s_wait_alu 0xfffe
	s_cmp_ge_u32 s17, s7
	s_cselect_b32 s18, -1, 0
	s_cmp_ge_u32 s15, s6
	s_cselect_b32 s19, -1, 0
	s_cmp_eq_u32 s17, s7
	s_cselect_b32 s18, s19, s18
	s_cmp_lg_u32 s16, 0
	s_sub_co_ci_u32 s14, s14, s7
	s_sub_co_u32 s16, s15, s6
	s_cselect_b32 s19, -1, 0
	s_delay_alu instid0(SALU_CYCLE_1)
	s_cmp_lg_u32 s19, 0
	s_wait_alu 0xfffe
	s_sub_co_ci_u32 s14, s14, 0
	s_cmp_lg_u32 s18, 0
	s_cselect_b32 s15, s16, s15
	s_wait_alu 0xfffe
	s_cselect_b32 s14, s14, s17
	s_cmp_lg_u32 s12, 0
	s_sub_co_ci_u32 s11, s11, s13
	s_wait_alu 0xfffe
	s_cmp_ge_u32 s11, s7
	s_cselect_b32 s12, -1, 0
	s_cmp_ge_u32 s10, s6
	s_cselect_b32 s6, -1, 0
	s_cmp_eq_u32 s11, s7
	s_wait_alu 0xfffe
	s_cselect_b32 s6, s6, s12
	s_wait_alu 0xfffe
	s_cmp_lg_u32 s6, 0
	s_cselect_b32 s7, s14, s11
	s_cselect_b32 s6, s15, s10
	s_wait_alu 0xfffe
	s_xor_b64 s[6:7], s[6:7], s[8:9]
	s_wait_alu 0xfffe
	s_sub_nc_u64 s[66:67], s[6:7], s[8:9]
	s_cbranch_execnz .LBB36_52
.LBB36_51:                              ;   in Loop: Header=BB36_7 Depth=1
	s_wait_alu 0xfffe
	v_cvt_f32_u32_e32 v2, s64
	s_sub_co_i32 s7, 0, s64
	s_delay_alu instid0(VALU_DEP_1) | instskip(NEXT) | instid1(TRANS32_DEP_1)
	v_rcp_iflag_f32_e32 v2, v2
	v_mul_f32_e32 v2, 0x4f7ffffe, v2
	s_delay_alu instid0(VALU_DEP_1) | instskip(NEXT) | instid1(VALU_DEP_1)
	v_cvt_u32_f32_e32 v2, v2
	v_readfirstlane_b32 s6, v2
	s_wait_alu 0xfffe
	s_mul_i32 s7, s7, s6
	s_wait_alu 0xfffe
	s_mul_hi_u32 s7, s6, s7
	s_wait_alu 0xfffe
	s_add_co_i32 s6, s6, s7
	s_wait_alu 0xfffe
	s_mul_hi_u32 s6, s36, s6
	s_wait_alu 0xfffe
	s_mul_i32 s6, s6, s64
	s_wait_alu 0xfffe
	s_sub_co_i32 s6, s36, s6
	s_wait_alu 0xfffe
	s_sub_co_i32 s7, s6, s64
	s_cmp_ge_u32 s6, s64
	s_wait_alu 0xfffe
	s_cselect_b32 s6, s7, s6
	s_wait_alu 0xfffe
	s_sub_co_i32 s7, s6, s64
	s_cmp_ge_u32 s6, s64
	s_wait_alu 0xfffe
	s_cselect_b32 s50, s7, s6
	s_wait_alu 0xfffe
	s_mov_b64 s[66:67], s[50:51]
.LBB36_52:                              ;   in Loop: Header=BB36_7 Depth=1
	v_mov_b32_e32 v4, 0
	v_dual_mov_b32 v8, 0 :: v_dual_mov_b32 v5, 0
	v_dual_mov_b32 v6, 0 :: v_dual_mov_b32 v9, 0
	;; [unrolled: 1-line block ×3, first 2 shown]
	v_mov_b32_e32 v11, 0
	s_wait_alu 0xfffe
	s_sub_nc_u64 s[68:69], s[36:37], s[66:67]
	s_mov_b32 s63, s51
	s_mov_b32 s61, exec_lo
	s_wait_alu 0xfffe
	v_cmpx_gt_i64_e64 s[68:69], v[14:15]
	s_cbranch_execz .LBB36_56
; %bb.53:                               ;   in Loop: Header=BB36_7 Depth=1
	v_dual_mov_b32 v29, v15 :: v_dual_mov_b32 v28, v14
	s_mul_u64 s[70:71], s[58:59], s[62:63]
	s_mov_b64 s[72:73], 0
	s_mov_b32 s65, 0
	s_mov_b64 s[74:75], s[48:49]
	s_mov_b64 s[76:77], 0
	;; [unrolled: 1-line block ×4, first 2 shown]
.LBB36_54:                              ;   Parent Loop BB36_7 Depth=1
                                        ; =>  This Inner Loop Header: Depth=2
	s_wait_alu 0xfffe
	v_add_co_u32 v4, vcc_lo, s74, v24
	s_wait_alu 0xfffd
	v_add_co_ci_u32_e64 v5, null, s75, v25, vcc_lo
	v_add_co_u32 v6, vcc_lo, s74, v23
	s_wait_alu 0xfffd
	v_add_co_ci_u32_e64 v7, null, s75, v39, vcc_lo
	;; [unrolled: 3-line block ×4, first 2 shown]
	s_clause 0x3
	global_load_i16 v2, v[4:5], off
	global_load_i16 v4, v[6:7], off
	;; [unrolled: 1-line block ×4, first 2 shown]
	v_add_co_u32 v28, vcc_lo, v28, s64
	s_wait_alu 0xfffd
	v_add_co_ci_u32_e64 v29, null, 0, v29, vcc_lo
	s_add_nc_u64 s[74:75], s[74:75], s[70:71]
	v_cmp_le_i64_e32 vcc_lo, s[68:69], v[28:29]
	s_wait_loadcnt 0x3
	v_add_nc_u32_e32 v2, 0x8000, v2
	s_wait_loadcnt 0x2
	v_add_nc_u32_e32 v4, 0x8000, v4
	;; [unrolled: 2-line block ×4, first 2 shown]
	v_and_b32_e32 v7, v2, v44
	v_bfe_u32 v2, v2, s91, 2
	v_and_b32_e32 v8, v4, v44
	v_bfe_u32 v4, v4, s91, 2
	;; [unrolled: 2-line block ×3, first 2 shown]
	v_cmp_eq_u32_e64 s6, v7, v20
	v_cmp_eq_u32_e64 s10, 0, v2
	v_and_b32_e32 v10, v6, v44
	v_bfe_u32 v6, v6, s91, 2
	v_cmp_eq_u32_e64 s7, v8, v20
	v_cmp_eq_u32_e64 s11, 0, v4
	;; [unrolled: 1-line block ×4, first 2 shown]
	s_and_b32 s10, s6, s10
	v_cmp_eq_u32_e64 s9, v10, v20
	v_cmp_eq_u32_e64 s13, 0, v6
	;; [unrolled: 1-line block ×5, first 2 shown]
	s_wait_alu 0xfffe
	v_cndmask_b32_e64 v2, 0, 1, s10
	s_and_b32 s10, s7, s11
	v_cmp_eq_u32_e64 s15, 1, v4
	v_cmp_eq_u32_e64 s19, 2, v4
	v_cmp_eq_u32_e64 s23, 3, v4
	s_wait_alu 0xfffe
	v_cndmask_b32_e64 v4, 0, 1, s10
	s_and_b32 s10, s8, s12
	v_cmp_eq_u32_e64 s16, 1, v5
	v_cmp_eq_u32_e64 s20, 2, v5
	v_cmp_eq_u32_e64 s24, 3, v5
	s_wait_alu 0xfffe
	v_cndmask_b32_e64 v5, 0, 1, s10
	s_and_b32 s10, s9, s13
	v_cmp_eq_u32_e64 s17, 1, v6
	v_cmp_eq_u32_e64 s21, 2, v6
	v_cmp_eq_u32_e64 s25, 3, v6
	s_wait_alu 0xfffe
	v_cndmask_b32_e64 v6, 0, 1, s10
	s_and_b32 s10, s6, s14
	s_wait_alu 0xfffe
	v_cndmask_b32_e64 v7, 0, 1, s10
	s_and_b32 s10, s7, s15
	;; [unrolled: 3-line block ×4, first 2 shown]
	v_cmp_ne_u32_e64 s11, 0, v8
	s_wait_alu 0xfffe
	v_cndmask_b32_e64 v10, 0, 1, s10
	s_and_b32 s10, s6, s18
	s_and_b32 s6, s6, s22
	s_wait_alu 0xfffe
	v_cndmask_b32_e64 v11, 0, 1, s10
	v_cndmask_b32_e64 v47, 0, 1, s6
	s_and_b32 s6, s7, s23
	s_and_b32 s10, s7, s19
	s_wait_alu 0xfffe
	v_cndmask_b32_e64 v48, 0, 1, s6
	s_and_b32 s6, s8, s24
	v_cndmask_b32_e64 v30, 0, 1, s10
	s_and_b32 s10, s8, s20
	s_wait_alu 0xfffe
	v_cndmask_b32_e64 v49, 0, 1, s6
	s_and_b32 s6, s9, s25
	v_cndmask_b32_e64 v31, 0, 1, s10
	s_and_b32 s10, s9, s21
	s_wait_alu 0xfffe
	v_cndmask_b32_e64 v50, 0, 1, s6
	v_cmp_ne_u32_e64 s6, 0, v2
	v_cmp_ne_u32_e64 s7, 0, v4
	v_cndmask_b32_e64 v46, 0, 1, s10
	v_cmp_ne_u32_e64 s8, 0, v5
	v_cmp_ne_u32_e64 s10, 0, v7
	;; [unrolled: 1-line block ×6, first 2 shown]
	s_bcnt1_i32_b32 s6, s6
	s_bcnt1_i32_b32 s7, s7
	v_cmp_ne_u32_e64 s13, 0, v10
	v_cmp_ne_u32_e64 s16, 0, v31
	;; [unrolled: 1-line block ×4, first 2 shown]
	s_bcnt1_i32_b32 s8, s8
	s_bcnt1_i32_b32 s10, s10
	;; [unrolled: 1-line block ×3, first 2 shown]
	s_wait_alu 0xfffe
	s_add_co_i32 s6, s7, s6
	v_cmp_ne_u32_e64 s17, 0, v46
	v_cmp_ne_u32_e64 s20, 0, v49
	s_bcnt1_i32_b32 s9, s9
	s_bcnt1_i32_b32 s12, s12
	;; [unrolled: 1-line block ×4, first 2 shown]
	s_add_co_i32 s7, s11, s10
	s_wait_alu 0xfffe
	s_add_co_i32 s6, s6, s8
	v_cmp_ne_u32_e64 s21, 0, v50
	s_bcnt1_i32_b32 s13, s13
	s_bcnt1_i32_b32 s16, s16
	;; [unrolled: 1-line block ×4, first 2 shown]
	s_add_co_i32 s10, s15, s14
	s_add_co_i32 s7, s7, s12
	s_wait_alu 0xfffe
	s_add_co_i32 s50, s6, s9
	s_bcnt1_i32_b32 s17, s17
	s_bcnt1_i32_b32 s20, s20
	s_add_co_i32 s11, s19, s18
	s_add_co_i32 s8, s10, s16
	s_wait_alu 0xfffe
	s_add_nc_u64 s[80:81], s[80:81], s[50:51]
	s_add_co_i32 s50, s7, s13
	s_bcnt1_i32_b32 s21, s21
	s_add_co_i32 s10, s11, s20
	s_wait_alu 0xfffe
	s_add_nc_u64 s[78:79], s[78:79], s[50:51]
	s_add_co_i32 s50, s8, s17
	v_mov_b32_e32 v4, s80
	s_wait_alu 0xfffe
	s_add_nc_u64 s[76:77], s[76:77], s[50:51]
	s_add_co_i32 s50, s10, s21
	v_mov_b32_e32 v6, s78
	s_wait_alu 0xfffe
	s_add_nc_u64 s[72:73], s[72:73], s[50:51]
	v_mov_b32_e32 v8, s76
	s_wait_alu 0xfffe
	v_dual_mov_b32 v10, s72 :: v_dual_mov_b32 v5, s81
	v_mov_b32_e32 v7, s79
	v_mov_b32_e32 v9, s77
	;; [unrolled: 1-line block ×3, first 2 shown]
	s_or_b32 s65, vcc_lo, s65
	s_wait_alu 0xfffe
	s_and_not1_b32 exec_lo, exec_lo, s65
	s_cbranch_execnz .LBB36_54
; %bb.55:                               ;   in Loop: Header=BB36_7 Depth=1
	s_or_b32 exec_lo, exec_lo, s65
.LBB36_56:                              ;   in Loop: Header=BB36_7 Depth=1
	s_wait_alu 0xfffe
	s_or_b32 exec_lo, exec_lo, s61
	v_add_co_u32 v28, s6, s68, v0
	s_wait_alu 0xf1ff
	v_add_co_ci_u32_e64 v29, null, s69, 0, s6
	s_mov_b32 s12, exec_lo
	v_cmpx_gt_i64_e64 s[36:37], v[28:29]
	s_cbranch_execz .LBB36_62
; %bb.57:                               ;   in Loop: Header=BB36_7 Depth=1
	v_mul_lo_u32 v2, v29, s42
	v_mul_lo_u32 v46, v28, s43
	v_mad_co_u64_u32 v[30:31], null, v28, s42, 0
	s_mul_u64 s[10:11], s[56:57], s[62:63]
	s_mov_b32 s13, 0
	v_add3_u32 v31, v31, v46, v2
	s_delay_alu instid0(VALU_DEP_1) | instskip(NEXT) | instid1(VALU_DEP_1)
	v_lshlrev_b64_e32 v[30:31], 1, v[30:31]
	v_add_co_u32 v30, vcc_lo, s48, v30
	s_wait_alu 0xfffd
	s_delay_alu instid0(VALU_DEP_2)
	v_add_co_ci_u32_e64 v31, null, s49, v31, vcc_lo
	v_add_co_u32 v2, vcc_lo, v40, s62
	global_load_u16 v46, v[30:31], off
	s_wait_alu 0xfffd
	v_add_co_ci_u32_e64 v30, null, 0, v41, vcc_lo
	v_sub_co_u32 v2, vcc_lo, v2, s66
	s_wait_alu 0xfffd
	s_delay_alu instid0(VALU_DEP_2) | instskip(NEXT) | instid1(VALU_DEP_2)
	v_subrev_co_ci_u32_e64 v30, null, s67, v30, vcc_lo
	v_mul_lo_u32 v48, s57, v2
	s_delay_alu instid0(VALU_DEP_2) | instskip(SKIP_1) | instid1(VALU_DEP_1)
	v_mul_lo_u32 v47, s56, v30
	v_mad_co_u64_u32 v[30:31], null, s56, v2, s[48:49]
	v_add3_u32 v31, v48, v31, v47
	s_branch .LBB36_59
.LBB36_58:                              ;   in Loop: Header=BB36_59 Depth=2
	s_wait_alu 0xfffe
	s_or_b32 exec_lo, exec_lo, s7
	s_wait_loadcnt 0x0
	v_bfe_i32 v46, v46, 0, 16
	s_and_b32 s8, exec_lo, vcc_lo
	s_wait_alu 0xfffe
	s_or_b32 s13, s8, s13
	s_delay_alu instid0(VALU_DEP_1) | instskip(NEXT) | instid1(VALU_DEP_1)
	v_add_nc_u32_e32 v46, 0x8000, v46
	v_and_b32_e32 v47, v46, v44
	v_bfe_u32 v46, v46, s91, 2
	s_delay_alu instid0(VALU_DEP_2) | instskip(NEXT) | instid1(VALU_DEP_2)
	v_cmp_eq_u32_e64 s6, v47, v20
	v_cmp_eq_u32_e64 s7, 0, v46
	v_cmp_eq_u32_e32 vcc_lo, 1, v46
	v_cmp_eq_u32_e64 s8, 2, v46
	s_and_b32 s7, s6, s7
	s_wait_alu 0xfffe
	v_cndmask_b32_e64 v47, 0, 1, s7
	s_and_b32 s7, s6, vcc_lo
	v_cmp_eq_u32_e32 vcc_lo, 3, v46
	s_wait_alu 0xfffe
	v_cndmask_b32_e64 v48, 0, 1, s7
	s_and_b32 s7, s6, s8
	s_wait_alu 0xfffe
	v_cndmask_b32_e64 v49, 0, 1, s7
	v_cmp_ne_u32_e64 s7, 0, v47
	v_cmp_ne_u32_e64 s8, 0, v48
	s_and_b32 s6, s6, vcc_lo
	s_wait_alu 0xfffe
	v_cndmask_b32_e64 v46, 0, 1, s6
	s_bcnt1_i32_b32 s6, s7
	v_cmp_ne_u32_e64 s9, 0, v49
	s_bcnt1_i32_b32 s7, s8
	s_wait_alu 0xfffe
	v_add_co_u32 v4, vcc_lo, v4, s6
	s_wait_alu 0xfffd
	v_add_co_ci_u32_e64 v5, null, 0, v5, vcc_lo
	v_add_co_u32 v6, vcc_lo, v6, s7
	s_wait_alu 0xfffd
	v_add_co_ci_u32_e64 v7, null, 0, v7, vcc_lo
	v_cmp_ne_u32_e32 vcc_lo, 0, v46
	s_bcnt1_i32_b32 s8, s9
	v_mov_b32_e32 v46, v2
	s_wait_alu 0xfffe
	v_add_co_u32 v8, s6, v8, s8
	s_wait_alu 0xf1ff
	v_add_co_ci_u32_e64 v9, null, 0, v9, s6
	s_bcnt1_i32_b32 s6, vcc_lo
	s_wait_alu 0xfffe
	v_add_co_u32 v10, vcc_lo, v10, s6
	s_wait_alu 0xfffd
	v_add_co_ci_u32_e64 v11, null, 0, v11, vcc_lo
	v_add_co_u32 v30, vcc_lo, v30, s10
	s_wait_alu 0xfffd
	v_add_co_ci_u32_e64 v31, null, s11, v31, vcc_lo
	s_and_not1_b32 exec_lo, exec_lo, s13
	s_cbranch_execz .LBB36_61
.LBB36_59:                              ;   Parent Loop BB36_7 Depth=1
                                        ; =>  This Inner Loop Header: Depth=2
	v_add_co_u32 v28, vcc_lo, v28, s62
	s_wait_alu 0xfffd
	v_add_co_ci_u32_e64 v29, null, 0, v29, vcc_lo
	v_mov_b32_e32 v2, 0
	s_mov_b32 s7, exec_lo
	s_delay_alu instid0(VALU_DEP_2)
	v_cmp_le_i64_e32 vcc_lo, s[36:37], v[28:29]
	v_cmpx_gt_i64_e64 s[36:37], v[28:29]
	s_cbranch_execz .LBB36_58
; %bb.60:                               ;   in Loop: Header=BB36_59 Depth=2
	global_load_u16 v2, v[30:31], off
	s_branch .LBB36_58
.LBB36_61:                              ;   in Loop: Header=BB36_7 Depth=1
	s_or_b32 exec_lo, exec_lo, s13
.LBB36_62:                              ;   in Loop: Header=BB36_7 Depth=1
	s_wait_alu 0xfffe
	s_or_b32 exec_lo, exec_lo, s12
	s_branch .LBB36_41
.LBB36_63:                              ;   in Loop: Header=BB36_7 Depth=1
	global_load_u16 v2, v3, s[38:39]
	v_mov_b32_e32 v6, 0
	v_mov_b32_e32 v8, 0
	v_dual_mov_b32 v10, 0 :: v_dual_mov_b32 v9, 0
	v_mov_b32_e32 v11, 0
	s_mov_b32 s72, exec_lo
	v_mov_b32_e32 v7, 0
	s_wait_loadcnt 0x0
	v_readfirstlane_b32 s6, v2
	v_and_b32_e32 v2, 0xffff, v2
	s_and_b32 s61, 0xffff, s6
	s_wait_alu 0xfffe
	s_lshl_b32 s71, s61, 2
	s_wait_alu 0xfffe
	s_cvt_f32_u32 s6, s71
	s_sub_co_i32 s7, 0, s71
	s_wait_alu 0xfffe
	s_delay_alu instid0(SALU_CYCLE_1) | instskip(NEXT) | instid1(TRANS32_DEP_1)
	v_rcp_iflag_f32_e32 v4, s6
	v_readfirstlane_b32 s6, v4
	s_mul_f32 s6, s6, 0x4f7ffffe
	s_wait_alu 0xfffe
	s_delay_alu instid0(SALU_CYCLE_2) | instskip(SKIP_1) | instid1(SALU_CYCLE_2)
	s_cvt_u32_f32 s6, s6
	s_wait_alu 0xfffe
	s_mul_i32 s7, s7, s6
	s_wait_alu 0xfffe
	s_mul_hi_u32 s7, s6, s7
	s_wait_alu 0xfffe
	s_add_co_i32 s6, s6, s7
	s_wait_alu 0xfffe
	s_mul_hi_u32 s6, s60, s6
	s_wait_alu 0xfffe
	s_mul_i32 s7, s6, s71
	s_add_co_i32 s8, s6, 1
	s_wait_alu 0xfffe
	s_sub_co_i32 s7, s60, s7
	s_wait_alu 0xfffe
	s_sub_co_i32 s9, s7, s71
	s_cmp_ge_u32 s7, s71
	s_cselect_b32 s6, s8, s6
	s_wait_alu 0xfffe
	s_cselect_b32 s7, s9, s7
	s_add_co_i32 s8, s6, 1
	s_wait_alu 0xfffe
	s_cmp_ge_u32 s7, s71
	s_cselect_b32 s70, s8, s6
	s_wait_alu 0xfffe
	v_mul_hi_u32 v5, s70, v2
	v_mul_lo_u32 v4, s70, v2
	s_delay_alu instid0(VALU_DEP_1) | instskip(SKIP_2) | instid1(VALU_DEP_3)
	v_lshlrev_b64_e32 v[28:29], 2, v[4:5]
	v_mov_b32_e32 v4, 0
	v_mov_b32_e32 v5, 0
	v_cmpx_gt_u64_e64 v[28:29], v[14:15]
	s_cbranch_execz .LBB36_67
; %bb.64:                               ;   in Loop: Header=BB36_7 Depth=1
	v_dual_mov_b32 v46, v37 :: v_dual_mov_b32 v31, v15
	v_mov_b32_e32 v30, v14
	s_lshl_b32 s73, s61, 3
	s_mov_b64 s[62:63], 0
	s_mov_b32 s74, 0
	s_mov_b64 s[64:65], 0
	s_mov_b64 s[66:67], 0
	;; [unrolled: 1-line block ×3, first 2 shown]
.LBB36_65:                              ;   Parent Loop BB36_7 Depth=1
                                        ; =>  This Inner Loop Header: Depth=2
	ds_load_b64 v[4:5], v46
	v_add_co_u32 v30, vcc_lo, v30, s71
	s_wait_alu 0xfffd
	v_add_co_ci_u32_e64 v31, null, 0, v31, vcc_lo
	s_delay_alu instid0(VALU_DEP_1)
	v_cmp_ge_u64_e32 vcc_lo, v[30:31], v[28:29]
	s_wait_dscnt 0x0
	v_bfe_i32 v6, v4, 0, 16
	v_ashrrev_i32_e32 v4, 16, v4
	v_bfe_i32 v7, v5, 0, 16
	v_ashrrev_i32_e32 v5, 16, v5
	s_delay_alu instid0(VALU_DEP_4) | instskip(NEXT) | instid1(VALU_DEP_4)
	v_add_nc_u32_e32 v6, 0x8000, v6
	v_add_nc_u32_e32 v4, 0x8000, v4
	s_delay_alu instid0(VALU_DEP_4) | instskip(NEXT) | instid1(VALU_DEP_4)
	v_add_nc_u32_e32 v7, 0x8000, v7
	v_add_nc_u32_e32 v5, 0x8000, v5
	s_delay_alu instid0(VALU_DEP_4)
	v_and_b32_e32 v8, v6, v44
	v_bfe_u32 v6, v6, s91, 2
	v_and_b32_e32 v9, v4, v44
	v_bfe_u32 v4, v4, s91, 2
	;; [unrolled: 2-line block ×3, first 2 shown]
	v_cmp_eq_u32_e64 s6, v8, v20
	v_cmp_eq_u32_e64 s10, 0, v6
	v_and_b32_e32 v11, v5, v44
	v_bfe_u32 v5, v5, s91, 2
	v_cmp_eq_u32_e64 s7, v9, v20
	v_cmp_eq_u32_e64 s11, 0, v4
	;; [unrolled: 1-line block ×4, first 2 shown]
	s_and_b32 s10, s6, s10
	v_cmp_eq_u32_e64 s9, v11, v20
	v_cmp_eq_u32_e64 s13, 0, v5
	;; [unrolled: 1-line block ×5, first 2 shown]
	s_wait_alu 0xfffe
	v_cndmask_b32_e64 v4, 0, 1, s10
	s_and_b32 s10, s7, s11
	v_cmp_eq_u32_e64 s14, 1, v6
	v_cmp_eq_u32_e64 s17, 1, v5
	;; [unrolled: 1-line block ×4, first 2 shown]
	s_wait_alu 0xfffe
	v_cndmask_b32_e64 v5, 0, 1, s10
	s_and_b32 s10, s8, s12
	v_cmp_eq_u32_e64 s18, 2, v6
	v_cmp_eq_u32_e64 s22, 3, v6
	s_wait_alu 0xfffe
	v_cndmask_b32_e64 v6, 0, 1, s10
	s_and_b32 s10, s9, s13
	v_cmp_eq_u32_e64 s16, 1, v7
	v_cmp_eq_u32_e64 s20, 2, v7
	;; [unrolled: 1-line block ×3, first 2 shown]
	s_wait_alu 0xfffe
	v_cndmask_b32_e64 v7, 0, 1, s10
	s_and_b32 s10, s6, s14
	s_wait_alu 0xfffe
	v_cndmask_b32_e64 v8, 0, 1, s10
	s_and_b32 s10, s7, s15
	;; [unrolled: 3-line block ×4, first 2 shown]
	v_cmp_ne_u32_e64 s11, 0, v9
	s_wait_alu 0xfffe
	v_cndmask_b32_e64 v11, 0, 1, s10
	s_and_b32 s10, s6, s18
	s_and_b32 s6, s6, s22
	s_wait_alu 0xfffe
	v_cndmask_b32_e64 v47, 0, 1, s10
	v_cndmask_b32_e64 v51, 0, 1, s6
	s_and_b32 s6, s7, s23
	s_and_b32 s10, s7, s19
	s_wait_alu 0xfffe
	v_cndmask_b32_e64 v52, 0, 1, s6
	s_and_b32 s6, s8, s24
	v_cndmask_b32_e64 v48, 0, 1, s10
	s_and_b32 s10, s8, s20
	s_wait_alu 0xfffe
	v_cndmask_b32_e64 v53, 0, 1, s6
	s_and_b32 s6, s9, s25
	v_cndmask_b32_e64 v49, 0, 1, s10
	s_and_b32 s10, s9, s21
	s_wait_alu 0xfffe
	v_cndmask_b32_e64 v54, 0, 1, s6
	v_cmp_ne_u32_e64 s6, 0, v4
	v_cmp_ne_u32_e64 s7, 0, v5
	v_cndmask_b32_e64 v50, 0, 1, s10
	v_cmp_ne_u32_e64 s8, 0, v6
	v_cmp_ne_u32_e64 s10, 0, v8
	;; [unrolled: 1-line block ×6, first 2 shown]
	s_bcnt1_i32_b32 s6, s6
	s_bcnt1_i32_b32 s7, s7
	v_cmp_ne_u32_e64 s13, 0, v11
	v_cmp_ne_u32_e64 s16, 0, v49
	;; [unrolled: 1-line block ×4, first 2 shown]
	s_bcnt1_i32_b32 s8, s8
	s_bcnt1_i32_b32 s10, s10
	;; [unrolled: 1-line block ×3, first 2 shown]
	s_wait_alu 0xfffe
	s_add_co_i32 s6, s7, s6
	v_cmp_ne_u32_e64 s17, 0, v50
	v_cmp_ne_u32_e64 s20, 0, v53
	s_bcnt1_i32_b32 s9, s9
	s_bcnt1_i32_b32 s12, s12
	;; [unrolled: 1-line block ×4, first 2 shown]
	s_add_co_i32 s7, s11, s10
	s_wait_alu 0xfffe
	s_add_co_i32 s6, s6, s8
	v_cmp_ne_u32_e64 s21, 0, v54
	s_bcnt1_i32_b32 s13, s13
	s_bcnt1_i32_b32 s16, s16
	;; [unrolled: 1-line block ×4, first 2 shown]
	s_add_co_i32 s10, s15, s14
	s_add_co_i32 s7, s7, s12
	s_wait_alu 0xfffe
	s_add_co_i32 s50, s6, s9
	s_bcnt1_i32_b32 s17, s17
	s_bcnt1_i32_b32 s20, s20
	s_add_co_i32 s11, s19, s18
	s_add_co_i32 s8, s10, s16
	s_wait_alu 0xfffe
	s_add_nc_u64 s[68:69], s[68:69], s[50:51]
	s_add_co_i32 s50, s7, s13
	s_bcnt1_i32_b32 s21, s21
	s_add_co_i32 s10, s11, s20
	s_wait_alu 0xfffe
	s_add_nc_u64 s[66:67], s[66:67], s[50:51]
	s_add_co_i32 s50, s8, s17
	v_mov_b32_e32 v4, s68
	s_wait_alu 0xfffe
	s_add_nc_u64 s[64:65], s[64:65], s[50:51]
	s_add_co_i32 s50, s10, s21
	v_mov_b32_e32 v6, s66
	s_wait_alu 0xfffe
	s_add_nc_u64 s[62:63], s[62:63], s[50:51]
	v_mov_b32_e32 v8, s64
	s_wait_alu 0xfffe
	v_mov_b32_e32 v10, s62
	v_dual_mov_b32 v5, s69 :: v_dual_add_nc_u32 v46, s73, v46
	v_mov_b32_e32 v7, s67
	v_mov_b32_e32 v9, s65
	;; [unrolled: 1-line block ×3, first 2 shown]
	s_or_b32 s74, vcc_lo, s74
	s_wait_alu 0xfffe
	s_and_not1_b32 exec_lo, exec_lo, s74
	s_cbranch_execnz .LBB36_65
; %bb.66:                               ;   in Loop: Header=BB36_7 Depth=1
	s_or_b32 exec_lo, exec_lo, s74
.LBB36_67:                              ;   in Loop: Header=BB36_7 Depth=1
	s_delay_alu instid0(SALU_CYCLE_1)
	s_or_b32 exec_lo, exec_lo, s72
	v_add_co_u32 v28, vcc_lo, v28, v0
	s_wait_alu 0xfffd
	v_add_co_ci_u32_e64 v29, null, 0, v29, vcc_lo
	s_and_b32 s50, s60, 0x7fffffff
	s_mov_b32 s11, exec_lo
	s_wait_alu 0xfffe
	v_cmpx_gt_u64_e64 s[50:51], v[28:29]
	s_cbranch_execz .LBB36_71
; %bb.68:                               ;   in Loop: Header=BB36_7 Depth=1
	s_mul_i32 s70, s70, s61
	s_lshl_b32 s13, s61, 1
	s_wait_alu 0xfffe
	v_lshl_add_u32 v30, s70, 3, v33
	s_mov_b32 s12, 0
.LBB36_69:                              ;   Parent Loop BB36_7 Depth=1
                                        ; =>  This Inner Loop Header: Depth=2
	ds_load_i16 v31, v30
	v_add_co_u32 v28, vcc_lo, v28, v2
	s_wait_alu 0xfffd
	v_add_co_ci_u32_e64 v29, null, 0, v29, vcc_lo
	v_add_nc_u32_e32 v30, s13, v30
	s_delay_alu instid0(VALU_DEP_2) | instskip(SKIP_2) | instid1(VALU_DEP_1)
	v_cmp_le_u64_e32 vcc_lo, s[50:51], v[28:29]
	s_wait_dscnt 0x0
	v_add_nc_u32_e32 v31, 0x8000, v31
	v_and_b32_e32 v46, v31, v44
	v_bfe_u32 v31, v31, s91, 2
	s_delay_alu instid0(VALU_DEP_2) | instskip(NEXT) | instid1(VALU_DEP_2)
	v_cmp_eq_u32_e64 s6, v46, v20
	v_cmp_eq_u32_e64 s7, 0, v31
	;; [unrolled: 1-line block ×5, first 2 shown]
	s_and_b32 s7, s6, s7
	s_wait_alu 0xfffe
	v_cndmask_b32_e64 v31, 0, 1, s7
	s_and_b32 s7, s6, s8
	s_wait_alu 0xfffe
	v_cndmask_b32_e64 v46, 0, 1, s7
	s_and_b32 s7, s6, s9
	s_and_b32 s6, s6, s10
	s_wait_alu 0xfffe
	v_cndmask_b32_e64 v47, 0, 1, s7
	v_cndmask_b32_e64 v48, 0, 1, s6
	v_cmp_ne_u32_e64 s6, 0, v31
	v_cmp_ne_u32_e64 s7, 0, v46
	s_delay_alu instid0(VALU_DEP_4) | instskip(NEXT) | instid1(VALU_DEP_4)
	v_cmp_ne_u32_e64 s8, 0, v47
	v_cmp_ne_u32_e64 s9, 0, v48
	s_bcnt1_i32_b32 s6, s6
	s_bcnt1_i32_b32 s7, s7
	s_wait_alu 0xfffe
	v_add_co_u32 v4, s6, v4, s6
	s_bcnt1_i32_b32 s8, s8
	v_add_co_ci_u32_e64 v5, null, 0, v5, s6
	v_add_co_u32 v6, s6, v6, s7
	s_bcnt1_i32_b32 s9, s9
	v_add_co_ci_u32_e64 v7, null, 0, v7, s6
	s_wait_alu 0xfffe
	v_add_co_u32 v8, s6, v8, s8
	s_wait_alu 0xf1ff
	v_add_co_ci_u32_e64 v9, null, 0, v9, s6
	v_add_co_u32 v10, s6, v10, s9
	s_wait_alu 0xf1ff
	v_add_co_ci_u32_e64 v11, null, 0, v11, s6
	s_or_b32 s12, vcc_lo, s12
	s_wait_alu 0xfffe
	s_and_not1_b32 exec_lo, exec_lo, s12
	s_cbranch_execnz .LBB36_69
; %bb.70:                               ;   in Loop: Header=BB36_7 Depth=1
	s_or_b32 exec_lo, exec_lo, s12
.LBB36_71:                              ;   in Loop: Header=BB36_7 Depth=1
	s_delay_alu instid0(SALU_CYCLE_1)
	s_or_b32 exec_lo, exec_lo, s11
	s_lshl_b32 s6, s93, 7
	s_and_saveexec_b32 s7, s1
	s_cbranch_execnz .LBB36_42
	s_branch .LBB36_43
.LBB36_72:                              ;   in Loop: Header=BB36_7 Depth=1
                                        ; implicit-def: $sgpr66_sgpr67
	s_branch .LBB36_51
.LBB36_73:                              ;   in Loop: Header=BB36_7 Depth=1
	s_or_b32 exec_lo, exec_lo, s9
	s_wait_dscnt 0x0
	s_barrier_signal -1
	s_barrier_wait -1
	global_inv scope:SCOPE_SE
	s_and_saveexec_b32 s6, s2
	s_cbranch_execz .LBB36_75
; %bb.74:                               ;   in Loop: Header=BB36_7 Depth=1
	ds_load_b32 v4, v3 offset:5136
	s_wait_dscnt 0x0
	v_ashrrev_i32_e32 v5, 31, v4
	ds_store_b64 v3, v[4:5] offset:5120
.LBB36_75:                              ;   in Loop: Header=BB36_7 Depth=1
	s_wait_alu 0xfffe
	s_or_b32 exec_lo, exec_lo, s6
	s_wait_loadcnt_dscnt 0x0
	s_barrier_signal -1
	s_mov_b32 s6, -1
	s_barrier_wait -1
	s_and_b32 vcc_lo, exec_lo, s8
	s_wait_alu 0xfffe
	s_cbranch_vccnz .LBB36_22
	s_branch .LBB36_37
.LBB36_76:                              ;   in Loop: Header=BB36_7 Depth=1
	s_mov_b32 s8, 0
	s_and_not1_b32 vcc_lo, exec_lo, s89
	s_wait_alu 0xfffe
	s_cbranch_vccnz .LBB36_79
.LBB36_77:                              ;   in Loop: Header=BB36_7 Depth=1
	s_lshl_b32 s9, s93, 10
	s_lshl_b32 s8, s8, 5
	s_wait_alu 0xfffe
	v_add3_u32 v2, s9, s8, v42
	s_mov_b32 s8, s85
.LBB36_78:                              ;   Parent Loop BB36_7 Depth=1
                                        ; =>  This Inner Loop Header: Depth=2
	ds_load_b64 v[6:7], v2
	v_add_nc_u32_e32 v2, 32, v2
	s_wait_alu 0xfffe
	s_add_co_i32 s8, s8, -1
	s_wait_alu 0xfffe
	s_cmp_lg_u32 s8, 0
	s_wait_dscnt 0x0
	v_add_co_u32 v4, vcc_lo, v6, v4
	s_wait_alu 0xfffd
	v_add_co_ci_u32_e64 v5, null, v7, v5, vcc_lo
	s_cbranch_scc1 .LBB36_78
.LBB36_79:                              ;   in Loop: Header=BB36_7 Depth=1
	v_add_lshl_u32 v2, s6, v32, 3
	ds_store_b64 v2, v[4:5] offset:3072
.LBB36_80:                              ;   in Loop: Header=BB36_7 Depth=1
	s_wait_alu 0xfffe
	s_or_b32 exec_lo, exec_lo, s7
	s_lshl_b32 s6, s6, 3
	s_wait_loadcnt_dscnt 0x0
	s_wait_alu 0xfffe
	v_mov_b32_e32 v2, s6
	s_barrier_signal -1
	s_barrier_wait -1
	global_inv scope:SCOPE_SE
	v_cmp_eq_u64_e32 vcc_lo, 1, v[26:27]
	ds_load_b128 v[4:7], v2 offset:3072
	ds_load_b128 v[8:11], v2 offset:3088
	s_lshl_b32 s16, 3, s91
	s_mov_b32 s18, -1
	s_wait_alu 0xfffe
	s_not_b32 s20, s16
                                        ; implicit-def: $sgpr22
                                        ; implicit-def: $sgpr21
	s_wait_dscnt 0x1
	v_cmp_eq_u64_e64 s6, 1, v[4:5]
	s_wait_dscnt 0x0
	v_readfirstlane_b32 s10, v8
	v_readfirstlane_b32 s11, v9
	;; [unrolled: 1-line block ×4, first 2 shown]
	s_and_b32 s19, s6, vcc_lo
	s_mov_b32 s6, -1
	s_and_saveexec_b32 s17, s19
	s_cbranch_execz .LBB36_112
; %bb.81:                               ;   in Loop: Header=BB36_7 Depth=1
	ds_load_b64 v[8:9], v3 offset:5120
	s_wait_loadcnt_dscnt 0x0
	s_barrier_signal -1
	s_barrier_wait -1
	global_inv scope:SCOPE_SE
	v_readfirstlane_b32 s12, v8
	v_readfirstlane_b32 s13, v9
	s_and_saveexec_b32 s6, s3
; %bb.82:                               ;   in Loop: Header=BB36_7 Depth=1
	ds_store_b16 v34, v3
; %bb.83:                               ;   in Loop: Header=BB36_7 Depth=1
	s_wait_alu 0xfffe
	s_or_b32 exec_lo, exec_lo, s6
	v_cmp_lt_i64_e64 s6, s[12:13], 1
	v_and_b32_e32 v20, s20, v20
	v_or_b32_e32 v44, s16, v44
	s_mov_b32 s21, -1
	s_mov_b32 s22, 0
	s_mov_b32 s23, 0
	s_and_b32 vcc_lo, exec_lo, s6
	s_mov_b32 s7, -1
	s_wait_loadcnt_dscnt 0x0
	s_barrier_signal -1
	s_barrier_wait -1
	global_inv scope:SCOPE_SE
                                        ; implicit-def: $vgpr45
	s_wait_alu 0xfffe
	s_cbranch_vccz .LBB36_97
; %bb.84:                               ;   in Loop: Header=BB36_7 Depth=1
	s_mov_b32 s6, s51
	s_mov_b32 s7, s55
	s_wait_alu 0xfffe
	s_cmp_lg_u64 s[6:7], 0
	s_cbranch_scc0 .LBB36_138
; %bb.85:                               ;   in Loop: Header=BB36_7 Depth=1
	s_add_nc_u64 s[6:7], s[44:45], 0
	s_wait_alu 0xfffe
	s_xor_b64 s[6:7], s[6:7], 0
	s_wait_alu 0xfffe
	s_cvt_f32_u32 s14, s6
	s_cvt_f32_u32 s15, s7
	s_sub_nc_u64 s[24:25], 0, s[6:7]
	s_wait_alu 0xfffe
	s_delay_alu instid0(SALU_CYCLE_1) | instskip(SKIP_1) | instid1(SALU_CYCLE_2)
	s_fmamk_f32 s14, s15, 0x4f800000, s14
	s_wait_alu 0xfffe
	v_s_rcp_f32 s14, s14
	s_delay_alu instid0(TRANS32_DEP_1) | instskip(SKIP_1) | instid1(SALU_CYCLE_2)
	s_mul_f32 s14, s14, 0x5f7ffffc
	s_wait_alu 0xfffe
	s_mul_f32 s15, s14, 0x2f800000
	s_wait_alu 0xfffe
	s_delay_alu instid0(SALU_CYCLE_2) | instskip(SKIP_1) | instid1(SALU_CYCLE_2)
	s_trunc_f32 s15, s15
	s_wait_alu 0xfffe
	s_fmamk_f32 s14, s15, 0xcf800000, s14
	s_cvt_u32_f32 s15, s15
	s_wait_alu 0xfffe
	s_delay_alu instid0(SALU_CYCLE_1) | instskip(SKIP_1) | instid1(SALU_CYCLE_2)
	s_cvt_u32_f32 s14, s14
	s_wait_alu 0xfffe
	s_mul_u64 s[60:61], s[24:25], s[14:15]
	s_wait_alu 0xfffe
	s_mul_hi_u32 s63, s14, s61
	s_mul_i32 s62, s14, s61
	s_mul_hi_u32 s50, s14, s60
	s_mul_i32 s64, s15, s60
	s_wait_alu 0xfffe
	s_add_nc_u64 s[62:63], s[50:51], s[62:63]
	s_mul_hi_u32 s23, s15, s60
	s_mul_hi_u32 s65, s15, s61
	s_wait_alu 0xfffe
	s_add_co_u32 s50, s62, s64
	s_add_co_ci_u32 s50, s63, s23
	s_mul_i32 s60, s15, s61
	s_add_co_ci_u32 s61, s65, 0
	s_wait_alu 0xfffe
	s_add_nc_u64 s[60:61], s[50:51], s[60:61]
	s_wait_alu 0xfffe
	s_add_co_u32 s14, s14, s60
	s_cselect_b32 s23, -1, 0
	s_delay_alu instid0(SALU_CYCLE_1)
	s_cmp_lg_u32 s23, 0
	s_add_co_ci_u32 s15, s15, s61
	s_wait_alu 0xfffe
	s_mul_u64 s[24:25], s[24:25], s[14:15]
	s_wait_alu 0xfffe
	s_mul_hi_u32 s61, s14, s25
	s_mul_i32 s60, s14, s25
	s_mul_hi_u32 s50, s14, s24
	s_mul_i32 s62, s15, s24
	s_wait_alu 0xfffe
	s_add_nc_u64 s[60:61], s[50:51], s[60:61]
	s_mul_hi_u32 s23, s15, s24
	s_mul_hi_u32 s63, s15, s25
	s_mul_i32 s24, s15, s25
	s_wait_alu 0xfffe
	s_add_co_u32 s25, s60, s62
	s_add_co_ci_u32 s50, s61, s23
	s_add_co_ci_u32 s25, s63, 0
	s_wait_alu 0xfffe
	s_add_nc_u64 s[24:25], s[50:51], s[24:25]
	s_wait_alu 0xfffe
	s_add_co_u32 s23, s14, s24
	s_cselect_b32 s14, -1, 0
	s_wait_alu 0xfffe
	s_cmp_lg_u32 s14, 0
	s_add_co_ci_u32 s62, s15, s25
	s_ashr_i32 s14, s55, 31
	s_wait_alu 0xfffe
	s_mov_b32 s15, s14
	s_wait_alu 0xfffe
	s_add_nc_u64 s[24:25], s[54:55], s[14:15]
	s_wait_alu 0xfffe
	s_xor_b64 s[24:25], s[24:25], s[14:15]
	s_wait_alu 0xfffe
	s_mul_hi_u32 s61, s24, s62
	s_mul_i32 s60, s24, s62
	s_mul_hi_u32 s50, s24, s23
	s_mul_hi_u32 s64, s25, s23
	s_mul_i32 s23, s25, s23
	s_wait_alu 0xfffe
	s_add_nc_u64 s[60:61], s[50:51], s[60:61]
	s_mul_hi_u32 s63, s25, s62
	s_wait_alu 0xfffe
	s_add_co_u32 s23, s60, s23
	s_add_co_ci_u32 s50, s61, s64
	s_mul_i32 s62, s25, s62
	s_add_co_ci_u32 s63, s63, 0
	s_wait_alu 0xfffe
	s_add_nc_u64 s[60:61], s[50:51], s[62:63]
	s_wait_alu 0xfffe
	s_mul_u64 s[60:61], s[6:7], s[60:61]
	s_wait_alu 0xfffe
	s_sub_co_u32 s23, s24, s60
	s_cselect_b32 s24, -1, 0
	s_sub_co_i32 s50, s25, s61
	s_wait_alu 0xfffe
	s_cmp_lg_u32 s24, 0
	s_sub_co_ci_u32 s50, s50, s7
	s_sub_co_u32 s60, s23, s6
	s_cselect_b32 s62, -1, 0
	s_wait_alu 0xfffe
	s_cmp_lg_u32 s62, 0
	s_sub_co_ci_u32 s63, s50, 0
	s_wait_alu 0xfffe
	s_cmp_ge_u32 s63, s7
	s_cselect_b32 s64, -1, 0
	s_cmp_ge_u32 s60, s6
	s_cselect_b32 s65, -1, 0
	s_cmp_eq_u32 s63, s7
	s_wait_alu 0xfffe
	s_cselect_b32 s64, s65, s64
	s_cmp_lg_u32 s62, 0
	s_sub_co_ci_u32 s50, s50, s7
	s_sub_co_u32 s62, s60, s6
	s_cselect_b32 s65, -1, 0
	s_wait_alu 0xfffe
	s_cmp_lg_u32 s65, 0
	s_sub_co_ci_u32 s50, s50, 0
	s_cmp_lg_u32 s64, 0
	s_cselect_b32 s60, s62, s60
	s_wait_alu 0xfffe
	s_cselect_b32 s50, s50, s63
	s_cmp_lg_u32 s24, 0
	s_sub_co_ci_u32 s24, s25, s61
	s_wait_alu 0xfffe
	s_cmp_ge_u32 s24, s7
	s_cselect_b32 s25, -1, 0
	s_cmp_ge_u32 s23, s6
	s_cselect_b32 s6, -1, 0
	s_cmp_eq_u32 s24, s7
	s_wait_alu 0xfffe
	s_cselect_b32 s6, s6, s25
	s_wait_alu 0xfffe
	s_cmp_lg_u32 s6, 0
	s_cselect_b32 s7, s50, s24
	s_cselect_b32 s6, s60, s23
	s_wait_alu 0xfffe
	s_xor_b64 s[6:7], s[6:7], s[14:15]
	s_wait_alu 0xfffe
	s_sub_nc_u64 s[6:7], s[6:7], s[14:15]
	s_cbranch_execnz .LBB36_87
.LBB36_86:                              ;   in Loop: Header=BB36_7 Depth=1
	v_cvt_f32_u32_e32 v2, s44
	s_sub_co_i32 s7, 0, s44
	s_delay_alu instid0(VALU_DEP_1) | instskip(NEXT) | instid1(TRANS32_DEP_1)
	v_rcp_iflag_f32_e32 v2, v2
	v_mul_f32_e32 v2, 0x4f7ffffe, v2
	s_delay_alu instid0(VALU_DEP_1) | instskip(NEXT) | instid1(VALU_DEP_1)
	v_cvt_u32_f32_e32 v2, v2
	v_readfirstlane_b32 s6, v2
	s_wait_alu 0xfffe
	s_mul_i32 s7, s7, s6
	s_wait_alu 0xfffe
	s_mul_hi_u32 s7, s6, s7
	s_wait_alu 0xfffe
	s_add_co_i32 s6, s6, s7
	s_wait_alu 0xfffe
	s_mul_hi_u32 s6, s54, s6
	s_wait_alu 0xfffe
	s_mul_i32 s6, s6, s44
	s_wait_alu 0xfffe
	s_sub_co_i32 s6, s54, s6
	s_wait_alu 0xfffe
	s_sub_co_i32 s7, s6, s44
	s_cmp_ge_u32 s6, s44
	s_wait_alu 0xfffe
	s_cselect_b32 s6, s7, s6
	s_wait_alu 0xfffe
	s_sub_co_i32 s7, s6, s44
	s_cmp_ge_u32 s6, s44
	s_wait_alu 0xfffe
	s_cselect_b32 s50, s7, s6
	s_wait_alu 0xfffe
	s_mov_b64 s[6:7], s[50:51]
.LBB36_87:                              ;   in Loop: Header=BB36_7 Depth=1
	s_wait_alu 0xfffe
	s_sub_nc_u64 s[14:15], s[54:55], s[6:7]
	s_mov_b32 s7, 0
	s_mov_b32 s23, 0
	s_mov_b32 s24, exec_lo
                                        ; implicit-def: $vgpr45
	s_wait_alu 0xfffe
	v_cmpx_gt_i64_e64 s[14:15], v[0:1]
	s_cbranch_execz .LBB36_96
; %bb.88:                               ;   in Loop: Header=BB36_7 Depth=1
	v_dual_mov_b32 v8, v12 :: v_dual_mov_b32 v9, v13
	v_dual_mov_b32 v11, v1 :: v_dual_mov_b32 v10, v0
                                        ; implicit-def: $sgpr25
	s_branch .LBB36_91
.LBB36_89:                              ;   in Loop: Header=BB36_91 Depth=2
	s_wait_alu 0xfffe
	s_or_b32 exec_lo, exec_lo, s6
	s_wait_loadcnt_dscnt 0x0
	s_barrier_signal -1
	s_barrier_wait -1
	global_inv scope:SCOPE_SE
	ds_load_b32 v2, v3 offset:3072
	s_mov_b32 s6, -1
	s_mov_b32 s50, -1
	s_wait_loadcnt_dscnt 0x0
	s_barrier_signal -1
	s_barrier_wait -1
	global_inv scope:SCOPE_SE
	v_and_b32_e32 v28, 0xffff, v2
	s_delay_alu instid0(VALU_DEP_1)
	v_cmp_ne_u32_e32 vcc_lo, 0, v28
	s_cbranch_vccz .LBB36_94
.LBB36_90:                              ;   in Loop: Header=BB36_91 Depth=2
	s_wait_alu 0xfffe
	s_and_b32 s6, exec_lo, s6
	s_wait_alu 0xfffe
	s_or_b32 s23, s6, s23
	s_and_not1_b32 s6, s25, exec_lo
	s_and_b32 s25, s50, exec_lo
	s_wait_alu 0xfffe
	s_or_b32 s25, s6, s25
	s_and_not1_b32 exec_lo, exec_lo, s23
	s_cbranch_execz .LBB36_95
.LBB36_91:                              ;   Parent Loop BB36_7 Depth=1
                                        ; =>  This Inner Loop Header: Depth=2
	s_mov_b32 s6, exec_lo
	s_delay_alu instid0(VALU_DEP_1)
	v_cmpx_gt_i64_e64 s[36:37], v[10:11]
	s_cbranch_execz .LBB36_89
; %bb.92:                               ;   in Loop: Header=BB36_91 Depth=2
	global_load_u16 v2, v[8:9], off
	s_wait_loadcnt 0x0
	v_bfe_i32 v28, v2, 0, 16
	s_delay_alu instid0(VALU_DEP_1) | instskip(NEXT) | instid1(VALU_DEP_1)
	v_add_nc_u32_e32 v28, 0x8000, v28
	v_and_b32_e32 v28, v28, v44
	s_delay_alu instid0(VALU_DEP_1)
	v_cmp_eq_u32_e32 vcc_lo, v28, v20
	s_and_b32 exec_lo, exec_lo, vcc_lo
	s_cbranch_execz .LBB36_89
; %bb.93:                               ;   in Loop: Header=BB36_91 Depth=2
	v_perm_b32 v2, v2, 1, 0x5040100
	ds_store_b32 v3, v2 offset:3072
	s_branch .LBB36_89
.LBB36_94:                              ;   in Loop: Header=BB36_91 Depth=2
	v_add_co_u32 v10, vcc_lo, v10, s44
	s_wait_alu 0xfffd
	v_add_co_ci_u32_e64 v11, null, 0, v11, vcc_lo
	v_add_co_u32 v8, s6, v8, s46
	s_wait_alu 0xf1fe
	v_add_co_ci_u32_e64 v9, null, s47, v9, s6
	s_delay_alu instid0(VALU_DEP_3)
	v_cmp_le_i64_e32 vcc_lo, s[14:15], v[10:11]
	s_mov_b32 s50, 0
	s_or_not1_b32 s6, vcc_lo, exec_lo
	s_branch .LBB36_90
.LBB36_95:                              ;   in Loop: Header=BB36_7 Depth=1
	s_or_b32 exec_lo, exec_lo, s23
	v_lshrrev_b32_e32 v45, 16, v2
	s_wait_alu 0xfffe
	s_and_b32 s23, s25, exec_lo
.LBB36_96:                              ;   in Loop: Header=BB36_7 Depth=1
	s_or_b32 exec_lo, exec_lo, s24
.LBB36_97:                              ;   in Loop: Header=BB36_7 Depth=1
	s_delay_alu instid0(SALU_CYCLE_1)
	s_and_b32 vcc_lo, exec_lo, s7
	s_wait_alu 0xfffe
	s_cbranch_vccz .LBB36_111
; %bb.98:                               ;   in Loop: Header=BB36_7 Depth=1
	s_add_nc_u64 s[6:7], s[12:13], s[52:53]
	s_mov_b32 s14, s51
	s_wait_alu 0xfffe
	s_mov_b32 s15, s7
	s_wait_alu 0xfffe
	s_cmp_lg_u64 s[14:15], 0
	s_cbranch_scc0 .LBB36_139
; %bb.99:                               ;   in Loop: Header=BB36_7 Depth=1
	s_add_nc_u64 s[14:15], s[44:45], 0
	s_wait_alu 0xfffe
	s_xor_b64 s[14:15], s[14:15], 0
	s_wait_alu 0xfffe
	s_cvt_f32_u32 s21, s14
	s_cvt_f32_u32 s22, s15
	s_sub_nc_u64 s[60:61], 0, s[14:15]
	s_wait_alu 0xfffe
	s_delay_alu instid0(SALU_CYCLE_1) | instskip(SKIP_1) | instid1(SALU_CYCLE_2)
	s_fmamk_f32 s21, s22, 0x4f800000, s21
	s_wait_alu 0xfffe
	v_s_rcp_f32 s21, s21
	s_delay_alu instid0(TRANS32_DEP_1) | instskip(SKIP_1) | instid1(SALU_CYCLE_2)
	s_mul_f32 s21, s21, 0x5f7ffffc
	s_wait_alu 0xfffe
	s_mul_f32 s22, s21, 0x2f800000
	s_delay_alu instid0(SALU_CYCLE_3) | instskip(NEXT) | instid1(SALU_CYCLE_3)
	s_trunc_f32 s22, s22
	s_fmamk_f32 s21, s22, 0xcf800000, s21
	s_cvt_u32_f32 s25, s22
	s_wait_alu 0xfffe
	s_delay_alu instid0(SALU_CYCLE_1) | instskip(SKIP_1) | instid1(SALU_CYCLE_2)
	s_cvt_u32_f32 s24, s21
	s_wait_alu 0xfffe
	s_mul_u64 s[62:63], s[60:61], s[24:25]
	s_wait_alu 0xfffe
	s_mul_hi_u32 s65, s24, s63
	s_mul_i32 s64, s24, s63
	s_mul_hi_u32 s50, s24, s62
	s_mul_i32 s22, s25, s62
	s_wait_alu 0xfffe
	s_add_nc_u64 s[64:65], s[50:51], s[64:65]
	s_mul_hi_u32 s21, s25, s62
	s_mul_hi_u32 s66, s25, s63
	s_wait_alu 0xfffe
	s_add_co_u32 s22, s64, s22
	s_add_co_ci_u32 s50, s65, s21
	s_mul_i32 s62, s25, s63
	s_add_co_ci_u32 s63, s66, 0
	s_wait_alu 0xfffe
	s_add_nc_u64 s[62:63], s[50:51], s[62:63]
	s_wait_alu 0xfffe
	s_add_co_u32 s24, s24, s62
	s_cselect_b32 s21, -1, 0
	s_wait_alu 0xfffe
	s_cmp_lg_u32 s21, 0
	s_add_co_ci_u32 s25, s25, s63
	s_wait_alu 0xfffe
	s_mul_u64 s[60:61], s[60:61], s[24:25]
	s_wait_alu 0xfffe
	s_mul_hi_u32 s63, s24, s61
	s_mul_i32 s62, s24, s61
	s_mul_hi_u32 s50, s24, s60
	s_mul_i32 s22, s25, s60
	s_wait_alu 0xfffe
	s_add_nc_u64 s[62:63], s[50:51], s[62:63]
	s_mul_hi_u32 s21, s25, s60
	s_mul_hi_u32 s64, s25, s61
	s_wait_alu 0xfffe
	s_add_co_u32 s22, s62, s22
	s_add_co_ci_u32 s50, s63, s21
	s_mul_i32 s60, s25, s61
	s_add_co_ci_u32 s61, s64, 0
	s_wait_alu 0xfffe
	s_add_nc_u64 s[60:61], s[50:51], s[60:61]
	s_wait_alu 0xfffe
	s_add_co_u32 s21, s24, s60
	s_cselect_b32 s22, -1, 0
	s_delay_alu instid0(SALU_CYCLE_1)
	s_cmp_lg_u32 s22, 0
	s_add_co_ci_u32 s22, s25, s61
	s_ashr_i32 s24, s7, 31
	s_wait_alu 0xfffe
	s_mov_b32 s25, s24
	s_wait_alu 0xfffe
	s_add_nc_u64 s[60:61], s[6:7], s[24:25]
	s_wait_alu 0xfffe
	s_xor_b64 s[60:61], s[60:61], s[24:25]
	s_wait_alu 0xfffe
	s_mul_hi_u32 s63, s60, s22
	s_mul_i32 s62, s60, s22
	s_mul_hi_u32 s50, s60, s21
	s_mul_hi_u32 s66, s61, s21
	s_mul_i32 s21, s61, s21
	s_wait_alu 0xfffe
	s_add_nc_u64 s[62:63], s[50:51], s[62:63]
	s_mul_hi_u32 s65, s61, s22
	s_wait_alu 0xfffe
	s_add_co_u32 s21, s62, s21
	s_add_co_ci_u32 s50, s63, s66
	s_mul_i32 s64, s61, s22
	s_add_co_ci_u32 s65, s65, 0
	s_wait_alu 0xfffe
	s_add_nc_u64 s[62:63], s[50:51], s[64:65]
	s_wait_alu 0xfffe
	s_mul_u64 s[62:63], s[14:15], s[62:63]
	s_wait_alu 0xfffe
	s_sub_co_u32 s21, s60, s62
	s_cselect_b32 s22, -1, 0
	s_sub_co_i32 s50, s61, s63
	s_cmp_lg_u32 s22, 0
	s_wait_alu 0xfffe
	s_sub_co_ci_u32 s50, s50, s15
	s_sub_co_u32 s60, s21, s14
	s_cselect_b32 s62, -1, 0
	s_wait_alu 0xfffe
	s_cmp_lg_u32 s62, 0
	s_sub_co_ci_u32 s64, s50, 0
	s_wait_alu 0xfffe
	s_cmp_ge_u32 s64, s15
	s_cselect_b32 s65, -1, 0
	s_cmp_ge_u32 s60, s14
	s_cselect_b32 s66, -1, 0
	s_cmp_eq_u32 s64, s15
	s_wait_alu 0xfffe
	s_cselect_b32 s65, s66, s65
	s_cmp_lg_u32 s62, 0
	s_sub_co_ci_u32 s50, s50, s15
	s_sub_co_u32 s62, s60, s14
	s_cselect_b32 s66, -1, 0
	s_wait_alu 0xfffe
	s_cmp_lg_u32 s66, 0
	s_sub_co_ci_u32 s50, s50, 0
	s_cmp_lg_u32 s65, 0
	s_cselect_b32 s60, s62, s60
	s_wait_alu 0xfffe
	s_cselect_b32 s50, s50, s64
	s_cmp_lg_u32 s22, 0
	s_sub_co_ci_u32 s22, s61, s63
	s_delay_alu instid0(SALU_CYCLE_1)
	s_cmp_ge_u32 s22, s15
	s_cselect_b32 s61, -1, 0
	s_cmp_ge_u32 s21, s14
	s_cselect_b32 s14, -1, 0
	s_cmp_eq_u32 s22, s15
	s_wait_alu 0xfffe
	s_cselect_b32 s14, s14, s61
	s_wait_alu 0xfffe
	s_cmp_lg_u32 s14, 0
	s_cselect_b32 s15, s50, s22
	s_cselect_b32 s14, s60, s21
	s_wait_alu 0xfffe
	s_xor_b64 s[14:15], s[14:15], s[24:25]
	s_wait_alu 0xfffe
	s_sub_nc_u64 s[14:15], s[14:15], s[24:25]
	s_cbranch_execnz .LBB36_101
.LBB36_100:                             ;   in Loop: Header=BB36_7 Depth=1
	v_cvt_f32_u32_e32 v2, s44
	s_sub_co_i32 s15, 0, s44
	s_delay_alu instid0(VALU_DEP_1) | instskip(NEXT) | instid1(TRANS32_DEP_1)
	v_rcp_iflag_f32_e32 v2, v2
	v_mul_f32_e32 v2, 0x4f7ffffe, v2
	s_delay_alu instid0(VALU_DEP_1) | instskip(NEXT) | instid1(VALU_DEP_1)
	v_cvt_u32_f32_e32 v2, v2
	v_readfirstlane_b32 s14, v2
	s_wait_alu 0xfffe
	s_mul_i32 s15, s15, s14
	s_wait_alu 0xfffe
	s_mul_hi_u32 s15, s14, s15
	s_wait_alu 0xfffe
	s_add_co_i32 s14, s14, s15
	s_wait_alu 0xfffe
	s_mul_hi_u32 s14, s6, s14
	s_wait_alu 0xfffe
	s_mul_i32 s14, s14, s44
	s_wait_alu 0xfffe
	s_sub_co_i32 s14, s6, s14
	s_wait_alu 0xfffe
	s_sub_co_i32 s15, s14, s44
	s_cmp_ge_u32 s14, s44
	s_wait_alu 0xfffe
	s_cselect_b32 s14, s15, s14
	s_wait_alu 0xfffe
	s_sub_co_i32 s15, s14, s44
	s_cmp_ge_u32 s14, s44
	s_wait_alu 0xfffe
	s_cselect_b32 s50, s15, s14
	s_wait_alu 0xfffe
	s_mov_b64 s[14:15], s[50:51]
.LBB36_101:                             ;   in Loop: Header=BB36_7 Depth=1
	s_wait_alu 0xfffe
	s_sub_nc_u64 s[6:7], s[6:7], s[14:15]
	s_mov_b32 s14, exec_lo
                                        ; implicit-def: $vgpr45
	s_wait_alu 0xfffe
	v_cmpx_gt_i64_e64 s[6:7], v[0:1]
	s_cbranch_execz .LBB36_110
; %bb.102:                              ;   in Loop: Header=BB36_7 Depth=1
	v_dual_mov_b32 v2, v33 :: v_dual_mov_b32 v9, v1
	v_mov_b32_e32 v8, v0
	s_mov_b32 s15, 0
                                        ; implicit-def: $sgpr21
	s_branch .LBB36_105
.LBB36_103:                             ;   in Loop: Header=BB36_105 Depth=2
	s_or_b32 exec_lo, exec_lo, s22
	s_wait_loadcnt_dscnt 0x0
	s_barrier_signal -1
	s_barrier_wait -1
	global_inv scope:SCOPE_SE
	ds_load_b32 v10, v3 offset:3072
	s_mov_b32 s22, -1
	s_mov_b32 s24, -1
	s_wait_loadcnt_dscnt 0x0
	s_barrier_signal -1
	s_barrier_wait -1
	global_inv scope:SCOPE_SE
	v_and_b32_e32 v11, 0xffff, v10
	s_delay_alu instid0(VALU_DEP_1)
	v_cmp_ne_u32_e32 vcc_lo, 0, v11
	s_cbranch_vccz .LBB36_108
.LBB36_104:                             ;   in Loop: Header=BB36_105 Depth=2
	s_and_b32 s22, exec_lo, s22
	s_wait_alu 0xfffe
	s_or_b32 s15, s22, s15
	s_and_not1_b32 s21, s21, exec_lo
	s_and_b32 s22, s24, exec_lo
	s_wait_alu 0xfffe
	s_or_b32 s21, s21, s22
	s_and_not1_b32 exec_lo, exec_lo, s15
	s_cbranch_execz .LBB36_109
.LBB36_105:                             ;   Parent Loop BB36_7 Depth=1
                                        ; =>  This Inner Loop Header: Depth=2
	s_mov_b32 s22, exec_lo
	s_delay_alu instid0(VALU_DEP_1)
	v_cmpx_gt_u64_e64 s[12:13], v[8:9]
	s_cbranch_execz .LBB36_103
; %bb.106:                              ;   in Loop: Header=BB36_105 Depth=2
	ds_load_u16 v10, v2
	s_wait_dscnt 0x0
	v_bfe_i32 v11, v10, 0, 16
	s_delay_alu instid0(VALU_DEP_1) | instskip(NEXT) | instid1(VALU_DEP_1)
	v_add_nc_u32_e32 v11, 0x8000, v11
	v_and_b32_e32 v11, v11, v44
	s_delay_alu instid0(VALU_DEP_1)
	v_cmp_eq_u32_e32 vcc_lo, v11, v20
	s_and_b32 exec_lo, exec_lo, vcc_lo
	s_cbranch_execz .LBB36_103
; %bb.107:                              ;   in Loop: Header=BB36_105 Depth=2
	v_perm_b32 v10, v10, 1, 0x5040100
	ds_store_b32 v3, v10 offset:3072
	s_branch .LBB36_103
.LBB36_108:                             ;   in Loop: Header=BB36_105 Depth=2
	v_add_co_u32 v8, vcc_lo, v8, s44
	s_wait_alu 0xfffd
	v_add_co_ci_u32_e64 v9, null, 0, v9, vcc_lo
	v_add_nc_u32_e32 v2, s90, v2
	s_mov_b32 s24, 0
	s_delay_alu instid0(VALU_DEP_2)
	v_cmp_le_i64_e32 vcc_lo, s[6:7], v[8:9]
	s_or_not1_b32 s22, vcc_lo, exec_lo
	s_branch .LBB36_104
.LBB36_109:                             ;   in Loop: Header=BB36_7 Depth=1
	s_or_b32 exec_lo, exec_lo, s15
	v_lshrrev_b32_e32 v45, 16, v10
	s_and_not1_b32 s6, s23, exec_lo
	s_wait_alu 0xfffe
	s_and_b32 s7, s21, exec_lo
	s_wait_alu 0xfffe
	s_or_b32 s23, s6, s7
.LBB36_110:                             ;   in Loop: Header=BB36_7 Depth=1
	s_or_b32 exec_lo, exec_lo, s14
	s_mov_b32 s21, 0
	s_mov_b32 s22, -1
.LBB36_111:                             ;   in Loop: Header=BB36_7 Depth=1
	s_or_not1_b32 s6, s23, exec_lo
.LBB36_112:                             ;   in Loop: Header=BB36_7 Depth=1
	s_wait_alu 0xfffe
	s_or_b32 exec_lo, exec_lo, s17
	s_delay_alu instid0(SALU_CYCLE_1)
	s_and_not1_b32 s7, s98, exec_lo
	s_and_b32 s12, s22, exec_lo
	s_and_not1_b32 s13, s96, exec_lo
	s_and_b32 s14, s21, exec_lo
	s_and_not1_b32 s95, s95, exec_lo
	s_wait_alu 0xfffe
	s_or_b32 s98, s7, s12
	s_or_b32 s96, s13, s14
                                        ; implicit-def: $vgpr8_vgpr9
	s_and_saveexec_b32 s17, s6
	s_cbranch_execz .LBB36_6
; %bb.113:                              ;   in Loop: Header=BB36_7 Depth=1
	v_mov_b32_e32 v8, 1
	v_dual_mov_b32 v9, 0 :: v_dual_mov_b32 v2, 1
	s_xor_b32 s12, s19, -1
	s_mov_b32 s7, 0
	s_wait_alu 0xfffe
	s_and_saveexec_b32 s6, s12
	s_cbranch_execz .LBB36_122
; %bb.114:                              ;   in Loop: Header=BB36_7 Depth=1
	s_mov_b32 s7, exec_lo
	v_cmpx_le_i64_e64 v[26:27], v[4:5]
	s_wait_alu 0xfffe
	s_xor_b32 s7, exec_lo, s7
	s_cbranch_execz .LBB36_119
; %bb.115:                              ;   in Loop: Header=BB36_7 Depth=1
	ds_load_b64 v[8:9], v3 offset:5120
	v_and_b32_e32 v20, s20, v20
	v_or_b32_e32 v44, s16, v44
	s_wait_dscnt 0x0
	v_cmp_ne_u64_e32 vcc_lo, 0, v[8:9]
	s_cbranch_vccnz .LBB36_119
; %bb.116:                              ;   in Loop: Header=BB36_7 Depth=1
	s_and_saveexec_b32 s12, s2
; %bb.117:                              ;   in Loop: Header=BB36_7 Depth=1
	ds_store_b64 v3, v[4:5] offset:5128
; %bb.118:                              ;   in Loop: Header=BB36_7 Depth=1
	s_wait_alu 0xfffe
	s_or_b32 exec_lo, exec_lo, s12
	s_wait_loadcnt_dscnt 0x0
	s_barrier_signal -1
	s_barrier_wait -1
	global_inv scope:SCOPE_SE
.LBB36_119:                             ;   in Loop: Header=BB36_7 Depth=1
	s_wait_alu 0xfffe
	s_or_saveexec_b32 s7, s7
	v_mov_b32_e32 v2, 8
	s_mov_b32 s12, 0
	s_wait_alu 0xfffe
	s_xor_b32 exec_lo, exec_lo, s7
; %bb.120:                              ;   in Loop: Header=BB36_7 Depth=1
	v_sub_co_u32 v26, vcc_lo, v26, v4
	s_wait_alu 0xfffd
	v_sub_co_ci_u32_e64 v27, null, v27, v5, vcc_lo
	v_mov_b32_e32 v2, 0
	s_mov_b32 s12, exec_lo
; %bb.121:                              ;   in Loop: Header=BB36_7 Depth=1
	s_or_b32 exec_lo, exec_lo, s7
	s_delay_alu instid0(VALU_DEP_2)
	v_dual_mov_b32 v8, v26 :: v_dual_mov_b32 v9, v27
	s_wait_alu 0xfffe
	s_and_b32 s7, s12, exec_lo
.LBB36_122:                             ;   in Loop: Header=BB36_7 Depth=1
	s_wait_alu 0xfffe
	s_or_b32 exec_lo, exec_lo, s6
	s_mov_b32 s18, -1
	s_mov_b32 s6, -1
                                        ; implicit-def: $sgpr21
                                        ; implicit-def: $sgpr22
	s_and_saveexec_b32 s12, s7
	s_wait_alu 0xfffe
	s_xor_b32 s19, exec_lo, s12
	s_cbranch_execz .LBB36_264
; %bb.123:                              ;   in Loop: Header=BB36_7 Depth=1
	v_cmp_eq_u64_e32 vcc_lo, 1, v[6:7]
	v_cmp_eq_u64_e64 s6, 1, v[8:9]
                                        ; implicit-def: $sgpr22
                                        ; implicit-def: $sgpr21
	s_and_b32 s24, vcc_lo, s6
	s_mov_b32 s6, -1
	s_wait_alu 0xfffe
	s_and_saveexec_b32 s23, s24
	s_cbranch_execz .LBB36_157
; %bb.124:                              ;   in Loop: Header=BB36_7 Depth=1
	ds_load_b64 v[4:5], v3 offset:5120
	s_wait_loadcnt_dscnt 0x0
	s_barrier_signal -1
	s_barrier_wait -1
	global_inv scope:SCOPE_SE
	v_readfirstlane_b32 s12, v4
	v_readfirstlane_b32 s13, v5
	s_and_saveexec_b32 s6, s3
; %bb.125:                              ;   in Loop: Header=BB36_7 Depth=1
	ds_store_b16 v34, v3
; %bb.126:                              ;   in Loop: Header=BB36_7 Depth=1
	s_wait_alu 0xfffe
	s_or_b32 exec_lo, exec_lo, s6
	s_lshl_b32 s6, 1, s91
	v_or_b32_e32 v44, s16, v44
	s_wait_alu 0xfffe
	v_and_or_b32 v20, v20, s20, s6
	v_cmp_gt_i64_e64 s6, s[12:13], 0
	s_mov_b32 s21, -1
	s_mov_b32 s22, 0
	s_mov_b32 s25, 0
	s_mov_b32 s7, -1
	s_wait_loadcnt_dscnt 0x0
	s_and_b32 vcc_lo, exec_lo, s6
	s_barrier_signal -1
	s_barrier_wait -1
	global_inv scope:SCOPE_SE
                                        ; implicit-def: $vgpr45
	s_wait_alu 0xfffe
	s_cbranch_vccnz .LBB36_142
; %bb.127:                              ;   in Loop: Header=BB36_7 Depth=1
	s_mov_b32 s6, s51
	s_mov_b32 s7, s55
	s_wait_alu 0xfffe
	s_cmp_lg_u64 s[6:7], 0
	s_cbranch_scc0 .LBB36_184
; %bb.128:                              ;   in Loop: Header=BB36_7 Depth=1
	s_add_nc_u64 s[6:7], s[44:45], 0
	s_wait_alu 0xfffe
	s_xor_b64 s[6:7], s[6:7], 0
	s_wait_alu 0xfffe
	s_cvt_f32_u32 s14, s6
	s_cvt_f32_u32 s15, s7
	s_sub_nc_u64 s[60:61], 0, s[6:7]
	s_wait_alu 0xfffe
	s_delay_alu instid0(SALU_CYCLE_1) | instskip(SKIP_1) | instid1(SALU_CYCLE_2)
	s_fmamk_f32 s14, s15, 0x4f800000, s14
	s_wait_alu 0xfffe
	v_s_rcp_f32 s14, s14
	s_delay_alu instid0(TRANS32_DEP_1) | instskip(SKIP_1) | instid1(SALU_CYCLE_2)
	s_mul_f32 s14, s14, 0x5f7ffffc
	s_wait_alu 0xfffe
	s_mul_f32 s15, s14, 0x2f800000
	s_wait_alu 0xfffe
	s_delay_alu instid0(SALU_CYCLE_2) | instskip(SKIP_1) | instid1(SALU_CYCLE_2)
	s_trunc_f32 s15, s15
	s_wait_alu 0xfffe
	s_fmamk_f32 s14, s15, 0xcf800000, s14
	s_cvt_u32_f32 s15, s15
	s_wait_alu 0xfffe
	s_delay_alu instid0(SALU_CYCLE_1) | instskip(SKIP_1) | instid1(SALU_CYCLE_2)
	s_cvt_u32_f32 s14, s14
	s_wait_alu 0xfffe
	s_mul_u64 s[62:63], s[60:61], s[14:15]
	s_wait_alu 0xfffe
	s_mul_hi_u32 s65, s14, s63
	s_mul_i32 s64, s14, s63
	s_mul_hi_u32 s50, s14, s62
	s_mul_i32 s66, s15, s62
	s_wait_alu 0xfffe
	s_add_nc_u64 s[64:65], s[50:51], s[64:65]
	s_mul_hi_u32 s25, s15, s62
	s_mul_hi_u32 s67, s15, s63
	s_wait_alu 0xfffe
	s_add_co_u32 s50, s64, s66
	s_add_co_ci_u32 s50, s65, s25
	s_mul_i32 s62, s15, s63
	s_add_co_ci_u32 s63, s67, 0
	s_wait_alu 0xfffe
	s_add_nc_u64 s[62:63], s[50:51], s[62:63]
	s_wait_alu 0xfffe
	s_add_co_u32 s14, s14, s62
	s_cselect_b32 s25, -1, 0
	s_wait_alu 0xfffe
	s_cmp_lg_u32 s25, 0
	s_add_co_ci_u32 s15, s15, s63
	s_wait_alu 0xfffe
	s_mul_u64 s[60:61], s[60:61], s[14:15]
	s_wait_alu 0xfffe
	s_mul_hi_u32 s63, s14, s61
	s_mul_i32 s62, s14, s61
	s_mul_hi_u32 s50, s14, s60
	s_mul_i32 s64, s15, s60
	s_wait_alu 0xfffe
	s_add_nc_u64 s[62:63], s[50:51], s[62:63]
	s_mul_hi_u32 s25, s15, s60
	s_mul_hi_u32 s65, s15, s61
	s_wait_alu 0xfffe
	s_add_co_u32 s50, s62, s64
	s_add_co_ci_u32 s50, s63, s25
	s_mul_i32 s60, s15, s61
	s_add_co_ci_u32 s61, s65, 0
	s_wait_alu 0xfffe
	s_add_nc_u64 s[60:61], s[50:51], s[60:61]
	s_wait_alu 0xfffe
	s_add_co_u32 s25, s14, s60
	s_cselect_b32 s14, -1, 0
	s_wait_alu 0xfffe
	s_cmp_lg_u32 s14, 0
	s_add_co_ci_u32 s64, s15, s61
	s_ashr_i32 s14, s55, 31
	s_wait_alu 0xfffe
	s_mov_b32 s15, s14
	s_wait_alu 0xfffe
	s_add_nc_u64 s[60:61], s[54:55], s[14:15]
	s_wait_alu 0xfffe
	s_xor_b64 s[60:61], s[60:61], s[14:15]
	s_wait_alu 0xfffe
	s_mul_hi_u32 s63, s60, s64
	s_mul_i32 s62, s60, s64
	s_mul_hi_u32 s50, s60, s25
	s_mul_hi_u32 s66, s61, s25
	s_mul_i32 s25, s61, s25
	s_wait_alu 0xfffe
	s_add_nc_u64 s[62:63], s[50:51], s[62:63]
	s_mul_hi_u32 s65, s61, s64
	s_wait_alu 0xfffe
	s_add_co_u32 s25, s62, s25
	s_add_co_ci_u32 s50, s63, s66
	s_mul_i32 s64, s61, s64
	s_add_co_ci_u32 s65, s65, 0
	s_wait_alu 0xfffe
	s_add_nc_u64 s[62:63], s[50:51], s[64:65]
	s_wait_alu 0xfffe
	s_mul_u64 s[62:63], s[6:7], s[62:63]
	s_wait_alu 0xfffe
	s_sub_co_u32 s25, s60, s62
	s_cselect_b32 s50, -1, 0
	s_sub_co_i32 s60, s61, s63
	s_wait_alu 0xfffe
	s_cmp_lg_u32 s50, 0
	s_sub_co_ci_u32 s60, s60, s7
	s_sub_co_u32 s62, s25, s6
	s_cselect_b32 s64, -1, 0
	s_wait_alu 0xfffe
	s_cmp_lg_u32 s64, 0
	s_sub_co_ci_u32 s65, s60, 0
	s_wait_alu 0xfffe
	s_cmp_ge_u32 s65, s7
	s_cselect_b32 s66, -1, 0
	s_cmp_ge_u32 s62, s6
	s_cselect_b32 s67, -1, 0
	s_cmp_eq_u32 s65, s7
	s_wait_alu 0xfffe
	s_cselect_b32 s66, s67, s66
	s_cmp_lg_u32 s64, 0
	s_sub_co_ci_u32 s60, s60, s7
	s_sub_co_u32 s64, s62, s6
	s_cselect_b32 s67, -1, 0
	s_wait_alu 0xfffe
	s_cmp_lg_u32 s67, 0
	s_sub_co_ci_u32 s60, s60, 0
	s_cmp_lg_u32 s66, 0
	s_cselect_b32 s62, s64, s62
	s_wait_alu 0xfffe
	s_cselect_b32 s60, s60, s65
	s_cmp_lg_u32 s50, 0
	s_sub_co_ci_u32 s50, s61, s63
	s_wait_alu 0xfffe
	s_cmp_ge_u32 s50, s7
	s_cselect_b32 s61, -1, 0
	s_cmp_ge_u32 s25, s6
	s_cselect_b32 s6, -1, 0
	s_cmp_eq_u32 s50, s7
	s_wait_alu 0xfffe
	s_cselect_b32 s6, s6, s61
	s_wait_alu 0xfffe
	s_cmp_lg_u32 s6, 0
	s_cselect_b32 s7, s60, s50
	s_cselect_b32 s6, s62, s25
	s_wait_alu 0xfffe
	s_xor_b64 s[6:7], s[6:7], s[14:15]
	s_wait_alu 0xfffe
	s_sub_nc_u64 s[6:7], s[6:7], s[14:15]
	s_cbranch_execnz .LBB36_130
.LBB36_129:                             ;   in Loop: Header=BB36_7 Depth=1
	v_cvt_f32_u32_e32 v4, s44
	s_sub_co_i32 s7, 0, s44
	s_delay_alu instid0(VALU_DEP_1) | instskip(NEXT) | instid1(TRANS32_DEP_1)
	v_rcp_iflag_f32_e32 v4, v4
	v_mul_f32_e32 v4, 0x4f7ffffe, v4
	s_delay_alu instid0(VALU_DEP_1) | instskip(NEXT) | instid1(VALU_DEP_1)
	v_cvt_u32_f32_e32 v4, v4
	v_readfirstlane_b32 s6, v4
	s_wait_alu 0xfffe
	s_mul_i32 s7, s7, s6
	s_wait_alu 0xfffe
	s_mul_hi_u32 s7, s6, s7
	s_wait_alu 0xfffe
	s_add_co_i32 s6, s6, s7
	s_wait_alu 0xfffe
	s_mul_hi_u32 s6, s54, s6
	s_wait_alu 0xfffe
	s_mul_i32 s6, s6, s44
	s_wait_alu 0xfffe
	s_sub_co_i32 s6, s54, s6
	s_wait_alu 0xfffe
	s_sub_co_i32 s7, s6, s44
	s_cmp_ge_u32 s6, s44
	s_wait_alu 0xfffe
	s_cselect_b32 s6, s7, s6
	s_wait_alu 0xfffe
	s_sub_co_i32 s7, s6, s44
	s_cmp_ge_u32 s6, s44
	s_wait_alu 0xfffe
	s_cselect_b32 s50, s7, s6
	s_wait_alu 0xfffe
	s_mov_b64 s[6:7], s[50:51]
.LBB36_130:                             ;   in Loop: Header=BB36_7 Depth=1
	s_wait_alu 0xfffe
	s_sub_nc_u64 s[14:15], s[54:55], s[6:7]
	s_mov_b32 s7, 0
	s_mov_b32 s25, 0
	s_mov_b32 s50, exec_lo
                                        ; implicit-def: $vgpr45
	s_wait_alu 0xfffe
	v_cmpx_gt_i64_e64 s[14:15], v[0:1]
	s_cbranch_execz .LBB36_141
; %bb.131:                              ;   in Loop: Header=BB36_7 Depth=1
	v_dual_mov_b32 v4, v12 :: v_dual_mov_b32 v5, v13
	v_dual_mov_b32 v11, v1 :: v_dual_mov_b32 v10, v0
                                        ; implicit-def: $sgpr60
	s_branch .LBB36_134
.LBB36_132:                             ;   in Loop: Header=BB36_134 Depth=2
	s_wait_alu 0xfffe
	s_or_b32 exec_lo, exec_lo, s6
	s_wait_loadcnt_dscnt 0x0
	s_barrier_signal -1
	s_barrier_wait -1
	global_inv scope:SCOPE_SE
	ds_load_b32 v26, v3 offset:3072
	s_mov_b32 s6, -1
	s_mov_b32 s61, -1
	s_wait_loadcnt_dscnt 0x0
	s_barrier_signal -1
	s_barrier_wait -1
	global_inv scope:SCOPE_SE
	v_and_b32_e32 v27, 0xffff, v26
	s_delay_alu instid0(VALU_DEP_1)
	v_cmp_ne_u32_e32 vcc_lo, 0, v27
	s_cbranch_vccz .LBB36_137
.LBB36_133:                             ;   in Loop: Header=BB36_134 Depth=2
	s_wait_alu 0xfffe
	s_and_b32 s6, exec_lo, s6
	s_wait_alu 0xfffe
	s_or_b32 s25, s6, s25
	s_and_not1_b32 s6, s60, exec_lo
	s_and_b32 s60, s61, exec_lo
	s_wait_alu 0xfffe
	s_or_b32 s60, s6, s60
	s_and_not1_b32 exec_lo, exec_lo, s25
	s_cbranch_execz .LBB36_140
.LBB36_134:                             ;   Parent Loop BB36_7 Depth=1
                                        ; =>  This Inner Loop Header: Depth=2
	s_mov_b32 s6, exec_lo
	s_delay_alu instid0(VALU_DEP_1)
	v_cmpx_gt_i64_e64 s[36:37], v[10:11]
	s_cbranch_execz .LBB36_132
; %bb.135:                              ;   in Loop: Header=BB36_134 Depth=2
	global_load_u16 v26, v[4:5], off
	s_wait_loadcnt 0x0
	v_bfe_i32 v27, v26, 0, 16
	s_delay_alu instid0(VALU_DEP_1) | instskip(NEXT) | instid1(VALU_DEP_1)
	v_add_nc_u32_e32 v27, 0x8000, v27
	v_and_b32_e32 v27, v27, v44
	s_delay_alu instid0(VALU_DEP_1)
	v_cmp_eq_u32_e32 vcc_lo, v27, v20
	s_and_b32 exec_lo, exec_lo, vcc_lo
	s_cbranch_execz .LBB36_132
; %bb.136:                              ;   in Loop: Header=BB36_134 Depth=2
	v_perm_b32 v26, v26, 1, 0x5040100
	ds_store_b32 v3, v26 offset:3072
	s_branch .LBB36_132
.LBB36_137:                             ;   in Loop: Header=BB36_134 Depth=2
	v_add_co_u32 v10, vcc_lo, v10, s44
	s_wait_alu 0xfffd
	v_add_co_ci_u32_e64 v11, null, 0, v11, vcc_lo
	v_add_co_u32 v4, s6, v4, s46
	s_wait_alu 0xf1fe
	v_add_co_ci_u32_e64 v5, null, s47, v5, s6
	s_delay_alu instid0(VALU_DEP_3)
	v_cmp_le_i64_e32 vcc_lo, s[14:15], v[10:11]
	s_mov_b32 s61, 0
	s_or_not1_b32 s6, vcc_lo, exec_lo
	s_branch .LBB36_133
.LBB36_138:                             ;   in Loop: Header=BB36_7 Depth=1
                                        ; implicit-def: $sgpr6_sgpr7
	s_branch .LBB36_86
.LBB36_139:                             ;   in Loop: Header=BB36_7 Depth=1
                                        ; implicit-def: $sgpr14_sgpr15
	s_branch .LBB36_100
.LBB36_140:                             ;   in Loop: Header=BB36_7 Depth=1
	s_or_b32 exec_lo, exec_lo, s25
	v_lshrrev_b32_e32 v45, 16, v26
	s_wait_alu 0xfffe
	s_and_b32 s25, s60, exec_lo
.LBB36_141:                             ;   in Loop: Header=BB36_7 Depth=1
	s_or_b32 exec_lo, exec_lo, s50
.LBB36_142:                             ;   in Loop: Header=BB36_7 Depth=1
	s_delay_alu instid0(SALU_CYCLE_1)
	s_and_b32 vcc_lo, exec_lo, s7
	s_wait_alu 0xfffe
	s_cbranch_vccz .LBB36_156
; %bb.143:                              ;   in Loop: Header=BB36_7 Depth=1
	s_add_nc_u64 s[6:7], s[12:13], s[52:53]
	s_mov_b32 s14, s51
	s_wait_alu 0xfffe
	s_mov_b32 s15, s7
	s_wait_alu 0xfffe
	s_cmp_lg_u64 s[14:15], 0
	s_cbranch_scc0 .LBB36_185
; %bb.144:                              ;   in Loop: Header=BB36_7 Depth=1
	s_add_nc_u64 s[14:15], s[44:45], 0
	s_wait_alu 0xfffe
	s_xor_b64 s[14:15], s[14:15], 0
	s_wait_alu 0xfffe
	s_cvt_f32_u32 s21, s14
	s_cvt_f32_u32 s22, s15
	s_sub_nc_u64 s[62:63], 0, s[14:15]
	s_wait_alu 0xfffe
	s_delay_alu instid0(SALU_CYCLE_1) | instskip(SKIP_1) | instid1(SALU_CYCLE_2)
	s_fmamk_f32 s21, s22, 0x4f800000, s21
	s_wait_alu 0xfffe
	v_s_rcp_f32 s21, s21
	s_delay_alu instid0(TRANS32_DEP_1) | instskip(SKIP_1) | instid1(SALU_CYCLE_2)
	s_mul_f32 s21, s21, 0x5f7ffffc
	s_wait_alu 0xfffe
	s_mul_f32 s22, s21, 0x2f800000
	s_delay_alu instid0(SALU_CYCLE_3) | instskip(NEXT) | instid1(SALU_CYCLE_3)
	s_trunc_f32 s22, s22
	s_fmamk_f32 s21, s22, 0xcf800000, s21
	s_cvt_u32_f32 s61, s22
	s_wait_alu 0xfffe
	s_delay_alu instid0(SALU_CYCLE_1) | instskip(SKIP_1) | instid1(SALU_CYCLE_2)
	s_cvt_u32_f32 s60, s21
	s_wait_alu 0xfffe
	s_mul_u64 s[64:65], s[62:63], s[60:61]
	s_wait_alu 0xfffe
	s_mul_hi_u32 s67, s60, s65
	s_mul_i32 s66, s60, s65
	s_mul_hi_u32 s50, s60, s64
	s_mul_i32 s22, s61, s64
	s_wait_alu 0xfffe
	s_add_nc_u64 s[66:67], s[50:51], s[66:67]
	s_mul_hi_u32 s21, s61, s64
	s_mul_hi_u32 s68, s61, s65
	s_wait_alu 0xfffe
	s_add_co_u32 s22, s66, s22
	s_add_co_ci_u32 s50, s67, s21
	s_mul_i32 s64, s61, s65
	s_add_co_ci_u32 s65, s68, 0
	s_wait_alu 0xfffe
	s_add_nc_u64 s[64:65], s[50:51], s[64:65]
	s_wait_alu 0xfffe
	s_add_co_u32 s60, s60, s64
	s_cselect_b32 s21, -1, 0
	s_wait_alu 0xfffe
	s_cmp_lg_u32 s21, 0
	s_add_co_ci_u32 s61, s61, s65
	s_wait_alu 0xfffe
	s_mul_u64 s[62:63], s[62:63], s[60:61]
	s_wait_alu 0xfffe
	s_mul_hi_u32 s65, s60, s63
	s_mul_i32 s64, s60, s63
	s_mul_hi_u32 s50, s60, s62
	s_mul_i32 s22, s61, s62
	s_wait_alu 0xfffe
	s_add_nc_u64 s[64:65], s[50:51], s[64:65]
	s_mul_hi_u32 s21, s61, s62
	s_mul_hi_u32 s66, s61, s63
	s_wait_alu 0xfffe
	s_add_co_u32 s22, s64, s22
	s_add_co_ci_u32 s50, s65, s21
	s_mul_i32 s62, s61, s63
	s_add_co_ci_u32 s63, s66, 0
	s_wait_alu 0xfffe
	s_add_nc_u64 s[62:63], s[50:51], s[62:63]
	s_wait_alu 0xfffe
	s_add_co_u32 s21, s60, s62
	s_cselect_b32 s22, -1, 0
	s_delay_alu instid0(SALU_CYCLE_1)
	s_cmp_lg_u32 s22, 0
	s_add_co_ci_u32 s22, s61, s63
	s_ashr_i32 s60, s7, 31
	s_wait_alu 0xfffe
	s_mov_b32 s61, s60
	s_wait_alu 0xfffe
	s_add_nc_u64 s[62:63], s[6:7], s[60:61]
	s_wait_alu 0xfffe
	s_xor_b64 s[62:63], s[62:63], s[60:61]
	s_wait_alu 0xfffe
	s_mul_hi_u32 s65, s62, s22
	s_mul_i32 s64, s62, s22
	s_mul_hi_u32 s50, s62, s21
	s_mul_hi_u32 s68, s63, s21
	s_mul_i32 s21, s63, s21
	s_wait_alu 0xfffe
	s_add_nc_u64 s[64:65], s[50:51], s[64:65]
	s_mul_hi_u32 s67, s63, s22
	s_wait_alu 0xfffe
	s_add_co_u32 s21, s64, s21
	s_add_co_ci_u32 s50, s65, s68
	s_mul_i32 s66, s63, s22
	s_add_co_ci_u32 s67, s67, 0
	s_wait_alu 0xfffe
	s_add_nc_u64 s[64:65], s[50:51], s[66:67]
	s_wait_alu 0xfffe
	s_mul_u64 s[64:65], s[14:15], s[64:65]
	s_wait_alu 0xfffe
	s_sub_co_u32 s21, s62, s64
	s_cselect_b32 s22, -1, 0
	s_sub_co_i32 s50, s63, s65
	s_cmp_lg_u32 s22, 0
	s_wait_alu 0xfffe
	s_sub_co_ci_u32 s50, s50, s15
	s_sub_co_u32 s62, s21, s14
	s_cselect_b32 s64, -1, 0
	s_wait_alu 0xfffe
	s_cmp_lg_u32 s64, 0
	s_sub_co_ci_u32 s66, s50, 0
	s_wait_alu 0xfffe
	s_cmp_ge_u32 s66, s15
	s_cselect_b32 s67, -1, 0
	s_cmp_ge_u32 s62, s14
	s_cselect_b32 s68, -1, 0
	s_cmp_eq_u32 s66, s15
	s_wait_alu 0xfffe
	s_cselect_b32 s67, s68, s67
	s_cmp_lg_u32 s64, 0
	s_sub_co_ci_u32 s50, s50, s15
	s_sub_co_u32 s64, s62, s14
	s_cselect_b32 s68, -1, 0
	s_wait_alu 0xfffe
	s_cmp_lg_u32 s68, 0
	s_sub_co_ci_u32 s50, s50, 0
	s_cmp_lg_u32 s67, 0
	s_cselect_b32 s62, s64, s62
	s_wait_alu 0xfffe
	s_cselect_b32 s50, s50, s66
	s_cmp_lg_u32 s22, 0
	s_sub_co_ci_u32 s22, s63, s65
	s_delay_alu instid0(SALU_CYCLE_1)
	s_cmp_ge_u32 s22, s15
	s_cselect_b32 s63, -1, 0
	s_cmp_ge_u32 s21, s14
	s_cselect_b32 s14, -1, 0
	s_cmp_eq_u32 s22, s15
	s_wait_alu 0xfffe
	s_cselect_b32 s14, s14, s63
	s_wait_alu 0xfffe
	s_cmp_lg_u32 s14, 0
	s_cselect_b32 s15, s50, s22
	s_cselect_b32 s14, s62, s21
	s_wait_alu 0xfffe
	s_xor_b64 s[14:15], s[14:15], s[60:61]
	s_wait_alu 0xfffe
	s_sub_nc_u64 s[14:15], s[14:15], s[60:61]
	s_cbranch_execnz .LBB36_146
.LBB36_145:                             ;   in Loop: Header=BB36_7 Depth=1
	v_cvt_f32_u32_e32 v4, s44
	s_sub_co_i32 s15, 0, s44
	s_delay_alu instid0(VALU_DEP_1) | instskip(NEXT) | instid1(TRANS32_DEP_1)
	v_rcp_iflag_f32_e32 v4, v4
	v_mul_f32_e32 v4, 0x4f7ffffe, v4
	s_delay_alu instid0(VALU_DEP_1) | instskip(NEXT) | instid1(VALU_DEP_1)
	v_cvt_u32_f32_e32 v4, v4
	v_readfirstlane_b32 s14, v4
	s_wait_alu 0xfffe
	s_mul_i32 s15, s15, s14
	s_wait_alu 0xfffe
	s_mul_hi_u32 s15, s14, s15
	s_wait_alu 0xfffe
	s_add_co_i32 s14, s14, s15
	s_wait_alu 0xfffe
	s_mul_hi_u32 s14, s6, s14
	s_wait_alu 0xfffe
	s_mul_i32 s14, s14, s44
	s_wait_alu 0xfffe
	s_sub_co_i32 s14, s6, s14
	s_wait_alu 0xfffe
	s_sub_co_i32 s15, s14, s44
	s_cmp_ge_u32 s14, s44
	s_wait_alu 0xfffe
	s_cselect_b32 s14, s15, s14
	s_wait_alu 0xfffe
	s_sub_co_i32 s15, s14, s44
	s_cmp_ge_u32 s14, s44
	s_wait_alu 0xfffe
	s_cselect_b32 s50, s15, s14
	s_wait_alu 0xfffe
	s_mov_b64 s[14:15], s[50:51]
.LBB36_146:                             ;   in Loop: Header=BB36_7 Depth=1
	s_wait_alu 0xfffe
	s_sub_nc_u64 s[6:7], s[6:7], s[14:15]
	s_mov_b32 s14, exec_lo
                                        ; implicit-def: $vgpr45
	s_wait_alu 0xfffe
	v_cmpx_gt_i64_e64 s[6:7], v[0:1]
	s_cbranch_execz .LBB36_155
; %bb.147:                              ;   in Loop: Header=BB36_7 Depth=1
	v_dual_mov_b32 v10, v33 :: v_dual_mov_b32 v5, v1
	v_mov_b32_e32 v4, v0
	s_mov_b32 s15, 0
                                        ; implicit-def: $sgpr21
	s_branch .LBB36_150
.LBB36_148:                             ;   in Loop: Header=BB36_150 Depth=2
	s_or_b32 exec_lo, exec_lo, s22
	s_wait_loadcnt_dscnt 0x0
	s_barrier_signal -1
	s_barrier_wait -1
	global_inv scope:SCOPE_SE
	ds_load_b32 v11, v3 offset:3072
	s_mov_b32 s22, -1
	s_mov_b32 s50, -1
	s_wait_loadcnt_dscnt 0x0
	s_barrier_signal -1
	s_barrier_wait -1
	global_inv scope:SCOPE_SE
	v_and_b32_e32 v26, 0xffff, v11
	s_delay_alu instid0(VALU_DEP_1)
	v_cmp_eq_u32_e32 vcc_lo, 0, v26
	s_cbranch_vccnz .LBB36_153
.LBB36_149:                             ;   in Loop: Header=BB36_150 Depth=2
	s_and_b32 s22, exec_lo, s22
	s_wait_alu 0xfffe
	s_or_b32 s15, s22, s15
	s_and_not1_b32 s21, s21, exec_lo
	s_and_b32 s22, s50, exec_lo
	s_wait_alu 0xfffe
	s_or_b32 s21, s21, s22
	s_and_not1_b32 exec_lo, exec_lo, s15
	s_cbranch_execz .LBB36_154
.LBB36_150:                             ;   Parent Loop BB36_7 Depth=1
                                        ; =>  This Inner Loop Header: Depth=2
	s_mov_b32 s22, exec_lo
	s_delay_alu instid0(VALU_DEP_1)
	v_cmpx_gt_u64_e64 s[12:13], v[4:5]
	s_cbranch_execz .LBB36_148
; %bb.151:                              ;   in Loop: Header=BB36_150 Depth=2
	ds_load_u16 v11, v10
	s_wait_dscnt 0x0
	v_bfe_i32 v26, v11, 0, 16
	s_delay_alu instid0(VALU_DEP_1) | instskip(NEXT) | instid1(VALU_DEP_1)
	v_add_nc_u32_e32 v26, 0x8000, v26
	v_and_b32_e32 v26, v26, v44
	s_delay_alu instid0(VALU_DEP_1)
	v_cmp_eq_u32_e32 vcc_lo, v26, v20
	s_and_b32 exec_lo, exec_lo, vcc_lo
	s_cbranch_execz .LBB36_148
; %bb.152:                              ;   in Loop: Header=BB36_150 Depth=2
	v_perm_b32 v11, v11, 1, 0x5040100
	ds_store_b32 v3, v11 offset:3072
	s_branch .LBB36_148
.LBB36_153:                             ;   in Loop: Header=BB36_150 Depth=2
	v_add_co_u32 v4, vcc_lo, v4, s44
	s_wait_alu 0xfffd
	v_add_co_ci_u32_e64 v5, null, 0, v5, vcc_lo
	v_add_nc_u32_e32 v10, s90, v10
	s_mov_b32 s50, 0
	s_delay_alu instid0(VALU_DEP_2)
	v_cmp_le_i64_e32 vcc_lo, s[6:7], v[4:5]
	s_or_not1_b32 s22, vcc_lo, exec_lo
	s_branch .LBB36_149
.LBB36_154:                             ;   in Loop: Header=BB36_7 Depth=1
	s_or_b32 exec_lo, exec_lo, s15
	v_lshrrev_b32_e32 v45, 16, v11
	s_and_not1_b32 s6, s25, exec_lo
	s_wait_alu 0xfffe
	s_and_b32 s7, s21, exec_lo
	s_wait_alu 0xfffe
	s_or_b32 s25, s6, s7
.LBB36_155:                             ;   in Loop: Header=BB36_7 Depth=1
	s_or_b32 exec_lo, exec_lo, s14
	s_mov_b32 s21, 0
	s_mov_b32 s22, -1
.LBB36_156:                             ;   in Loop: Header=BB36_7 Depth=1
	s_wait_alu 0xfffe
	s_or_not1_b32 s6, s25, exec_lo
.LBB36_157:                             ;   in Loop: Header=BB36_7 Depth=1
	s_or_b32 exec_lo, exec_lo, s23
	s_mov_b32 s7, 0
	s_wait_alu 0xfffe
	s_and_saveexec_b32 s23, s6
	s_cbranch_execz .LBB36_263
; %bb.158:                              ;   in Loop: Header=BB36_7 Depth=1
	v_mov_b32_e32 v4, 1
	v_dual_mov_b32 v5, 0 :: v_dual_mov_b32 v2, 1
	s_xor_b32 s12, s24, -1
	s_wait_alu 0xfffe
	s_and_saveexec_b32 s6, s12
	s_cbranch_execz .LBB36_168
; %bb.159:                              ;   in Loop: Header=BB36_7 Depth=1
	s_mov_b32 s7, exec_lo
	v_cmpx_le_i64_e64 v[8:9], v[6:7]
	s_wait_alu 0xfffe
	s_xor_b32 s7, exec_lo, s7
	s_cbranch_execz .LBB36_165
; %bb.160:                              ;   in Loop: Header=BB36_7 Depth=1
	ds_load_b64 v[4:5], v3 offset:5120
	s_lshl_b32 s12, 1, s91
	v_or_b32_e32 v44, s16, v44
	s_wait_alu 0xfffe
	v_and_or_b32 v20, v20, s20, s12
	s_wait_dscnt 0x0
	v_cmp_ne_u64_e32 vcc_lo, 0, v[4:5]
	s_cbranch_vccnz .LBB36_164
; %bb.161:                              ;   in Loop: Header=BB36_7 Depth=1
	s_and_saveexec_b32 s12, s2
; %bb.162:                              ;   in Loop: Header=BB36_7 Depth=1
	ds_store_b64 v3, v[6:7] offset:5128
; %bb.163:                              ;   in Loop: Header=BB36_7 Depth=1
	s_wait_alu 0xfffe
	s_or_b32 exec_lo, exec_lo, s12
	s_wait_loadcnt_dscnt 0x0
	s_barrier_signal -1
	s_barrier_wait -1
	global_inv scope:SCOPE_SE
.LBB36_164:                             ;   in Loop: Header=BB36_7 Depth=1
                                        ; implicit-def: $vgpr4_vgpr5_vgpr6_vgpr7
.LBB36_165:                             ;   in Loop: Header=BB36_7 Depth=1
	s_wait_alu 0xfffe
	s_or_saveexec_b32 s7, s7
	v_mov_b32_e32 v2, 8
	s_mov_b32 s12, 0
	s_wait_alu 0xfffe
	s_xor_b32 exec_lo, exec_lo, s7
; %bb.166:                              ;   in Loop: Header=BB36_7 Depth=1
	v_sub_co_u32 v8, vcc_lo, v8, v6
	s_wait_alu 0xfffd
	v_sub_co_ci_u32_e64 v9, null, v9, v7, vcc_lo
	v_mov_b32_e32 v2, 0
	s_mov_b32 s12, exec_lo
; %bb.167:                              ;   in Loop: Header=BB36_7 Depth=1
	s_or_b32 exec_lo, exec_lo, s7
	s_delay_alu instid0(VALU_DEP_2)
	v_dual_mov_b32 v4, v8 :: v_dual_mov_b32 v5, v9
	s_wait_alu 0xfffe
	s_and_b32 s7, s12, exec_lo
.LBB36_168:                             ;   in Loop: Header=BB36_7 Depth=1
	s_wait_alu 0xfffe
	s_or_b32 exec_lo, exec_lo, s6
	s_mov_b32 s6, -1
                                        ; implicit-def: $sgpr25
                                        ; implicit-def: $sgpr60
	s_and_saveexec_b32 s24, s7
	s_cbranch_execz .LBB36_262
; %bb.169:                              ;   in Loop: Header=BB36_7 Depth=1
	v_cmp_eq_u64_e32 vcc_lo, 1, v[4:5]
	s_cmp_eq_u64 s[10:11], 1
                                        ; implicit-def: $sgpr60
                                        ; implicit-def: $sgpr25
	s_cselect_b32 s6, -1, 0
	s_wait_alu 0xfffe
	s_and_b32 s61, s6, vcc_lo
	s_mov_b32 s6, -1
	s_wait_alu 0xfffe
	s_and_saveexec_b32 s62, s61
	s_cbranch_execz .LBB36_203
; %bb.170:                              ;   in Loop: Header=BB36_7 Depth=1
	ds_load_b64 v[6:7], v3 offset:5120
	s_wait_loadcnt_dscnt 0x0
	s_barrier_signal -1
	s_barrier_wait -1
	global_inv scope:SCOPE_SE
	v_readfirstlane_b32 s12, v6
	v_readfirstlane_b32 s13, v7
	s_and_saveexec_b32 s6, s3
; %bb.171:                              ;   in Loop: Header=BB36_7 Depth=1
	ds_store_b16 v34, v3
; %bb.172:                              ;   in Loop: Header=BB36_7 Depth=1
	s_wait_alu 0xfffe
	s_or_b32 exec_lo, exec_lo, s6
	s_lshl_b32 s6, 2, s91
	v_or_b32_e32 v44, s16, v44
	s_wait_alu 0xfffe
	v_and_or_b32 v20, v20, s20, s6
	v_cmp_gt_i64_e64 s6, s[12:13], 0
	s_mov_b32 s25, -1
	s_mov_b32 s60, 0
	s_mov_b32 s63, 0
	s_mov_b32 s7, -1
	s_wait_loadcnt_dscnt 0x0
	s_and_b32 vcc_lo, exec_lo, s6
	s_barrier_signal -1
	s_barrier_wait -1
	global_inv scope:SCOPE_SE
                                        ; implicit-def: $vgpr45
	s_wait_alu 0xfffe
	s_cbranch_vccnz .LBB36_188
; %bb.173:                              ;   in Loop: Header=BB36_7 Depth=1
	s_mov_b32 s6, s51
	s_mov_b32 s7, s55
	s_wait_alu 0xfffe
	s_cmp_lg_u64 s[6:7], 0
	s_cbranch_scc0 .LBB36_229
; %bb.174:                              ;   in Loop: Header=BB36_7 Depth=1
	s_add_nc_u64 s[6:7], s[44:45], 0
	s_wait_alu 0xfffe
	s_xor_b64 s[6:7], s[6:7], 0
	s_wait_alu 0xfffe
	s_cvt_f32_u32 s14, s6
	s_cvt_f32_u32 s15, s7
	s_sub_nc_u64 s[64:65], 0, s[6:7]
	s_wait_alu 0xfffe
	s_delay_alu instid0(SALU_CYCLE_1) | instskip(SKIP_1) | instid1(SALU_CYCLE_2)
	s_fmamk_f32 s14, s15, 0x4f800000, s14
	s_wait_alu 0xfffe
	v_s_rcp_f32 s14, s14
	s_delay_alu instid0(TRANS32_DEP_1) | instskip(SKIP_1) | instid1(SALU_CYCLE_2)
	s_mul_f32 s14, s14, 0x5f7ffffc
	s_wait_alu 0xfffe
	s_mul_f32 s15, s14, 0x2f800000
	s_wait_alu 0xfffe
	s_delay_alu instid0(SALU_CYCLE_2) | instskip(SKIP_1) | instid1(SALU_CYCLE_2)
	s_trunc_f32 s15, s15
	s_wait_alu 0xfffe
	s_fmamk_f32 s14, s15, 0xcf800000, s14
	s_cvt_u32_f32 s15, s15
	s_wait_alu 0xfffe
	s_delay_alu instid0(SALU_CYCLE_1) | instskip(SKIP_1) | instid1(SALU_CYCLE_2)
	s_cvt_u32_f32 s14, s14
	s_wait_alu 0xfffe
	s_mul_u64 s[66:67], s[64:65], s[14:15]
	s_wait_alu 0xfffe
	s_mul_hi_u32 s69, s14, s67
	s_mul_i32 s68, s14, s67
	s_mul_hi_u32 s50, s14, s66
	s_mul_i32 s70, s15, s66
	s_wait_alu 0xfffe
	s_add_nc_u64 s[68:69], s[50:51], s[68:69]
	s_mul_hi_u32 s63, s15, s66
	s_mul_hi_u32 s71, s15, s67
	s_wait_alu 0xfffe
	s_add_co_u32 s50, s68, s70
	s_add_co_ci_u32 s50, s69, s63
	s_mul_i32 s66, s15, s67
	s_add_co_ci_u32 s67, s71, 0
	s_wait_alu 0xfffe
	s_add_nc_u64 s[66:67], s[50:51], s[66:67]
	s_wait_alu 0xfffe
	s_add_co_u32 s14, s14, s66
	s_cselect_b32 s50, -1, 0
	s_wait_alu 0xfffe
	s_cmp_lg_u32 s50, 0
	s_add_co_ci_u32 s15, s15, s67
	s_wait_alu 0xfffe
	s_mul_u64 s[64:65], s[64:65], s[14:15]
	s_wait_alu 0xfffe
	s_mul_hi_u32 s67, s14, s65
	s_mul_i32 s66, s14, s65
	s_mul_hi_u32 s50, s14, s64
	s_mul_i32 s68, s15, s64
	s_wait_alu 0xfffe
	s_add_nc_u64 s[66:67], s[50:51], s[66:67]
	s_mul_hi_u32 s63, s15, s64
	s_mul_hi_u32 s69, s15, s65
	s_wait_alu 0xfffe
	s_add_co_u32 s50, s66, s68
	s_add_co_ci_u32 s50, s67, s63
	s_mul_i32 s64, s15, s65
	s_add_co_ci_u32 s65, s69, 0
	s_wait_alu 0xfffe
	s_add_nc_u64 s[64:65], s[50:51], s[64:65]
	s_wait_alu 0xfffe
	s_add_co_u32 s63, s14, s64
	s_cselect_b32 s14, -1, 0
	s_wait_alu 0xfffe
	s_cmp_lg_u32 s14, 0
	s_add_co_ci_u32 s68, s15, s65
	s_ashr_i32 s14, s55, 31
	s_wait_alu 0xfffe
	s_mov_b32 s15, s14
	s_wait_alu 0xfffe
	s_add_nc_u64 s[64:65], s[54:55], s[14:15]
	s_wait_alu 0xfffe
	s_xor_b64 s[64:65], s[64:65], s[14:15]
	s_wait_alu 0xfffe
	s_mul_hi_u32 s67, s64, s68
	s_mul_i32 s66, s64, s68
	s_mul_hi_u32 s50, s64, s63
	s_mul_hi_u32 s70, s65, s63
	s_mul_i32 s63, s65, s63
	s_wait_alu 0xfffe
	s_add_nc_u64 s[66:67], s[50:51], s[66:67]
	s_mul_hi_u32 s69, s65, s68
	s_wait_alu 0xfffe
	s_add_co_u32 s50, s66, s63
	s_add_co_ci_u32 s50, s67, s70
	s_mul_i32 s68, s65, s68
	s_add_co_ci_u32 s69, s69, 0
	s_wait_alu 0xfffe
	s_add_nc_u64 s[66:67], s[50:51], s[68:69]
	s_wait_alu 0xfffe
	s_mul_u64 s[66:67], s[6:7], s[66:67]
	s_wait_alu 0xfffe
	s_sub_co_u32 s50, s64, s66
	s_cselect_b32 s63, -1, 0
	s_sub_co_i32 s64, s65, s67
	s_wait_alu 0xfffe
	s_cmp_lg_u32 s63, 0
	s_sub_co_ci_u32 s64, s64, s7
	s_sub_co_u32 s66, s50, s6
	s_cselect_b32 s68, -1, 0
	s_wait_alu 0xfffe
	s_cmp_lg_u32 s68, 0
	s_sub_co_ci_u32 s69, s64, 0
	s_wait_alu 0xfffe
	s_cmp_ge_u32 s69, s7
	s_cselect_b32 s70, -1, 0
	s_cmp_ge_u32 s66, s6
	s_cselect_b32 s71, -1, 0
	s_cmp_eq_u32 s69, s7
	s_wait_alu 0xfffe
	s_cselect_b32 s70, s71, s70
	s_cmp_lg_u32 s68, 0
	s_sub_co_ci_u32 s64, s64, s7
	s_sub_co_u32 s68, s66, s6
	s_cselect_b32 s71, -1, 0
	s_wait_alu 0xfffe
	s_cmp_lg_u32 s71, 0
	s_sub_co_ci_u32 s64, s64, 0
	s_cmp_lg_u32 s70, 0
	s_cselect_b32 s66, s68, s66
	s_wait_alu 0xfffe
	s_cselect_b32 s64, s64, s69
	s_cmp_lg_u32 s63, 0
	s_sub_co_ci_u32 s63, s65, s67
	s_wait_alu 0xfffe
	s_cmp_ge_u32 s63, s7
	s_cselect_b32 s65, -1, 0
	s_cmp_ge_u32 s50, s6
	s_cselect_b32 s6, -1, 0
	s_cmp_eq_u32 s63, s7
	s_wait_alu 0xfffe
	s_cselect_b32 s6, s6, s65
	s_wait_alu 0xfffe
	s_cmp_lg_u32 s6, 0
	s_cselect_b32 s7, s64, s63
	s_cselect_b32 s6, s66, s50
	s_wait_alu 0xfffe
	s_xor_b64 s[6:7], s[6:7], s[14:15]
	s_wait_alu 0xfffe
	s_sub_nc_u64 s[6:7], s[6:7], s[14:15]
	s_cbranch_execnz .LBB36_176
.LBB36_175:                             ;   in Loop: Header=BB36_7 Depth=1
	v_cvt_f32_u32_e32 v6, s44
	s_sub_co_i32 s7, 0, s44
	s_delay_alu instid0(VALU_DEP_1) | instskip(NEXT) | instid1(TRANS32_DEP_1)
	v_rcp_iflag_f32_e32 v6, v6
	v_mul_f32_e32 v6, 0x4f7ffffe, v6
	s_delay_alu instid0(VALU_DEP_1) | instskip(NEXT) | instid1(VALU_DEP_1)
	v_cvt_u32_f32_e32 v6, v6
	v_readfirstlane_b32 s6, v6
	s_wait_alu 0xfffe
	s_mul_i32 s7, s7, s6
	s_wait_alu 0xfffe
	s_mul_hi_u32 s7, s6, s7
	s_wait_alu 0xfffe
	s_add_co_i32 s6, s6, s7
	s_wait_alu 0xfffe
	s_mul_hi_u32 s6, s54, s6
	s_wait_alu 0xfffe
	s_mul_i32 s6, s6, s44
	s_wait_alu 0xfffe
	s_sub_co_i32 s6, s54, s6
	s_wait_alu 0xfffe
	s_sub_co_i32 s7, s6, s44
	s_cmp_ge_u32 s6, s44
	s_wait_alu 0xfffe
	s_cselect_b32 s6, s7, s6
	s_wait_alu 0xfffe
	s_sub_co_i32 s7, s6, s44
	s_cmp_ge_u32 s6, s44
	s_wait_alu 0xfffe
	s_cselect_b32 s50, s7, s6
	s_wait_alu 0xfffe
	s_mov_b64 s[6:7], s[50:51]
.LBB36_176:                             ;   in Loop: Header=BB36_7 Depth=1
	s_wait_alu 0xfffe
	s_sub_nc_u64 s[14:15], s[54:55], s[6:7]
	s_mov_b32 s7, 0
	s_mov_b32 s63, 0
	s_mov_b32 s50, exec_lo
                                        ; implicit-def: $vgpr45
	s_wait_alu 0xfffe
	v_cmpx_gt_i64_e64 s[14:15], v[0:1]
	s_cbranch_execz .LBB36_187
; %bb.177:                              ;   in Loop: Header=BB36_7 Depth=1
	v_dual_mov_b32 v6, v12 :: v_dual_mov_b32 v7, v13
	v_dual_mov_b32 v9, v1 :: v_dual_mov_b32 v8, v0
                                        ; implicit-def: $sgpr64
	s_branch .LBB36_180
.LBB36_178:                             ;   in Loop: Header=BB36_180 Depth=2
	s_wait_alu 0xfffe
	s_or_b32 exec_lo, exec_lo, s6
	s_wait_loadcnt_dscnt 0x0
	s_barrier_signal -1
	s_barrier_wait -1
	global_inv scope:SCOPE_SE
	ds_load_b32 v10, v3 offset:3072
	s_mov_b32 s6, -1
	s_mov_b32 s65, -1
	s_wait_loadcnt_dscnt 0x0
	s_barrier_signal -1
	s_barrier_wait -1
	global_inv scope:SCOPE_SE
	v_and_b32_e32 v11, 0xffff, v10
	s_delay_alu instid0(VALU_DEP_1)
	v_cmp_ne_u32_e32 vcc_lo, 0, v11
	s_cbranch_vccz .LBB36_183
.LBB36_179:                             ;   in Loop: Header=BB36_180 Depth=2
	s_wait_alu 0xfffe
	s_and_b32 s6, exec_lo, s6
	s_wait_alu 0xfffe
	s_or_b32 s63, s6, s63
	s_and_not1_b32 s6, s64, exec_lo
	s_and_b32 s64, s65, exec_lo
	s_wait_alu 0xfffe
	s_or_b32 s64, s6, s64
	s_and_not1_b32 exec_lo, exec_lo, s63
	s_cbranch_execz .LBB36_186
.LBB36_180:                             ;   Parent Loop BB36_7 Depth=1
                                        ; =>  This Inner Loop Header: Depth=2
	s_mov_b32 s6, exec_lo
	s_delay_alu instid0(VALU_DEP_1)
	v_cmpx_gt_i64_e64 s[36:37], v[8:9]
	s_cbranch_execz .LBB36_178
; %bb.181:                              ;   in Loop: Header=BB36_180 Depth=2
	global_load_u16 v10, v[6:7], off
	s_wait_loadcnt 0x0
	v_bfe_i32 v11, v10, 0, 16
	s_delay_alu instid0(VALU_DEP_1) | instskip(NEXT) | instid1(VALU_DEP_1)
	v_add_nc_u32_e32 v11, 0x8000, v11
	v_and_b32_e32 v11, v11, v44
	s_delay_alu instid0(VALU_DEP_1)
	v_cmp_eq_u32_e32 vcc_lo, v11, v20
	s_and_b32 exec_lo, exec_lo, vcc_lo
	s_cbranch_execz .LBB36_178
; %bb.182:                              ;   in Loop: Header=BB36_180 Depth=2
	v_perm_b32 v10, v10, 1, 0x5040100
	ds_store_b32 v3, v10 offset:3072
	s_branch .LBB36_178
.LBB36_183:                             ;   in Loop: Header=BB36_180 Depth=2
	v_add_co_u32 v8, vcc_lo, v8, s44
	s_wait_alu 0xfffd
	v_add_co_ci_u32_e64 v9, null, 0, v9, vcc_lo
	v_add_co_u32 v6, s6, v6, s46
	s_wait_alu 0xf1fe
	v_add_co_ci_u32_e64 v7, null, s47, v7, s6
	s_delay_alu instid0(VALU_DEP_3)
	v_cmp_le_i64_e32 vcc_lo, s[14:15], v[8:9]
	s_mov_b32 s65, 0
	s_or_not1_b32 s6, vcc_lo, exec_lo
	s_branch .LBB36_179
.LBB36_184:                             ;   in Loop: Header=BB36_7 Depth=1
                                        ; implicit-def: $sgpr6_sgpr7
	s_branch .LBB36_129
.LBB36_185:                             ;   in Loop: Header=BB36_7 Depth=1
                                        ; implicit-def: $sgpr14_sgpr15
	s_branch .LBB36_145
.LBB36_186:                             ;   in Loop: Header=BB36_7 Depth=1
	s_or_b32 exec_lo, exec_lo, s63
	v_lshrrev_b32_e32 v45, 16, v10
	s_wait_alu 0xfffe
	s_and_b32 s63, s64, exec_lo
.LBB36_187:                             ;   in Loop: Header=BB36_7 Depth=1
	s_or_b32 exec_lo, exec_lo, s50
.LBB36_188:                             ;   in Loop: Header=BB36_7 Depth=1
	s_delay_alu instid0(SALU_CYCLE_1)
	s_and_b32 vcc_lo, exec_lo, s7
	s_wait_alu 0xfffe
	s_cbranch_vccz .LBB36_202
; %bb.189:                              ;   in Loop: Header=BB36_7 Depth=1
	s_add_nc_u64 s[6:7], s[12:13], s[52:53]
	s_mov_b32 s14, s51
	s_wait_alu 0xfffe
	s_mov_b32 s15, s7
	s_wait_alu 0xfffe
	s_cmp_lg_u64 s[14:15], 0
	s_cbranch_scc0 .LBB36_230
; %bb.190:                              ;   in Loop: Header=BB36_7 Depth=1
	s_add_nc_u64 s[14:15], s[44:45], 0
	s_wait_alu 0xfffe
	s_xor_b64 s[14:15], s[14:15], 0
	s_wait_alu 0xfffe
	s_cvt_f32_u32 s25, s14
	s_cvt_f32_u32 s50, s15
	s_sub_nc_u64 s[66:67], 0, s[14:15]
	s_wait_alu 0xfffe
	s_delay_alu instid0(SALU_CYCLE_1) | instskip(SKIP_1) | instid1(SALU_CYCLE_2)
	s_fmamk_f32 s25, s50, 0x4f800000, s25
	s_wait_alu 0xfffe
	v_s_rcp_f32 s25, s25
	s_delay_alu instid0(TRANS32_DEP_1) | instskip(SKIP_1) | instid1(SALU_CYCLE_2)
	s_mul_f32 s25, s25, 0x5f7ffffc
	s_wait_alu 0xfffe
	s_mul_f32 s50, s25, 0x2f800000
	s_wait_alu 0xfffe
	s_delay_alu instid0(SALU_CYCLE_2) | instskip(SKIP_1) | instid1(SALU_CYCLE_2)
	s_trunc_f32 s50, s50
	s_wait_alu 0xfffe
	s_fmamk_f32 s25, s50, 0xcf800000, s25
	s_cvt_u32_f32 s65, s50
	s_wait_alu 0xfffe
	s_delay_alu instid0(SALU_CYCLE_1) | instskip(SKIP_1) | instid1(SALU_CYCLE_2)
	s_cvt_u32_f32 s64, s25
	s_wait_alu 0xfffe
	s_mul_u64 s[68:69], s[66:67], s[64:65]
	s_wait_alu 0xfffe
	s_mul_hi_u32 s71, s64, s69
	s_mul_i32 s70, s64, s69
	s_mul_hi_u32 s50, s64, s68
	s_mul_i32 s60, s65, s68
	s_wait_alu 0xfffe
	s_add_nc_u64 s[70:71], s[50:51], s[70:71]
	s_mul_hi_u32 s25, s65, s68
	s_mul_hi_u32 s72, s65, s69
	s_wait_alu 0xfffe
	s_add_co_u32 s50, s70, s60
	s_add_co_ci_u32 s50, s71, s25
	s_mul_i32 s68, s65, s69
	s_add_co_ci_u32 s69, s72, 0
	s_wait_alu 0xfffe
	s_add_nc_u64 s[68:69], s[50:51], s[68:69]
	s_wait_alu 0xfffe
	s_add_co_u32 s64, s64, s68
	s_cselect_b32 s25, -1, 0
	s_wait_alu 0xfffe
	s_cmp_lg_u32 s25, 0
	s_add_co_ci_u32 s65, s65, s69
	s_wait_alu 0xfffe
	s_mul_u64 s[66:67], s[66:67], s[64:65]
	s_wait_alu 0xfffe
	s_mul_hi_u32 s69, s64, s67
	s_mul_i32 s68, s64, s67
	s_mul_hi_u32 s50, s64, s66
	s_mul_i32 s60, s65, s66
	s_wait_alu 0xfffe
	s_add_nc_u64 s[68:69], s[50:51], s[68:69]
	s_mul_hi_u32 s25, s65, s66
	s_mul_hi_u32 s70, s65, s67
	s_wait_alu 0xfffe
	s_add_co_u32 s50, s68, s60
	s_add_co_ci_u32 s50, s69, s25
	s_mul_i32 s66, s65, s67
	s_add_co_ci_u32 s67, s70, 0
	s_wait_alu 0xfffe
	s_add_nc_u64 s[66:67], s[50:51], s[66:67]
	s_wait_alu 0xfffe
	s_add_co_u32 s25, s64, s66
	s_cselect_b32 s50, -1, 0
	s_wait_alu 0xfffe
	s_cmp_lg_u32 s50, 0
	s_add_co_ci_u32 s60, s65, s67
	s_ashr_i32 s64, s7, 31
	s_wait_alu 0xfffe
	s_mov_b32 s65, s64
	s_wait_alu 0xfffe
	s_add_nc_u64 s[66:67], s[6:7], s[64:65]
	s_wait_alu 0xfffe
	s_xor_b64 s[66:67], s[66:67], s[64:65]
	s_wait_alu 0xfffe
	s_mul_hi_u32 s69, s66, s60
	s_mul_i32 s68, s66, s60
	s_mul_hi_u32 s50, s66, s25
	s_mul_hi_u32 s72, s67, s25
	s_mul_i32 s25, s67, s25
	s_wait_alu 0xfffe
	s_add_nc_u64 s[68:69], s[50:51], s[68:69]
	s_mul_hi_u32 s71, s67, s60
	s_wait_alu 0xfffe
	s_add_co_u32 s25, s68, s25
	s_add_co_ci_u32 s50, s69, s72
	s_mul_i32 s70, s67, s60
	s_add_co_ci_u32 s71, s71, 0
	s_wait_alu 0xfffe
	s_add_nc_u64 s[68:69], s[50:51], s[70:71]
	s_wait_alu 0xfffe
	s_mul_u64 s[68:69], s[14:15], s[68:69]
	s_wait_alu 0xfffe
	s_sub_co_u32 s25, s66, s68
	s_cselect_b32 s50, -1, 0
	s_sub_co_i32 s60, s67, s69
	s_wait_alu 0xfffe
	s_cmp_lg_u32 s50, 0
	s_sub_co_ci_u32 s60, s60, s15
	s_sub_co_u32 s66, s25, s14
	s_cselect_b32 s68, -1, 0
	s_wait_alu 0xfffe
	s_cmp_lg_u32 s68, 0
	s_sub_co_ci_u32 s70, s60, 0
	s_wait_alu 0xfffe
	s_cmp_ge_u32 s70, s15
	s_cselect_b32 s71, -1, 0
	s_cmp_ge_u32 s66, s14
	s_cselect_b32 s72, -1, 0
	s_cmp_eq_u32 s70, s15
	s_wait_alu 0xfffe
	s_cselect_b32 s71, s72, s71
	s_cmp_lg_u32 s68, 0
	s_sub_co_ci_u32 s60, s60, s15
	s_sub_co_u32 s68, s66, s14
	s_cselect_b32 s72, -1, 0
	s_wait_alu 0xfffe
	s_cmp_lg_u32 s72, 0
	s_sub_co_ci_u32 s60, s60, 0
	s_cmp_lg_u32 s71, 0
	s_cselect_b32 s66, s68, s66
	s_wait_alu 0xfffe
	s_cselect_b32 s60, s60, s70
	s_cmp_lg_u32 s50, 0
	s_sub_co_ci_u32 s50, s67, s69
	s_wait_alu 0xfffe
	s_cmp_ge_u32 s50, s15
	s_cselect_b32 s67, -1, 0
	s_cmp_ge_u32 s25, s14
	s_cselect_b32 s14, -1, 0
	s_cmp_eq_u32 s50, s15
	s_wait_alu 0xfffe
	s_cselect_b32 s14, s14, s67
	s_wait_alu 0xfffe
	s_cmp_lg_u32 s14, 0
	s_cselect_b32 s15, s60, s50
	s_cselect_b32 s14, s66, s25
	s_wait_alu 0xfffe
	s_xor_b64 s[14:15], s[14:15], s[64:65]
	s_wait_alu 0xfffe
	s_sub_nc_u64 s[14:15], s[14:15], s[64:65]
	s_cbranch_execnz .LBB36_192
.LBB36_191:                             ;   in Loop: Header=BB36_7 Depth=1
	v_cvt_f32_u32_e32 v6, s44
	s_sub_co_i32 s15, 0, s44
	s_delay_alu instid0(VALU_DEP_1) | instskip(NEXT) | instid1(TRANS32_DEP_1)
	v_rcp_iflag_f32_e32 v6, v6
	v_mul_f32_e32 v6, 0x4f7ffffe, v6
	s_delay_alu instid0(VALU_DEP_1) | instskip(NEXT) | instid1(VALU_DEP_1)
	v_cvt_u32_f32_e32 v6, v6
	v_readfirstlane_b32 s14, v6
	s_wait_alu 0xfffe
	s_mul_i32 s15, s15, s14
	s_wait_alu 0xfffe
	s_mul_hi_u32 s15, s14, s15
	s_wait_alu 0xfffe
	s_add_co_i32 s14, s14, s15
	s_wait_alu 0xfffe
	s_mul_hi_u32 s14, s6, s14
	s_wait_alu 0xfffe
	s_mul_i32 s14, s14, s44
	s_wait_alu 0xfffe
	s_sub_co_i32 s14, s6, s14
	s_wait_alu 0xfffe
	s_sub_co_i32 s15, s14, s44
	s_cmp_ge_u32 s14, s44
	s_wait_alu 0xfffe
	s_cselect_b32 s14, s15, s14
	s_wait_alu 0xfffe
	s_sub_co_i32 s15, s14, s44
	s_cmp_ge_u32 s14, s44
	s_wait_alu 0xfffe
	s_cselect_b32 s50, s15, s14
	s_wait_alu 0xfffe
	s_mov_b64 s[14:15], s[50:51]
.LBB36_192:                             ;   in Loop: Header=BB36_7 Depth=1
	s_wait_alu 0xfffe
	s_sub_nc_u64 s[6:7], s[6:7], s[14:15]
	s_mov_b32 s14, exec_lo
                                        ; implicit-def: $vgpr45
	s_wait_alu 0xfffe
	v_cmpx_gt_i64_e64 s[6:7], v[0:1]
	s_cbranch_execz .LBB36_201
; %bb.193:                              ;   in Loop: Header=BB36_7 Depth=1
	v_dual_mov_b32 v8, v33 :: v_dual_mov_b32 v7, v1
	v_mov_b32_e32 v6, v0
	s_mov_b32 s15, 0
                                        ; implicit-def: $sgpr25
	s_branch .LBB36_196
.LBB36_194:                             ;   in Loop: Header=BB36_196 Depth=2
	s_wait_alu 0xfffe
	s_or_b32 exec_lo, exec_lo, s50
	s_wait_loadcnt_dscnt 0x0
	s_barrier_signal -1
	s_barrier_wait -1
	global_inv scope:SCOPE_SE
	ds_load_b32 v9, v3 offset:3072
	s_mov_b32 s50, -1
	s_mov_b32 s60, -1
	s_wait_loadcnt_dscnt 0x0
	s_barrier_signal -1
	s_barrier_wait -1
	global_inv scope:SCOPE_SE
	v_and_b32_e32 v10, 0xffff, v9
	s_delay_alu instid0(VALU_DEP_1)
	v_cmp_eq_u32_e32 vcc_lo, 0, v10
	s_cbranch_vccnz .LBB36_199
.LBB36_195:                             ;   in Loop: Header=BB36_196 Depth=2
	s_wait_alu 0xfffe
	s_and_b32 s50, exec_lo, s50
	s_wait_alu 0xfffe
	s_or_b32 s15, s50, s15
	s_and_not1_b32 s25, s25, exec_lo
	s_and_b32 s50, s60, exec_lo
	s_wait_alu 0xfffe
	s_or_b32 s25, s25, s50
	s_and_not1_b32 exec_lo, exec_lo, s15
	s_cbranch_execz .LBB36_200
.LBB36_196:                             ;   Parent Loop BB36_7 Depth=1
                                        ; =>  This Inner Loop Header: Depth=2
	s_mov_b32 s50, exec_lo
	s_delay_alu instid0(VALU_DEP_1)
	v_cmpx_gt_u64_e64 s[12:13], v[6:7]
	s_cbranch_execz .LBB36_194
; %bb.197:                              ;   in Loop: Header=BB36_196 Depth=2
	ds_load_u16 v9, v8
	s_wait_dscnt 0x0
	v_bfe_i32 v10, v9, 0, 16
	s_delay_alu instid0(VALU_DEP_1) | instskip(NEXT) | instid1(VALU_DEP_1)
	v_add_nc_u32_e32 v10, 0x8000, v10
	v_and_b32_e32 v10, v10, v44
	s_delay_alu instid0(VALU_DEP_1)
	v_cmp_eq_u32_e32 vcc_lo, v10, v20
	s_and_b32 exec_lo, exec_lo, vcc_lo
	s_cbranch_execz .LBB36_194
; %bb.198:                              ;   in Loop: Header=BB36_196 Depth=2
	v_perm_b32 v9, v9, 1, 0x5040100
	ds_store_b32 v3, v9 offset:3072
	s_branch .LBB36_194
.LBB36_199:                             ;   in Loop: Header=BB36_196 Depth=2
	v_add_co_u32 v6, vcc_lo, v6, s44
	s_wait_alu 0xfffd
	v_add_co_ci_u32_e64 v7, null, 0, v7, vcc_lo
	v_add_nc_u32_e32 v8, s90, v8
	s_mov_b32 s60, 0
	s_delay_alu instid0(VALU_DEP_2)
	v_cmp_le_i64_e32 vcc_lo, s[6:7], v[6:7]
	s_or_not1_b32 s50, vcc_lo, exec_lo
	s_branch .LBB36_195
.LBB36_200:                             ;   in Loop: Header=BB36_7 Depth=1
	s_or_b32 exec_lo, exec_lo, s15
	v_lshrrev_b32_e32 v45, 16, v9
	s_and_not1_b32 s6, s63, exec_lo
	s_wait_alu 0xfffe
	s_and_b32 s7, s25, exec_lo
	s_wait_alu 0xfffe
	s_or_b32 s63, s6, s7
.LBB36_201:                             ;   in Loop: Header=BB36_7 Depth=1
	s_or_b32 exec_lo, exec_lo, s14
	s_mov_b32 s25, 0
	s_mov_b32 s60, -1
.LBB36_202:                             ;   in Loop: Header=BB36_7 Depth=1
	s_wait_alu 0xfffe
	s_or_not1_b32 s6, s63, exec_lo
.LBB36_203:                             ;   in Loop: Header=BB36_7 Depth=1
	s_wait_alu 0xfffe
	s_or_b32 exec_lo, exec_lo, s62
	s_mov_b32 s7, 0
	s_and_saveexec_b32 s14, s6
	s_cbranch_execz .LBB36_261
; %bb.204:                              ;   in Loop: Header=BB36_7 Depth=1
	v_mov_b32_e32 v6, 1
	v_dual_mov_b32 v7, 0 :: v_dual_mov_b32 v2, 1
	s_xor_b32 s12, s61, -1
	s_wait_alu 0xfffe
	s_and_saveexec_b32 s6, s12
	s_cbranch_execz .LBB36_213
; %bb.205:                              ;   in Loop: Header=BB36_7 Depth=1
	s_mov_b32 s7, exec_lo
	v_cmpx_ge_i64_e64 s[10:11], v[4:5]
	s_wait_alu 0xfffe
	s_xor_b32 s7, exec_lo, s7
	s_cbranch_execz .LBB36_210
; %bb.206:                              ;   in Loop: Header=BB36_7 Depth=1
	ds_load_b64 v[6:7], v3 offset:5120
	s_lshl_b32 s12, 2, s91
	v_or_b32_e32 v44, s16, v44
	s_wait_alu 0xfffe
	v_and_or_b32 v20, v20, s20, s12
	s_wait_dscnt 0x0
	v_cmp_ne_u64_e32 vcc_lo, 0, v[6:7]
	s_cbranch_vccnz .LBB36_210
; %bb.207:                              ;   in Loop: Header=BB36_7 Depth=1
	s_and_saveexec_b32 s12, s2
; %bb.208:                              ;   in Loop: Header=BB36_7 Depth=1
	v_dual_mov_b32 v6, s10 :: v_dual_mov_b32 v7, s11
	ds_store_b64 v3, v[6:7] offset:5128
; %bb.209:                              ;   in Loop: Header=BB36_7 Depth=1
	s_wait_alu 0xfffe
	s_or_b32 exec_lo, exec_lo, s12
	s_wait_loadcnt_dscnt 0x0
	s_barrier_signal -1
	s_barrier_wait -1
	global_inv scope:SCOPE_SE
.LBB36_210:                             ;   in Loop: Header=BB36_7 Depth=1
	s_wait_alu 0xfffe
	s_or_saveexec_b32 s7, s7
	v_mov_b32_e32 v2, 8
	s_mov_b32 s12, 0
	s_wait_alu 0xfffe
	s_xor_b32 exec_lo, exec_lo, s7
; %bb.211:                              ;   in Loop: Header=BB36_7 Depth=1
	v_sub_co_u32 v4, vcc_lo, v4, s10
	s_wait_alu 0xfffd
	v_subrev_co_ci_u32_e64 v5, null, s11, v5, vcc_lo
	v_mov_b32_e32 v2, 0
	s_mov_b32 s12, exec_lo
; %bb.212:                              ;   in Loop: Header=BB36_7 Depth=1
	s_or_b32 exec_lo, exec_lo, s7
	s_delay_alu instid0(VALU_DEP_2)
	v_dual_mov_b32 v7, v5 :: v_dual_mov_b32 v6, v4
	s_wait_alu 0xfffe
	s_and_b32 s7, s12, exec_lo
.LBB36_213:                             ;   in Loop: Header=BB36_7 Depth=1
	s_wait_alu 0xfffe
	s_or_b32 exec_lo, exec_lo, s6
	s_mov_b32 s6, -1
                                        ; implicit-def: $sgpr63
                                        ; implicit-def: $sgpr62
	s_and_saveexec_b32 s15, s7
	s_cbranch_execz .LBB36_260
; %bb.214:                              ;   in Loop: Header=BB36_7 Depth=1
	v_cmp_eq_u64_e32 vcc_lo, 1, v[6:7]
	s_cmp_eq_u64 s[8:9], 1
	s_mov_b32 s7, -1
	s_cselect_b32 s6, -1, 0
                                        ; implicit-def: $sgpr63
                                        ; implicit-def: $sgpr62
	s_wait_alu 0xfffe
	s_and_b32 s20, s6, vcc_lo
	s_wait_alu 0xfffe
	s_and_saveexec_b32 s61, s20
	s_cbranch_execz .LBB36_248
; %bb.215:                              ;   in Loop: Header=BB36_7 Depth=1
	ds_load_b64 v[4:5], v3 offset:5120
	s_wait_loadcnt_dscnt 0x0
	s_barrier_signal -1
	s_barrier_wait -1
	global_inv scope:SCOPE_SE
	v_readfirstlane_b32 s10, v4
	v_readfirstlane_b32 s11, v5
	s_and_saveexec_b32 s6, s3
; %bb.216:                              ;   in Loop: Header=BB36_7 Depth=1
	ds_store_b16 v34, v3
; %bb.217:                              ;   in Loop: Header=BB36_7 Depth=1
	s_wait_alu 0xfffe
	s_or_b32 exec_lo, exec_lo, s6
	v_cmp_gt_i64_e64 s6, s[10:11], 0
	v_or_b32_e32 v20, s16, v20
	v_or_b32_e32 v44, s16, v44
	s_mov_b32 s62, -1
	s_mov_b32 s63, 0
	s_mov_b32 s64, 0
	s_and_b32 vcc_lo, exec_lo, s6
	s_wait_loadcnt_dscnt 0x0
	s_barrier_signal -1
	s_barrier_wait -1
	global_inv scope:SCOPE_SE
                                        ; implicit-def: $vgpr45
	s_wait_alu 0xfffe
	s_cbranch_vccnz .LBB36_233
; %bb.218:                              ;   in Loop: Header=BB36_7 Depth=1
	s_mov_b32 s6, s51
	s_mov_b32 s7, s55
	s_wait_alu 0xfffe
	s_cmp_lg_u64 s[6:7], 0
	s_cbranch_scc0 .LBB36_267
; %bb.219:                              ;   in Loop: Header=BB36_7 Depth=1
	s_add_nc_u64 s[6:7], s[44:45], 0
	s_wait_alu 0xfffe
	s_xor_b64 s[6:7], s[6:7], 0
	s_wait_alu 0xfffe
	s_cvt_f32_u32 s12, s6
	s_cvt_f32_u32 s13, s7
	s_sub_nc_u64 s[64:65], 0, s[6:7]
	s_wait_alu 0xfffe
	s_delay_alu instid0(SALU_CYCLE_1) | instskip(SKIP_1) | instid1(SALU_CYCLE_2)
	s_fmamk_f32 s12, s13, 0x4f800000, s12
	s_wait_alu 0xfffe
	v_s_rcp_f32 s12, s12
	s_delay_alu instid0(TRANS32_DEP_1) | instskip(SKIP_1) | instid1(SALU_CYCLE_2)
	s_mul_f32 s12, s12, 0x5f7ffffc
	s_wait_alu 0xfffe
	s_mul_f32 s13, s12, 0x2f800000
	s_wait_alu 0xfffe
	s_delay_alu instid0(SALU_CYCLE_2) | instskip(SKIP_1) | instid1(SALU_CYCLE_2)
	s_trunc_f32 s13, s13
	s_wait_alu 0xfffe
	s_fmamk_f32 s12, s13, 0xcf800000, s12
	s_cvt_u32_f32 s13, s13
	s_wait_alu 0xfffe
	s_delay_alu instid0(SALU_CYCLE_1) | instskip(SKIP_1) | instid1(SALU_CYCLE_2)
	s_cvt_u32_f32 s12, s12
	s_wait_alu 0xfffe
	s_mul_u64 s[66:67], s[64:65], s[12:13]
	s_wait_alu 0xfffe
	s_mul_hi_u32 s69, s12, s67
	s_mul_i32 s68, s12, s67
	s_mul_hi_u32 s50, s12, s66
	s_mul_i32 s71, s13, s66
	s_wait_alu 0xfffe
	s_add_nc_u64 s[68:69], s[50:51], s[68:69]
	s_mul_hi_u32 s70, s13, s66
	s_mul_hi_u32 s72, s13, s67
	s_wait_alu 0xfffe
	s_add_co_u32 s50, s68, s71
	s_add_co_ci_u32 s50, s69, s70
	s_mul_i32 s66, s13, s67
	s_add_co_ci_u32 s67, s72, 0
	s_wait_alu 0xfffe
	s_add_nc_u64 s[66:67], s[50:51], s[66:67]
	s_wait_alu 0xfffe
	s_add_co_u32 s12, s12, s66
	s_cselect_b32 s50, -1, 0
	s_wait_alu 0xfffe
	s_cmp_lg_u32 s50, 0
	s_add_co_ci_u32 s13, s13, s67
	s_wait_alu 0xfffe
	s_mul_u64 s[64:65], s[64:65], s[12:13]
	s_wait_alu 0xfffe
	s_mul_hi_u32 s67, s12, s65
	s_mul_i32 s66, s12, s65
	s_mul_hi_u32 s50, s12, s64
	s_mul_i32 s69, s13, s64
	s_wait_alu 0xfffe
	s_add_nc_u64 s[66:67], s[50:51], s[66:67]
	s_mul_hi_u32 s68, s13, s64
	s_mul_hi_u32 s70, s13, s65
	s_wait_alu 0xfffe
	s_add_co_u32 s50, s66, s69
	s_add_co_ci_u32 s50, s67, s68
	s_mul_i32 s64, s13, s65
	s_add_co_ci_u32 s65, s70, 0
	s_wait_alu 0xfffe
	s_add_nc_u64 s[64:65], s[50:51], s[64:65]
	s_wait_alu 0xfffe
	s_add_co_u32 s68, s12, s64
	s_cselect_b32 s12, -1, 0
	s_wait_alu 0xfffe
	s_cmp_lg_u32 s12, 0
	s_add_co_ci_u32 s69, s13, s65
	s_ashr_i32 s12, s55, 31
	s_wait_alu 0xfffe
	s_mov_b32 s13, s12
	s_wait_alu 0xfffe
	s_add_nc_u64 s[64:65], s[54:55], s[12:13]
	s_wait_alu 0xfffe
	s_xor_b64 s[64:65], s[64:65], s[12:13]
	s_wait_alu 0xfffe
	s_mul_hi_u32 s67, s64, s69
	s_mul_i32 s66, s64, s69
	s_mul_hi_u32 s50, s64, s68
	s_mul_i32 s72, s65, s68
	s_wait_alu 0xfffe
	s_add_nc_u64 s[66:67], s[50:51], s[66:67]
	s_mul_hi_u32 s71, s65, s68
	s_mul_hi_u32 s70, s65, s69
	s_wait_alu 0xfffe
	s_add_co_u32 s50, s66, s72
	s_add_co_ci_u32 s50, s67, s71
	s_mul_i32 s68, s65, s69
	s_add_co_ci_u32 s69, s70, 0
	s_wait_alu 0xfffe
	s_add_nc_u64 s[66:67], s[50:51], s[68:69]
	s_wait_alu 0xfffe
	s_mul_u64 s[66:67], s[6:7], s[66:67]
	s_wait_alu 0xfffe
	s_sub_co_u32 s50, s64, s66
	s_cselect_b32 s64, -1, 0
	s_sub_co_i32 s66, s65, s67
	s_wait_alu 0xfffe
	s_cmp_lg_u32 s64, 0
	s_sub_co_ci_u32 s66, s66, s7
	s_sub_co_u32 s68, s50, s6
	s_cselect_b32 s69, -1, 0
	s_wait_alu 0xfffe
	s_cmp_lg_u32 s69, 0
	s_sub_co_ci_u32 s70, s66, 0
	s_wait_alu 0xfffe
	s_cmp_ge_u32 s70, s7
	s_cselect_b32 s71, -1, 0
	s_cmp_ge_u32 s68, s6
	s_cselect_b32 s72, -1, 0
	s_cmp_eq_u32 s70, s7
	s_wait_alu 0xfffe
	s_cselect_b32 s71, s72, s71
	s_cmp_lg_u32 s69, 0
	s_sub_co_ci_u32 s66, s66, s7
	s_sub_co_u32 s69, s68, s6
	s_cselect_b32 s72, -1, 0
	s_wait_alu 0xfffe
	s_cmp_lg_u32 s72, 0
	s_sub_co_ci_u32 s66, s66, 0
	s_cmp_lg_u32 s71, 0
	s_cselect_b32 s68, s69, s68
	s_wait_alu 0xfffe
	s_cselect_b32 s66, s66, s70
	s_cmp_lg_u32 s64, 0
	s_sub_co_ci_u32 s64, s65, s67
	s_wait_alu 0xfffe
	s_cmp_ge_u32 s64, s7
	s_cselect_b32 s65, -1, 0
	s_cmp_ge_u32 s50, s6
	s_cselect_b32 s6, -1, 0
	s_cmp_eq_u32 s64, s7
	s_wait_alu 0xfffe
	s_cselect_b32 s6, s6, s65
	s_wait_alu 0xfffe
	s_cmp_lg_u32 s6, 0
	s_cselect_b32 s7, s66, s64
	s_cselect_b32 s6, s68, s50
	s_wait_alu 0xfffe
	s_xor_b64 s[6:7], s[6:7], s[12:13]
	s_wait_alu 0xfffe
	s_sub_nc_u64 s[6:7], s[6:7], s[12:13]
	s_cbranch_execnz .LBB36_221
.LBB36_220:                             ;   in Loop: Header=BB36_7 Depth=1
	v_cvt_f32_u32_e32 v4, s44
	s_sub_co_i32 s7, 0, s44
	s_delay_alu instid0(VALU_DEP_1) | instskip(NEXT) | instid1(TRANS32_DEP_1)
	v_rcp_iflag_f32_e32 v4, v4
	v_mul_f32_e32 v4, 0x4f7ffffe, v4
	s_delay_alu instid0(VALU_DEP_1) | instskip(NEXT) | instid1(VALU_DEP_1)
	v_cvt_u32_f32_e32 v4, v4
	v_readfirstlane_b32 s6, v4
	s_wait_alu 0xfffe
	s_mul_i32 s7, s7, s6
	s_wait_alu 0xfffe
	s_mul_hi_u32 s7, s6, s7
	s_wait_alu 0xfffe
	s_add_co_i32 s6, s6, s7
	s_wait_alu 0xfffe
	s_mul_hi_u32 s6, s54, s6
	s_wait_alu 0xfffe
	s_mul_i32 s6, s6, s44
	s_wait_alu 0xfffe
	s_sub_co_i32 s6, s54, s6
	s_wait_alu 0xfffe
	s_sub_co_i32 s7, s6, s44
	s_cmp_ge_u32 s6, s44
	s_wait_alu 0xfffe
	s_cselect_b32 s6, s7, s6
	s_wait_alu 0xfffe
	s_sub_co_i32 s7, s6, s44
	s_cmp_ge_u32 s6, s44
	s_wait_alu 0xfffe
	s_cselect_b32 s50, s7, s6
	s_wait_alu 0xfffe
	s_mov_b64 s[6:7], s[50:51]
.LBB36_221:                             ;   in Loop: Header=BB36_7 Depth=1
	s_wait_alu 0xfffe
	s_sub_nc_u64 s[12:13], s[54:55], s[6:7]
	s_mov_b32 s7, 0
	s_mov_b32 s64, 0
	s_mov_b32 s50, exec_lo
                                        ; implicit-def: $vgpr45
	s_wait_alu 0xfffe
	v_cmpx_gt_i64_e64 s[12:13], v[0:1]
	s_cbranch_execz .LBB36_232
; %bb.222:                              ;   in Loop: Header=BB36_7 Depth=1
	v_dual_mov_b32 v4, v12 :: v_dual_mov_b32 v5, v13
	v_dual_mov_b32 v9, v1 :: v_dual_mov_b32 v8, v0
                                        ; implicit-def: $sgpr65
	s_branch .LBB36_225
.LBB36_223:                             ;   in Loop: Header=BB36_225 Depth=2
	s_wait_alu 0xfffe
	s_or_b32 exec_lo, exec_lo, s6
	s_wait_loadcnt_dscnt 0x0
	s_barrier_signal -1
	s_barrier_wait -1
	global_inv scope:SCOPE_SE
	ds_load_b32 v10, v3 offset:3072
	s_mov_b32 s6, -1
	s_mov_b32 s66, -1
	s_wait_loadcnt_dscnt 0x0
	s_barrier_signal -1
	s_barrier_wait -1
	global_inv scope:SCOPE_SE
	v_and_b32_e32 v11, 0xffff, v10
	s_delay_alu instid0(VALU_DEP_1)
	v_cmp_ne_u32_e32 vcc_lo, 0, v11
	s_cbranch_vccz .LBB36_228
.LBB36_224:                             ;   in Loop: Header=BB36_225 Depth=2
	s_wait_alu 0xfffe
	s_and_b32 s6, exec_lo, s6
	s_wait_alu 0xfffe
	s_or_b32 s64, s6, s64
	s_and_not1_b32 s6, s65, exec_lo
	s_and_b32 s65, s66, exec_lo
	s_wait_alu 0xfffe
	s_or_b32 s65, s6, s65
	s_and_not1_b32 exec_lo, exec_lo, s64
	s_cbranch_execz .LBB36_231
.LBB36_225:                             ;   Parent Loop BB36_7 Depth=1
                                        ; =>  This Inner Loop Header: Depth=2
	s_mov_b32 s6, exec_lo
	s_delay_alu instid0(VALU_DEP_1)
	v_cmpx_gt_i64_e64 s[36:37], v[8:9]
	s_cbranch_execz .LBB36_223
; %bb.226:                              ;   in Loop: Header=BB36_225 Depth=2
	global_load_u16 v10, v[4:5], off
	s_wait_loadcnt 0x0
	v_bfe_i32 v11, v10, 0, 16
	s_delay_alu instid0(VALU_DEP_1) | instskip(NEXT) | instid1(VALU_DEP_1)
	v_add_nc_u32_e32 v11, 0x8000, v11
	v_and_b32_e32 v11, v11, v44
	s_delay_alu instid0(VALU_DEP_1)
	v_cmp_eq_u32_e32 vcc_lo, v11, v20
	s_and_b32 exec_lo, exec_lo, vcc_lo
	s_cbranch_execz .LBB36_223
; %bb.227:                              ;   in Loop: Header=BB36_225 Depth=2
	v_perm_b32 v10, v10, 1, 0x5040100
	ds_store_b32 v3, v10 offset:3072
	s_branch .LBB36_223
.LBB36_228:                             ;   in Loop: Header=BB36_225 Depth=2
	v_add_co_u32 v8, vcc_lo, v8, s44
	s_wait_alu 0xfffd
	v_add_co_ci_u32_e64 v9, null, 0, v9, vcc_lo
	v_add_co_u32 v4, s6, v4, s46
	s_wait_alu 0xf1fe
	v_add_co_ci_u32_e64 v5, null, s47, v5, s6
	s_delay_alu instid0(VALU_DEP_3)
	v_cmp_le_i64_e32 vcc_lo, s[12:13], v[8:9]
	s_mov_b32 s66, 0
	s_or_not1_b32 s6, vcc_lo, exec_lo
	s_branch .LBB36_224
.LBB36_229:                             ;   in Loop: Header=BB36_7 Depth=1
                                        ; implicit-def: $sgpr6_sgpr7
	s_branch .LBB36_175
.LBB36_230:                             ;   in Loop: Header=BB36_7 Depth=1
                                        ; implicit-def: $sgpr14_sgpr15
	s_branch .LBB36_191
.LBB36_231:                             ;   in Loop: Header=BB36_7 Depth=1
	s_or_b32 exec_lo, exec_lo, s64
	v_lshrrev_b32_e32 v45, 16, v10
	s_wait_alu 0xfffe
	s_and_b32 s64, s65, exec_lo
.LBB36_232:                             ;   in Loop: Header=BB36_7 Depth=1
	s_or_b32 exec_lo, exec_lo, s50
.LBB36_233:                             ;   in Loop: Header=BB36_7 Depth=1
	s_delay_alu instid0(SALU_CYCLE_1)
	s_and_b32 vcc_lo, exec_lo, s7
	s_wait_alu 0xfffe
	s_cbranch_vccz .LBB36_247
; %bb.234:                              ;   in Loop: Header=BB36_7 Depth=1
	s_add_nc_u64 s[6:7], s[10:11], s[52:53]
	s_mov_b32 s12, s51
	s_wait_alu 0xfffe
	s_mov_b32 s13, s7
	s_wait_alu 0xfffe
	s_cmp_lg_u64 s[12:13], 0
	s_cbranch_scc0 .LBB36_268
; %bb.235:                              ;   in Loop: Header=BB36_7 Depth=1
	s_add_nc_u64 s[12:13], s[44:45], 0
	s_wait_alu 0xfffe
	s_xor_b64 s[12:13], s[12:13], 0
	s_wait_alu 0xfffe
	s_cvt_f32_u32 s50, s12
	s_cvt_f32_u32 s62, s13
	s_sub_nc_u64 s[66:67], 0, s[12:13]
	s_wait_alu 0xfffe
	s_delay_alu instid0(SALU_CYCLE_1) | instskip(SKIP_1) | instid1(SALU_CYCLE_2)
	s_fmamk_f32 s50, s62, 0x4f800000, s50
	s_wait_alu 0xfffe
	v_s_rcp_f32 s50, s50
	s_delay_alu instid0(TRANS32_DEP_1) | instskip(SKIP_1) | instid1(SALU_CYCLE_2)
	s_mul_f32 s50, s50, 0x5f7ffffc
	s_wait_alu 0xfffe
	s_mul_f32 s62, s50, 0x2f800000
	s_wait_alu 0xfffe
	s_delay_alu instid0(SALU_CYCLE_2) | instskip(SKIP_1) | instid1(SALU_CYCLE_2)
	s_trunc_f32 s62, s62
	s_wait_alu 0xfffe
	s_fmamk_f32 s50, s62, 0xcf800000, s50
	s_cvt_u32_f32 s63, s62
	s_wait_alu 0xfffe
	s_delay_alu instid0(SALU_CYCLE_1) | instskip(SKIP_1) | instid1(SALU_CYCLE_2)
	s_cvt_u32_f32 s62, s50
	s_wait_alu 0xfffe
	s_mul_u64 s[68:69], s[66:67], s[62:63]
	s_wait_alu 0xfffe
	s_mul_hi_u32 s71, s62, s69
	s_mul_i32 s70, s62, s69
	s_mul_hi_u32 s50, s62, s68
	s_mul_i32 s72, s63, s68
	s_wait_alu 0xfffe
	s_add_nc_u64 s[70:71], s[50:51], s[70:71]
	s_mul_hi_u32 s65, s63, s68
	s_mul_hi_u32 s73, s63, s69
	s_wait_alu 0xfffe
	s_add_co_u32 s50, s70, s72
	s_add_co_ci_u32 s50, s71, s65
	s_mul_i32 s68, s63, s69
	s_add_co_ci_u32 s69, s73, 0
	s_wait_alu 0xfffe
	s_add_nc_u64 s[68:69], s[50:51], s[68:69]
	s_wait_alu 0xfffe
	s_add_co_u32 s62, s62, s68
	s_cselect_b32 s50, -1, 0
	s_wait_alu 0xfffe
	s_cmp_lg_u32 s50, 0
	s_add_co_ci_u32 s63, s63, s69
	s_wait_alu 0xfffe
	s_mul_u64 s[66:67], s[66:67], s[62:63]
	s_wait_alu 0xfffe
	s_mul_hi_u32 s69, s62, s67
	s_mul_i32 s68, s62, s67
	s_mul_hi_u32 s50, s62, s66
	s_mul_i32 s70, s63, s66
	s_wait_alu 0xfffe
	s_add_nc_u64 s[68:69], s[50:51], s[68:69]
	s_mul_hi_u32 s65, s63, s66
	s_mul_hi_u32 s71, s63, s67
	s_wait_alu 0xfffe
	s_add_co_u32 s50, s68, s70
	s_add_co_ci_u32 s50, s69, s65
	s_mul_i32 s66, s63, s67
	s_add_co_ci_u32 s67, s71, 0
	s_wait_alu 0xfffe
	s_add_nc_u64 s[66:67], s[50:51], s[66:67]
	s_wait_alu 0xfffe
	s_add_co_u32 s65, s62, s66
	s_cselect_b32 s50, -1, 0
	s_wait_alu 0xfffe
	s_cmp_lg_u32 s50, 0
	s_add_co_ci_u32 s70, s63, s67
	s_ashr_i32 s62, s7, 31
	s_wait_alu 0xfffe
	s_mov_b32 s63, s62
	s_wait_alu 0xfffe
	s_add_nc_u64 s[66:67], s[6:7], s[62:63]
	s_wait_alu 0xfffe
	s_xor_b64 s[66:67], s[66:67], s[62:63]
	s_wait_alu 0xfffe
	s_mul_hi_u32 s69, s66, s70
	s_mul_i32 s68, s66, s70
	s_mul_hi_u32 s50, s66, s65
	s_mul_hi_u32 s72, s67, s65
	s_mul_i32 s65, s67, s65
	s_wait_alu 0xfffe
	s_add_nc_u64 s[68:69], s[50:51], s[68:69]
	s_mul_hi_u32 s71, s67, s70
	s_wait_alu 0xfffe
	s_add_co_u32 s50, s68, s65
	s_add_co_ci_u32 s50, s69, s72
	s_mul_i32 s70, s67, s70
	s_add_co_ci_u32 s71, s71, 0
	s_wait_alu 0xfffe
	s_add_nc_u64 s[68:69], s[50:51], s[70:71]
	s_wait_alu 0xfffe
	s_mul_u64 s[68:69], s[12:13], s[68:69]
	s_wait_alu 0xfffe
	s_sub_co_u32 s50, s66, s68
	s_cselect_b32 s65, -1, 0
	s_sub_co_i32 s66, s67, s69
	s_wait_alu 0xfffe
	s_cmp_lg_u32 s65, 0
	s_sub_co_ci_u32 s66, s66, s13
	s_sub_co_u32 s68, s50, s12
	s_cselect_b32 s70, -1, 0
	s_wait_alu 0xfffe
	s_cmp_lg_u32 s70, 0
	s_sub_co_ci_u32 s71, s66, 0
	s_wait_alu 0xfffe
	s_cmp_ge_u32 s71, s13
	s_cselect_b32 s72, -1, 0
	s_cmp_ge_u32 s68, s12
	s_cselect_b32 s73, -1, 0
	s_cmp_eq_u32 s71, s13
	s_wait_alu 0xfffe
	s_cselect_b32 s72, s73, s72
	s_cmp_lg_u32 s70, 0
	s_sub_co_ci_u32 s66, s66, s13
	s_sub_co_u32 s70, s68, s12
	s_cselect_b32 s73, -1, 0
	s_wait_alu 0xfffe
	s_cmp_lg_u32 s73, 0
	s_sub_co_ci_u32 s66, s66, 0
	s_cmp_lg_u32 s72, 0
	s_cselect_b32 s68, s70, s68
	s_wait_alu 0xfffe
	s_cselect_b32 s66, s66, s71
	s_cmp_lg_u32 s65, 0
	s_sub_co_ci_u32 s65, s67, s69
	s_wait_alu 0xfffe
	s_cmp_ge_u32 s65, s13
	s_cselect_b32 s67, -1, 0
	s_cmp_ge_u32 s50, s12
	s_cselect_b32 s12, -1, 0
	s_cmp_eq_u32 s65, s13
	s_wait_alu 0xfffe
	s_cselect_b32 s12, s12, s67
	s_wait_alu 0xfffe
	s_cmp_lg_u32 s12, 0
	s_cselect_b32 s13, s66, s65
	s_cselect_b32 s12, s68, s50
	s_wait_alu 0xfffe
	s_xor_b64 s[12:13], s[12:13], s[62:63]
	s_wait_alu 0xfffe
	s_sub_nc_u64 s[12:13], s[12:13], s[62:63]
	s_cbranch_execnz .LBB36_237
.LBB36_236:                             ;   in Loop: Header=BB36_7 Depth=1
	v_cvt_f32_u32_e32 v4, s44
	s_sub_co_i32 s13, 0, s44
	s_delay_alu instid0(VALU_DEP_1) | instskip(NEXT) | instid1(TRANS32_DEP_1)
	v_rcp_iflag_f32_e32 v4, v4
	v_mul_f32_e32 v4, 0x4f7ffffe, v4
	s_delay_alu instid0(VALU_DEP_1) | instskip(NEXT) | instid1(VALU_DEP_1)
	v_cvt_u32_f32_e32 v4, v4
	v_readfirstlane_b32 s12, v4
	s_wait_alu 0xfffe
	s_mul_i32 s13, s13, s12
	s_wait_alu 0xfffe
	s_mul_hi_u32 s13, s12, s13
	s_wait_alu 0xfffe
	s_add_co_i32 s12, s12, s13
	s_wait_alu 0xfffe
	s_mul_hi_u32 s12, s6, s12
	s_wait_alu 0xfffe
	s_mul_i32 s12, s12, s44
	s_wait_alu 0xfffe
	s_sub_co_i32 s12, s6, s12
	s_wait_alu 0xfffe
	s_sub_co_i32 s13, s12, s44
	s_cmp_ge_u32 s12, s44
	s_wait_alu 0xfffe
	s_cselect_b32 s12, s13, s12
	s_wait_alu 0xfffe
	s_sub_co_i32 s13, s12, s44
	s_cmp_ge_u32 s12, s44
	s_wait_alu 0xfffe
	s_cselect_b32 s50, s13, s12
	s_wait_alu 0xfffe
	s_mov_b64 s[12:13], s[50:51]
.LBB36_237:                             ;   in Loop: Header=BB36_7 Depth=1
	s_wait_alu 0xfffe
	s_sub_nc_u64 s[6:7], s[6:7], s[12:13]
	s_mov_b32 s12, exec_lo
                                        ; implicit-def: $vgpr45
	s_wait_alu 0xfffe
	v_cmpx_gt_i64_e64 s[6:7], v[0:1]
	s_cbranch_execz .LBB36_246
; %bb.238:                              ;   in Loop: Header=BB36_7 Depth=1
	v_dual_mov_b32 v8, v33 :: v_dual_mov_b32 v5, v1
	v_mov_b32_e32 v4, v0
	s_mov_b32 s13, 0
                                        ; implicit-def: $sgpr50
	s_branch .LBB36_241
.LBB36_239:                             ;   in Loop: Header=BB36_241 Depth=2
	s_wait_alu 0xfffe
	s_or_b32 exec_lo, exec_lo, s62
	s_wait_loadcnt_dscnt 0x0
	s_barrier_signal -1
	s_barrier_wait -1
	global_inv scope:SCOPE_SE
	ds_load_b32 v9, v3 offset:3072
	s_mov_b32 s62, -1
	s_mov_b32 s63, -1
	s_wait_loadcnt_dscnt 0x0
	s_barrier_signal -1
	s_barrier_wait -1
	global_inv scope:SCOPE_SE
	v_and_b32_e32 v10, 0xffff, v9
	s_delay_alu instid0(VALU_DEP_1)
	v_cmp_eq_u32_e32 vcc_lo, 0, v10
	s_cbranch_vccnz .LBB36_244
.LBB36_240:                             ;   in Loop: Header=BB36_241 Depth=2
	s_wait_alu 0xfffe
	s_and_b32 s62, exec_lo, s62
	s_wait_alu 0xfffe
	s_or_b32 s13, s62, s13
	s_and_not1_b32 s50, s50, exec_lo
	s_and_b32 s62, s63, exec_lo
	s_wait_alu 0xfffe
	s_or_b32 s50, s50, s62
	s_and_not1_b32 exec_lo, exec_lo, s13
	s_cbranch_execz .LBB36_245
.LBB36_241:                             ;   Parent Loop BB36_7 Depth=1
                                        ; =>  This Inner Loop Header: Depth=2
	s_mov_b32 s62, exec_lo
	s_delay_alu instid0(VALU_DEP_1)
	v_cmpx_gt_u64_e64 s[10:11], v[4:5]
	s_cbranch_execz .LBB36_239
; %bb.242:                              ;   in Loop: Header=BB36_241 Depth=2
	ds_load_u16 v9, v8
	s_wait_dscnt 0x0
	v_bfe_i32 v10, v9, 0, 16
	s_delay_alu instid0(VALU_DEP_1) | instskip(NEXT) | instid1(VALU_DEP_1)
	v_add_nc_u32_e32 v10, 0x8000, v10
	v_and_b32_e32 v10, v10, v44
	s_delay_alu instid0(VALU_DEP_1)
	v_cmp_eq_u32_e32 vcc_lo, v10, v20
	s_and_b32 exec_lo, exec_lo, vcc_lo
	s_cbranch_execz .LBB36_239
; %bb.243:                              ;   in Loop: Header=BB36_241 Depth=2
	v_perm_b32 v9, v9, 1, 0x5040100
	ds_store_b32 v3, v9 offset:3072
	s_branch .LBB36_239
.LBB36_244:                             ;   in Loop: Header=BB36_241 Depth=2
	v_add_co_u32 v4, vcc_lo, v4, s44
	s_wait_alu 0xfffd
	v_add_co_ci_u32_e64 v5, null, 0, v5, vcc_lo
	v_add_nc_u32_e32 v8, s90, v8
	s_mov_b32 s63, 0
	s_delay_alu instid0(VALU_DEP_2)
	v_cmp_le_i64_e32 vcc_lo, s[6:7], v[4:5]
	s_or_not1_b32 s62, vcc_lo, exec_lo
	s_branch .LBB36_240
.LBB36_245:                             ;   in Loop: Header=BB36_7 Depth=1
	s_or_b32 exec_lo, exec_lo, s13
	v_lshrrev_b32_e32 v45, 16, v9
	s_and_not1_b32 s6, s64, exec_lo
	s_wait_alu 0xfffe
	s_and_b32 s7, s50, exec_lo
	s_wait_alu 0xfffe
	s_or_b32 s64, s6, s7
.LBB36_246:                             ;   in Loop: Header=BB36_7 Depth=1
	s_or_b32 exec_lo, exec_lo, s12
	s_mov_b32 s62, 0
	s_mov_b32 s63, -1
.LBB36_247:                             ;   in Loop: Header=BB36_7 Depth=1
	s_wait_alu 0xfffe
	s_or_not1_b32 s7, s64, exec_lo
.LBB36_248:                             ;   in Loop: Header=BB36_7 Depth=1
	s_wait_alu 0xfffe
	s_or_b32 exec_lo, exec_lo, s61
	s_mov_b32 s10, 0
	s_and_saveexec_b32 s6, s7
	s_cbranch_execz .LBB36_259
; %bb.249:                              ;   in Loop: Header=BB36_7 Depth=1
	v_mov_b32_e32 v4, 1
	v_dual_mov_b32 v5, 0 :: v_dual_mov_b32 v2, 1
	s_xor_b32 s10, s20, -1
	s_wait_alu 0xfffe
	s_and_saveexec_b32 s7, s10
	s_cbranch_execz .LBB36_258
; %bb.250:                              ;   in Loop: Header=BB36_7 Depth=1
	s_mov_b32 s10, exec_lo
	v_cmpx_ge_i64_e64 s[8:9], v[6:7]
	s_wait_alu 0xfffe
	s_xor_b32 s10, exec_lo, s10
	s_cbranch_execz .LBB36_255
; %bb.251:                              ;   in Loop: Header=BB36_7 Depth=1
	ds_load_b64 v[4:5], v3 offset:5120
	v_or_b32_e32 v20, s16, v20
	v_or_b32_e32 v44, s16, v44
	s_wait_dscnt 0x0
	v_cmp_ne_u64_e32 vcc_lo, 0, v[4:5]
	s_cbranch_vccnz .LBB36_255
; %bb.252:                              ;   in Loop: Header=BB36_7 Depth=1
	s_and_saveexec_b32 s11, s2
; %bb.253:                              ;   in Loop: Header=BB36_7 Depth=1
	v_dual_mov_b32 v4, s8 :: v_dual_mov_b32 v5, s9
	ds_store_b64 v3, v[4:5] offset:5128
; %bb.254:                              ;   in Loop: Header=BB36_7 Depth=1
	s_wait_alu 0xfffe
	s_or_b32 exec_lo, exec_lo, s11
	s_wait_loadcnt_dscnt 0x0
	s_barrier_signal -1
	s_barrier_wait -1
	global_inv scope:SCOPE_SE
.LBB36_255:                             ;   in Loop: Header=BB36_7 Depth=1
	s_wait_alu 0xfffe
	s_and_not1_saveexec_b32 s10, s10
; %bb.256:                              ;   in Loop: Header=BB36_7 Depth=1
	v_sub_co_u32 v6, vcc_lo, v6, s8
	s_wait_alu 0xfffd
	v_subrev_co_ci_u32_e64 v7, null, s9, v7, vcc_lo
; %bb.257:                              ;   in Loop: Header=BB36_7 Depth=1
	s_wait_alu 0xfffe
	s_or_b32 exec_lo, exec_lo, s10
	v_mov_b32_e32 v4, v6
	s_delay_alu instid0(VALU_DEP_2)
	v_dual_mov_b32 v2, 8 :: v_dual_mov_b32 v5, v7
.LBB36_258:                             ;   in Loop: Header=BB36_7 Depth=1
	s_wait_alu 0xfffe
	s_or_b32 exec_lo, exec_lo, s7
	s_delay_alu instid0(VALU_DEP_1)
	v_dual_mov_b32 v7, v5 :: v_dual_mov_b32 v6, v4
	s_mov_b32 s10, exec_lo
.LBB36_259:                             ;   in Loop: Header=BB36_7 Depth=1
	s_wait_alu 0xfffe
	s_or_b32 exec_lo, exec_lo, s6
	s_delay_alu instid0(SALU_CYCLE_1)
	s_or_not1_b32 s6, s10, exec_lo
.LBB36_260:                             ;   in Loop: Header=BB36_7 Depth=1
	s_wait_alu 0xfffe
	s_or_b32 exec_lo, exec_lo, s15
	v_dual_mov_b32 v4, v6 :: v_dual_mov_b32 v5, v7
	s_and_not1_b32 s7, s60, exec_lo
	s_and_b32 s8, s63, exec_lo
	s_and_not1_b32 s9, s25, exec_lo
	s_and_b32 s10, s62, exec_lo
	s_wait_alu 0xfffe
	s_or_b32 s60, s7, s8
	s_or_b32 s25, s9, s10
	s_and_b32 s7, s6, exec_lo
.LBB36_261:                             ;   in Loop: Header=BB36_7 Depth=1
	s_wait_alu 0xfffe
	s_or_b32 exec_lo, exec_lo, s14
	s_delay_alu instid0(SALU_CYCLE_1)
	s_or_not1_b32 s6, s7, exec_lo
.LBB36_262:                             ;   in Loop: Header=BB36_7 Depth=1
	s_wait_alu 0xfffe
	s_or_b32 exec_lo, exec_lo, s24
	v_dual_mov_b32 v9, v5 :: v_dual_mov_b32 v8, v4
	s_and_not1_b32 s7, s22, exec_lo
	s_and_b32 s8, s60, exec_lo
	s_and_not1_b32 s9, s21, exec_lo
	s_and_b32 s10, s25, exec_lo
	s_wait_alu 0xfffe
	s_or_b32 s22, s7, s8
	s_or_b32 s21, s9, s10
	s_and_b32 s7, s6, exec_lo
.LBB36_263:                             ;   in Loop: Header=BB36_7 Depth=1
	s_or_b32 exec_lo, exec_lo, s23
	s_wait_alu 0xfffe
	s_or_not1_b32 s6, s7, exec_lo
.LBB36_264:                             ;   in Loop: Header=BB36_7 Depth=1
	s_or_b32 exec_lo, exec_lo, s19
	s_mov_b32 s7, 0
	s_wait_alu 0xfffe
	s_and_saveexec_b32 s8, s6
	s_wait_alu 0xfffe
	s_xor_b32 s6, exec_lo, s8
	s_cbranch_execz .LBB36_5
; %bb.265:                              ;   in Loop: Header=BB36_7 Depth=1
	v_and_b32_e32 v2, 7, v2
	s_mov_b32 s8, -1
	s_mov_b32 s7, -1
	s_mov_b32 s9, exec_lo
	s_delay_alu instid0(VALU_DEP_1)
	v_cmpx_eq_u32_e32 0, v2
	s_cbranch_execz .LBB36_4
; %bb.266:                              ;   in Loop: Header=BB36_7 Depth=1
	s_xor_b32 s93, s93, 1
	s_add_co_i32 s10, s91, -2
	s_cmp_eq_u32 s91, 0
	s_wait_alu 0xfffe
	s_mov_b32 s91, s10
	s_cselect_b32 s8, -1, 0
	s_xor_b32 s7, exec_lo, -1
	s_wait_alu 0xfffe
	s_or_not1_b32 s8, s8, exec_lo
	s_branch .LBB36_4
.LBB36_267:                             ;   in Loop: Header=BB36_7 Depth=1
                                        ; implicit-def: $sgpr6_sgpr7
	s_branch .LBB36_220
.LBB36_268:                             ;   in Loop: Header=BB36_7 Depth=1
                                        ; implicit-def: $sgpr12_sgpr13
	s_branch .LBB36_236
.LBB36_269:
	s_or_b32 exec_lo, exec_lo, s92
	s_xor_b32 s5, s99, -1
	s_xor_b32 s1, s97, -1
	;; [unrolled: 1-line block ×3, first 2 shown]
	s_mov_b32 s3, 0
	s_and_saveexec_b32 s6, s1
	s_wait_alu 0xfffe
	s_xor_b32 s1, exec_lo, s6
	s_cbranch_execnz .LBB36_274
; %bb.270:
	s_and_not1_saveexec_b32 s0, s1
	s_cbranch_execnz .LBB36_296
.LBB36_271:
	s_wait_alu 0xfffe
	s_or_b32 exec_lo, exec_lo, s0
	s_and_saveexec_b32 s0, s3
.LBB36_272:
	; divergent unreachable
.LBB36_273:
	s_endpgm
.LBB36_274:
	s_and_saveexec_b32 s3, s5
	s_delay_alu instid0(SALU_CYCLE_1)
	s_xor_b32 s3, exec_lo, s3
	s_cbranch_execz .LBB36_294
; %bb.275:
	s_and_saveexec_b32 s5, s4
	s_delay_alu instid0(SALU_CYCLE_1)
	s_xor_b32 s4, exec_lo, s5
; %bb.276:
	v_xor_b32_e32 v45, 0xffff8000, v20
; %bb.277:
	s_or_b32 exec_lo, exec_lo, s4
	s_and_saveexec_b32 s4, s2
; %bb.278:
	v_dual_mov_b32 v2, 0 :: v_dual_mov_b32 v3, s36
	ds_store_b32 v2, v3 offset:5140
; %bb.279:
	s_or_b32 exec_lo, exec_lo, s4
	s_wait_loadcnt_dscnt 0x0
	s_barrier_signal -1
	s_barrier_wait -1
	global_inv scope:SCOPE_SE
	s_and_saveexec_b32 s4, s0
	s_cbranch_execz .LBB36_291
; %bb.280:
	v_mov_b32_e32 v2, 0
	s_mov_b32 s5, 0
                                        ; implicit-def: $sgpr6
                                        ; implicit-def: $sgpr7
                                        ; implicit-def: $sgpr8
	ds_load_b32 v4, v2 offset:5140
	s_wait_dscnt 0x0
	v_ashrrev_i32_e32 v5, 31, v4
	s_branch .LBB36_283
.LBB36_281:                             ;   in Loop: Header=BB36_283 Depth=1
	s_wait_alu 0xfffe
	s_or_b32 exec_lo, exec_lo, s11
	s_delay_alu instid0(SALU_CYCLE_1)
	s_and_not1_b32 s8, s8, exec_lo
	s_and_b32 s10, s10, exec_lo
	s_and_not1_b32 s7, s7, exec_lo
	s_and_b32 s0, s0, exec_lo
	s_wait_alu 0xfffe
	s_or_b32 s8, s8, s10
	s_or_b32 s7, s7, s0
.LBB36_282:                             ;   in Loop: Header=BB36_283 Depth=1
	s_wait_alu 0xfffe
	s_or_b32 exec_lo, exec_lo, s9
	s_delay_alu instid0(SALU_CYCLE_1)
	s_and_b32 s0, exec_lo, s7
	s_wait_alu 0xfffe
	s_or_b32 s5, s0, s5
	s_and_not1_b32 s0, s6, exec_lo
	s_and_b32 s6, s8, exec_lo
	s_wait_alu 0xfffe
	s_or_b32 s6, s0, s6
	s_and_not1_b32 exec_lo, exec_lo, s5
	s_cbranch_execz .LBB36_286
.LBB36_283:                             ; =>This Inner Loop Header: Depth=1
	v_dual_mov_b32 v3, v1 :: v_dual_mov_b32 v2, v0
	s_or_b32 s8, s8, exec_lo
	s_or_b32 s7, s7, exec_lo
	s_mov_b32 s9, exec_lo
                                        ; implicit-def: $vgpr0_vgpr1
	s_delay_alu instid0(VALU_DEP_1)
	v_cmpx_lt_i64_e64 v[2:3], v[4:5]
	s_cbranch_execz .LBB36_282
; %bb.284:                              ;   in Loop: Header=BB36_283 Depth=1
	global_load_u16 v0, v[12:13], off
	s_mov_b32 s0, -1
	s_mov_b32 s10, 0
	s_wait_loadcnt 0x0
	v_cmp_ne_u16_e32 vcc_lo, v0, v45
                                        ; implicit-def: $vgpr0_vgpr1
	s_and_saveexec_b32 s11, vcc_lo
	s_cbranch_execz .LBB36_281
; %bb.285:                              ;   in Loop: Header=BB36_283 Depth=1
	v_add_co_u32 v0, vcc_lo, v2, s44
	s_wait_alu 0xfffd
	v_add_co_ci_u32_e64 v1, null, 0, v3, vcc_lo
	v_add_co_u32 v12, s0, v12, s46
	s_wait_alu 0xf1fe
	v_add_co_ci_u32_e64 v13, null, s47, v13, s0
	s_delay_alu instid0(VALU_DEP_3)
	v_cmp_le_i64_e32 vcc_lo, s[36:37], v[0:1]
	s_mov_b32 s10, exec_lo
	s_or_not1_b32 s0, vcc_lo, exec_lo
	s_branch .LBB36_281
.LBB36_286:
	s_or_b32 exec_lo, exec_lo, s5
	s_wait_alu 0xfffe
	s_xor_b32 s0, s6, -1
	s_wait_alu 0xfffe
	s_and_saveexec_b32 s5, s0
	s_delay_alu instid0(SALU_CYCLE_1)
	s_xor_b32 s5, exec_lo, s5
	s_cbranch_execz .LBB36_291
; %bb.287:
	s_mov_b32 s5, exec_lo
	s_brev_b32 s0, -2
.LBB36_288:                             ; =>This Inner Loop Header: Depth=1
	s_ctz_i32_b32 s6, s5
	s_wait_alu 0xfffe
	v_readlane_b32 s7, v2, s6
	s_lshl_b32 s6, 1, s6
	s_wait_alu 0xfffe
	s_and_not1_b32 s5, s5, s6
	s_min_i32 s0, s0, s7
	s_cmp_lg_u32 s5, 0
	s_cbranch_scc1 .LBB36_288
; %bb.289:
	v_mbcnt_lo_u32_b32 v0, exec_lo, 0
	s_mov_b32 s5, exec_lo
	s_delay_alu instid0(VALU_DEP_1)
	v_cmpx_eq_u32_e32 0, v0
	s_xor_b32 s5, exec_lo, s5
; %bb.290:
	s_wait_alu 0xfffe
	v_dual_mov_b32 v0, 0 :: v_dual_mov_b32 v1, s0
	ds_min_i32 v0, v1 offset:5140
.LBB36_291:
	s_or_b32 exec_lo, exec_lo, s4
	s_wait_loadcnt_dscnt 0x0
	s_barrier_signal -1
	s_barrier_wait -1
	global_inv scope:SCOPE_SE
	s_and_saveexec_b32 s0, s2
	s_cbranch_execz .LBB36_293
; %bb.292:
	v_mov_b32_e32 v2, 0
	s_mul_u64 s[6:7], s[34:35], s[26:27]
	s_mul_u64 s[4:5], s[40:41], s[26:27]
	s_wait_alu 0xfffe
	s_lshl_b64 s[6:7], s[6:7], 3
	s_lshl_b64 s[4:5], s[4:5], 1
	ds_load_b32 v0, v2 offset:5140
	s_wait_alu 0xfffe
	s_add_nc_u64 s[6:7], s[28:29], s[6:7]
	s_add_nc_u64 s[4:5], s[30:31], s[4:5]
	s_wait_dscnt 0x0
	v_ashrrev_i32_e32 v1, 31, v0
	s_clause 0x1
	global_store_b64 v2, v[0:1], s[6:7]
	global_store_b16 v2, v45, s[4:5]
.LBB36_293:
	s_wait_alu 0xfffe
	s_or_b32 exec_lo, exec_lo, s0
.LBB36_294:
	s_or_saveexec_b32 s0, s3
	s_mov_b32 s2, 0
	s_wait_alu 0xfffe
	s_xor_b32 exec_lo, exec_lo, s0
	s_cbranch_execnz .LBB36_297
.LBB36_295:
	s_or_b32 exec_lo, exec_lo, s0
	s_delay_alu instid0(SALU_CYCLE_1)
	s_and_b32 s3, s2, exec_lo
	s_and_not1_saveexec_b32 s0, s1
	s_cbranch_execz .LBB36_271
.LBB36_296:
	s_or_b32 s3, s3, exec_lo
	s_trap 2
	s_wait_alu 0xfffe
	s_or_b32 exec_lo, exec_lo, s0
	s_and_saveexec_b32 s0, s3
	s_cbranch_execnz .LBB36_272
	s_branch .LBB36_273
.LBB36_297:
	s_mov_b32 s2, exec_lo
	s_trap 2
	s_branch .LBB36_295
	.section	.rodata,"a",@progbits
	.p2align	6, 0x0
	.amdhsa_kernel _ZN2at6native12_GLOBAL__N_114gatherKthValueIslLi1EEEvNS_4cuda6detail10TensorInfoIKT_T0_EES8_S8_S8_S8_NS5_IS6_S8_EENS5_IlS8_EE
		.amdhsa_group_segment_fixed_size 5144
		.amdhsa_private_segment_fixed_size 0
		.amdhsa_kernarg_size 1536
		.amdhsa_user_sgpr_count 2
		.amdhsa_user_sgpr_dispatch_ptr 0
		.amdhsa_user_sgpr_queue_ptr 0
		.amdhsa_user_sgpr_kernarg_segment_ptr 1
		.amdhsa_user_sgpr_dispatch_id 0
		.amdhsa_user_sgpr_private_segment_size 0
		.amdhsa_wavefront_size32 1
		.amdhsa_uses_dynamic_stack 0
		.amdhsa_enable_private_segment 0
		.amdhsa_system_sgpr_workgroup_id_x 1
		.amdhsa_system_sgpr_workgroup_id_y 1
		.amdhsa_system_sgpr_workgroup_id_z 1
		.amdhsa_system_sgpr_workgroup_info 0
		.amdhsa_system_vgpr_workitem_id 0
		.amdhsa_next_free_vgpr 55
		.amdhsa_next_free_sgpr 100
		.amdhsa_reserve_vcc 1
		.amdhsa_float_round_mode_32 0
		.amdhsa_float_round_mode_16_64 0
		.amdhsa_float_denorm_mode_32 3
		.amdhsa_float_denorm_mode_16_64 3
		.amdhsa_fp16_overflow 0
		.amdhsa_workgroup_processor_mode 1
		.amdhsa_memory_ordered 1
		.amdhsa_forward_progress 1
		.amdhsa_inst_pref_size 151
		.amdhsa_round_robin_scheduling 0
		.amdhsa_exception_fp_ieee_invalid_op 0
		.amdhsa_exception_fp_denorm_src 0
		.amdhsa_exception_fp_ieee_div_zero 0
		.amdhsa_exception_fp_ieee_overflow 0
		.amdhsa_exception_fp_ieee_underflow 0
		.amdhsa_exception_fp_ieee_inexact 0
		.amdhsa_exception_int_div_zero 0
	.end_amdhsa_kernel
	.section	.text._ZN2at6native12_GLOBAL__N_114gatherKthValueIslLi1EEEvNS_4cuda6detail10TensorInfoIKT_T0_EES8_S8_S8_S8_NS5_IS6_S8_EENS5_IlS8_EE,"axG",@progbits,_ZN2at6native12_GLOBAL__N_114gatherKthValueIslLi1EEEvNS_4cuda6detail10TensorInfoIKT_T0_EES8_S8_S8_S8_NS5_IS6_S8_EENS5_IlS8_EE,comdat
.Lfunc_end36:
	.size	_ZN2at6native12_GLOBAL__N_114gatherKthValueIslLi1EEEvNS_4cuda6detail10TensorInfoIKT_T0_EES8_S8_S8_S8_NS5_IS6_S8_EENS5_IlS8_EE, .Lfunc_end36-_ZN2at6native12_GLOBAL__N_114gatherKthValueIslLi1EEEvNS_4cuda6detail10TensorInfoIKT_T0_EES8_S8_S8_S8_NS5_IS6_S8_EENS5_IlS8_EE
                                        ; -- End function
	.set _ZN2at6native12_GLOBAL__N_114gatherKthValueIslLi1EEEvNS_4cuda6detail10TensorInfoIKT_T0_EES8_S8_S8_S8_NS5_IS6_S8_EENS5_IlS8_EE.num_vgpr, 55
	.set _ZN2at6native12_GLOBAL__N_114gatherKthValueIslLi1EEEvNS_4cuda6detail10TensorInfoIKT_T0_EES8_S8_S8_S8_NS5_IS6_S8_EENS5_IlS8_EE.num_agpr, 0
	.set _ZN2at6native12_GLOBAL__N_114gatherKthValueIslLi1EEEvNS_4cuda6detail10TensorInfoIKT_T0_EES8_S8_S8_S8_NS5_IS6_S8_EENS5_IlS8_EE.numbered_sgpr, 100
	.set _ZN2at6native12_GLOBAL__N_114gatherKthValueIslLi1EEEvNS_4cuda6detail10TensorInfoIKT_T0_EES8_S8_S8_S8_NS5_IS6_S8_EENS5_IlS8_EE.num_named_barrier, 0
	.set _ZN2at6native12_GLOBAL__N_114gatherKthValueIslLi1EEEvNS_4cuda6detail10TensorInfoIKT_T0_EES8_S8_S8_S8_NS5_IS6_S8_EENS5_IlS8_EE.private_seg_size, 0
	.set _ZN2at6native12_GLOBAL__N_114gatherKthValueIslLi1EEEvNS_4cuda6detail10TensorInfoIKT_T0_EES8_S8_S8_S8_NS5_IS6_S8_EENS5_IlS8_EE.uses_vcc, 1
	.set _ZN2at6native12_GLOBAL__N_114gatherKthValueIslLi1EEEvNS_4cuda6detail10TensorInfoIKT_T0_EES8_S8_S8_S8_NS5_IS6_S8_EENS5_IlS8_EE.uses_flat_scratch, 0
	.set _ZN2at6native12_GLOBAL__N_114gatherKthValueIslLi1EEEvNS_4cuda6detail10TensorInfoIKT_T0_EES8_S8_S8_S8_NS5_IS6_S8_EENS5_IlS8_EE.has_dyn_sized_stack, 0
	.set _ZN2at6native12_GLOBAL__N_114gatherKthValueIslLi1EEEvNS_4cuda6detail10TensorInfoIKT_T0_EES8_S8_S8_S8_NS5_IS6_S8_EENS5_IlS8_EE.has_recursion, 0
	.set _ZN2at6native12_GLOBAL__N_114gatherKthValueIslLi1EEEvNS_4cuda6detail10TensorInfoIKT_T0_EES8_S8_S8_S8_NS5_IS6_S8_EENS5_IlS8_EE.has_indirect_call, 0
	.section	.AMDGPU.csdata,"",@progbits
; Kernel info:
; codeLenInByte = 19244
; TotalNumSgprs: 102
; NumVgprs: 55
; ScratchSize: 0
; MemoryBound: 0
; FloatMode: 240
; IeeeMode: 1
; LDSByteSize: 5144 bytes/workgroup (compile time only)
; SGPRBlocks: 0
; VGPRBlocks: 6
; NumSGPRsForWavesPerEU: 102
; NumVGPRsForWavesPerEU: 55
; Occupancy: 16
; WaveLimiterHint : 1
; COMPUTE_PGM_RSRC2:SCRATCH_EN: 0
; COMPUTE_PGM_RSRC2:USER_SGPR: 2
; COMPUTE_PGM_RSRC2:TRAP_HANDLER: 0
; COMPUTE_PGM_RSRC2:TGID_X_EN: 1
; COMPUTE_PGM_RSRC2:TGID_Y_EN: 1
; COMPUTE_PGM_RSRC2:TGID_Z_EN: 1
; COMPUTE_PGM_RSRC2:TIDIG_COMP_CNT: 0
	.section	.text._ZN2at6native12_GLOBAL__N_114gatherKthValueIslLi2EEEvNS_4cuda6detail10TensorInfoIKT_T0_EES8_S8_S8_S8_NS5_IS6_S8_EENS5_IlS8_EE,"axG",@progbits,_ZN2at6native12_GLOBAL__N_114gatherKthValueIslLi2EEEvNS_4cuda6detail10TensorInfoIKT_T0_EES8_S8_S8_S8_NS5_IS6_S8_EENS5_IlS8_EE,comdat
	.globl	_ZN2at6native12_GLOBAL__N_114gatherKthValueIslLi2EEEvNS_4cuda6detail10TensorInfoIKT_T0_EES8_S8_S8_S8_NS5_IS6_S8_EENS5_IlS8_EE ; -- Begin function _ZN2at6native12_GLOBAL__N_114gatherKthValueIslLi2EEEvNS_4cuda6detail10TensorInfoIKT_T0_EES8_S8_S8_S8_NS5_IS6_S8_EENS5_IlS8_EE
	.p2align	8
	.type	_ZN2at6native12_GLOBAL__N_114gatherKthValueIslLi2EEEvNS_4cuda6detail10TensorInfoIKT_T0_EES8_S8_S8_S8_NS5_IS6_S8_EENS5_IlS8_EE,@function
_ZN2at6native12_GLOBAL__N_114gatherKthValueIslLi2EEEvNS_4cuda6detail10TensorInfoIKT_T0_EES8_S8_S8_S8_NS5_IS6_S8_EENS5_IlS8_EE: ; @_ZN2at6native12_GLOBAL__N_114gatherKthValueIslLi2EEEvNS_4cuda6detail10TensorInfoIKT_T0_EES8_S8_S8_S8_NS5_IS6_S8_EENS5_IlS8_EE
; %bb.0:
	s_clause 0x1
	s_load_b64 s[8:9], s[0:1], 0x500
	s_load_b256 s[36:43], s[0:1], 0x1a0
	s_lshr_b32 s2, ttmp7, 16
	s_and_b32 s3, ttmp7, 0xffff
	s_mov_b32 s27, 0
	s_wait_kmcnt 0x0
	s_mul_i32 s2, s9, s2
	s_delay_alu instid0(SALU_CYCLE_1) | instskip(NEXT) | instid1(SALU_CYCLE_1)
	s_add_co_i32 s2, s2, s3
	s_mul_i32 s2, s2, s8
	s_delay_alu instid0(SALU_CYCLE_1) | instskip(NEXT) | instid1(SALU_CYCLE_1)
	s_add_co_i32 s26, s2, ttmp9
	v_cmp_le_i64_e64 s2, s[40:41], s[26:27]
	s_and_b32 vcc_lo, exec_lo, s2
	s_cbranch_vccnz .LBB37_282
; %bb.1:
	s_clause 0x1
	s_load_b64 s[10:11], s[0:1], 0x10
	s_load_b64 s[34:35], s[0:1], 0x1d0
	s_mov_b32 s2, s27
	s_wait_kmcnt 0x0
	s_mov_b32 s3, s11
	s_delay_alu instid0(SALU_CYCLE_1)
	s_cmp_lg_u64 s[2:3], 0
	s_add_nc_u64 s[2:3], s[26:27], 0
	s_cbranch_scc0 .LBB37_295
; %bb.2:
	s_ashr_i32 s4, s11, 31
	s_mov_b32 s15, 0
	s_mov_b32 s5, s4
	s_delay_alu instid0(SALU_CYCLE_1) | instskip(NEXT) | instid1(SALU_CYCLE_1)
	s_add_nc_u64 s[6:7], s[10:11], s[4:5]
	s_xor_b64 s[6:7], s[6:7], s[4:5]
	s_delay_alu instid0(SALU_CYCLE_1) | instskip(SKIP_2) | instid1(SALU_CYCLE_2)
	s_cvt_f32_u32 s9, s6
	s_cvt_f32_u32 s12, s7
	s_sub_nc_u64 s[16:17], 0, s[6:7]
	s_fmamk_f32 s9, s12, 0x4f800000, s9
	s_delay_alu instid0(SALU_CYCLE_3) | instskip(NEXT) | instid1(TRANS32_DEP_1)
	v_s_rcp_f32 s9, s9
	s_mul_f32 s9, s9, 0x5f7ffffc
	s_wait_alu 0xfffe
	s_delay_alu instid0(SALU_CYCLE_2) | instskip(NEXT) | instid1(SALU_CYCLE_3)
	s_mul_f32 s12, s9, 0x2f800000
	s_trunc_f32 s12, s12
	s_delay_alu instid0(SALU_CYCLE_3) | instskip(SKIP_2) | instid1(SALU_CYCLE_1)
	s_fmamk_f32 s9, s12, 0xcf800000, s9
	s_cvt_u32_f32 s13, s12
	s_wait_alu 0xfffe
	s_cvt_u32_f32 s12, s9
	s_delay_alu instid0(SALU_CYCLE_3) | instskip(NEXT) | instid1(SALU_CYCLE_1)
	s_mul_u64 s[18:19], s[16:17], s[12:13]
	s_mul_hi_u32 s21, s12, s19
	s_mul_i32 s20, s12, s19
	s_mul_hi_u32 s14, s12, s18
	s_mul_i32 s22, s13, s18
	s_add_nc_u64 s[20:21], s[14:15], s[20:21]
	s_mul_hi_u32 s9, s13, s18
	s_mul_hi_u32 s23, s13, s19
	s_add_co_u32 s14, s20, s22
	s_wait_alu 0xfffe
	s_add_co_ci_u32 s14, s21, s9
	s_mul_i32 s18, s13, s19
	s_add_co_ci_u32 s19, s23, 0
	s_delay_alu instid0(SALU_CYCLE_1) | instskip(NEXT) | instid1(SALU_CYCLE_1)
	s_add_nc_u64 s[18:19], s[14:15], s[18:19]
	s_add_co_u32 s12, s12, s18
	s_cselect_b32 s9, -1, 0
	s_wait_alu 0xfffe
	s_cmp_lg_u32 s9, 0
	s_add_co_ci_u32 s13, s13, s19
	s_delay_alu instid0(SALU_CYCLE_1) | instskip(NEXT) | instid1(SALU_CYCLE_1)
	s_mul_u64 s[16:17], s[16:17], s[12:13]
	s_mul_hi_u32 s19, s12, s17
	s_mul_i32 s18, s12, s17
	s_mul_hi_u32 s14, s12, s16
	s_mul_i32 s20, s13, s16
	s_add_nc_u64 s[18:19], s[14:15], s[18:19]
	s_mul_hi_u32 s9, s13, s16
	s_mul_hi_u32 s21, s13, s17
	s_add_co_u32 s14, s18, s20
	s_wait_alu 0xfffe
	s_add_co_ci_u32 s14, s19, s9
	s_mul_i32 s16, s13, s17
	s_add_co_ci_u32 s17, s21, 0
	s_delay_alu instid0(SALU_CYCLE_1) | instskip(NEXT) | instid1(SALU_CYCLE_1)
	s_add_nc_u64 s[16:17], s[14:15], s[16:17]
	s_add_co_u32 s9, s12, s16
	s_cselect_b32 s12, -1, 0
	s_delay_alu instid0(SALU_CYCLE_1) | instskip(SKIP_2) | instid1(SALU_CYCLE_1)
	s_cmp_lg_u32 s12, 0
	s_add_co_ci_u32 s18, s13, s17
	s_xor_b64 s[12:13], s[2:3], 0
	s_mul_hi_u32 s17, s12, s18
	s_mul_i32 s16, s12, s18
	s_wait_alu 0xfffe
	s_mul_hi_u32 s14, s12, s9
	s_mul_hi_u32 s20, s13, s9
	s_mul_i32 s9, s13, s9
	s_add_nc_u64 s[16:17], s[14:15], s[16:17]
	s_mul_hi_u32 s19, s13, s18
	s_wait_alu 0xfffe
	s_add_co_u32 s9, s16, s9
	s_add_co_ci_u32 s14, s17, s20
	s_mul_i32 s18, s13, s18
	s_add_co_ci_u32 s19, s19, 0
	s_delay_alu instid0(SALU_CYCLE_1) | instskip(NEXT) | instid1(SALU_CYCLE_1)
	s_add_nc_u64 s[16:17], s[14:15], s[18:19]
	s_mul_u64 s[18:19], s[6:7], s[16:17]
	s_delay_alu instid0(SALU_CYCLE_1)
	s_sub_co_u32 s9, s12, s18
	s_cselect_b32 s12, -1, 0
	s_sub_co_i32 s14, s13, s19
	s_cmp_lg_u32 s12, 0
	s_sub_co_ci_u32 s14, s14, s7
	s_wait_alu 0xfffe
	s_sub_co_u32 s18, s9, s6
	s_cselect_b32 s20, -1, 0
	s_delay_alu instid0(SALU_CYCLE_1) | instskip(SKIP_2) | instid1(SALU_CYCLE_1)
	s_cmp_lg_u32 s20, 0
	s_add_nc_u64 s[20:21], s[16:17], 1
	s_sub_co_ci_u32 s14, s14, 0
	s_cmp_ge_u32 s14, s7
	s_cselect_b32 s22, -1, 0
	s_cmp_ge_u32 s18, s6
	s_cselect_b32 s18, -1, 0
	s_cmp_eq_u32 s14, s7
	s_cselect_b32 s14, s18, s22
	s_add_nc_u64 s[22:23], s[16:17], 2
	s_cmp_lg_u32 s14, 0
	s_cselect_b32 s14, s22, s20
	s_cselect_b32 s18, s23, s21
	s_cmp_lg_u32 s12, 0
	s_sub_co_ci_u32 s12, s13, s19
	s_delay_alu instid0(SALU_CYCLE_1)
	s_cmp_ge_u32 s12, s7
	s_cselect_b32 s13, -1, 0
	s_cmp_ge_u32 s9, s6
	s_cselect_b32 s6, -1, 0
	s_cmp_eq_u32 s12, s7
	s_cselect_b32 s6, s6, s13
	s_delay_alu instid0(SALU_CYCLE_1) | instskip(SKIP_3) | instid1(SALU_CYCLE_1)
	s_cmp_lg_u32 s6, 0
	s_cselect_b32 s7, s18, s17
	s_cselect_b32 s6, s14, s16
	s_xor_b64 s[4:5], 0, s[4:5]
	s_xor_b64 s[6:7], s[6:7], s[4:5]
	s_delay_alu instid0(SALU_CYCLE_1)
	s_sub_nc_u64 s[12:13], s[6:7], s[4:5]
	s_cbranch_execnz .LBB37_4
.LBB37_3:
	v_cvt_f32_u32_e32 v1, s10
	s_sub_co_i32 s5, 0, s10
	s_mov_b32 s13, 0
	s_delay_alu instid0(VALU_DEP_1) | instskip(NEXT) | instid1(TRANS32_DEP_1)
	v_rcp_iflag_f32_e32 v1, v1
	v_mul_f32_e32 v1, 0x4f7ffffe, v1
	s_delay_alu instid0(VALU_DEP_1) | instskip(NEXT) | instid1(VALU_DEP_1)
	v_cvt_u32_f32_e32 v1, v1
	v_readfirstlane_b32 s4, v1
	s_mul_i32 s5, s5, s4
	s_delay_alu instid0(SALU_CYCLE_1) | instskip(NEXT) | instid1(SALU_CYCLE_1)
	s_mul_hi_u32 s5, s4, s5
	s_add_co_i32 s4, s4, s5
	s_delay_alu instid0(SALU_CYCLE_1) | instskip(NEXT) | instid1(SALU_CYCLE_1)
	s_mul_hi_u32 s4, s26, s4
	s_mul_i32 s5, s4, s10
	s_add_co_i32 s6, s4, 1
	s_sub_co_i32 s5, s26, s5
	s_delay_alu instid0(SALU_CYCLE_1)
	s_sub_co_i32 s7, s5, s10
	s_cmp_ge_u32 s5, s10
	s_cselect_b32 s4, s6, s4
	s_cselect_b32 s5, s7, s5
	s_add_co_i32 s6, s4, 1
	s_cmp_ge_u32 s5, s10
	s_cselect_b32 s12, s6, s4
.LBB37_4:
	s_load_b64 s[40:41], s[0:1], 0x370
	s_mov_b32 s4, 0
	s_mov_b32 s5, s35
	s_delay_alu instid0(SALU_CYCLE_1)
	s_cmp_lg_u64 s[4:5], 0
	s_cbranch_scc0 .LBB37_296
; %bb.5:
	s_ashr_i32 s6, s35, 31
	s_mov_b32 s21, s4
	s_mov_b32 s7, s6
	;; [unrolled: 1-line block ×3, first 2 shown]
	s_add_nc_u64 s[14:15], s[34:35], s[6:7]
	s_delay_alu instid0(SALU_CYCLE_1) | instskip(NEXT) | instid1(SALU_CYCLE_1)
	s_xor_b64 s[14:15], s[14:15], s[6:7]
	s_cvt_f32_u32 s5, s14
	s_cvt_f32_u32 s9, s15
	s_sub_nc_u64 s[18:19], 0, s[14:15]
	s_wait_alu 0xfffe
	s_delay_alu instid0(SALU_CYCLE_1) | instskip(NEXT) | instid1(SALU_CYCLE_3)
	s_fmamk_f32 s5, s9, 0x4f800000, s5
	v_s_rcp_f32 s5, s5
	s_delay_alu instid0(TRANS32_DEP_1) | instskip(SKIP_1) | instid1(SALU_CYCLE_2)
	s_mul_f32 s5, s5, 0x5f7ffffc
	s_wait_alu 0xfffe
	s_mul_f32 s9, s5, 0x2f800000
	s_wait_alu 0xfffe
	s_delay_alu instid0(SALU_CYCLE_2) | instskip(SKIP_1) | instid1(SALU_CYCLE_2)
	s_trunc_f32 s9, s9
	s_wait_alu 0xfffe
	s_fmamk_f32 s5, s9, 0xcf800000, s5
	s_cvt_u32_f32 s17, s9
	s_wait_alu 0xfffe
	s_delay_alu instid0(SALU_CYCLE_1) | instskip(NEXT) | instid1(SALU_CYCLE_3)
	s_cvt_u32_f32 s16, s5
	s_mul_u64 s[22:23], s[18:19], s[16:17]
	s_delay_alu instid0(SALU_CYCLE_1)
	s_mul_hi_u32 s29, s16, s23
	s_mul_i32 s28, s16, s23
	s_mul_hi_u32 s20, s16, s22
	s_mul_i32 s9, s17, s22
	s_add_nc_u64 s[20:21], s[20:21], s[28:29]
	s_mul_hi_u32 s5, s17, s22
	s_mul_hi_u32 s30, s17, s23
	s_wait_alu 0xfffe
	s_add_co_u32 s9, s20, s9
	s_add_co_ci_u32 s24, s21, s5
	s_mul_i32 s22, s17, s23
	s_add_co_ci_u32 s23, s30, 0
	s_delay_alu instid0(SALU_CYCLE_1)
	s_add_nc_u64 s[20:21], s[24:25], s[22:23]
	s_mov_b32 s23, s4
	s_add_co_u32 s16, s16, s20
	s_cselect_b32 s5, -1, 0
	s_wait_alu 0xfffe
	s_cmp_lg_u32 s5, 0
	s_add_co_ci_u32 s17, s17, s21
	s_mov_b32 s21, s4
	s_mul_u64 s[18:19], s[18:19], s[16:17]
	s_delay_alu instid0(SALU_CYCLE_1)
	s_mul_hi_u32 s25, s16, s19
	s_mul_i32 s24, s16, s19
	s_mul_hi_u32 s20, s16, s18
	s_mul_i32 s9, s17, s18
	s_add_nc_u64 s[20:21], s[20:21], s[24:25]
	s_mul_hi_u32 s5, s17, s18
	s_mul_hi_u32 s28, s17, s19
	s_wait_alu 0xfffe
	s_add_co_u32 s9, s20, s9
	s_add_co_ci_u32 s22, s21, s5
	s_mul_i32 s18, s17, s19
	s_add_co_ci_u32 s19, s28, 0
	s_mov_b32 s21, s4
	s_add_nc_u64 s[18:19], s[22:23], s[18:19]
	s_delay_alu instid0(SALU_CYCLE_1)
	s_add_co_u32 s5, s16, s18
	s_cselect_b32 s9, -1, 0
	s_wait_alu 0xfffe
	s_cmp_lg_u32 s9, 0
	s_add_co_ci_u32 s9, s17, s19
	s_xor_b64 s[16:17], s[2:3], 0
	s_mov_b32 s19, s4
	s_wait_alu 0xfffe
	s_mul_hi_u32 s23, s16, s9
	s_mul_i32 s22, s16, s9
	s_mul_hi_u32 s20, s16, s5
	s_mul_hi_u32 s18, s17, s5
	s_mul_i32 s5, s17, s5
	s_add_nc_u64 s[20:21], s[20:21], s[22:23]
	s_mul_hi_u32 s24, s17, s9
	s_wait_alu 0xfffe
	s_add_co_u32 s5, s20, s5
	s_add_co_ci_u32 s18, s21, s18
	s_mul_i32 s22, s17, s9
	s_add_co_ci_u32 s23, s24, 0
	s_delay_alu instid0(SALU_CYCLE_1) | instskip(NEXT) | instid1(SALU_CYCLE_1)
	s_add_nc_u64 s[18:19], s[18:19], s[22:23]
	s_mul_u64 s[20:21], s[14:15], s[18:19]
	s_delay_alu instid0(SALU_CYCLE_1)
	s_sub_co_u32 s5, s16, s20
	s_cselect_b32 s9, -1, 0
	s_sub_co_i32 s16, s17, s21
	s_wait_alu 0xfffe
	s_cmp_lg_u32 s9, 0
	s_sub_co_ci_u32 s16, s16, s15
	s_sub_co_u32 s20, s5, s14
	s_cselect_b32 s22, -1, 0
	s_delay_alu instid0(SALU_CYCLE_1) | instskip(SKIP_2) | instid1(SALU_CYCLE_1)
	s_cmp_lg_u32 s22, 0
	s_add_nc_u64 s[22:23], s[18:19], 1
	s_sub_co_ci_u32 s16, s16, 0
	s_cmp_ge_u32 s16, s15
	s_cselect_b32 s24, -1, 0
	s_cmp_ge_u32 s20, s14
	s_cselect_b32 s20, -1, 0
	s_cmp_eq_u32 s16, s15
	s_cselect_b32 s16, s20, s24
	s_add_nc_u64 s[24:25], s[18:19], 2
	s_cmp_lg_u32 s16, 0
	s_cselect_b32 s16, s24, s22
	s_cselect_b32 s20, s25, s23
	s_cmp_lg_u32 s9, 0
	s_sub_co_ci_u32 s9, s17, s21
	s_wait_alu 0xfffe
	s_cmp_ge_u32 s9, s15
	s_cselect_b32 s17, -1, 0
	s_cmp_ge_u32 s5, s14
	s_cselect_b32 s5, -1, 0
	s_cmp_eq_u32 s9, s15
	s_wait_alu 0xfffe
	s_cselect_b32 s5, s5, s17
	s_wait_alu 0xfffe
	s_cmp_lg_u32 s5, 0
	s_cselect_b32 s15, s20, s19
	s_cselect_b32 s14, s16, s18
	s_xor_b64 s[6:7], 0, s[6:7]
	s_delay_alu instid0(SALU_CYCLE_1) | instskip(NEXT) | instid1(SALU_CYCLE_1)
	s_xor_b64 s[14:15], s[14:15], s[6:7]
	s_sub_nc_u64 s[48:49], s[14:15], s[6:7]
	s_and_not1_b32 vcc_lo, exec_lo, s4
	s_cbranch_vccnz .LBB37_7
.LBB37_6:
	v_cvt_f32_u32_e32 v1, s34
	s_sub_co_i32 s5, 0, s34
	s_mov_b32 s49, 0
	s_delay_alu instid0(VALU_DEP_1) | instskip(NEXT) | instid1(TRANS32_DEP_1)
	v_rcp_iflag_f32_e32 v1, v1
	v_mul_f32_e32 v1, 0x4f7ffffe, v1
	s_delay_alu instid0(VALU_DEP_1) | instskip(NEXT) | instid1(VALU_DEP_1)
	v_cvt_u32_f32_e32 v1, v1
	v_readfirstlane_b32 s4, v1
	s_wait_alu 0xfffe
	s_mul_i32 s5, s5, s4
	s_wait_alu 0xfffe
	s_mul_hi_u32 s5, s4, s5
	s_wait_alu 0xfffe
	s_add_co_i32 s4, s4, s5
	s_wait_alu 0xfffe
	s_mul_hi_u32 s4, s26, s4
	s_wait_alu 0xfffe
	s_mul_i32 s5, s4, s34
	s_add_co_i32 s6, s4, 1
	s_wait_alu 0xfffe
	s_sub_co_i32 s5, s26, s5
	s_wait_alu 0xfffe
	s_sub_co_i32 s7, s5, s34
	s_cmp_ge_u32 s5, s34
	s_cselect_b32 s4, s6, s4
	s_cselect_b32 s5, s7, s5
	s_wait_alu 0xfffe
	s_add_co_i32 s6, s4, 1
	s_cmp_ge_u32 s5, s34
	s_cselect_b32 s48, s6, s4
.LBB37_7:
	s_mov_b32 s4, 0
	s_wait_kmcnt 0x0
	s_mov_b32 s5, s41
	s_wait_alu 0xfffe
	s_cmp_lg_u64 s[4:5], 0
	s_cbranch_scc0 .LBB37_297
; %bb.8:
	s_ashr_i32 s6, s41, 31
	s_mov_b32 s21, s4
	s_mov_b32 s7, s6
	;; [unrolled: 1-line block ×3, first 2 shown]
	s_add_nc_u64 s[14:15], s[40:41], s[6:7]
	s_delay_alu instid0(SALU_CYCLE_1) | instskip(NEXT) | instid1(SALU_CYCLE_1)
	s_xor_b64 s[14:15], s[14:15], s[6:7]
	s_cvt_f32_u32 s5, s14
	s_cvt_f32_u32 s9, s15
	s_sub_nc_u64 s[18:19], 0, s[14:15]
	s_wait_alu 0xfffe
	s_delay_alu instid0(SALU_CYCLE_1) | instskip(SKIP_1) | instid1(SALU_CYCLE_2)
	s_fmamk_f32 s5, s9, 0x4f800000, s5
	s_wait_alu 0xfffe
	v_s_rcp_f32 s5, s5
	s_delay_alu instid0(TRANS32_DEP_1) | instskip(SKIP_1) | instid1(SALU_CYCLE_2)
	s_mul_f32 s5, s5, 0x5f7ffffc
	s_wait_alu 0xfffe
	s_mul_f32 s9, s5, 0x2f800000
	s_wait_alu 0xfffe
	s_delay_alu instid0(SALU_CYCLE_2) | instskip(SKIP_1) | instid1(SALU_CYCLE_2)
	s_trunc_f32 s9, s9
	s_wait_alu 0xfffe
	s_fmamk_f32 s5, s9, 0xcf800000, s5
	s_cvt_u32_f32 s17, s9
	s_wait_alu 0xfffe
	s_delay_alu instid0(SALU_CYCLE_1) | instskip(NEXT) | instid1(SALU_CYCLE_3)
	s_cvt_u32_f32 s16, s5
	s_mul_u64 s[22:23], s[18:19], s[16:17]
	s_delay_alu instid0(SALU_CYCLE_1)
	s_mul_hi_u32 s29, s16, s23
	s_mul_i32 s28, s16, s23
	s_mul_hi_u32 s20, s16, s22
	s_mul_i32 s9, s17, s22
	s_add_nc_u64 s[20:21], s[20:21], s[28:29]
	s_mul_hi_u32 s5, s17, s22
	s_mul_hi_u32 s30, s17, s23
	s_wait_alu 0xfffe
	s_add_co_u32 s9, s20, s9
	s_add_co_ci_u32 s24, s21, s5
	s_mul_i32 s22, s17, s23
	s_add_co_ci_u32 s23, s30, 0
	s_delay_alu instid0(SALU_CYCLE_1)
	s_add_nc_u64 s[20:21], s[24:25], s[22:23]
	s_mov_b32 s23, s4
	s_add_co_u32 s16, s16, s20
	s_cselect_b32 s5, -1, 0
	s_wait_alu 0xfffe
	s_cmp_lg_u32 s5, 0
	s_add_co_ci_u32 s17, s17, s21
	s_mov_b32 s21, s4
	s_mul_u64 s[18:19], s[18:19], s[16:17]
	s_delay_alu instid0(SALU_CYCLE_1)
	s_mul_hi_u32 s25, s16, s19
	s_mul_i32 s24, s16, s19
	s_mul_hi_u32 s20, s16, s18
	s_mul_i32 s9, s17, s18
	s_add_nc_u64 s[20:21], s[20:21], s[24:25]
	s_mul_hi_u32 s5, s17, s18
	s_mul_hi_u32 s28, s17, s19
	s_wait_alu 0xfffe
	s_add_co_u32 s9, s20, s9
	s_add_co_ci_u32 s22, s21, s5
	s_mul_i32 s18, s17, s19
	s_add_co_ci_u32 s19, s28, 0
	s_mov_b32 s21, s4
	s_add_nc_u64 s[18:19], s[22:23], s[18:19]
	s_delay_alu instid0(SALU_CYCLE_1)
	s_add_co_u32 s5, s16, s18
	s_cselect_b32 s9, -1, 0
	s_wait_alu 0xfffe
	s_cmp_lg_u32 s9, 0
	s_add_co_ci_u32 s9, s17, s19
	s_xor_b64 s[2:3], s[2:3], 0
	s_mov_b32 s17, s4
	s_wait_alu 0xfffe
	s_mul_hi_u32 s19, s2, s9
	s_mul_i32 s18, s2, s9
	s_mul_hi_u32 s20, s2, s5
	s_mul_hi_u32 s16, s3, s5
	s_mul_i32 s5, s3, s5
	s_add_nc_u64 s[18:19], s[20:21], s[18:19]
	s_mul_hi_u32 s22, s3, s9
	s_wait_alu 0xfffe
	s_add_co_u32 s5, s18, s5
	s_add_co_ci_u32 s16, s19, s16
	s_mul_i32 s20, s3, s9
	s_add_co_ci_u32 s21, s22, 0
	s_delay_alu instid0(SALU_CYCLE_1) | instskip(NEXT) | instid1(SALU_CYCLE_1)
	s_add_nc_u64 s[16:17], s[16:17], s[20:21]
	s_mul_u64 s[18:19], s[14:15], s[16:17]
	s_delay_alu instid0(SALU_CYCLE_1)
	s_sub_co_u32 s2, s2, s18
	s_cselect_b32 s5, -1, 0
	s_sub_co_i32 s9, s3, s19
	s_wait_alu 0xfffe
	s_cmp_lg_u32 s5, 0
	s_sub_co_ci_u32 s9, s9, s15
	s_sub_co_u32 s18, s2, s14
	s_cselect_b32 s20, -1, 0
	s_delay_alu instid0(SALU_CYCLE_1)
	s_cmp_lg_u32 s20, 0
	s_add_nc_u64 s[20:21], s[16:17], 1
	s_wait_alu 0xfffe
	s_sub_co_ci_u32 s9, s9, 0
	s_wait_alu 0xfffe
	s_cmp_ge_u32 s9, s15
	s_cselect_b32 s22, -1, 0
	s_cmp_ge_u32 s18, s14
	s_cselect_b32 s18, -1, 0
	s_cmp_eq_u32 s9, s15
	s_cselect_b32 s9, s18, s22
	s_add_nc_u64 s[22:23], s[16:17], 2
	s_wait_alu 0xfffe
	s_cmp_lg_u32 s9, 0
	s_cselect_b32 s9, s22, s20
	s_cselect_b32 s18, s23, s21
	s_cmp_lg_u32 s5, 0
	s_sub_co_ci_u32 s3, s3, s19
	s_delay_alu instid0(SALU_CYCLE_1)
	s_cmp_ge_u32 s3, s15
	s_cselect_b32 s5, -1, 0
	s_cmp_ge_u32 s2, s14
	s_cselect_b32 s2, -1, 0
	s_cmp_eq_u32 s3, s15
	s_wait_alu 0xfffe
	s_cselect_b32 s2, s2, s5
	s_delay_alu instid0(SALU_CYCLE_1) | instskip(SKIP_3) | instid1(SALU_CYCLE_1)
	s_cmp_lg_u32 s2, 0
	s_cselect_b32 s3, s18, s17
	s_cselect_b32 s2, s9, s16
	s_xor_b64 s[6:7], 0, s[6:7]
	s_xor_b64 s[2:3], s[2:3], s[6:7]
	s_delay_alu instid0(SALU_CYCLE_1)
	s_sub_nc_u64 s[50:51], s[2:3], s[6:7]
	s_and_not1_b32 vcc_lo, exec_lo, s4
	s_cbranch_vccnz .LBB37_10
.LBB37_9:
	v_cvt_f32_u32_e32 v1, s40
	s_sub_co_i32 s3, 0, s40
	s_mov_b32 s51, 0
	s_delay_alu instid0(VALU_DEP_1) | instskip(NEXT) | instid1(TRANS32_DEP_1)
	v_rcp_iflag_f32_e32 v1, v1
	v_mul_f32_e32 v1, 0x4f7ffffe, v1
	s_delay_alu instid0(VALU_DEP_1) | instskip(NEXT) | instid1(VALU_DEP_1)
	v_cvt_u32_f32_e32 v1, v1
	v_readfirstlane_b32 s2, v1
	s_mul_i32 s3, s3, s2
	s_delay_alu instid0(SALU_CYCLE_1) | instskip(NEXT) | instid1(SALU_CYCLE_1)
	s_mul_hi_u32 s3, s2, s3
	s_add_co_i32 s2, s2, s3
	s_delay_alu instid0(SALU_CYCLE_1) | instskip(NEXT) | instid1(SALU_CYCLE_1)
	s_mul_hi_u32 s2, s26, s2
	s_mul_i32 s3, s2, s40
	s_add_co_i32 s4, s2, 1
	s_sub_co_i32 s3, s26, s3
	s_delay_alu instid0(SALU_CYCLE_1)
	s_sub_co_i32 s5, s3, s40
	s_cmp_ge_u32 s3, s40
	s_wait_alu 0xfffe
	s_cselect_b32 s2, s4, s2
	s_cselect_b32 s3, s5, s3
	s_add_co_i32 s4, s2, 1
	s_cmp_ge_u32 s3, s40
	s_wait_alu 0xfffe
	s_cselect_b32 s50, s4, s2
.LBB37_10:
	s_clause 0x1
	s_load_b128 s[4:7], s[0:1], 0xd0
	s_load_b64 s[16:17], s[0:1], 0x0
	v_cmp_eq_u32_e64 s2, 0, v0
	s_add_nc_u64 s[14:15], s[0:1], 0x500
	s_mov_b32 s59, 0
	s_and_saveexec_b32 s3, s2
	s_cbranch_execz .LBB37_12
; %bb.11:
	v_dual_mov_b32 v1, 0 :: v_dual_mov_b32 v4, s37
	s_delay_alu instid0(VALU_DEP_1)
	v_dual_mov_b32 v3, s36 :: v_dual_mov_b32 v2, v1
	ds_store_b32 v1, v1 offset:5136
	ds_store_b128 v1, v[1:4] offset:5120
.LBB37_12:
	s_or_b32 exec_lo, exec_lo, s3
	v_lshlrev_b32_e32 v39, 3, v0
	v_mad_co_u64_u32 v[4:5], null, s42, v0, 0
	s_clause 0x3
	s_load_b128 s[28:31], s[0:1], 0x430
	s_load_b64 s[18:19], s[0:1], 0x360
	s_load_b128 s[44:47], s[0:1], 0x290
	s_load_b64 s[54:55], s[0:1], 0x1c0
	v_or_b32_e32 v10, 6, v39
	s_mul_u64 s[0:1], s[12:13], s[10:11]
	v_mbcnt_lo_u32_b32 v34, -1, 0
	s_sub_nc_u64 s[0:1], s[26:27], s[0:1]
	s_wait_kmcnt 0x0
	s_mul_u64 s[4:5], s[12:13], s[4:5]
	v_mad_co_u64_u32 v[21:22], null, s42, v10, 0
	v_lshlrev_b32_e32 v35, 1, v0
	v_mov_b32_e32 v1, v5
	s_mul_u64 s[0:1], s[0:1], s[6:7]
	s_wait_alu 0xfffe
	s_lshl_b64 s[10:11], s[4:5], 1
	s_lshl_b64 s[6:7], s[0:1], 1
	v_add_nc_u32_e32 v36, 0xc00, v35
	v_mad_co_u64_u32 v[1:2], null, s43, v0, v[1:2]
	v_cmp_gt_u32_e32 vcc_lo, 32, v0
	v_cmp_gt_i32_e64 s0, 4, v34
	s_wait_alu 0xfffe
	s_add_nc_u64 s[4:5], s[16:17], s[10:11]
	v_dual_mov_b32 v3, 0 :: v_dual_add_nc_u32 v2, 2, v0
	v_dual_mov_b32 v5, v1 :: v_dual_lshlrev_b32 v16, 2, v0
	s_wait_alu 0xfffe
	s_add_nc_u64 s[62:63], s[4:5], s[6:7]
	s_and_b32 s33, vcc_lo, s0
	v_lshlrev_b64_e64 v[8:9], v34, -1
	s_wait_dscnt 0x0
	v_lshlrev_b64_e32 v[6:7], 1, v[4:5]
	s_barrier_signal -1
	s_barrier_wait -1
	global_inv scope:SCOPE_SE
	v_not_b32_e32 v37, v8
	v_not_b32_e32 v8, v0
	v_add_co_u32 v14, vcc_lo, s62, v6
	s_delay_alu instid0(VALU_DEP_1)
	v_add_co_ci_u32_e64 v15, null, s63, v7, vcc_lo
	v_cmp_gt_i64_e32 vcc_lo, s[36:37], v[2:3]
	s_load_b32 s4, s[14:15], 0xc
	v_or_b32_e32 v12, 4, v39
	v_or_b32_e32 v13, 2, v39
	s_add_nc_u64 s[6:7], s[10:11], s[6:7]
                                        ; implicit-def: $vgpr55 : SGPR spill to VGPR lane
	v_cmp_lt_i64_e64 s90, 0x600, s[36:37]
	v_cndmask_b32_e64 v2, v2, s36, vcc_lo
	v_cndmask_b32_e64 v9, 0, s37, vcc_lo
	v_mad_co_u64_u32 v[23:24], null, s42, v12, 0
	v_mad_co_u64_u32 v[25:26], null, s42, v13, 0
	s_delay_alu instid0(VALU_DEP_4) | instskip(SKIP_3) | instid1(VALU_DEP_3)
	v_add_co_u32 v8, vcc_lo, v2, v8
	v_mov_b32_e32 v1, v3
	s_wait_alu 0xfffd
	v_add_co_ci_u32_e64 v9, null, -1, v9, vcc_lo
	v_dual_mov_b32 v17, v3 :: v_dual_and_b32 v18, -2, v8
	s_add_nc_u64 s[68:69], s[16:17], s[6:7]
	v_add_co_u32 v42, s6, s36, v0
	s_delay_alu instid0(VALU_DEP_2)
	v_add_co_u32 v20, vcc_lo, v18, v0
	s_wait_alu 0xfffd
	v_add_co_ci_u32_e64 v2, null, 0, v9, vcc_lo
	v_mov_b32_e32 v2, v22
	s_wait_kmcnt 0x0
	s_and_b32 s56, s4, 0xffff
	s_bfe_u32 s9, s4, 0xb0005
	s_cmp_gt_u32 s56, 31
	s_movk_i32 s4, 0x3e0
	v_mad_co_u64_u32 v[10:11], null, s43, v10, v[2:3]
	s_cselect_b32 s91, -1, 0
	s_cmp_lt_u32 ttmp9, s8
	v_mov_b32_e32 v19, v9
	s_cselect_b32 s58, 12, 18
	s_wait_alu 0xfffe
	s_add_co_i32 s5, s9, -1
	s_bfe_u32 s94, s56, 0x30005
	s_wait_alu 0xfffe
	s_and_b32 s5, s5, 0xffff
	v_and_or_b32 v38, v0, s4, 0xc00
	v_cmp_lt_u64_e64 s4, 1, v[8:9]
	s_wait_alu 0xfffe
	s_cmp_gt_u32 s5, 6
	v_mov_b32_e32 v22, v10
	v_cmp_ne_u64_e64 s5, v[8:9], v[18:19]
	v_dual_mov_b32 v8, v24 :: v_dual_mov_b32 v9, v26
	v_mov_b32_e32 v28, s38
	s_cselect_b32 s95, -1, 0
	s_and_b32 s96, s9, 0x7f8
	s_cmp_lg_u32 s94, 0
	v_mad_co_u64_u32 v[11:12], null, s43, v12, v[8:9]
	v_mad_co_u64_u32 v[8:9], null, s43, v13, v[9:10]
	s_cselect_b32 s97, -1, 0
	s_lshl_b64 s[70:71], s[42:43], 1
	v_add_co_u32 v12, vcc_lo, s68, v6
	v_mul_lo_u32 v45, 0, s70
	v_cmp_gt_i64_e64 s0, s[36:37], v[0:1]
	s_mov_b32 s57, s59
	v_lshlrev_b64_e32 v[26:27], 3, v[4:5]
	v_writelane_b32 v55, s18, 0
	v_cmp_eq_u32_e64 s1, 0, v34
	v_cmp_gt_u32_e64 s3, 2, v0
	v_dual_mov_b32 v24, v11 :: v_dual_mov_b32 v41, v8
	v_mov_b32_e32 v40, 0
	v_add_co_ci_u32_e64 v43, null, s37, 0, s6
	v_lshl_or_b32 v44, v34, 3, 0xc00
	s_wait_alu 0xfffd
	v_add_co_ci_u32_e64 v13, null, s69, v7, vcc_lo
	v_dual_mov_b32 v29, s39 :: v_dual_mov_b32 v46, 0
	v_mov_b32_e32 v47, 0
	s_add_nc_u64 s[64:65], s[56:57], -1
	s_mul_u64 s[6:7], s[42:43], s[56:57]
	s_add_nc_u64 s[66:67], s[64:65], s[36:37]
	s_mov_b32 s92, s42
	s_mov_b32 s93, s43
	s_lshl_b64 s[72:73], s[42:43], 3
	s_wait_alu 0xfffe
	s_lshl_b64 s[60:61], s[6:7], 1
	s_lshl_b32 s98, s56, 1
	s_mov_b32 s99, 14
	s_add_nc_u64 s[38:39], s[14:15], s[58:59]
	s_mov_b32 s100, 0
	s_mov_b32 s101, 0
	v_writelane_b32 v55, s19, 1
                                        ; implicit-def: $vcc_hi
                                        ; implicit-def: $sgpr53
                                        ; implicit-def: $sgpr102
                                        ; implicit-def: $sgpr104
                                        ; implicit-def: $sgpr52
                                        ; implicit-def: $sgpr103
	s_branch .LBB37_16
.LBB37_13:                              ;   in Loop: Header=BB37_16 Depth=1
	s_wait_alu 0xfffe
	s_or_b32 exec_lo, exec_lo, s9
	s_delay_alu instid0(SALU_CYCLE_1)
	s_and_b32 s7, s7, exec_lo
	s_and_not1_b32 s22, s22, exec_lo
	s_and_not1_b32 s21, s21, exec_lo
	s_or_not1_b32 s18, s8, exec_lo
.LBB37_14:                              ;   in Loop: Header=BB37_16 Depth=1
	s_wait_alu 0xfffe
	s_or_b32 exec_lo, exec_lo, s6
	s_delay_alu instid0(SALU_CYCLE_1)
	s_and_not1_b32 s6, s103, exec_lo
	s_and_b32 s7, s7, exec_lo
	s_and_not1_b32 s8, s104, exec_lo
	s_wait_alu 0xfffe
	s_or_b32 s103, s6, s7
	s_and_not1_b32 s6, s52, exec_lo
	s_and_b32 s7, s22, exec_lo
	s_and_b32 s9, s21, exec_lo
	s_wait_alu 0xfffe
	s_or_b32 s52, s6, s7
	s_or_b32 s104, s8, s9
	s_or_not1_b32 s18, s18, exec_lo
.LBB37_15:                              ;   in Loop: Header=BB37_16 Depth=1
	s_wait_alu 0xfffe
	s_or_b32 exec_lo, exec_lo, s17
	s_delay_alu instid0(SALU_CYCLE_1)
	s_and_b32 s6, exec_lo, s18
	v_dual_mov_b32 v29, v9 :: v_dual_mov_b32 v28, v8
	s_wait_alu 0xfffe
	s_or_b32 s100, s6, s100
	s_and_not1_b32 s6, s102, exec_lo
	s_and_b32 s7, s103, exec_lo
	s_and_not1_b32 s8, s53, exec_lo
	s_wait_alu 0xfffe
	s_or_b32 s102, s6, s7
	s_and_b32 s6, s52, exec_lo
	s_and_not1_b32 s7, vcc_hi, exec_lo
	s_and_b32 s9, s104, exec_lo
	s_wait_alu 0xfffe
	s_or_b32 s53, s8, s6
	s_or_b32 vcc_hi, s7, s9
	s_and_not1_b32 exec_lo, exec_lo, s100
	s_cbranch_execz .LBB37_278
.LBB37_16:                              ; =>This Loop Header: Depth=1
                                        ;     Child Loop BB37_21 Depth 2
                                        ;     Child Loop BB37_35 Depth 2
	;; [unrolled: 1-line block ×17, first 2 shown]
	ds_load_b128 v[4:7], v3 offset:5120
	s_wait_dscnt 0x0
	v_readfirstlane_b32 s75, v5
	v_readfirstlane_b32 s74, v4
	s_wait_alu 0xf1ff
	s_delay_alu instid0(VALU_DEP_1)
	v_cmp_gt_i64_e64 s6, s[74:75], 0
	s_and_b32 vcc_lo, exec_lo, s6
	s_wait_alu 0xfffe
	s_cbranch_vccnz .LBB37_48
; %bb.17:                               ;   in Loop: Header=BB37_16 Depth=1
	s_and_b32 vcc_lo, exec_lo, s90
	s_wait_alu 0xfffe
	s_cbranch_vccz .LBB37_29
; %bb.18:                               ;   in Loop: Header=BB37_16 Depth=1
	v_cmp_gt_i64_e32 vcc_lo, 0x601, v[6:7]
	s_mov_b32 s8, 0
	s_mov_b32 s6, 0
	s_cbranch_vccz .LBB37_30
; %bb.19:                               ;   in Loop: Header=BB37_16 Depth=1
	global_load_u16 v2, v3, s[38:39]
	global_load_u16 v8, v[14:15], off
	s_mov_b32 s9, 0
	s_wait_loadcnt 0x1
	v_and_b32_e32 v2, 0xffff, v2
	s_delay_alu instid0(VALU_DEP_1) | instskip(SKIP_3) | instid1(VALU_DEP_3)
	v_add_co_u32 v4, s6, v0, v2
	s_wait_alu 0xf1fe
	v_add_co_ci_u32_e64 v5, null, 0, 0, s6
	v_mul_lo_u32 v6, v2, s71
	v_mul_lo_u32 v10, s71, v4
	v_mul_hi_u32 v11, v2, s70
	s_delay_alu instid0(VALU_DEP_4) | instskip(SKIP_2) | instid1(VALU_DEP_2)
	v_mul_lo_u32 v7, s70, v5
	v_mad_co_u64_u32 v[4:5], null, s70, v4, s[68:69]
	v_add_nc_u32_e32 v6, v6, v45
	v_add3_u32 v5, v10, v5, v7
	s_delay_alu instid0(VALU_DEP_2)
	v_dual_mov_b32 v7, v1 :: v_dual_add_nc_u32 v10, v6, v11
	v_mul_lo_u32 v9, v2, s70
	v_mov_b32_e32 v6, v0
	s_branch .LBB37_21
.LBB37_20:                              ;   in Loop: Header=BB37_21 Depth=2
	s_wait_alu 0xfffe
	s_or_b32 exec_lo, exec_lo, s7
	v_add_co_u32 v4, vcc_lo, v4, v9
	s_wait_alu 0xfffd
	v_add_co_ci_u32_e64 v5, null, v5, v10, vcc_lo
	v_mov_b32_e32 v8, v11
	s_and_not1_b32 exec_lo, exec_lo, s9
	s_cbranch_execz .LBB37_82
.LBB37_21:                              ;   Parent Loop BB37_16 Depth=1
                                        ; =>  This Inner Loop Header: Depth=2
	s_delay_alu instid0(VALU_DEP_1)
	v_add_co_u32 v6, vcc_lo, v6, v2
	s_wait_alu 0xfffd
	v_add_co_ci_u32_e64 v7, null, 0, v7, vcc_lo
	s_wait_dscnt 0x0
	v_dual_mov_b32 v30, 0 :: v_dual_mov_b32 v11, 0
	s_mov_b32 s7, exec_lo
	s_delay_alu instid0(VALU_DEP_2)
	v_cmp_le_i64_e32 vcc_lo, s[36:37], v[6:7]
	v_cmpx_gt_i64_e64 s[36:37], v[6:7]
	s_cbranch_execz .LBB37_23
; %bb.22:                               ;   in Loop: Header=BB37_21 Depth=2
	global_load_u16 v11, v[4:5], off
.LBB37_23:                              ;   in Loop: Header=BB37_21 Depth=2
	s_wait_alu 0xfffe
	s_or_b32 exec_lo, exec_lo, s7
	s_wait_loadcnt 0x0
	v_bfe_i32 v31, v8, 0, 16
	s_delay_alu instid0(VALU_DEP_1) | instskip(NEXT) | instid1(VALU_DEP_1)
	v_add_nc_u32_e32 v31, 0x8000, v31
	v_and_b32_e32 v31, v31, v46
	s_delay_alu instid0(VALU_DEP_1)
	v_cmp_eq_u32_e64 s6, v31, v40
	s_cmp_lg_u32 s6, 0
	s_cselect_b32 s7, -1, 0
	s_wait_alu 0xfffe
	s_and_b32 s7, s1, s7
	s_wait_alu 0xfffe
	s_and_saveexec_b32 s10, s7
	s_cbranch_execz .LBB37_27
; %bb.24:                               ;   in Loop: Header=BB37_21 Depth=2
	s_mov_b32 s13, exec_lo
	s_bcnt1_i32_b32 s11, s6
	s_wait_alu 0xfffe
	v_mbcnt_lo_u32_b32 v30, s13, 0
	s_mov_b32 s12, exec_lo
                                        ; implicit-def: $vgpr31
	s_delay_alu instid0(VALU_DEP_1)
	v_cmpx_eq_u32_e32 0, v30
; %bb.25:                               ;   in Loop: Header=BB37_21 Depth=2
	s_bcnt1_i32_b32 s7, s13
	s_wait_alu 0xfffe
	s_mul_i32 s7, s11, s7
	s_wait_alu 0xfffe
	v_mov_b32_e32 v31, s7
	ds_add_rtn_u32 v31, v3, v31 offset:5136
; %bb.26:                               ;   in Loop: Header=BB37_21 Depth=2
	s_or_b32 exec_lo, exec_lo, s12
	s_wait_dscnt 0x0
	v_readfirstlane_b32 s7, v31
	s_wait_alu 0xf1ff
	s_delay_alu instid0(VALU_DEP_1)
	v_mad_u32_u24 v30, s11, v30, s7
.LBB37_27:                              ;   in Loop: Header=BB37_21 Depth=2
	s_wait_alu 0xfffe
	s_or_b32 exec_lo, exec_lo, s10
	ds_bpermute_b32 v30, v3, v30
	s_and_b32 s7, exec_lo, vcc_lo
	s_wait_alu 0xfffe
	s_or_b32 s9, s7, s9
	s_and_saveexec_b32 s7, s6
	s_cbranch_execz .LBB37_20
; %bb.28:                               ;   in Loop: Header=BB37_21 Depth=2
	v_and_b32_e32 v31, s6, v37
	s_delay_alu instid0(VALU_DEP_1) | instskip(NEXT) | instid1(VALU_DEP_1)
	v_bcnt_u32_b32 v31, v31, 0
	v_lshlrev_b32_e32 v31, 1, v31
	s_wait_dscnt 0x0
	s_delay_alu instid0(VALU_DEP_1)
	v_lshl_add_u32 v30, v30, 1, v31
	ds_store_b16 v30, v8
	s_branch .LBB37_20
.LBB37_29:                              ;   in Loop: Header=BB37_16 Depth=1
	s_mov_b32 s8, -1
	s_mov_b32 s6, 0
.LBB37_30:                              ;   in Loop: Header=BB37_16 Depth=1
	s_wait_alu 0xfffe
	s_and_b32 vcc_lo, exec_lo, s8
	s_wait_alu 0xfffe
	s_cbranch_vccz .LBB37_46
.LBB37_31:                              ;   in Loop: Header=BB37_16 Depth=1
	s_and_saveexec_b32 s7, s0
	s_cbranch_execz .LBB37_43
; %bb.32:                               ;   in Loop: Header=BB37_16 Depth=1
	global_load_u16 v4, v3, s[38:39]
	global_load_u16 v30, v[14:15], off
	v_mov_b32_e32 v6, v0
	s_mov_b32 s12, exec_lo
	s_wait_loadcnt 0x1
	v_and_b32_e32 v2, 0xffff, v4
	v_readfirstlane_b32 s6, v4
	s_delay_alu instid0(VALU_DEP_2) | instskip(NEXT) | instid1(VALU_DEP_1)
	v_add_nc_u32_e32 v2, v2, v0
	v_cmpx_gt_i64_e64 s[36:37], v[2:3]
	s_cbranch_execz .LBB37_42
; %bb.33:                               ;   in Loop: Header=BB37_16 Depth=1
	s_and_b32 s58, s6, 0xffff
	v_dual_mov_b32 v9, v1 :: v_dual_mov_b32 v8, v0
	s_wait_alu 0xfffe
	s_cmp_eq_u32 s58, 1
	v_dual_mov_b32 v5, v3 :: v_dual_mov_b32 v4, v2
	s_cselect_b32 s6, -1, 0
                                        ; implicit-def: $vgpr6_vgpr7
	s_wait_alu 0xfffe
	s_and_b32 s9, s4, s6
	s_mov_b32 s6, -1
	s_wait_alu 0xfffe
	s_and_saveexec_b32 s8, s9
	s_cbranch_execz .LBB37_37
; %bb.34:                               ;   in Loop: Header=BB37_16 Depth=1
	v_add_co_u32 v4, s6, v2, 1
	s_wait_alu 0xf1ff
	v_add_co_ci_u32_e64 v5, null, 0, 0, s6
	s_wait_loadcnt 0x0
	v_dual_mov_b32 v8, v18 :: v_dual_lshlrev_b32 v11, 16, v30
	v_dual_mov_b32 v9, v19 :: v_dual_mov_b32 v10, v35
	s_delay_alu instid0(VALU_DEP_3)
	v_mov_b32_e32 v7, v5
	v_dual_mov_b32 v6, v4 :: v_dual_mov_b32 v5, v3
	v_mov_b32_e32 v4, v2
	s_mov_b32 s9, 0
.LBB37_35:                              ;   Parent Loop BB37_16 Depth=1
                                        ; =>  This Inner Loop Header: Depth=2
	s_delay_alu instid0(VALU_DEP_2) | instskip(NEXT) | instid1(VALU_DEP_2)
	v_mul_lo_u32 v48, v5, s92
	v_mul_lo_u32 v49, v4, s93
	v_mad_co_u64_u32 v[30:31], null, v4, s92, 0
	v_mul_lo_u32 v50, v7, s42
	v_mul_lo_u32 v51, v6, s43
	v_mad_co_u64_u32 v[32:33], null, v6, s42, 0
	s_delay_alu instid0(VALU_DEP_4) | instskip(NEXT) | instid1(VALU_DEP_2)
	v_add3_u32 v31, v31, v49, v48
	v_add3_u32 v33, v33, v51, v50
	s_delay_alu instid0(VALU_DEP_2) | instskip(NEXT) | instid1(VALU_DEP_2)
	v_lshlrev_b64_e32 v[30:31], 1, v[30:31]
	v_lshlrev_b64_e32 v[32:33], 1, v[32:33]
	s_delay_alu instid0(VALU_DEP_2) | instskip(SKIP_1) | instid1(VALU_DEP_3)
	v_add_co_u32 v30, vcc_lo, s62, v30
	s_wait_alu 0xfffd
	v_add_co_ci_u32_e64 v31, null, s63, v31, vcc_lo
	s_delay_alu instid0(VALU_DEP_3)
	v_add_co_u32 v32, vcc_lo, s62, v32
	s_wait_alu 0xfffd
	v_add_co_ci_u32_e64 v33, null, s63, v33, vcc_lo
	s_clause 0x1
	global_load_u16 v31, v[30:31], off
	global_load_u16 v30, v[32:33], off
	v_add_co_u32 v8, vcc_lo, v8, -2
	s_wait_alu 0xfffd
	v_add_co_ci_u32_e64 v9, null, -1, v9, vcc_lo
	v_add_co_u32 v6, vcc_lo, v6, 2
	s_wait_alu 0xfffd
	v_add_co_ci_u32_e64 v7, null, 0, v7, vcc_lo
	s_delay_alu instid0(VALU_DEP_3) | instskip(SKIP_4) | instid1(VALU_DEP_3)
	v_cmp_eq_u64_e64 s6, 0, v[8:9]
	v_add_co_u32 v4, vcc_lo, v4, 2
	s_wait_alu 0xfffd
	v_add_co_ci_u32_e64 v5, null, 0, v5, vcc_lo
	s_wait_alu 0xfffe
	s_or_b32 s9, s6, s9
	s_wait_loadcnt 0x1
	v_alignbit_b32 v11, v31, v11, 16
	s_wait_loadcnt 0x0
	v_perm_b32 v31, v30, v31, 0x5040100
	ds_store_b32 v10, v11
	v_dual_mov_b32 v11, v31 :: v_dual_add_nc_u32 v10, 4, v10
	s_wait_alu 0xfffe
	s_and_not1_b32 exec_lo, exec_lo, s9
	s_cbranch_execnz .LBB37_35
; %bb.36:                               ;   in Loop: Header=BB37_16 Depth=1
	s_or_b32 exec_lo, exec_lo, s9
	v_add_co_u32 v4, vcc_lo, v2, v18
	s_wait_alu 0xfffd
	v_add_co_ci_u32_e64 v5, null, 0, v19, vcc_lo
	v_dual_mov_b32 v8, v20 :: v_dual_mov_b32 v9, v21
	s_delay_alu instid0(VALU_DEP_3)
	v_add_co_u32 v6, vcc_lo, v4, -1
	s_or_not1_b32 s6, s5, exec_lo
	s_wait_alu 0xfffd
	v_add_co_ci_u32_e64 v2, null, -1, v5, vcc_lo
.LBB37_37:                              ;   in Loop: Header=BB37_16 Depth=1
	s_wait_alu 0xfffe
	s_or_b32 exec_lo, exec_lo, s8
	s_and_saveexec_b32 s13, s6
	s_cbranch_execz .LBB37_41
; %bb.38:                               ;   in Loop: Header=BB37_16 Depth=1
	v_mad_co_u64_u32 v[10:11], null, s70, v4, s[68:69]
	v_mul_lo_u32 v2, s70, v5
	v_mul_lo_u32 v6, s71, v4
	s_sub_nc_u64 s[8:9], 0, s[58:59]
	s_mul_u64 s[10:11], s[70:71], s[58:59]
	s_mov_b32 s14, 0
	s_delay_alu instid0(VALU_DEP_1)
	v_add3_u32 v11, v6, v11, v2
.LBB37_39:                              ;   Parent Loop BB37_16 Depth=1
                                        ; =>  This Inner Loop Header: Depth=2
	global_load_u16 v2, v[10:11], off
	v_dual_mov_b32 v7, v5 :: v_dual_mov_b32 v6, v4
	v_lshlrev_b32_e32 v8, 1, v8
	s_wait_alu 0xfffe
	v_add_co_u32 v10, vcc_lo, v10, s10
	s_wait_alu 0xfffd
	v_add_co_ci_u32_e64 v11, null, s11, v11, vcc_lo
	v_add_co_u32 v4, s6, v6, s58
	s_wait_alu 0xf1ff
	v_add_co_ci_u32_e64 v5, null, 0, v7, s6
	s_wait_loadcnt 0x1
	ds_store_b16 v8, v30
	v_dual_mov_b32 v9, v7 :: v_dual_mov_b32 v8, v6
	v_cmp_le_i64_e32 vcc_lo, s[36:37], v[4:5]
	v_add_co_u32 v6, s6, s8, v4
	s_wait_alu 0xf1ff
	v_add_co_ci_u32_e64 v7, null, s9, v5, s6
	s_or_b32 s14, vcc_lo, s14
	s_wait_loadcnt 0x0
	v_mov_b32_e32 v30, v2
	s_wait_alu 0xfffe
	s_and_not1_b32 exec_lo, exec_lo, s14
	s_cbranch_execnz .LBB37_39
; %bb.40:                               ;   in Loop: Header=BB37_16 Depth=1
	s_or_b32 exec_lo, exec_lo, s14
	v_mov_b32_e32 v30, v2
.LBB37_41:                              ;   in Loop: Header=BB37_16 Depth=1
	s_wait_alu 0xfffe
	s_or_b32 exec_lo, exec_lo, s13
.LBB37_42:                              ;   in Loop: Header=BB37_16 Depth=1
	s_wait_alu 0xfffe
	s_or_b32 exec_lo, exec_lo, s12
	v_lshlrev_b32_e32 v2, 1, v6
	s_wait_loadcnt 0x0
	ds_store_b16 v2, v30
.LBB37_43:                              ;   in Loop: Header=BB37_16 Depth=1
	s_wait_alu 0xfffe
	s_or_b32 exec_lo, exec_lo, s7
	s_wait_loadcnt_dscnt 0x0
	s_barrier_signal -1
	s_barrier_wait -1
	global_inv scope:SCOPE_SE
	s_and_saveexec_b32 s6, s2
; %bb.44:                               ;   in Loop: Header=BB37_16 Depth=1
	v_dual_mov_b32 v4, s36 :: v_dual_mov_b32 v5, s37
	ds_store_b64 v3, v[4:5] offset:5120
; %bb.45:                               ;   in Loop: Header=BB37_16 Depth=1
	s_wait_alu 0xfffe
	s_or_b32 exec_lo, exec_lo, s6
	s_mov_b32 s6, -1
	s_wait_loadcnt_dscnt 0x0
	s_barrier_signal -1
	s_barrier_wait -1
.LBB37_46:                              ;   in Loop: Header=BB37_16 Depth=1
	s_wait_alu 0xfffe
	s_and_b32 vcc_lo, exec_lo, s6
	s_wait_alu 0xfffe
	s_cbranch_vccz .LBB37_48
; %bb.47:                               ;   in Loop: Header=BB37_16 Depth=1
	s_wait_loadcnt 0x0
	global_inv scope:SCOPE_SE
	ds_load_b64 v[4:5], v3 offset:5120
	s_wait_dscnt 0x0
	v_readfirstlane_b32 s74, v4
.LBB37_48:                              ;   in Loop: Header=BB37_16 Depth=1
	s_delay_alu instid0(VALU_DEP_1)
	s_cmp_lt_i32 s74, 1
	s_mov_b32 s6, -1
                                        ; implicit-def: $vgpr4_vgpr5
                                        ; implicit-def: $vgpr8_vgpr9
	s_cbranch_scc1 .LBB37_58
; %bb.49:                               ;   in Loop: Header=BB37_16 Depth=1
	s_wait_alu 0xfffe
	s_and_b32 vcc_lo, exec_lo, s6
	s_wait_alu 0xfffe
	s_cbranch_vccnz .LBB37_72
.LBB37_50:                              ;   in Loop: Header=BB37_16 Depth=1
	s_lshl_b32 s6, s101, 7
	s_and_saveexec_b32 s7, s1
	s_cbranch_execz .LBB37_52
.LBB37_51:                              ;   in Loop: Header=BB37_16 Depth=1
	s_wait_alu 0xfffe
	v_lshl_add_u32 v2, s6, 3, v38
	ds_store_b128 v2, v[4:7]
	ds_store_b128 v2, v[8:11] offset:16
.LBB37_52:                              ;   in Loop: Header=BB37_16 Depth=1
	s_wait_alu 0xfffe
	s_or_b32 exec_lo, exec_lo, s7
	s_wait_loadcnt_dscnt 0x0
	s_barrier_signal -1
	s_barrier_wait -1
	global_inv scope:SCOPE_SE
	s_and_saveexec_b32 s7, s33
	s_cbranch_execz .LBB37_89
; %bb.53:                               ;   in Loop: Header=BB37_16 Depth=1
	v_mov_b32_e32 v4, 0
	v_mov_b32_e32 v5, 0
	s_and_not1_b32 vcc_lo, exec_lo, s91
	s_wait_alu 0xfffe
	s_cbranch_vccnz .LBB37_88
; %bb.54:                               ;   in Loop: Header=BB37_16 Depth=1
	v_mov_b32_e32 v4, 0
	v_mov_b32_e32 v5, 0
	s_and_not1_b32 vcc_lo, exec_lo, s95
	s_wait_alu 0xfffe
	s_cbranch_vccnz .LBB37_85
; %bb.55:                               ;   in Loop: Header=BB37_16 Depth=1
	v_lshl_add_u32 v2, s101, 10, v44
	s_mov_b32 s8, 0
.LBB37_56:                              ;   Parent Loop BB37_16 Depth=1
                                        ; =>  This Inner Loop Header: Depth=2
	ds_load_2addr_b64 v[6:9], v2 offset1:4
	ds_load_2addr_b64 v[30:33], v2 offset0:8 offset1:12
	ds_load_2addr_b64 v[48:51], v2 offset0:16 offset1:20
	s_wait_alu 0xfffe
	s_add_co_i32 s8, s8, 8
	s_wait_alu 0xfffe
	s_cmp_eq_u32 s96, s8
	s_wait_dscnt 0x2
	v_add_co_u32 v4, vcc_lo, v6, v4
	s_wait_alu 0xfffd
	v_add_co_ci_u32_e64 v5, null, v7, v5, vcc_lo
	s_delay_alu instid0(VALU_DEP_2) | instskip(SKIP_1) | instid1(VALU_DEP_2)
	v_add_co_u32 v8, vcc_lo, v8, v4
	s_wait_alu 0xfffd
	v_add_co_ci_u32_e64 v9, null, v9, v5, vcc_lo
	ds_load_2addr_b64 v[4:7], v2 offset0:24 offset1:28
	s_wait_dscnt 0x2
	v_add_co_u32 v8, vcc_lo, v30, v8
	s_wait_alu 0xfffd
	v_add_co_ci_u32_e64 v9, null, v31, v9, vcc_lo
	v_add_nc_u32_e32 v2, 0x100, v2
	s_delay_alu instid0(VALU_DEP_3) | instskip(SKIP_1) | instid1(VALU_DEP_3)
	v_add_co_u32 v8, vcc_lo, v32, v8
	s_wait_alu 0xfffd
	v_add_co_ci_u32_e64 v9, null, v33, v9, vcc_lo
	s_wait_dscnt 0x1
	s_delay_alu instid0(VALU_DEP_2) | instskip(SKIP_1) | instid1(VALU_DEP_2)
	v_add_co_u32 v8, vcc_lo, v48, v8
	s_wait_alu 0xfffd
	v_add_co_ci_u32_e64 v9, null, v49, v9, vcc_lo
	s_delay_alu instid0(VALU_DEP_2) | instskip(SKIP_1) | instid1(VALU_DEP_2)
	v_add_co_u32 v8, vcc_lo, v50, v8
	s_wait_alu 0xfffd
	v_add_co_ci_u32_e64 v9, null, v51, v9, vcc_lo
	s_wait_dscnt 0x0
	s_delay_alu instid0(VALU_DEP_2) | instskip(SKIP_1) | instid1(VALU_DEP_2)
	v_add_co_u32 v4, vcc_lo, v4, v8
	s_wait_alu 0xfffd
	v_add_co_ci_u32_e64 v5, null, v5, v9, vcc_lo
	s_delay_alu instid0(VALU_DEP_2) | instskip(SKIP_1) | instid1(VALU_DEP_2)
	v_add_co_u32 v4, vcc_lo, v6, v4
	s_wait_alu 0xfffd
	v_add_co_ci_u32_e64 v5, null, v7, v5, vcc_lo
	s_cbranch_scc0 .LBB37_56
; %bb.57:                               ;   in Loop: Header=BB37_16 Depth=1
	s_mov_b32 s8, s96
	s_and_not1_b32 vcc_lo, exec_lo, s97
	s_wait_alu 0xfffe
	s_cbranch_vccz .LBB37_86
	s_branch .LBB37_88
.LBB37_58:                              ;   in Loop: Header=BB37_16 Depth=1
	global_load_u16 v2, v3, s[38:39]
	s_mov_b32 s7, s37
	s_wait_loadcnt 0x0
	v_readfirstlane_b32 s6, v2
	s_wait_alu 0xfffe
	s_and_b32 s8, 0xffff, s6
	s_mov_b32 s6, s59
	s_wait_alu 0xfffe
	s_lshl_b32 s76, s8, 2
	s_cmp_lg_u64 s[6:7], 0
	s_cbranch_scc0 .LBB37_81
; %bb.59:                               ;   in Loop: Header=BB37_16 Depth=1
	s_mov_b32 s77, s59
	s_wait_alu 0xfffe
	s_add_nc_u64 s[6:7], s[76:77], 0
	s_wait_alu 0xfffe
	s_xor_b64 s[6:7], s[6:7], 0
	s_wait_alu 0xfffe
	s_cvt_f32_u32 s8, s6
	s_cvt_f32_u32 s9, s7
	s_sub_nc_u64 s[10:11], 0, s[6:7]
	s_wait_alu 0xfffe
	s_delay_alu instid0(SALU_CYCLE_1) | instskip(SKIP_1) | instid1(SALU_CYCLE_2)
	s_fmamk_f32 s8, s9, 0x4f800000, s8
	s_wait_alu 0xfffe
	v_s_rcp_f32 s8, s8
	s_delay_alu instid0(TRANS32_DEP_1) | instskip(SKIP_1) | instid1(SALU_CYCLE_2)
	s_mul_f32 s8, s8, 0x5f7ffffc
	s_wait_alu 0xfffe
	s_mul_f32 s9, s8, 0x2f800000
	s_wait_alu 0xfffe
	s_delay_alu instid0(SALU_CYCLE_2) | instskip(SKIP_1) | instid1(SALU_CYCLE_2)
	s_trunc_f32 s9, s9
	s_wait_alu 0xfffe
	s_fmamk_f32 s8, s9, 0xcf800000, s8
	s_cvt_u32_f32 s9, s9
	s_wait_alu 0xfffe
	s_delay_alu instid0(SALU_CYCLE_1) | instskip(SKIP_1) | instid1(SALU_CYCLE_2)
	s_cvt_u32_f32 s8, s8
	s_wait_alu 0xfffe
	s_mul_u64 s[12:13], s[10:11], s[8:9]
	s_wait_alu 0xfffe
	s_mul_hi_u32 s15, s8, s13
	s_mul_i32 s14, s8, s13
	s_mul_hi_u32 s58, s8, s12
	s_mul_i32 s17, s9, s12
	s_wait_alu 0xfffe
	s_add_nc_u64 s[14:15], s[58:59], s[14:15]
	s_mul_hi_u32 s16, s9, s12
	s_mul_hi_u32 s18, s9, s13
	s_mul_i32 s12, s9, s13
	s_wait_alu 0xfffe
	s_add_co_u32 s13, s14, s17
	s_add_co_ci_u32 s58, s15, s16
	s_add_co_ci_u32 s13, s18, 0
	s_wait_alu 0xfffe
	s_add_nc_u64 s[12:13], s[58:59], s[12:13]
	s_wait_alu 0xfffe
	s_add_co_u32 s8, s8, s12
	s_cselect_b32 s12, -1, 0
	s_wait_alu 0xfffe
	s_cmp_lg_u32 s12, 0
	s_add_co_ci_u32 s9, s9, s13
	s_wait_alu 0xfffe
	s_mul_u64 s[10:11], s[10:11], s[8:9]
	s_wait_alu 0xfffe
	s_mul_hi_u32 s13, s8, s11
	s_mul_i32 s12, s8, s11
	s_mul_hi_u32 s58, s8, s10
	s_mul_i32 s15, s9, s10
	s_wait_alu 0xfffe
	s_add_nc_u64 s[12:13], s[58:59], s[12:13]
	s_mul_hi_u32 s14, s9, s10
	s_mul_hi_u32 s16, s9, s11
	s_mul_i32 s10, s9, s11
	s_wait_alu 0xfffe
	s_add_co_u32 s11, s12, s15
	s_add_co_ci_u32 s58, s13, s14
	s_add_co_ci_u32 s11, s16, 0
	s_wait_alu 0xfffe
	s_add_nc_u64 s[10:11], s[58:59], s[10:11]
	s_wait_alu 0xfffe
	s_add_co_u32 s14, s8, s10
	s_cselect_b32 s8, -1, 0
	s_wait_alu 0xfffe
	s_cmp_lg_u32 s8, 0
	s_add_co_ci_u32 s15, s9, s11
	s_ashr_i32 s8, s37, 31
	s_wait_alu 0xfffe
	s_mov_b32 s9, s8
	s_wait_alu 0xfffe
	s_add_nc_u64 s[10:11], s[36:37], s[8:9]
	s_wait_alu 0xfffe
	s_xor_b64 s[10:11], s[10:11], s[8:9]
	s_wait_alu 0xfffe
	s_mul_hi_u32 s13, s10, s15
	s_mul_i32 s12, s10, s15
	s_mul_hi_u32 s58, s10, s14
	s_mul_i32 s18, s11, s14
	s_wait_alu 0xfffe
	s_add_nc_u64 s[12:13], s[58:59], s[12:13]
	s_mul_hi_u32 s17, s11, s14
	s_mul_hi_u32 s16, s11, s15
	s_wait_alu 0xfffe
	s_add_co_u32 s12, s12, s18
	s_add_co_ci_u32 s58, s13, s17
	s_mul_i32 s14, s11, s15
	s_add_co_ci_u32 s15, s16, 0
	s_wait_alu 0xfffe
	s_add_nc_u64 s[12:13], s[58:59], s[14:15]
	s_wait_alu 0xfffe
	s_mul_u64 s[12:13], s[6:7], s[12:13]
	s_wait_alu 0xfffe
	s_sub_co_u32 s10, s10, s12
	s_cselect_b32 s12, -1, 0
	s_sub_co_i32 s14, s11, s13
	s_wait_alu 0xfffe
	s_cmp_lg_u32 s12, 0
	s_sub_co_ci_u32 s14, s14, s7
	s_sub_co_u32 s15, s10, s6
	s_cselect_b32 s16, -1, 0
	s_wait_alu 0xfffe
	s_cmp_lg_u32 s16, 0
	s_sub_co_ci_u32 s17, s14, 0
	s_wait_alu 0xfffe
	s_cmp_ge_u32 s17, s7
	s_cselect_b32 s18, -1, 0
	s_cmp_ge_u32 s15, s6
	s_cselect_b32 s19, -1, 0
	s_cmp_eq_u32 s17, s7
	s_wait_alu 0xfffe
	s_cselect_b32 s18, s19, s18
	s_cmp_lg_u32 s16, 0
	s_sub_co_ci_u32 s14, s14, s7
	s_sub_co_u32 s16, s15, s6
	s_cselect_b32 s19, -1, 0
	s_wait_alu 0xfffe
	s_cmp_lg_u32 s19, 0
	s_sub_co_ci_u32 s14, s14, 0
	s_cmp_lg_u32 s18, 0
	s_cselect_b32 s15, s16, s15
	s_wait_alu 0xfffe
	s_cselect_b32 s14, s14, s17
	s_cmp_lg_u32 s12, 0
	s_sub_co_ci_u32 s11, s11, s13
	s_wait_alu 0xfffe
	s_cmp_ge_u32 s11, s7
	s_cselect_b32 s12, -1, 0
	s_cmp_ge_u32 s10, s6
	s_cselect_b32 s6, -1, 0
	s_cmp_eq_u32 s11, s7
	s_wait_alu 0xfffe
	s_cselect_b32 s6, s6, s12
	s_wait_alu 0xfffe
	s_cmp_lg_u32 s6, 0
	s_cselect_b32 s7, s14, s11
	s_cselect_b32 s6, s15, s10
	s_wait_alu 0xfffe
	s_xor_b64 s[6:7], s[6:7], s[8:9]
	s_wait_alu 0xfffe
	s_sub_nc_u64 s[78:79], s[6:7], s[8:9]
	s_cbranch_execnz .LBB37_61
.LBB37_60:                              ;   in Loop: Header=BB37_16 Depth=1
	s_wait_alu 0xfffe
	v_cvt_f32_u32_e32 v4, s76
	s_sub_co_i32 s7, 0, s76
	s_delay_alu instid0(VALU_DEP_1) | instskip(NEXT) | instid1(TRANS32_DEP_1)
	v_rcp_iflag_f32_e32 v4, v4
	v_mul_f32_e32 v4, 0x4f7ffffe, v4
	s_delay_alu instid0(VALU_DEP_1) | instskip(NEXT) | instid1(VALU_DEP_1)
	v_cvt_u32_f32_e32 v4, v4
	v_readfirstlane_b32 s6, v4
	s_wait_alu 0xfffe
	s_mul_i32 s7, s7, s6
	s_wait_alu 0xfffe
	s_mul_hi_u32 s7, s6, s7
	s_wait_alu 0xfffe
	s_add_co_i32 s6, s6, s7
	s_wait_alu 0xfffe
	s_mul_hi_u32 s6, s36, s6
	s_wait_alu 0xfffe
	s_mul_i32 s6, s6, s76
	s_wait_alu 0xfffe
	s_sub_co_i32 s6, s36, s6
	s_wait_alu 0xfffe
	s_sub_co_i32 s7, s6, s76
	s_cmp_ge_u32 s6, s76
	s_wait_alu 0xfffe
	s_cselect_b32 s6, s7, s6
	s_wait_alu 0xfffe
	s_sub_co_i32 s7, s6, s76
	s_cmp_ge_u32 s6, s76
	s_wait_alu 0xfffe
	s_cselect_b32 s58, s7, s6
	s_wait_alu 0xfffe
	s_mov_b64 s[78:79], s[58:59]
.LBB37_61:                              ;   in Loop: Header=BB37_16 Depth=1
	v_mov_b32_e32 v4, 0
	v_dual_mov_b32 v8, 0 :: v_dual_mov_b32 v5, 0
	v_dual_mov_b32 v6, 0 :: v_dual_mov_b32 v9, 0
	;; [unrolled: 1-line block ×3, first 2 shown]
	v_dual_mov_b32 v11, 0 :: v_dual_and_b32 v2, 0xffff, v2
	s_wait_alu 0xfffe
	s_sub_nc_u64 s[80:81], s[36:37], s[78:79]
	s_mov_b32 s25, exec_lo
	s_wait_alu 0xfffe
	v_cmpx_gt_i64_e64 s[80:81], v[16:17]
	s_cbranch_execz .LBB37_65
; %bb.62:                               ;   in Loop: Header=BB37_16 Depth=1
	v_mul_lo_u32 v4, v2, s73
	v_mul_lo_u32 v5, 0, s72
	v_mul_hi_u32 v6, v2, s72
	v_mul_lo_u32 v48, v2, s72
	v_dual_mov_b32 v33, v17 :: v_dual_mov_b32 v32, v16
	s_mov_b64 s[82:83], 0
	s_mov_b32 s75, 0
	s_mov_b64 s[84:85], 0
	s_delay_alu instid0(VALU_DEP_4) | instskip(SKIP_3) | instid1(VALU_DEP_2)
	v_add_nc_u32_e32 v4, v4, v5
	v_dual_mov_b32 v30, s62 :: v_dual_mov_b32 v31, s63
	s_mov_b64 s[86:87], 0
	s_mov_b64 s[88:89], 0
	v_add_nc_u32_e32 v49, v4, v6
.LBB37_63:                              ;   Parent Loop BB37_16 Depth=1
                                        ; =>  This Inner Loop Header: Depth=2
	s_delay_alu instid0(VALU_DEP_2)
	v_add_co_u32 v4, vcc_lo, v30, v26
	s_wait_alu 0xfffd
	v_add_co_ci_u32_e64 v5, null, v31, v27, vcc_lo
	global_load_i16 v6, v[4:5], off
	v_add_co_u32 v4, vcc_lo, v30, v25
	s_wait_alu 0xfffd
	v_add_co_ci_u32_e64 v5, null, v31, v41, vcc_lo
	global_load_i16 v7, v[4:5], off
	;; [unrolled: 4-line block ×4, first 2 shown]
	s_wait_loadcnt 0x3
	v_add_nc_u32_e32 v5, 0x8000, v6
	s_delay_alu instid0(VALU_DEP_1) | instskip(SKIP_1) | instid1(VALU_DEP_2)
	v_and_b32_e32 v6, v5, v46
	v_bfe_u32 v5, v5, s99, 2
	v_cmp_eq_u32_e32 vcc_lo, v6, v40
	s_wait_loadcnt 0x2
	v_add_nc_u32_e32 v6, 0x8000, v7
	s_delay_alu instid0(VALU_DEP_3)
	v_cmp_eq_u32_e64 s9, 0, v5
	v_cmp_eq_u32_e64 s10, 1, v5
	;; [unrolled: 1-line block ×4, first 2 shown]
	v_and_b32_e32 v7, v6, v46
	v_bfe_u32 v5, v6, s99, 2
	s_and_b32 s9, vcc_lo, s9
	s_and_b32 s10, vcc_lo, s10
	s_and_b32 s11, vcc_lo, s11
	v_cmp_eq_u32_e64 s6, v7, v40
	s_wait_loadcnt 0x1
	v_add_nc_u32_e32 v7, 0x8000, v8
	v_cmp_eq_u32_e64 s13, 0, v5
	s_wait_loadcnt 0x0
	v_add_nc_u32_e32 v4, 0x8000, v4
	v_cmp_eq_u32_e64 s14, 1, v5
	v_cmp_eq_u32_e64 s15, 2, v5
	v_and_b32_e32 v8, v7, v46
	v_cmp_eq_u32_e64 s16, 3, v5
	v_bfe_u32 v5, v7, s99, 2
	s_and_b32 s13, s6, s13
	s_and_b32 s14, s6, s14
	v_cmp_eq_u32_e64 s7, v8, v40
	v_and_b32_e32 v8, v4, v46
	v_bfe_u32 v4, v4, s99, 2
	v_cmp_eq_u32_e64 s17, 0, v5
	v_cmp_eq_u32_e64 s18, 1, v5
	;; [unrolled: 1-line block ×8, first 2 shown]
	s_wait_alu 0xfffe
	v_cndmask_b32_e64 v4, 0, 1, s9
	s_and_b32 s17, s7, s17
	s_and_b32 s21, s8, s21
	;; [unrolled: 1-line block ×4, first 2 shown]
	v_cmp_ne_u32_e64 s9, 0, v4
	v_cndmask_b32_e64 v4, 0, 1, s13
	s_and_b32 s15, s6, s15
	s_and_b32 s19, s7, s19
	;; [unrolled: 1-line block ×3, first 2 shown]
	s_and_b32 s12, vcc_lo, s12
	v_cmp_ne_u32_e64 s13, 0, v4
	s_wait_alu 0xfffe
	v_cndmask_b32_e64 v4, 0, 1, s17
	v_cmp_eq_u32_e64 s20, 3, v5
	s_and_b32 s6, s6, s16
	s_and_b32 s8, s8, s24
	v_add_co_u32 v30, s16, v30, v48
	v_cmp_ne_u32_e64 s17, 0, v4
	v_cndmask_b32_e64 v4, 0, 1, s21
	s_and_b32 s7, s7, s20
	s_bcnt1_i32_b32 s9, s9
	s_bcnt1_i32_b32 s13, s13
	v_add_co_ci_u32_e64 v31, null, v31, v49, s16
	v_cmp_ne_u32_e64 s21, 0, v4
	v_cndmask_b32_e64 v4, 0, 1, s10
	s_bcnt1_i32_b32 s16, s17
	s_wait_alu 0xfffe
	s_add_co_i32 s9, s13, s9
	s_bcnt1_i32_b32 s17, s21
	v_cmp_ne_u32_e64 s10, 0, v4
	v_cndmask_b32_e64 v4, 0, 1, s14
	s_wait_alu 0xfffe
	s_add_co_i32 s9, s9, s16
	s_wait_alu 0xfffe
	s_add_co_i32 s58, s9, s17
	s_bcnt1_i32_b32 s10, s10
	v_cmp_ne_u32_e64 s14, 0, v4
	v_cndmask_b32_e64 v4, 0, 1, s18
	s_wait_alu 0xfffe
	s_add_nc_u64 s[88:89], s[88:89], s[58:59]
	s_bcnt1_i32_b32 s14, s14
	s_delay_alu instid0(VALU_DEP_1) | instskip(SKIP_4) | instid1(VALU_DEP_1)
	v_cmp_ne_u32_e64 s18, 0, v4
	v_cndmask_b32_e64 v4, 0, 1, s22
	s_wait_alu 0xfffe
	s_add_co_i32 s10, s14, s10
	s_bcnt1_i32_b32 s18, s18
	v_cmp_ne_u32_e64 s22, 0, v4
	v_cndmask_b32_e64 v4, 0, 1, s11
	s_wait_alu 0xfffe
	s_add_co_i32 s10, s10, s18
	s_bcnt1_i32_b32 s20, s22
	s_delay_alu instid0(VALU_DEP_1)
	v_cmp_ne_u32_e64 s11, 0, v4
	v_cndmask_b32_e64 v4, 0, 1, s15
	s_wait_alu 0xfffe
	s_add_co_i32 s58, s10, s20
	s_wait_alu 0xfffe
	s_add_nc_u64 s[86:87], s[86:87], s[58:59]
	s_bcnt1_i32_b32 s11, s11
	v_cmp_ne_u32_e64 s15, 0, v4
	v_cndmask_b32_e64 v4, 0, 1, s19
	s_wait_alu 0xfffe
	v_dual_mov_b32 v6, s86 :: v_dual_mov_b32 v7, s87
	s_bcnt1_i32_b32 s15, s15
	s_delay_alu instid0(VALU_DEP_2) | instskip(SKIP_4) | instid1(VALU_DEP_1)
	v_cmp_ne_u32_e64 s19, 0, v4
	v_cndmask_b32_e64 v4, 0, 1, s23
	s_wait_alu 0xfffe
	s_add_co_i32 s11, s15, s11
	s_bcnt1_i32_b32 s19, s19
	v_cmp_ne_u32_e64 s23, 0, v4
	v_cndmask_b32_e64 v4, 0, 1, s12
	v_add_co_u32 v32, s12, v32, s76
	s_wait_alu 0xfffe
	s_add_co_i32 s11, s11, s19
	s_bcnt1_i32_b32 s21, s23
	v_cmp_ne_u32_e32 vcc_lo, 0, v4
	v_cndmask_b32_e64 v4, 0, 1, s6
	v_add_co_ci_u32_e64 v33, null, 0, v33, s12
	s_wait_alu 0xfffe
	s_add_co_i32 s58, s11, s21
	s_bcnt1_i32_b32 s22, vcc_lo
	v_cmp_ne_u32_e64 s6, 0, v4
	v_cndmask_b32_e64 v4, 0, 1, s7
	s_wait_alu 0xfffe
	s_add_nc_u64 s[84:85], s[84:85], s[58:59]
	v_cmp_le_i64_e64 s12, s[80:81], v[32:33]
	s_wait_alu 0xfffe
	v_mov_b32_e32 v8, s84
	s_bcnt1_i32_b32 s6, s6
	v_cmp_ne_u32_e64 s7, 0, v4
	v_cndmask_b32_e64 v4, 0, 1, s8
	s_wait_alu 0xfffe
	s_add_co_i32 s6, s6, s22
	v_mov_b32_e32 v9, s85
	s_bcnt1_i32_b32 s7, s7
	v_cmp_ne_u32_e64 s8, 0, v4
	s_wait_alu 0xfffe
	s_add_co_i32 s6, s6, s7
	v_dual_mov_b32 v4, s88 :: v_dual_mov_b32 v5, s89
	s_bcnt1_i32_b32 s8, s8
	s_wait_alu 0xfffe
	s_add_co_i32 s58, s6, s8
	s_or_b32 s75, s12, s75
	s_wait_alu 0xfffe
	s_add_nc_u64 s[82:83], s[82:83], s[58:59]
	s_wait_alu 0xfffe
	v_dual_mov_b32 v10, s82 :: v_dual_mov_b32 v11, s83
	s_and_not1_b32 exec_lo, exec_lo, s75
	s_cbranch_execnz .LBB37_63
; %bb.64:                               ;   in Loop: Header=BB37_16 Depth=1
	s_or_b32 exec_lo, exec_lo, s75
.LBB37_65:                              ;   in Loop: Header=BB37_16 Depth=1
	s_delay_alu instid0(SALU_CYCLE_1)
	s_or_b32 exec_lo, exec_lo, s25
	v_add_co_u32 v30, s6, s80, v0
	s_wait_alu 0xf1ff
	v_add_co_ci_u32_e64 v31, null, s81, 0, s6
	s_mov_b32 s10, exec_lo
	v_cmpx_gt_i64_e64 s[36:37], v[30:31]
	s_cbranch_execz .LBB37_71
; %bb.66:                               ;   in Loop: Header=BB37_16 Depth=1
	v_mul_lo_u32 v48, v31, s42
	v_mul_lo_u32 v49, v30, s43
	v_mad_co_u64_u32 v[32:33], null, v30, s42, 0
	v_mul_hi_u32 v52, v2, s70
	s_mov_b32 s11, 0
	s_delay_alu instid0(VALU_DEP_2) | instskip(SKIP_1) | instid1(VALU_DEP_2)
	v_add3_u32 v33, v33, v49, v48
	v_mul_lo_u32 v48, v2, s71
	v_lshlrev_b64_e32 v[32:33], 1, v[32:33]
	s_delay_alu instid0(VALU_DEP_2) | instskip(SKIP_1) | instid1(VALU_DEP_3)
	v_add_nc_u32_e32 v53, v48, v45
	v_mul_lo_u32 v48, v2, s70
	v_add_co_u32 v32, vcc_lo, s62, v32
	s_wait_alu 0xfffd
	s_delay_alu instid0(VALU_DEP_4) | instskip(SKIP_4) | instid1(VALU_DEP_2)
	v_add_co_ci_u32_e64 v33, null, s63, v33, vcc_lo
	global_load_u16 v51, v[32:33], off
	v_add_co_u32 v32, vcc_lo, v42, v2
	s_wait_alu 0xfffd
	v_add_co_ci_u32_e64 v33, null, 0, v43, vcc_lo
	v_sub_co_u32 v32, vcc_lo, v32, s78
	s_wait_alu 0xfffd
	s_delay_alu instid0(VALU_DEP_2) | instskip(NEXT) | instid1(VALU_DEP_2)
	v_subrev_co_ci_u32_e64 v33, null, s79, v33, vcc_lo
	v_mul_lo_u32 v50, s71, v32
	s_delay_alu instid0(VALU_DEP_2) | instskip(SKIP_1) | instid1(VALU_DEP_1)
	v_mul_lo_u32 v49, s70, v33
	v_mad_co_u64_u32 v[32:33], null, s70, v32, s[68:69]
	v_add3_u32 v33, v50, v33, v49
	v_add_nc_u32_e32 v49, v53, v52
	s_branch .LBB37_68
.LBB37_67:                              ;   in Loop: Header=BB37_68 Depth=2
	s_wait_alu 0xfffe
	s_or_b32 exec_lo, exec_lo, s7
	s_wait_loadcnt 0x0
	v_bfe_i32 v51, v51, 0, 16
	s_and_b32 s8, exec_lo, vcc_lo
	s_wait_alu 0xfffe
	s_or_b32 s11, s8, s11
	s_delay_alu instid0(VALU_DEP_1) | instskip(NEXT) | instid1(VALU_DEP_1)
	v_add_nc_u32_e32 v51, 0x8000, v51
	v_and_b32_e32 v52, v51, v46
	v_bfe_u32 v51, v51, s99, 2
	s_delay_alu instid0(VALU_DEP_2) | instskip(NEXT) | instid1(VALU_DEP_2)
	v_cmp_eq_u32_e64 s6, v52, v40
	v_cmp_eq_u32_e64 s7, 0, v51
	v_cmp_eq_u32_e32 vcc_lo, 1, v51
	v_cmp_eq_u32_e64 s8, 2, v51
	s_and_b32 s7, s6, s7
	s_wait_alu 0xfffe
	v_cndmask_b32_e64 v52, 0, 1, s7
	s_and_b32 s7, s6, vcc_lo
	v_cmp_eq_u32_e32 vcc_lo, 3, v51
	s_wait_alu 0xfffe
	v_cndmask_b32_e64 v53, 0, 1, s7
	s_and_b32 s7, s6, s8
	s_wait_alu 0xfffe
	v_cndmask_b32_e64 v54, 0, 1, s7
	v_cmp_ne_u32_e64 s7, 0, v52
	v_cmp_ne_u32_e64 s8, 0, v53
	s_and_b32 s6, s6, vcc_lo
	s_wait_alu 0xfffe
	v_cndmask_b32_e64 v51, 0, 1, s6
	s_bcnt1_i32_b32 s6, s7
	v_cmp_ne_u32_e64 s9, 0, v54
	s_bcnt1_i32_b32 s7, s8
	s_wait_alu 0xfffe
	v_add_co_u32 v4, vcc_lo, v4, s6
	s_wait_alu 0xfffd
	v_add_co_ci_u32_e64 v5, null, 0, v5, vcc_lo
	v_add_co_u32 v6, vcc_lo, v6, s7
	s_wait_alu 0xfffd
	v_add_co_ci_u32_e64 v7, null, 0, v7, vcc_lo
	v_cmp_ne_u32_e32 vcc_lo, 0, v51
	s_bcnt1_i32_b32 s8, s9
	v_mov_b32_e32 v51, v50
	s_wait_alu 0xfffe
	v_add_co_u32 v8, s6, v8, s8
	s_wait_alu 0xf1ff
	v_add_co_ci_u32_e64 v9, null, 0, v9, s6
	s_bcnt1_i32_b32 s6, vcc_lo
	s_wait_alu 0xfffe
	v_add_co_u32 v10, vcc_lo, v10, s6
	s_wait_alu 0xfffd
	v_add_co_ci_u32_e64 v11, null, 0, v11, vcc_lo
	v_add_co_u32 v32, vcc_lo, v32, v48
	s_wait_alu 0xfffd
	v_add_co_ci_u32_e64 v33, null, v33, v49, vcc_lo
	s_and_not1_b32 exec_lo, exec_lo, s11
	s_cbranch_execz .LBB37_70
.LBB37_68:                              ;   Parent Loop BB37_16 Depth=1
                                        ; =>  This Inner Loop Header: Depth=2
	v_add_co_u32 v30, vcc_lo, v30, v2
	s_wait_alu 0xfffd
	v_add_co_ci_u32_e64 v31, null, 0, v31, vcc_lo
	v_mov_b32_e32 v50, 0
	s_mov_b32 s7, exec_lo
	s_delay_alu instid0(VALU_DEP_2)
	v_cmp_le_i64_e32 vcc_lo, s[36:37], v[30:31]
	v_cmpx_gt_i64_e64 s[36:37], v[30:31]
	s_cbranch_execz .LBB37_67
; %bb.69:                               ;   in Loop: Header=BB37_68 Depth=2
	global_load_u16 v50, v[32:33], off
	s_branch .LBB37_67
.LBB37_70:                              ;   in Loop: Header=BB37_16 Depth=1
	s_or_b32 exec_lo, exec_lo, s11
.LBB37_71:                              ;   in Loop: Header=BB37_16 Depth=1
	s_wait_alu 0xfffe
	s_or_b32 exec_lo, exec_lo, s10
	s_branch .LBB37_50
.LBB37_72:                              ;   in Loop: Header=BB37_16 Depth=1
	global_load_u16 v2, v3, s[38:39]
	v_mov_b32_e32 v6, 0
	v_mov_b32_e32 v8, 0
	v_dual_mov_b32 v10, 0 :: v_dual_mov_b32 v9, 0
	v_mov_b32_e32 v11, 0
	s_mov_b32 s86, exec_lo
	v_mov_b32_e32 v7, 0
	s_wait_loadcnt 0x0
	v_readfirstlane_b32 s6, v2
	v_and_b32_e32 v2, 0xffff, v2
	s_and_b32 s75, 0xffff, s6
	s_wait_alu 0xfffe
	s_lshl_b32 s85, s75, 2
	s_wait_alu 0xfffe
	s_cvt_f32_u32 s6, s85
	s_sub_co_i32 s7, 0, s85
	s_wait_alu 0xfffe
	s_delay_alu instid0(SALU_CYCLE_1) | instskip(NEXT) | instid1(TRANS32_DEP_1)
	v_rcp_iflag_f32_e32 v4, s6
	v_readfirstlane_b32 s6, v4
	s_mul_f32 s6, s6, 0x4f7ffffe
	s_wait_alu 0xfffe
	s_delay_alu instid0(SALU_CYCLE_2) | instskip(SKIP_1) | instid1(SALU_CYCLE_2)
	s_cvt_u32_f32 s6, s6
	s_wait_alu 0xfffe
	s_mul_i32 s7, s7, s6
	s_wait_alu 0xfffe
	s_mul_hi_u32 s7, s6, s7
	s_wait_alu 0xfffe
	s_add_co_i32 s6, s6, s7
	s_wait_alu 0xfffe
	s_mul_hi_u32 s6, s74, s6
	s_wait_alu 0xfffe
	s_mul_i32 s7, s6, s85
	s_add_co_i32 s8, s6, 1
	s_wait_alu 0xfffe
	s_sub_co_i32 s7, s74, s7
	s_wait_alu 0xfffe
	s_sub_co_i32 s9, s7, s85
	s_cmp_ge_u32 s7, s85
	s_cselect_b32 s6, s8, s6
	s_wait_alu 0xfffe
	s_cselect_b32 s7, s9, s7
	s_add_co_i32 s8, s6, 1
	s_wait_alu 0xfffe
	s_cmp_ge_u32 s7, s85
	s_cselect_b32 s84, s8, s6
	s_wait_alu 0xfffe
	v_mul_hi_u32 v5, s84, v2
	v_mul_lo_u32 v4, s84, v2
	s_delay_alu instid0(VALU_DEP_1) | instskip(SKIP_2) | instid1(VALU_DEP_3)
	v_lshlrev_b64_e32 v[30:31], 2, v[4:5]
	v_mov_b32_e32 v4, 0
	v_mov_b32_e32 v5, 0
	v_cmpx_gt_u64_e64 v[30:31], v[16:17]
	s_cbranch_execz .LBB37_76
; %bb.73:                               ;   in Loop: Header=BB37_16 Depth=1
	v_dual_mov_b32 v48, v39 :: v_dual_mov_b32 v33, v17
	v_mov_b32_e32 v32, v16
	s_lshl_b32 s87, s75, 3
	s_mov_b64 s[76:77], 0
	s_mov_b32 s88, 0
	s_mov_b64 s[78:79], 0
	s_mov_b64 s[80:81], 0
	;; [unrolled: 1-line block ×3, first 2 shown]
.LBB37_74:                              ;   Parent Loop BB37_16 Depth=1
                                        ; =>  This Inner Loop Header: Depth=2
	ds_load_b64 v[4:5], v48
	v_add_co_u32 v32, vcc_lo, v32, s85
	s_wait_alu 0xfffd
	v_add_co_ci_u32_e64 v33, null, 0, v33, vcc_lo
	s_delay_alu instid0(VALU_DEP_1)
	v_cmp_ge_u64_e32 vcc_lo, v[32:33], v[30:31]
	s_wait_dscnt 0x0
	v_bfe_i32 v6, v4, 0, 16
	v_ashrrev_i32_e32 v4, 16, v4
	v_bfe_i32 v7, v5, 0, 16
	v_ashrrev_i32_e32 v5, 16, v5
	s_delay_alu instid0(VALU_DEP_4) | instskip(NEXT) | instid1(VALU_DEP_4)
	v_add_nc_u32_e32 v6, 0x8000, v6
	v_add_nc_u32_e32 v4, 0x8000, v4
	s_delay_alu instid0(VALU_DEP_4) | instskip(NEXT) | instid1(VALU_DEP_4)
	v_add_nc_u32_e32 v7, 0x8000, v7
	v_add_nc_u32_e32 v5, 0x8000, v5
	s_delay_alu instid0(VALU_DEP_4) | instskip(NEXT) | instid1(VALU_DEP_4)
	v_and_b32_e32 v8, v6, v46
	v_and_b32_e32 v9, v4, v46
	v_bfe_u32 v6, v6, s99, 2
	v_bfe_u32 v4, v4, s99, 2
	s_delay_alu instid0(VALU_DEP_4)
	v_cmp_eq_u32_e64 s6, v8, v40
	v_and_b32_e32 v8, v7, v46
	v_bfe_u32 v7, v7, s99, 2
	v_cmp_eq_u32_e64 s7, v9, v40
	v_and_b32_e32 v9, v5, v46
	v_bfe_u32 v5, v5, s99, 2
	v_cmp_eq_u32_e64 s10, 0, v6
	v_cmp_eq_u32_e64 s11, 0, v4
	;; [unrolled: 1-line block ×9, first 2 shown]
	s_and_b32 s10, s6, s10
	s_and_b32 s11, s7, s11
	v_cmp_eq_u32_e64 s15, 1, v4
	v_cmp_eq_u32_e64 s18, 2, v6
	;; [unrolled: 1-line block ×7, first 2 shown]
	s_and_b32 s12, s8, s12
	s_wait_alu 0xfffe
	v_cndmask_b32_e64 v4, 0, 1, s10
	v_cndmask_b32_e64 v5, 0, 1, s11
	s_and_b32 s13, s9, s13
	v_cmp_eq_u32_e64 s20, 2, v7
	v_cmp_eq_u32_e64 s24, 3, v7
	v_cndmask_b32_e64 v6, 0, 1, s12
	s_and_b32 s14, s6, s14
	s_and_b32 s16, s8, s16
	;; [unrolled: 1-line block ×3, first 2 shown]
	s_wait_alu 0xfffe
	v_cndmask_b32_e64 v7, 0, 1, s13
	s_and_b32 s15, s7, s15
	s_and_b32 s18, s6, s18
	;; [unrolled: 1-line block ×5, first 2 shown]
	v_cndmask_b32_e64 v8, 0, 1, s14
	v_cmp_ne_u32_e64 s6, 0, v4
	v_cndmask_b32_e64 v4, 0, 1, s16
	v_cmp_ne_u32_e64 s7, 0, v5
	v_cndmask_b32_e64 v5, 0, 1, s17
	s_wait_alu 0xfffe
	v_cndmask_b32_e64 v9, 0, 1, s15
	s_and_b32 s20, s8, s20
	s_and_b32 s24, s8, s24
	v_cmp_ne_u32_e64 s8, 0, v6
	v_cndmask_b32_e64 v6, 0, 1, s18
	s_and_b32 s21, s9, s21
	s_and_b32 s25, s9, s25
	v_cmp_ne_u32_e64 s9, 0, v7
	v_cndmask_b32_e64 v7, 0, 1, s19
	v_cmp_ne_u32_e64 s10, 0, v8
	s_wait_alu 0xfffe
	v_cndmask_b32_e64 v8, 0, 1, s20
	v_cmp_ne_u32_e64 s12, 0, v4
	v_cndmask_b32_e64 v4, 0, 1, s22
	v_cmp_ne_u32_e64 s13, 0, v5
	;; [unrolled: 2-line block ×5, first 2 shown]
	v_cndmask_b32_e64 v7, 0, 1, s25
	s_bcnt1_i32_b32 s6, s6
	s_bcnt1_i32_b32 s7, s7
	v_cmp_ne_u32_e64 s16, 0, v8
	v_cmp_ne_u32_e64 s18, 0, v4
	;; [unrolled: 1-line block ×3, first 2 shown]
	s_bcnt1_i32_b32 s8, s8
	s_bcnt1_i32_b32 s10, s10
	;; [unrolled: 1-line block ×3, first 2 shown]
	s_wait_alu 0xfffe
	s_add_co_i32 s6, s7, s6
	v_cmp_ne_u32_e64 s17, 0, v9
	v_cmp_ne_u32_e64 s20, 0, v6
	s_bcnt1_i32_b32 s9, s9
	s_bcnt1_i32_b32 s12, s12
	;; [unrolled: 1-line block ×4, first 2 shown]
	s_add_co_i32 s7, s11, s10
	s_wait_alu 0xfffe
	s_add_co_i32 s6, s6, s8
	v_cmp_ne_u32_e64 s21, 0, v7
	s_bcnt1_i32_b32 s13, s13
	s_bcnt1_i32_b32 s16, s16
	;; [unrolled: 1-line block ×4, first 2 shown]
	s_add_co_i32 s10, s15, s14
	s_add_co_i32 s7, s7, s12
	s_wait_alu 0xfffe
	s_add_co_i32 s58, s6, s9
	s_bcnt1_i32_b32 s17, s17
	s_bcnt1_i32_b32 s20, s20
	s_add_co_i32 s11, s19, s18
	s_add_co_i32 s8, s10, s16
	s_wait_alu 0xfffe
	s_add_nc_u64 s[82:83], s[82:83], s[58:59]
	s_add_co_i32 s58, s7, s13
	s_bcnt1_i32_b32 s21, s21
	s_add_co_i32 s10, s11, s20
	s_wait_alu 0xfffe
	s_add_nc_u64 s[80:81], s[80:81], s[58:59]
	s_add_co_i32 s58, s8, s17
	v_mov_b32_e32 v4, s82
	s_wait_alu 0xfffe
	s_add_nc_u64 s[78:79], s[78:79], s[58:59]
	s_add_co_i32 s58, s10, s21
	v_mov_b32_e32 v6, s80
	s_wait_alu 0xfffe
	s_add_nc_u64 s[76:77], s[76:77], s[58:59]
	v_mov_b32_e32 v8, s78
	s_wait_alu 0xfffe
	v_mov_b32_e32 v10, s76
	v_dual_mov_b32 v5, s83 :: v_dual_add_nc_u32 v48, s87, v48
	v_mov_b32_e32 v7, s81
	v_mov_b32_e32 v9, s79
	;; [unrolled: 1-line block ×3, first 2 shown]
	s_or_b32 s88, vcc_lo, s88
	s_wait_alu 0xfffe
	s_and_not1_b32 exec_lo, exec_lo, s88
	s_cbranch_execnz .LBB37_74
; %bb.75:                               ;   in Loop: Header=BB37_16 Depth=1
	s_or_b32 exec_lo, exec_lo, s88
.LBB37_76:                              ;   in Loop: Header=BB37_16 Depth=1
	s_delay_alu instid0(SALU_CYCLE_1)
	s_or_b32 exec_lo, exec_lo, s86
	v_add_co_u32 v30, vcc_lo, v30, v0
	s_wait_alu 0xfffd
	v_add_co_ci_u32_e64 v31, null, 0, v31, vcc_lo
	s_and_b32 s58, s74, 0x7fffffff
	s_mov_b32 s11, exec_lo
	s_wait_alu 0xfffe
	v_cmpx_gt_u64_e64 s[58:59], v[30:31]
	s_cbranch_execz .LBB37_80
; %bb.77:                               ;   in Loop: Header=BB37_16 Depth=1
	s_mul_i32 s84, s84, s75
	s_lshl_b32 s13, s75, 1
	s_wait_alu 0xfffe
	v_lshl_add_u32 v32, s84, 3, v35
	s_mov_b32 s12, 0
.LBB37_78:                              ;   Parent Loop BB37_16 Depth=1
                                        ; =>  This Inner Loop Header: Depth=2
	ds_load_i16 v33, v32
	v_add_co_u32 v30, vcc_lo, v30, v2
	s_wait_alu 0xfffd
	v_add_co_ci_u32_e64 v31, null, 0, v31, vcc_lo
	v_add_nc_u32_e32 v32, s13, v32
	s_delay_alu instid0(VALU_DEP_2) | instskip(SKIP_2) | instid1(VALU_DEP_1)
	v_cmp_le_u64_e32 vcc_lo, s[58:59], v[30:31]
	s_wait_dscnt 0x0
	v_add_nc_u32_e32 v33, 0x8000, v33
	v_and_b32_e32 v48, v33, v46
	v_bfe_u32 v33, v33, s99, 2
	s_delay_alu instid0(VALU_DEP_2) | instskip(NEXT) | instid1(VALU_DEP_2)
	v_cmp_eq_u32_e64 s6, v48, v40
	v_cmp_eq_u32_e64 s7, 0, v33
	;; [unrolled: 1-line block ×5, first 2 shown]
	s_and_b32 s7, s6, s7
	s_wait_alu 0xfffe
	v_cndmask_b32_e64 v33, 0, 1, s7
	s_and_b32 s7, s6, s8
	s_wait_alu 0xfffe
	v_cndmask_b32_e64 v48, 0, 1, s7
	s_and_b32 s7, s6, s9
	s_and_b32 s6, s6, s10
	s_wait_alu 0xfffe
	v_cndmask_b32_e64 v49, 0, 1, s7
	v_cndmask_b32_e64 v50, 0, 1, s6
	v_cmp_ne_u32_e64 s6, 0, v33
	v_cmp_ne_u32_e64 s7, 0, v48
	s_delay_alu instid0(VALU_DEP_4) | instskip(NEXT) | instid1(VALU_DEP_4)
	v_cmp_ne_u32_e64 s8, 0, v49
	v_cmp_ne_u32_e64 s9, 0, v50
	s_bcnt1_i32_b32 s6, s6
	s_bcnt1_i32_b32 s7, s7
	s_wait_alu 0xfffe
	v_add_co_u32 v4, s6, v4, s6
	s_bcnt1_i32_b32 s8, s8
	v_add_co_ci_u32_e64 v5, null, 0, v5, s6
	v_add_co_u32 v6, s6, v6, s7
	s_bcnt1_i32_b32 s9, s9
	v_add_co_ci_u32_e64 v7, null, 0, v7, s6
	s_wait_alu 0xfffe
	v_add_co_u32 v8, s6, v8, s8
	s_wait_alu 0xf1ff
	v_add_co_ci_u32_e64 v9, null, 0, v9, s6
	v_add_co_u32 v10, s6, v10, s9
	s_wait_alu 0xf1ff
	v_add_co_ci_u32_e64 v11, null, 0, v11, s6
	s_or_b32 s12, vcc_lo, s12
	s_wait_alu 0xfffe
	s_and_not1_b32 exec_lo, exec_lo, s12
	s_cbranch_execnz .LBB37_78
; %bb.79:                               ;   in Loop: Header=BB37_16 Depth=1
	s_or_b32 exec_lo, exec_lo, s12
.LBB37_80:                              ;   in Loop: Header=BB37_16 Depth=1
	s_delay_alu instid0(SALU_CYCLE_1)
	s_or_b32 exec_lo, exec_lo, s11
	s_lshl_b32 s6, s101, 7
	s_and_saveexec_b32 s7, s1
	s_cbranch_execnz .LBB37_51
	s_branch .LBB37_52
.LBB37_81:                              ;   in Loop: Header=BB37_16 Depth=1
                                        ; implicit-def: $sgpr78_sgpr79
	s_branch .LBB37_60
.LBB37_82:                              ;   in Loop: Header=BB37_16 Depth=1
	s_or_b32 exec_lo, exec_lo, s9
	s_wait_dscnt 0x0
	s_barrier_signal -1
	s_barrier_wait -1
	global_inv scope:SCOPE_SE
	s_and_saveexec_b32 s6, s2
	s_cbranch_execz .LBB37_84
; %bb.83:                               ;   in Loop: Header=BB37_16 Depth=1
	ds_load_b32 v4, v3 offset:5136
	s_wait_dscnt 0x0
	v_ashrrev_i32_e32 v5, 31, v4
	ds_store_b64 v3, v[4:5] offset:5120
.LBB37_84:                              ;   in Loop: Header=BB37_16 Depth=1
	s_wait_alu 0xfffe
	s_or_b32 exec_lo, exec_lo, s6
	s_wait_loadcnt_dscnt 0x0
	s_barrier_signal -1
	s_mov_b32 s6, -1
	s_barrier_wait -1
	s_and_b32 vcc_lo, exec_lo, s8
	s_wait_alu 0xfffe
	s_cbranch_vccnz .LBB37_31
	s_branch .LBB37_46
.LBB37_85:                              ;   in Loop: Header=BB37_16 Depth=1
	s_mov_b32 s8, 0
	s_and_not1_b32 vcc_lo, exec_lo, s97
	s_wait_alu 0xfffe
	s_cbranch_vccnz .LBB37_88
.LBB37_86:                              ;   in Loop: Header=BB37_16 Depth=1
	s_lshl_b32 s9, s101, 10
	s_lshl_b32 s8, s8, 5
	s_wait_alu 0xfffe
	v_add3_u32 v2, s9, s8, v44
	s_mov_b32 s8, s94
.LBB37_87:                              ;   Parent Loop BB37_16 Depth=1
                                        ; =>  This Inner Loop Header: Depth=2
	ds_load_b64 v[6:7], v2
	v_add_nc_u32_e32 v2, 32, v2
	s_wait_alu 0xfffe
	s_add_co_i32 s8, s8, -1
	s_wait_alu 0xfffe
	s_cmp_lg_u32 s8, 0
	s_wait_dscnt 0x0
	v_add_co_u32 v4, vcc_lo, v6, v4
	s_wait_alu 0xfffd
	v_add_co_ci_u32_e64 v5, null, v7, v5, vcc_lo
	s_cbranch_scc1 .LBB37_87
.LBB37_88:                              ;   in Loop: Header=BB37_16 Depth=1
	v_add_lshl_u32 v2, s6, v34, 3
	ds_store_b64 v2, v[4:5] offset:3072
.LBB37_89:                              ;   in Loop: Header=BB37_16 Depth=1
	s_wait_alu 0xfffe
	s_or_b32 exec_lo, exec_lo, s7
	s_lshl_b32 s6, s6, 3
	s_wait_loadcnt_dscnt 0x0
	s_wait_alu 0xfffe
	v_mov_b32_e32 v2, s6
	s_barrier_signal -1
	s_barrier_wait -1
	global_inv scope:SCOPE_SE
	v_cmp_eq_u64_e32 vcc_lo, 1, v[28:29]
	ds_load_b128 v[4:7], v2 offset:3072
	ds_load_b128 v[8:11], v2 offset:3088
	s_lshl_b32 s16, 3, s99
	s_mov_b32 s18, -1
	s_wait_alu 0xfffe
	s_not_b32 s20, s16
                                        ; implicit-def: $sgpr22
                                        ; implicit-def: $sgpr21
	s_wait_dscnt 0x1
	v_cmp_eq_u64_e64 s6, 1, v[4:5]
	s_wait_dscnt 0x0
	v_readfirstlane_b32 s10, v8
	v_readfirstlane_b32 s11, v9
	;; [unrolled: 1-line block ×4, first 2 shown]
	s_and_b32 s19, s6, vcc_lo
	s_mov_b32 s6, -1
	s_wait_alu 0xfffe
	s_and_saveexec_b32 s17, s19
	s_cbranch_execz .LBB37_121
; %bb.90:                               ;   in Loop: Header=BB37_16 Depth=1
	ds_load_b64 v[8:9], v3 offset:5120
	s_wait_loadcnt_dscnt 0x0
	s_barrier_signal -1
	s_barrier_wait -1
	global_inv scope:SCOPE_SE
	v_readfirstlane_b32 s12, v8
	v_readfirstlane_b32 s13, v9
	s_and_saveexec_b32 s6, s3
; %bb.91:                               ;   in Loop: Header=BB37_16 Depth=1
	ds_store_b16 v36, v3
; %bb.92:                               ;   in Loop: Header=BB37_16 Depth=1
	s_wait_alu 0xfffe
	s_or_b32 exec_lo, exec_lo, s6
	v_cmp_lt_i64_e64 s6, s[12:13], 1
	v_and_b32_e32 v40, s20, v40
	v_or_b32_e32 v46, s16, v46
	s_mov_b32 s21, -1
	s_mov_b32 s22, 0
	s_mov_b32 s23, 0
	s_and_b32 vcc_lo, exec_lo, s6
	s_mov_b32 s7, -1
	s_wait_loadcnt_dscnt 0x0
	s_barrier_signal -1
	s_barrier_wait -1
	global_inv scope:SCOPE_SE
                                        ; implicit-def: $vgpr47
	s_wait_alu 0xfffe
	s_cbranch_vccz .LBB37_106
; %bb.93:                               ;   in Loop: Header=BB37_16 Depth=1
	s_mov_b32 s6, s59
	s_mov_b32 s7, s67
	s_wait_alu 0xfffe
	s_cmp_lg_u64 s[6:7], 0
	s_cbranch_scc0 .LBB37_147
; %bb.94:                               ;   in Loop: Header=BB37_16 Depth=1
	s_add_nc_u64 s[6:7], s[56:57], 0
	s_wait_alu 0xfffe
	s_xor_b64 s[6:7], s[6:7], 0
	s_wait_alu 0xfffe
	s_cvt_f32_u32 s14, s6
	s_cvt_f32_u32 s15, s7
	s_sub_nc_u64 s[24:25], 0, s[6:7]
	s_wait_alu 0xfffe
	s_delay_alu instid0(SALU_CYCLE_1) | instskip(SKIP_1) | instid1(SALU_CYCLE_2)
	s_fmamk_f32 s14, s15, 0x4f800000, s14
	s_wait_alu 0xfffe
	v_s_rcp_f32 s14, s14
	s_delay_alu instid0(TRANS32_DEP_1) | instskip(SKIP_1) | instid1(SALU_CYCLE_2)
	s_mul_f32 s14, s14, 0x5f7ffffc
	s_wait_alu 0xfffe
	s_mul_f32 s15, s14, 0x2f800000
	s_wait_alu 0xfffe
	s_delay_alu instid0(SALU_CYCLE_2) | instskip(SKIP_1) | instid1(SALU_CYCLE_2)
	s_trunc_f32 s15, s15
	s_wait_alu 0xfffe
	s_fmamk_f32 s14, s15, 0xcf800000, s14
	s_cvt_u32_f32 s15, s15
	s_wait_alu 0xfffe
	s_delay_alu instid0(SALU_CYCLE_1) | instskip(SKIP_1) | instid1(SALU_CYCLE_2)
	s_cvt_u32_f32 s14, s14
	s_wait_alu 0xfffe
	s_mul_u64 s[74:75], s[24:25], s[14:15]
	s_wait_alu 0xfffe
	s_mul_hi_u32 s77, s14, s75
	s_mul_i32 s76, s14, s75
	s_mul_hi_u32 s58, s14, s74
	s_mul_i32 s78, s15, s74
	s_wait_alu 0xfffe
	s_add_nc_u64 s[76:77], s[58:59], s[76:77]
	s_mul_hi_u32 s23, s15, s74
	s_mul_hi_u32 s79, s15, s75
	s_wait_alu 0xfffe
	s_add_co_u32 s58, s76, s78
	s_add_co_ci_u32 s58, s77, s23
	s_mul_i32 s74, s15, s75
	s_add_co_ci_u32 s75, s79, 0
	s_wait_alu 0xfffe
	s_add_nc_u64 s[74:75], s[58:59], s[74:75]
	s_wait_alu 0xfffe
	s_add_co_u32 s14, s14, s74
	s_cselect_b32 s23, -1, 0
	s_wait_alu 0xfffe
	s_cmp_lg_u32 s23, 0
	s_add_co_ci_u32 s15, s15, s75
	s_wait_alu 0xfffe
	s_mul_u64 s[24:25], s[24:25], s[14:15]
	s_wait_alu 0xfffe
	s_mul_hi_u32 s75, s14, s25
	s_mul_i32 s74, s14, s25
	s_mul_hi_u32 s58, s14, s24
	s_mul_i32 s76, s15, s24
	s_wait_alu 0xfffe
	s_add_nc_u64 s[74:75], s[58:59], s[74:75]
	s_mul_hi_u32 s23, s15, s24
	s_mul_hi_u32 s77, s15, s25
	s_mul_i32 s24, s15, s25
	s_wait_alu 0xfffe
	s_add_co_u32 s25, s74, s76
	s_add_co_ci_u32 s58, s75, s23
	s_add_co_ci_u32 s25, s77, 0
	s_wait_alu 0xfffe
	s_add_nc_u64 s[24:25], s[58:59], s[24:25]
	s_wait_alu 0xfffe
	s_add_co_u32 s23, s14, s24
	s_cselect_b32 s14, -1, 0
	s_wait_alu 0xfffe
	s_cmp_lg_u32 s14, 0
	s_add_co_ci_u32 s76, s15, s25
	s_ashr_i32 s14, s67, 31
	s_wait_alu 0xfffe
	s_mov_b32 s15, s14
	s_wait_alu 0xfffe
	s_add_nc_u64 s[24:25], s[66:67], s[14:15]
	s_wait_alu 0xfffe
	s_xor_b64 s[24:25], s[24:25], s[14:15]
	s_wait_alu 0xfffe
	s_mul_hi_u32 s75, s24, s76
	s_mul_i32 s74, s24, s76
	s_mul_hi_u32 s58, s24, s23
	s_mul_hi_u32 s78, s25, s23
	s_mul_i32 s23, s25, s23
	s_wait_alu 0xfffe
	s_add_nc_u64 s[74:75], s[58:59], s[74:75]
	s_mul_hi_u32 s77, s25, s76
	s_wait_alu 0xfffe
	s_add_co_u32 s23, s74, s23
	s_add_co_ci_u32 s58, s75, s78
	s_mul_i32 s76, s25, s76
	s_add_co_ci_u32 s77, s77, 0
	s_wait_alu 0xfffe
	s_add_nc_u64 s[74:75], s[58:59], s[76:77]
	s_wait_alu 0xfffe
	s_mul_u64 s[74:75], s[6:7], s[74:75]
	s_wait_alu 0xfffe
	s_sub_co_u32 s23, s24, s74
	s_cselect_b32 s24, -1, 0
	s_sub_co_i32 s58, s25, s75
	s_wait_alu 0xfffe
	s_cmp_lg_u32 s24, 0
	s_sub_co_ci_u32 s58, s58, s7
	s_sub_co_u32 s74, s23, s6
	s_cselect_b32 s76, -1, 0
	s_wait_alu 0xfffe
	s_cmp_lg_u32 s76, 0
	s_sub_co_ci_u32 s77, s58, 0
	s_wait_alu 0xfffe
	s_cmp_ge_u32 s77, s7
	s_cselect_b32 s78, -1, 0
	s_cmp_ge_u32 s74, s6
	s_cselect_b32 s79, -1, 0
	s_cmp_eq_u32 s77, s7
	s_wait_alu 0xfffe
	s_cselect_b32 s78, s79, s78
	s_cmp_lg_u32 s76, 0
	s_sub_co_ci_u32 s58, s58, s7
	s_sub_co_u32 s76, s74, s6
	s_cselect_b32 s79, -1, 0
	s_wait_alu 0xfffe
	s_cmp_lg_u32 s79, 0
	s_sub_co_ci_u32 s58, s58, 0
	s_cmp_lg_u32 s78, 0
	s_cselect_b32 s74, s76, s74
	s_wait_alu 0xfffe
	s_cselect_b32 s58, s58, s77
	s_cmp_lg_u32 s24, 0
	s_sub_co_ci_u32 s24, s25, s75
	s_wait_alu 0xfffe
	s_cmp_ge_u32 s24, s7
	s_cselect_b32 s25, -1, 0
	s_cmp_ge_u32 s23, s6
	s_cselect_b32 s6, -1, 0
	s_cmp_eq_u32 s24, s7
	s_wait_alu 0xfffe
	s_cselect_b32 s6, s6, s25
	s_wait_alu 0xfffe
	s_cmp_lg_u32 s6, 0
	s_cselect_b32 s7, s58, s24
	s_cselect_b32 s6, s74, s23
	s_wait_alu 0xfffe
	s_xor_b64 s[6:7], s[6:7], s[14:15]
	s_wait_alu 0xfffe
	s_sub_nc_u64 s[6:7], s[6:7], s[14:15]
	s_cbranch_execnz .LBB37_96
.LBB37_95:                              ;   in Loop: Header=BB37_16 Depth=1
	v_cvt_f32_u32_e32 v2, s56
	s_sub_co_i32 s7, 0, s56
	s_delay_alu instid0(VALU_DEP_1) | instskip(NEXT) | instid1(TRANS32_DEP_1)
	v_rcp_iflag_f32_e32 v2, v2
	v_mul_f32_e32 v2, 0x4f7ffffe, v2
	s_delay_alu instid0(VALU_DEP_1) | instskip(NEXT) | instid1(VALU_DEP_1)
	v_cvt_u32_f32_e32 v2, v2
	v_readfirstlane_b32 s6, v2
	s_wait_alu 0xfffe
	s_mul_i32 s7, s7, s6
	s_wait_alu 0xfffe
	s_mul_hi_u32 s7, s6, s7
	s_wait_alu 0xfffe
	s_add_co_i32 s6, s6, s7
	s_wait_alu 0xfffe
	s_mul_hi_u32 s6, s66, s6
	s_wait_alu 0xfffe
	s_mul_i32 s6, s6, s56
	s_wait_alu 0xfffe
	s_sub_co_i32 s6, s66, s6
	s_wait_alu 0xfffe
	s_sub_co_i32 s7, s6, s56
	s_cmp_ge_u32 s6, s56
	s_wait_alu 0xfffe
	s_cselect_b32 s6, s7, s6
	s_wait_alu 0xfffe
	s_sub_co_i32 s7, s6, s56
	s_cmp_ge_u32 s6, s56
	s_wait_alu 0xfffe
	s_cselect_b32 s58, s7, s6
	s_wait_alu 0xfffe
	s_mov_b64 s[6:7], s[58:59]
.LBB37_96:                              ;   in Loop: Header=BB37_16 Depth=1
	s_wait_alu 0xfffe
	s_sub_nc_u64 s[14:15], s[66:67], s[6:7]
	s_mov_b32 s7, 0
	s_mov_b32 s23, 0
	s_mov_b32 s24, exec_lo
                                        ; implicit-def: $vgpr47
	s_wait_alu 0xfffe
	v_cmpx_gt_i64_e64 s[14:15], v[0:1]
	s_cbranch_execz .LBB37_105
; %bb.97:                               ;   in Loop: Header=BB37_16 Depth=1
	v_dual_mov_b32 v8, v12 :: v_dual_mov_b32 v9, v13
	v_dual_mov_b32 v11, v1 :: v_dual_mov_b32 v10, v0
                                        ; implicit-def: $sgpr25
	s_branch .LBB37_100
.LBB37_98:                              ;   in Loop: Header=BB37_100 Depth=2
	s_wait_alu 0xfffe
	s_or_b32 exec_lo, exec_lo, s6
	s_wait_loadcnt_dscnt 0x0
	s_barrier_signal -1
	s_barrier_wait -1
	global_inv scope:SCOPE_SE
	ds_load_b32 v2, v3 offset:3072
	s_mov_b32 s6, -1
	s_mov_b32 s58, -1
	s_wait_loadcnt_dscnt 0x0
	s_barrier_signal -1
	s_barrier_wait -1
	global_inv scope:SCOPE_SE
	v_and_b32_e32 v30, 0xffff, v2
	s_delay_alu instid0(VALU_DEP_1)
	v_cmp_ne_u32_e32 vcc_lo, 0, v30
	s_cbranch_vccz .LBB37_103
.LBB37_99:                              ;   in Loop: Header=BB37_100 Depth=2
	s_wait_alu 0xfffe
	s_and_b32 s6, exec_lo, s6
	s_wait_alu 0xfffe
	s_or_b32 s23, s6, s23
	s_and_not1_b32 s6, s25, exec_lo
	s_and_b32 s25, s58, exec_lo
	s_wait_alu 0xfffe
	s_or_b32 s25, s6, s25
	s_and_not1_b32 exec_lo, exec_lo, s23
	s_cbranch_execz .LBB37_104
.LBB37_100:                             ;   Parent Loop BB37_16 Depth=1
                                        ; =>  This Inner Loop Header: Depth=2
	s_mov_b32 s6, exec_lo
	s_delay_alu instid0(VALU_DEP_1)
	v_cmpx_gt_i64_e64 s[36:37], v[10:11]
	s_cbranch_execz .LBB37_98
; %bb.101:                              ;   in Loop: Header=BB37_100 Depth=2
	global_load_u16 v2, v[8:9], off
	s_wait_loadcnt 0x0
	v_bfe_i32 v30, v2, 0, 16
	s_delay_alu instid0(VALU_DEP_1) | instskip(NEXT) | instid1(VALU_DEP_1)
	v_add_nc_u32_e32 v30, 0x8000, v30
	v_and_b32_e32 v30, v30, v46
	s_delay_alu instid0(VALU_DEP_1)
	v_cmp_eq_u32_e32 vcc_lo, v30, v40
	s_and_b32 exec_lo, exec_lo, vcc_lo
	s_cbranch_execz .LBB37_98
; %bb.102:                              ;   in Loop: Header=BB37_100 Depth=2
	v_perm_b32 v2, v2, 1, 0x5040100
	ds_store_b32 v3, v2 offset:3072
	s_branch .LBB37_98
.LBB37_103:                             ;   in Loop: Header=BB37_100 Depth=2
	v_add_co_u32 v10, vcc_lo, v10, s56
	s_wait_alu 0xfffd
	v_add_co_ci_u32_e64 v11, null, 0, v11, vcc_lo
	v_add_co_u32 v8, s6, v8, s60
	s_wait_alu 0xf1fe
	v_add_co_ci_u32_e64 v9, null, s61, v9, s6
	s_delay_alu instid0(VALU_DEP_3)
	v_cmp_le_i64_e32 vcc_lo, s[14:15], v[10:11]
	s_mov_b32 s58, 0
	s_or_not1_b32 s6, vcc_lo, exec_lo
	s_branch .LBB37_99
.LBB37_104:                             ;   in Loop: Header=BB37_16 Depth=1
	s_or_b32 exec_lo, exec_lo, s23
	v_lshrrev_b32_e32 v47, 16, v2
	s_wait_alu 0xfffe
	s_and_b32 s23, s25, exec_lo
.LBB37_105:                             ;   in Loop: Header=BB37_16 Depth=1
	s_or_b32 exec_lo, exec_lo, s24
.LBB37_106:                             ;   in Loop: Header=BB37_16 Depth=1
	s_delay_alu instid0(SALU_CYCLE_1)
	s_and_b32 vcc_lo, exec_lo, s7
	s_wait_alu 0xfffe
	s_cbranch_vccz .LBB37_120
; %bb.107:                              ;   in Loop: Header=BB37_16 Depth=1
	s_add_nc_u64 s[6:7], s[12:13], s[64:65]
	s_mov_b32 s14, s59
	s_wait_alu 0xfffe
	s_mov_b32 s15, s7
	s_wait_alu 0xfffe
	s_cmp_lg_u64 s[14:15], 0
	s_cbranch_scc0 .LBB37_148
; %bb.108:                              ;   in Loop: Header=BB37_16 Depth=1
	s_add_nc_u64 s[14:15], s[56:57], 0
	s_wait_alu 0xfffe
	s_xor_b64 s[14:15], s[14:15], 0
	s_wait_alu 0xfffe
	s_cvt_f32_u32 s21, s14
	s_cvt_f32_u32 s22, s15
	s_sub_nc_u64 s[74:75], 0, s[14:15]
	s_wait_alu 0xfffe
	s_delay_alu instid0(SALU_CYCLE_1) | instskip(SKIP_1) | instid1(SALU_CYCLE_2)
	s_fmamk_f32 s21, s22, 0x4f800000, s21
	s_wait_alu 0xfffe
	v_s_rcp_f32 s21, s21
	s_delay_alu instid0(TRANS32_DEP_1) | instskip(SKIP_1) | instid1(SALU_CYCLE_2)
	s_mul_f32 s21, s21, 0x5f7ffffc
	s_wait_alu 0xfffe
	s_mul_f32 s22, s21, 0x2f800000
	s_wait_alu 0xfffe
	s_delay_alu instid0(SALU_CYCLE_2) | instskip(SKIP_1) | instid1(SALU_CYCLE_2)
	s_trunc_f32 s22, s22
	s_wait_alu 0xfffe
	s_fmamk_f32 s21, s22, 0xcf800000, s21
	s_cvt_u32_f32 s25, s22
	s_wait_alu 0xfffe
	s_delay_alu instid0(SALU_CYCLE_1) | instskip(SKIP_1) | instid1(SALU_CYCLE_2)
	s_cvt_u32_f32 s24, s21
	s_wait_alu 0xfffe
	s_mul_u64 s[76:77], s[74:75], s[24:25]
	s_wait_alu 0xfffe
	s_mul_hi_u32 s79, s24, s77
	s_mul_i32 s78, s24, s77
	s_mul_hi_u32 s58, s24, s76
	s_mul_i32 s22, s25, s76
	s_wait_alu 0xfffe
	s_add_nc_u64 s[78:79], s[58:59], s[78:79]
	s_mul_hi_u32 s21, s25, s76
	s_mul_hi_u32 s80, s25, s77
	s_wait_alu 0xfffe
	s_add_co_u32 s22, s78, s22
	s_add_co_ci_u32 s58, s79, s21
	s_mul_i32 s76, s25, s77
	s_add_co_ci_u32 s77, s80, 0
	s_wait_alu 0xfffe
	s_add_nc_u64 s[76:77], s[58:59], s[76:77]
	s_wait_alu 0xfffe
	s_add_co_u32 s24, s24, s76
	s_cselect_b32 s21, -1, 0
	s_wait_alu 0xfffe
	s_cmp_lg_u32 s21, 0
	s_add_co_ci_u32 s25, s25, s77
	s_wait_alu 0xfffe
	s_mul_u64 s[74:75], s[74:75], s[24:25]
	s_wait_alu 0xfffe
	s_mul_hi_u32 s77, s24, s75
	s_mul_i32 s76, s24, s75
	s_mul_hi_u32 s58, s24, s74
	s_mul_i32 s22, s25, s74
	s_wait_alu 0xfffe
	s_add_nc_u64 s[76:77], s[58:59], s[76:77]
	s_mul_hi_u32 s21, s25, s74
	s_mul_hi_u32 s78, s25, s75
	s_wait_alu 0xfffe
	s_add_co_u32 s22, s76, s22
	s_add_co_ci_u32 s58, s77, s21
	s_mul_i32 s74, s25, s75
	s_add_co_ci_u32 s75, s78, 0
	s_wait_alu 0xfffe
	s_add_nc_u64 s[74:75], s[58:59], s[74:75]
	s_wait_alu 0xfffe
	s_add_co_u32 s21, s24, s74
	s_cselect_b32 s22, -1, 0
	s_wait_alu 0xfffe
	s_cmp_lg_u32 s22, 0
	s_add_co_ci_u32 s22, s25, s75
	s_ashr_i32 s24, s7, 31
	s_wait_alu 0xfffe
	s_mov_b32 s25, s24
	s_wait_alu 0xfffe
	s_add_nc_u64 s[74:75], s[6:7], s[24:25]
	s_wait_alu 0xfffe
	s_xor_b64 s[74:75], s[74:75], s[24:25]
	s_wait_alu 0xfffe
	s_mul_hi_u32 s77, s74, s22
	s_mul_i32 s76, s74, s22
	s_mul_hi_u32 s58, s74, s21
	s_mul_hi_u32 s80, s75, s21
	s_mul_i32 s21, s75, s21
	s_wait_alu 0xfffe
	s_add_nc_u64 s[76:77], s[58:59], s[76:77]
	s_mul_hi_u32 s79, s75, s22
	s_wait_alu 0xfffe
	s_add_co_u32 s21, s76, s21
	s_add_co_ci_u32 s58, s77, s80
	s_mul_i32 s78, s75, s22
	s_add_co_ci_u32 s79, s79, 0
	s_wait_alu 0xfffe
	s_add_nc_u64 s[76:77], s[58:59], s[78:79]
	s_wait_alu 0xfffe
	s_mul_u64 s[76:77], s[14:15], s[76:77]
	s_wait_alu 0xfffe
	s_sub_co_u32 s21, s74, s76
	s_cselect_b32 s22, -1, 0
	s_sub_co_i32 s58, s75, s77
	s_wait_alu 0xfffe
	s_cmp_lg_u32 s22, 0
	s_sub_co_ci_u32 s58, s58, s15
	s_sub_co_u32 s74, s21, s14
	s_cselect_b32 s76, -1, 0
	s_wait_alu 0xfffe
	s_cmp_lg_u32 s76, 0
	s_sub_co_ci_u32 s78, s58, 0
	s_wait_alu 0xfffe
	s_cmp_ge_u32 s78, s15
	s_cselect_b32 s79, -1, 0
	s_cmp_ge_u32 s74, s14
	s_cselect_b32 s80, -1, 0
	s_cmp_eq_u32 s78, s15
	s_wait_alu 0xfffe
	s_cselect_b32 s79, s80, s79
	s_cmp_lg_u32 s76, 0
	s_sub_co_ci_u32 s58, s58, s15
	s_sub_co_u32 s76, s74, s14
	s_cselect_b32 s80, -1, 0
	s_wait_alu 0xfffe
	s_cmp_lg_u32 s80, 0
	s_sub_co_ci_u32 s58, s58, 0
	s_cmp_lg_u32 s79, 0
	s_cselect_b32 s74, s76, s74
	s_wait_alu 0xfffe
	s_cselect_b32 s58, s58, s78
	s_cmp_lg_u32 s22, 0
	s_sub_co_ci_u32 s22, s75, s77
	s_wait_alu 0xfffe
	s_cmp_ge_u32 s22, s15
	s_cselect_b32 s75, -1, 0
	s_cmp_ge_u32 s21, s14
	s_cselect_b32 s14, -1, 0
	s_cmp_eq_u32 s22, s15
	s_wait_alu 0xfffe
	s_cselect_b32 s14, s14, s75
	s_wait_alu 0xfffe
	s_cmp_lg_u32 s14, 0
	s_cselect_b32 s15, s58, s22
	s_cselect_b32 s14, s74, s21
	s_wait_alu 0xfffe
	s_xor_b64 s[14:15], s[14:15], s[24:25]
	s_wait_alu 0xfffe
	s_sub_nc_u64 s[14:15], s[14:15], s[24:25]
	s_cbranch_execnz .LBB37_110
.LBB37_109:                             ;   in Loop: Header=BB37_16 Depth=1
	v_cvt_f32_u32_e32 v2, s56
	s_sub_co_i32 s15, 0, s56
	s_delay_alu instid0(VALU_DEP_1) | instskip(NEXT) | instid1(TRANS32_DEP_1)
	v_rcp_iflag_f32_e32 v2, v2
	v_mul_f32_e32 v2, 0x4f7ffffe, v2
	s_delay_alu instid0(VALU_DEP_1) | instskip(NEXT) | instid1(VALU_DEP_1)
	v_cvt_u32_f32_e32 v2, v2
	v_readfirstlane_b32 s14, v2
	s_wait_alu 0xfffe
	s_mul_i32 s15, s15, s14
	s_wait_alu 0xfffe
	s_mul_hi_u32 s15, s14, s15
	s_wait_alu 0xfffe
	s_add_co_i32 s14, s14, s15
	s_wait_alu 0xfffe
	s_mul_hi_u32 s14, s6, s14
	s_wait_alu 0xfffe
	s_mul_i32 s14, s14, s56
	s_wait_alu 0xfffe
	s_sub_co_i32 s14, s6, s14
	s_wait_alu 0xfffe
	s_sub_co_i32 s15, s14, s56
	s_cmp_ge_u32 s14, s56
	s_wait_alu 0xfffe
	s_cselect_b32 s14, s15, s14
	s_wait_alu 0xfffe
	s_sub_co_i32 s15, s14, s56
	s_cmp_ge_u32 s14, s56
	s_wait_alu 0xfffe
	s_cselect_b32 s58, s15, s14
	s_wait_alu 0xfffe
	s_mov_b64 s[14:15], s[58:59]
.LBB37_110:                             ;   in Loop: Header=BB37_16 Depth=1
	s_wait_alu 0xfffe
	s_sub_nc_u64 s[6:7], s[6:7], s[14:15]
	s_mov_b32 s14, exec_lo
                                        ; implicit-def: $vgpr47
	s_wait_alu 0xfffe
	v_cmpx_gt_i64_e64 s[6:7], v[0:1]
	s_cbranch_execz .LBB37_119
; %bb.111:                              ;   in Loop: Header=BB37_16 Depth=1
	v_dual_mov_b32 v2, v35 :: v_dual_mov_b32 v9, v1
	v_mov_b32_e32 v8, v0
	s_mov_b32 s15, 0
                                        ; implicit-def: $sgpr21
	s_branch .LBB37_114
.LBB37_112:                             ;   in Loop: Header=BB37_114 Depth=2
	s_wait_alu 0xfffe
	s_or_b32 exec_lo, exec_lo, s22
	s_wait_loadcnt_dscnt 0x0
	s_barrier_signal -1
	s_barrier_wait -1
	global_inv scope:SCOPE_SE
	ds_load_b32 v10, v3 offset:3072
	s_mov_b32 s22, -1
	s_mov_b32 s24, -1
	s_wait_loadcnt_dscnt 0x0
	s_barrier_signal -1
	s_barrier_wait -1
	global_inv scope:SCOPE_SE
	v_and_b32_e32 v11, 0xffff, v10
	s_delay_alu instid0(VALU_DEP_1)
	v_cmp_ne_u32_e32 vcc_lo, 0, v11
	s_cbranch_vccz .LBB37_117
.LBB37_113:                             ;   in Loop: Header=BB37_114 Depth=2
	s_wait_alu 0xfffe
	s_and_b32 s22, exec_lo, s22
	s_wait_alu 0xfffe
	s_or_b32 s15, s22, s15
	s_and_not1_b32 s21, s21, exec_lo
	s_and_b32 s22, s24, exec_lo
	s_wait_alu 0xfffe
	s_or_b32 s21, s21, s22
	s_and_not1_b32 exec_lo, exec_lo, s15
	s_cbranch_execz .LBB37_118
.LBB37_114:                             ;   Parent Loop BB37_16 Depth=1
                                        ; =>  This Inner Loop Header: Depth=2
	s_mov_b32 s22, exec_lo
	s_delay_alu instid0(VALU_DEP_1)
	v_cmpx_gt_u64_e64 s[12:13], v[8:9]
	s_cbranch_execz .LBB37_112
; %bb.115:                              ;   in Loop: Header=BB37_114 Depth=2
	ds_load_u16 v10, v2
	s_wait_dscnt 0x0
	v_bfe_i32 v11, v10, 0, 16
	s_delay_alu instid0(VALU_DEP_1) | instskip(NEXT) | instid1(VALU_DEP_1)
	v_add_nc_u32_e32 v11, 0x8000, v11
	v_and_b32_e32 v11, v11, v46
	s_delay_alu instid0(VALU_DEP_1)
	v_cmp_eq_u32_e32 vcc_lo, v11, v40
	s_and_b32 exec_lo, exec_lo, vcc_lo
	s_cbranch_execz .LBB37_112
; %bb.116:                              ;   in Loop: Header=BB37_114 Depth=2
	v_perm_b32 v10, v10, 1, 0x5040100
	ds_store_b32 v3, v10 offset:3072
	s_branch .LBB37_112
.LBB37_117:                             ;   in Loop: Header=BB37_114 Depth=2
	v_add_co_u32 v8, vcc_lo, v8, s56
	s_wait_alu 0xfffd
	v_add_co_ci_u32_e64 v9, null, 0, v9, vcc_lo
	v_add_nc_u32_e32 v2, s98, v2
	s_mov_b32 s24, 0
	s_delay_alu instid0(VALU_DEP_2)
	v_cmp_le_i64_e32 vcc_lo, s[6:7], v[8:9]
	s_or_not1_b32 s22, vcc_lo, exec_lo
	s_branch .LBB37_113
.LBB37_118:                             ;   in Loop: Header=BB37_16 Depth=1
	s_or_b32 exec_lo, exec_lo, s15
	v_lshrrev_b32_e32 v47, 16, v10
	s_and_not1_b32 s6, s23, exec_lo
	s_wait_alu 0xfffe
	s_and_b32 s7, s21, exec_lo
	s_wait_alu 0xfffe
	s_or_b32 s23, s6, s7
.LBB37_119:                             ;   in Loop: Header=BB37_16 Depth=1
	s_or_b32 exec_lo, exec_lo, s14
	s_mov_b32 s21, 0
	s_mov_b32 s22, -1
.LBB37_120:                             ;   in Loop: Header=BB37_16 Depth=1
	s_wait_alu 0xfffe
	s_or_not1_b32 s6, s23, exec_lo
.LBB37_121:                             ;   in Loop: Header=BB37_16 Depth=1
	s_wait_alu 0xfffe
	s_or_b32 exec_lo, exec_lo, s17
	s_delay_alu instid0(SALU_CYCLE_1)
	s_and_not1_b32 s7, s52, exec_lo
	s_and_b32 s12, s22, exec_lo
	s_and_not1_b32 s13, s104, exec_lo
	s_and_b32 s14, s21, exec_lo
	s_and_not1_b32 s103, s103, exec_lo
	s_wait_alu 0xfffe
	s_or_b32 s52, s7, s12
	s_or_b32 s104, s13, s14
                                        ; implicit-def: $vgpr8_vgpr9
	s_and_saveexec_b32 s17, s6
	s_cbranch_execz .LBB37_15
; %bb.122:                              ;   in Loop: Header=BB37_16 Depth=1
	v_mov_b32_e32 v8, 1
	v_dual_mov_b32 v9, 0 :: v_dual_mov_b32 v2, 1
	s_xor_b32 s12, s19, -1
	s_mov_b32 s7, 0
	s_wait_alu 0xfffe
	s_and_saveexec_b32 s6, s12
	s_cbranch_execz .LBB37_131
; %bb.123:                              ;   in Loop: Header=BB37_16 Depth=1
	s_mov_b32 s7, exec_lo
	v_cmpx_le_i64_e64 v[28:29], v[4:5]
	s_wait_alu 0xfffe
	s_xor_b32 s7, exec_lo, s7
	s_cbranch_execz .LBB37_128
; %bb.124:                              ;   in Loop: Header=BB37_16 Depth=1
	ds_load_b64 v[8:9], v3 offset:5120
	v_and_b32_e32 v40, s20, v40
	v_or_b32_e32 v46, s16, v46
	s_wait_dscnt 0x0
	v_cmp_ne_u64_e32 vcc_lo, 0, v[8:9]
	s_cbranch_vccnz .LBB37_128
; %bb.125:                              ;   in Loop: Header=BB37_16 Depth=1
	s_and_saveexec_b32 s12, s2
; %bb.126:                              ;   in Loop: Header=BB37_16 Depth=1
	ds_store_b64 v3, v[4:5] offset:5128
; %bb.127:                              ;   in Loop: Header=BB37_16 Depth=1
	s_wait_alu 0xfffe
	s_or_b32 exec_lo, exec_lo, s12
	s_wait_loadcnt_dscnt 0x0
	s_barrier_signal -1
	s_barrier_wait -1
	global_inv scope:SCOPE_SE
.LBB37_128:                             ;   in Loop: Header=BB37_16 Depth=1
	s_wait_alu 0xfffe
	s_or_saveexec_b32 s7, s7
	v_mov_b32_e32 v2, 8
	s_mov_b32 s12, 0
	s_wait_alu 0xfffe
	s_xor_b32 exec_lo, exec_lo, s7
; %bb.129:                              ;   in Loop: Header=BB37_16 Depth=1
	v_sub_co_u32 v28, vcc_lo, v28, v4
	s_wait_alu 0xfffd
	v_sub_co_ci_u32_e64 v29, null, v29, v5, vcc_lo
	v_mov_b32_e32 v2, 0
	s_mov_b32 s12, exec_lo
; %bb.130:                              ;   in Loop: Header=BB37_16 Depth=1
	s_or_b32 exec_lo, exec_lo, s7
	s_delay_alu instid0(VALU_DEP_2)
	v_dual_mov_b32 v8, v28 :: v_dual_mov_b32 v9, v29
	s_wait_alu 0xfffe
	s_and_b32 s7, s12, exec_lo
.LBB37_131:                             ;   in Loop: Header=BB37_16 Depth=1
	s_wait_alu 0xfffe
	s_or_b32 exec_lo, exec_lo, s6
	s_mov_b32 s18, -1
	s_mov_b32 s6, -1
                                        ; implicit-def: $sgpr21
                                        ; implicit-def: $sgpr22
	s_and_saveexec_b32 s12, s7
	s_wait_alu 0xfffe
	s_xor_b32 s19, exec_lo, s12
	s_cbranch_execz .LBB37_273
; %bb.132:                              ;   in Loop: Header=BB37_16 Depth=1
	v_cmp_eq_u64_e32 vcc_lo, 1, v[6:7]
	v_cmp_eq_u64_e64 s6, 1, v[8:9]
                                        ; implicit-def: $sgpr22
                                        ; implicit-def: $sgpr21
	s_and_b32 s24, vcc_lo, s6
	s_mov_b32 s6, -1
	s_wait_alu 0xfffe
	s_and_saveexec_b32 s23, s24
	s_cbranch_execz .LBB37_166
; %bb.133:                              ;   in Loop: Header=BB37_16 Depth=1
	ds_load_b64 v[4:5], v3 offset:5120
	s_wait_loadcnt_dscnt 0x0
	s_barrier_signal -1
	s_barrier_wait -1
	global_inv scope:SCOPE_SE
	v_readfirstlane_b32 s12, v4
	v_readfirstlane_b32 s13, v5
	s_and_saveexec_b32 s6, s3
; %bb.134:                              ;   in Loop: Header=BB37_16 Depth=1
	ds_store_b16 v36, v3
; %bb.135:                              ;   in Loop: Header=BB37_16 Depth=1
	s_wait_alu 0xfffe
	s_or_b32 exec_lo, exec_lo, s6
	s_lshl_b32 s6, 1, s99
	v_or_b32_e32 v46, s16, v46
	s_wait_alu 0xfffe
	v_and_or_b32 v40, v40, s20, s6
	v_cmp_gt_i64_e64 s6, s[12:13], 0
	s_mov_b32 s21, -1
	s_mov_b32 s22, 0
	s_mov_b32 s25, 0
	s_mov_b32 s7, -1
	s_wait_loadcnt_dscnt 0x0
	s_and_b32 vcc_lo, exec_lo, s6
	s_barrier_signal -1
	s_barrier_wait -1
	global_inv scope:SCOPE_SE
                                        ; implicit-def: $vgpr47
	s_wait_alu 0xfffe
	s_cbranch_vccnz .LBB37_151
; %bb.136:                              ;   in Loop: Header=BB37_16 Depth=1
	s_mov_b32 s6, s59
	s_mov_b32 s7, s67
	s_wait_alu 0xfffe
	s_cmp_lg_u64 s[6:7], 0
	s_cbranch_scc0 .LBB37_193
; %bb.137:                              ;   in Loop: Header=BB37_16 Depth=1
	s_add_nc_u64 s[6:7], s[56:57], 0
	s_wait_alu 0xfffe
	s_xor_b64 s[6:7], s[6:7], 0
	s_wait_alu 0xfffe
	s_cvt_f32_u32 s14, s6
	s_cvt_f32_u32 s15, s7
	s_sub_nc_u64 s[74:75], 0, s[6:7]
	s_wait_alu 0xfffe
	s_delay_alu instid0(SALU_CYCLE_1) | instskip(SKIP_1) | instid1(SALU_CYCLE_2)
	s_fmamk_f32 s14, s15, 0x4f800000, s14
	s_wait_alu 0xfffe
	v_s_rcp_f32 s14, s14
	s_delay_alu instid0(TRANS32_DEP_1) | instskip(SKIP_1) | instid1(SALU_CYCLE_2)
	s_mul_f32 s14, s14, 0x5f7ffffc
	s_wait_alu 0xfffe
	s_mul_f32 s15, s14, 0x2f800000
	s_wait_alu 0xfffe
	s_delay_alu instid0(SALU_CYCLE_2) | instskip(SKIP_1) | instid1(SALU_CYCLE_2)
	s_trunc_f32 s15, s15
	s_wait_alu 0xfffe
	s_fmamk_f32 s14, s15, 0xcf800000, s14
	s_cvt_u32_f32 s15, s15
	s_wait_alu 0xfffe
	s_delay_alu instid0(SALU_CYCLE_1) | instskip(SKIP_1) | instid1(SALU_CYCLE_2)
	s_cvt_u32_f32 s14, s14
	s_wait_alu 0xfffe
	s_mul_u64 s[76:77], s[74:75], s[14:15]
	s_wait_alu 0xfffe
	s_mul_hi_u32 s79, s14, s77
	s_mul_i32 s78, s14, s77
	s_mul_hi_u32 s58, s14, s76
	s_mul_i32 s80, s15, s76
	s_wait_alu 0xfffe
	s_add_nc_u64 s[78:79], s[58:59], s[78:79]
	s_mul_hi_u32 s25, s15, s76
	s_mul_hi_u32 s81, s15, s77
	s_wait_alu 0xfffe
	s_add_co_u32 s58, s78, s80
	s_add_co_ci_u32 s58, s79, s25
	s_mul_i32 s76, s15, s77
	s_add_co_ci_u32 s77, s81, 0
	s_wait_alu 0xfffe
	s_add_nc_u64 s[76:77], s[58:59], s[76:77]
	s_wait_alu 0xfffe
	s_add_co_u32 s14, s14, s76
	s_cselect_b32 s25, -1, 0
	s_wait_alu 0xfffe
	s_cmp_lg_u32 s25, 0
	s_add_co_ci_u32 s15, s15, s77
	s_wait_alu 0xfffe
	s_mul_u64 s[74:75], s[74:75], s[14:15]
	s_wait_alu 0xfffe
	s_mul_hi_u32 s77, s14, s75
	s_mul_i32 s76, s14, s75
	s_mul_hi_u32 s58, s14, s74
	s_mul_i32 s78, s15, s74
	s_wait_alu 0xfffe
	s_add_nc_u64 s[76:77], s[58:59], s[76:77]
	s_mul_hi_u32 s25, s15, s74
	s_mul_hi_u32 s79, s15, s75
	s_wait_alu 0xfffe
	s_add_co_u32 s58, s76, s78
	s_add_co_ci_u32 s58, s77, s25
	s_mul_i32 s74, s15, s75
	s_add_co_ci_u32 s75, s79, 0
	s_wait_alu 0xfffe
	s_add_nc_u64 s[74:75], s[58:59], s[74:75]
	s_wait_alu 0xfffe
	s_add_co_u32 s25, s14, s74
	s_cselect_b32 s14, -1, 0
	s_wait_alu 0xfffe
	s_cmp_lg_u32 s14, 0
	s_add_co_ci_u32 s78, s15, s75
	s_ashr_i32 s14, s67, 31
	s_wait_alu 0xfffe
	s_mov_b32 s15, s14
	s_wait_alu 0xfffe
	s_add_nc_u64 s[74:75], s[66:67], s[14:15]
	s_wait_alu 0xfffe
	s_xor_b64 s[74:75], s[74:75], s[14:15]
	s_wait_alu 0xfffe
	s_mul_hi_u32 s77, s74, s78
	s_mul_i32 s76, s74, s78
	s_mul_hi_u32 s58, s74, s25
	s_mul_hi_u32 s80, s75, s25
	s_mul_i32 s25, s75, s25
	s_wait_alu 0xfffe
	s_add_nc_u64 s[76:77], s[58:59], s[76:77]
	s_mul_hi_u32 s79, s75, s78
	s_wait_alu 0xfffe
	s_add_co_u32 s25, s76, s25
	s_add_co_ci_u32 s58, s77, s80
	s_mul_i32 s78, s75, s78
	s_add_co_ci_u32 s79, s79, 0
	s_wait_alu 0xfffe
	s_add_nc_u64 s[76:77], s[58:59], s[78:79]
	s_wait_alu 0xfffe
	s_mul_u64 s[76:77], s[6:7], s[76:77]
	s_wait_alu 0xfffe
	s_sub_co_u32 s25, s74, s76
	s_cselect_b32 s58, -1, 0
	s_sub_co_i32 s74, s75, s77
	s_wait_alu 0xfffe
	s_cmp_lg_u32 s58, 0
	s_sub_co_ci_u32 s74, s74, s7
	s_sub_co_u32 s76, s25, s6
	s_cselect_b32 s78, -1, 0
	s_wait_alu 0xfffe
	s_cmp_lg_u32 s78, 0
	s_sub_co_ci_u32 s79, s74, 0
	s_wait_alu 0xfffe
	s_cmp_ge_u32 s79, s7
	s_cselect_b32 s80, -1, 0
	s_cmp_ge_u32 s76, s6
	s_cselect_b32 s81, -1, 0
	s_cmp_eq_u32 s79, s7
	s_wait_alu 0xfffe
	s_cselect_b32 s80, s81, s80
	s_cmp_lg_u32 s78, 0
	s_sub_co_ci_u32 s74, s74, s7
	s_sub_co_u32 s78, s76, s6
	s_cselect_b32 s81, -1, 0
	s_wait_alu 0xfffe
	s_cmp_lg_u32 s81, 0
	s_sub_co_ci_u32 s74, s74, 0
	s_cmp_lg_u32 s80, 0
	s_cselect_b32 s76, s78, s76
	s_wait_alu 0xfffe
	s_cselect_b32 s74, s74, s79
	s_cmp_lg_u32 s58, 0
	s_sub_co_ci_u32 s58, s75, s77
	s_wait_alu 0xfffe
	s_cmp_ge_u32 s58, s7
	s_cselect_b32 s75, -1, 0
	s_cmp_ge_u32 s25, s6
	s_cselect_b32 s6, -1, 0
	s_cmp_eq_u32 s58, s7
	s_wait_alu 0xfffe
	s_cselect_b32 s6, s6, s75
	s_wait_alu 0xfffe
	s_cmp_lg_u32 s6, 0
	s_cselect_b32 s7, s74, s58
	s_cselect_b32 s6, s76, s25
	s_wait_alu 0xfffe
	s_xor_b64 s[6:7], s[6:7], s[14:15]
	s_wait_alu 0xfffe
	s_sub_nc_u64 s[6:7], s[6:7], s[14:15]
	s_cbranch_execnz .LBB37_139
.LBB37_138:                             ;   in Loop: Header=BB37_16 Depth=1
	v_cvt_f32_u32_e32 v4, s56
	s_sub_co_i32 s7, 0, s56
	s_delay_alu instid0(VALU_DEP_1) | instskip(NEXT) | instid1(TRANS32_DEP_1)
	v_rcp_iflag_f32_e32 v4, v4
	v_mul_f32_e32 v4, 0x4f7ffffe, v4
	s_delay_alu instid0(VALU_DEP_1) | instskip(NEXT) | instid1(VALU_DEP_1)
	v_cvt_u32_f32_e32 v4, v4
	v_readfirstlane_b32 s6, v4
	s_wait_alu 0xfffe
	s_mul_i32 s7, s7, s6
	s_wait_alu 0xfffe
	s_mul_hi_u32 s7, s6, s7
	s_wait_alu 0xfffe
	s_add_co_i32 s6, s6, s7
	s_wait_alu 0xfffe
	s_mul_hi_u32 s6, s66, s6
	s_wait_alu 0xfffe
	s_mul_i32 s6, s6, s56
	s_wait_alu 0xfffe
	s_sub_co_i32 s6, s66, s6
	s_wait_alu 0xfffe
	s_sub_co_i32 s7, s6, s56
	s_cmp_ge_u32 s6, s56
	s_wait_alu 0xfffe
	s_cselect_b32 s6, s7, s6
	s_wait_alu 0xfffe
	s_sub_co_i32 s7, s6, s56
	s_cmp_ge_u32 s6, s56
	s_wait_alu 0xfffe
	s_cselect_b32 s58, s7, s6
	s_wait_alu 0xfffe
	s_mov_b64 s[6:7], s[58:59]
.LBB37_139:                             ;   in Loop: Header=BB37_16 Depth=1
	s_wait_alu 0xfffe
	s_sub_nc_u64 s[14:15], s[66:67], s[6:7]
	s_mov_b32 s7, 0
	s_mov_b32 s25, 0
	s_mov_b32 s58, exec_lo
                                        ; implicit-def: $vgpr47
	s_wait_alu 0xfffe
	v_cmpx_gt_i64_e64 s[14:15], v[0:1]
	s_cbranch_execz .LBB37_150
; %bb.140:                              ;   in Loop: Header=BB37_16 Depth=1
	v_dual_mov_b32 v4, v12 :: v_dual_mov_b32 v5, v13
	v_dual_mov_b32 v11, v1 :: v_dual_mov_b32 v10, v0
                                        ; implicit-def: $sgpr74
	s_branch .LBB37_143
.LBB37_141:                             ;   in Loop: Header=BB37_143 Depth=2
	s_wait_alu 0xfffe
	s_or_b32 exec_lo, exec_lo, s6
	s_wait_loadcnt_dscnt 0x0
	s_barrier_signal -1
	s_barrier_wait -1
	global_inv scope:SCOPE_SE
	ds_load_b32 v28, v3 offset:3072
	s_mov_b32 s6, -1
	s_mov_b32 s75, -1
	s_wait_loadcnt_dscnt 0x0
	s_barrier_signal -1
	s_barrier_wait -1
	global_inv scope:SCOPE_SE
	v_and_b32_e32 v29, 0xffff, v28
	s_delay_alu instid0(VALU_DEP_1)
	v_cmp_ne_u32_e32 vcc_lo, 0, v29
	s_cbranch_vccz .LBB37_146
.LBB37_142:                             ;   in Loop: Header=BB37_143 Depth=2
	s_wait_alu 0xfffe
	s_and_b32 s6, exec_lo, s6
	s_wait_alu 0xfffe
	s_or_b32 s25, s6, s25
	s_and_not1_b32 s6, s74, exec_lo
	s_and_b32 s74, s75, exec_lo
	s_wait_alu 0xfffe
	s_or_b32 s74, s6, s74
	s_and_not1_b32 exec_lo, exec_lo, s25
	s_cbranch_execz .LBB37_149
.LBB37_143:                             ;   Parent Loop BB37_16 Depth=1
                                        ; =>  This Inner Loop Header: Depth=2
	s_mov_b32 s6, exec_lo
	s_delay_alu instid0(VALU_DEP_1)
	v_cmpx_gt_i64_e64 s[36:37], v[10:11]
	s_cbranch_execz .LBB37_141
; %bb.144:                              ;   in Loop: Header=BB37_143 Depth=2
	global_load_u16 v28, v[4:5], off
	s_wait_loadcnt 0x0
	v_bfe_i32 v29, v28, 0, 16
	s_delay_alu instid0(VALU_DEP_1) | instskip(NEXT) | instid1(VALU_DEP_1)
	v_add_nc_u32_e32 v29, 0x8000, v29
	v_and_b32_e32 v29, v29, v46
	s_delay_alu instid0(VALU_DEP_1)
	v_cmp_eq_u32_e32 vcc_lo, v29, v40
	s_and_b32 exec_lo, exec_lo, vcc_lo
	s_cbranch_execz .LBB37_141
; %bb.145:                              ;   in Loop: Header=BB37_143 Depth=2
	v_perm_b32 v28, v28, 1, 0x5040100
	ds_store_b32 v3, v28 offset:3072
	s_branch .LBB37_141
.LBB37_146:                             ;   in Loop: Header=BB37_143 Depth=2
	v_add_co_u32 v10, vcc_lo, v10, s56
	s_wait_alu 0xfffd
	v_add_co_ci_u32_e64 v11, null, 0, v11, vcc_lo
	v_add_co_u32 v4, s6, v4, s60
	s_wait_alu 0xf1fe
	v_add_co_ci_u32_e64 v5, null, s61, v5, s6
	s_delay_alu instid0(VALU_DEP_3)
	v_cmp_le_i64_e32 vcc_lo, s[14:15], v[10:11]
	s_mov_b32 s75, 0
	s_or_not1_b32 s6, vcc_lo, exec_lo
	s_branch .LBB37_142
.LBB37_147:                             ;   in Loop: Header=BB37_16 Depth=1
                                        ; implicit-def: $sgpr6_sgpr7
	s_branch .LBB37_95
.LBB37_148:                             ;   in Loop: Header=BB37_16 Depth=1
                                        ; implicit-def: $sgpr14_sgpr15
	s_branch .LBB37_109
.LBB37_149:                             ;   in Loop: Header=BB37_16 Depth=1
	s_or_b32 exec_lo, exec_lo, s25
	v_lshrrev_b32_e32 v47, 16, v28
	s_wait_alu 0xfffe
	s_and_b32 s25, s74, exec_lo
.LBB37_150:                             ;   in Loop: Header=BB37_16 Depth=1
	s_or_b32 exec_lo, exec_lo, s58
.LBB37_151:                             ;   in Loop: Header=BB37_16 Depth=1
	s_delay_alu instid0(SALU_CYCLE_1)
	s_and_b32 vcc_lo, exec_lo, s7
	s_wait_alu 0xfffe
	s_cbranch_vccz .LBB37_165
; %bb.152:                              ;   in Loop: Header=BB37_16 Depth=1
	s_add_nc_u64 s[6:7], s[12:13], s[64:65]
	s_mov_b32 s14, s59
	s_wait_alu 0xfffe
	s_mov_b32 s15, s7
	s_wait_alu 0xfffe
	s_cmp_lg_u64 s[14:15], 0
	s_cbranch_scc0 .LBB37_194
; %bb.153:                              ;   in Loop: Header=BB37_16 Depth=1
	s_add_nc_u64 s[14:15], s[56:57], 0
	s_wait_alu 0xfffe
	s_xor_b64 s[14:15], s[14:15], 0
	s_wait_alu 0xfffe
	s_cvt_f32_u32 s21, s14
	s_cvt_f32_u32 s22, s15
	s_sub_nc_u64 s[76:77], 0, s[14:15]
	s_wait_alu 0xfffe
	s_delay_alu instid0(SALU_CYCLE_1) | instskip(SKIP_1) | instid1(SALU_CYCLE_2)
	s_fmamk_f32 s21, s22, 0x4f800000, s21
	s_wait_alu 0xfffe
	v_s_rcp_f32 s21, s21
	s_delay_alu instid0(TRANS32_DEP_1) | instskip(SKIP_1) | instid1(SALU_CYCLE_2)
	s_mul_f32 s21, s21, 0x5f7ffffc
	s_wait_alu 0xfffe
	s_mul_f32 s22, s21, 0x2f800000
	s_wait_alu 0xfffe
	s_delay_alu instid0(SALU_CYCLE_2) | instskip(SKIP_1) | instid1(SALU_CYCLE_2)
	s_trunc_f32 s22, s22
	s_wait_alu 0xfffe
	s_fmamk_f32 s21, s22, 0xcf800000, s21
	s_cvt_u32_f32 s75, s22
	s_wait_alu 0xfffe
	s_delay_alu instid0(SALU_CYCLE_1) | instskip(SKIP_1) | instid1(SALU_CYCLE_2)
	s_cvt_u32_f32 s74, s21
	s_wait_alu 0xfffe
	s_mul_u64 s[78:79], s[76:77], s[74:75]
	s_wait_alu 0xfffe
	s_mul_hi_u32 s81, s74, s79
	s_mul_i32 s80, s74, s79
	s_mul_hi_u32 s58, s74, s78
	s_mul_i32 s22, s75, s78
	s_wait_alu 0xfffe
	s_add_nc_u64 s[80:81], s[58:59], s[80:81]
	s_mul_hi_u32 s21, s75, s78
	s_mul_hi_u32 s82, s75, s79
	s_wait_alu 0xfffe
	s_add_co_u32 s22, s80, s22
	s_add_co_ci_u32 s58, s81, s21
	s_mul_i32 s78, s75, s79
	s_add_co_ci_u32 s79, s82, 0
	s_wait_alu 0xfffe
	s_add_nc_u64 s[78:79], s[58:59], s[78:79]
	s_wait_alu 0xfffe
	s_add_co_u32 s74, s74, s78
	s_cselect_b32 s21, -1, 0
	s_wait_alu 0xfffe
	s_cmp_lg_u32 s21, 0
	s_add_co_ci_u32 s75, s75, s79
	s_wait_alu 0xfffe
	s_mul_u64 s[76:77], s[76:77], s[74:75]
	s_wait_alu 0xfffe
	s_mul_hi_u32 s79, s74, s77
	s_mul_i32 s78, s74, s77
	s_mul_hi_u32 s58, s74, s76
	s_mul_i32 s22, s75, s76
	s_wait_alu 0xfffe
	s_add_nc_u64 s[78:79], s[58:59], s[78:79]
	s_mul_hi_u32 s21, s75, s76
	s_mul_hi_u32 s80, s75, s77
	s_wait_alu 0xfffe
	s_add_co_u32 s22, s78, s22
	s_add_co_ci_u32 s58, s79, s21
	s_mul_i32 s76, s75, s77
	s_add_co_ci_u32 s77, s80, 0
	s_wait_alu 0xfffe
	s_add_nc_u64 s[76:77], s[58:59], s[76:77]
	s_wait_alu 0xfffe
	s_add_co_u32 s21, s74, s76
	s_cselect_b32 s22, -1, 0
	s_wait_alu 0xfffe
	s_cmp_lg_u32 s22, 0
	s_add_co_ci_u32 s22, s75, s77
	s_ashr_i32 s74, s7, 31
	s_wait_alu 0xfffe
	s_mov_b32 s75, s74
	s_wait_alu 0xfffe
	s_add_nc_u64 s[76:77], s[6:7], s[74:75]
	s_wait_alu 0xfffe
	s_xor_b64 s[76:77], s[76:77], s[74:75]
	s_wait_alu 0xfffe
	s_mul_hi_u32 s79, s76, s22
	s_mul_i32 s78, s76, s22
	s_mul_hi_u32 s58, s76, s21
	s_mul_hi_u32 s82, s77, s21
	s_mul_i32 s21, s77, s21
	s_wait_alu 0xfffe
	s_add_nc_u64 s[78:79], s[58:59], s[78:79]
	s_mul_hi_u32 s81, s77, s22
	s_wait_alu 0xfffe
	s_add_co_u32 s21, s78, s21
	s_add_co_ci_u32 s58, s79, s82
	s_mul_i32 s80, s77, s22
	s_add_co_ci_u32 s81, s81, 0
	s_wait_alu 0xfffe
	s_add_nc_u64 s[78:79], s[58:59], s[80:81]
	s_wait_alu 0xfffe
	s_mul_u64 s[78:79], s[14:15], s[78:79]
	s_wait_alu 0xfffe
	s_sub_co_u32 s21, s76, s78
	s_cselect_b32 s22, -1, 0
	s_sub_co_i32 s58, s77, s79
	s_wait_alu 0xfffe
	s_cmp_lg_u32 s22, 0
	s_sub_co_ci_u32 s58, s58, s15
	s_sub_co_u32 s76, s21, s14
	s_cselect_b32 s78, -1, 0
	s_wait_alu 0xfffe
	s_cmp_lg_u32 s78, 0
	s_sub_co_ci_u32 s80, s58, 0
	s_wait_alu 0xfffe
	s_cmp_ge_u32 s80, s15
	s_cselect_b32 s81, -1, 0
	s_cmp_ge_u32 s76, s14
	s_cselect_b32 s82, -1, 0
	s_cmp_eq_u32 s80, s15
	s_wait_alu 0xfffe
	s_cselect_b32 s81, s82, s81
	s_cmp_lg_u32 s78, 0
	s_sub_co_ci_u32 s58, s58, s15
	s_sub_co_u32 s78, s76, s14
	s_cselect_b32 s82, -1, 0
	s_wait_alu 0xfffe
	s_cmp_lg_u32 s82, 0
	s_sub_co_ci_u32 s58, s58, 0
	s_cmp_lg_u32 s81, 0
	s_cselect_b32 s76, s78, s76
	s_wait_alu 0xfffe
	s_cselect_b32 s58, s58, s80
	s_cmp_lg_u32 s22, 0
	s_sub_co_ci_u32 s22, s77, s79
	s_wait_alu 0xfffe
	s_cmp_ge_u32 s22, s15
	s_cselect_b32 s77, -1, 0
	s_cmp_ge_u32 s21, s14
	s_cselect_b32 s14, -1, 0
	s_cmp_eq_u32 s22, s15
	s_wait_alu 0xfffe
	s_cselect_b32 s14, s14, s77
	s_wait_alu 0xfffe
	s_cmp_lg_u32 s14, 0
	s_cselect_b32 s15, s58, s22
	s_cselect_b32 s14, s76, s21
	s_wait_alu 0xfffe
	s_xor_b64 s[14:15], s[14:15], s[74:75]
	s_wait_alu 0xfffe
	s_sub_nc_u64 s[14:15], s[14:15], s[74:75]
	s_cbranch_execnz .LBB37_155
.LBB37_154:                             ;   in Loop: Header=BB37_16 Depth=1
	v_cvt_f32_u32_e32 v4, s56
	s_sub_co_i32 s15, 0, s56
	s_delay_alu instid0(VALU_DEP_1) | instskip(NEXT) | instid1(TRANS32_DEP_1)
	v_rcp_iflag_f32_e32 v4, v4
	v_mul_f32_e32 v4, 0x4f7ffffe, v4
	s_delay_alu instid0(VALU_DEP_1) | instskip(NEXT) | instid1(VALU_DEP_1)
	v_cvt_u32_f32_e32 v4, v4
	v_readfirstlane_b32 s14, v4
	s_wait_alu 0xfffe
	s_mul_i32 s15, s15, s14
	s_wait_alu 0xfffe
	s_mul_hi_u32 s15, s14, s15
	s_wait_alu 0xfffe
	s_add_co_i32 s14, s14, s15
	s_wait_alu 0xfffe
	s_mul_hi_u32 s14, s6, s14
	s_wait_alu 0xfffe
	s_mul_i32 s14, s14, s56
	s_wait_alu 0xfffe
	s_sub_co_i32 s14, s6, s14
	s_wait_alu 0xfffe
	s_sub_co_i32 s15, s14, s56
	s_cmp_ge_u32 s14, s56
	s_wait_alu 0xfffe
	s_cselect_b32 s14, s15, s14
	s_wait_alu 0xfffe
	s_sub_co_i32 s15, s14, s56
	s_cmp_ge_u32 s14, s56
	s_wait_alu 0xfffe
	s_cselect_b32 s58, s15, s14
	s_wait_alu 0xfffe
	s_mov_b64 s[14:15], s[58:59]
.LBB37_155:                             ;   in Loop: Header=BB37_16 Depth=1
	s_wait_alu 0xfffe
	s_sub_nc_u64 s[6:7], s[6:7], s[14:15]
	s_mov_b32 s14, exec_lo
                                        ; implicit-def: $vgpr47
	s_wait_alu 0xfffe
	v_cmpx_gt_i64_e64 s[6:7], v[0:1]
	s_cbranch_execz .LBB37_164
; %bb.156:                              ;   in Loop: Header=BB37_16 Depth=1
	v_dual_mov_b32 v10, v35 :: v_dual_mov_b32 v5, v1
	v_mov_b32_e32 v4, v0
	s_mov_b32 s15, 0
                                        ; implicit-def: $sgpr21
	s_branch .LBB37_159
.LBB37_157:                             ;   in Loop: Header=BB37_159 Depth=2
	s_wait_alu 0xfffe
	s_or_b32 exec_lo, exec_lo, s22
	s_wait_loadcnt_dscnt 0x0
	s_barrier_signal -1
	s_barrier_wait -1
	global_inv scope:SCOPE_SE
	ds_load_b32 v11, v3 offset:3072
	s_mov_b32 s22, -1
	s_mov_b32 s58, -1
	s_wait_loadcnt_dscnt 0x0
	s_barrier_signal -1
	s_barrier_wait -1
	global_inv scope:SCOPE_SE
	v_and_b32_e32 v28, 0xffff, v11
	s_delay_alu instid0(VALU_DEP_1)
	v_cmp_eq_u32_e32 vcc_lo, 0, v28
	s_cbranch_vccnz .LBB37_162
.LBB37_158:                             ;   in Loop: Header=BB37_159 Depth=2
	s_wait_alu 0xfffe
	s_and_b32 s22, exec_lo, s22
	s_wait_alu 0xfffe
	s_or_b32 s15, s22, s15
	s_and_not1_b32 s21, s21, exec_lo
	s_and_b32 s22, s58, exec_lo
	s_wait_alu 0xfffe
	s_or_b32 s21, s21, s22
	s_and_not1_b32 exec_lo, exec_lo, s15
	s_cbranch_execz .LBB37_163
.LBB37_159:                             ;   Parent Loop BB37_16 Depth=1
                                        ; =>  This Inner Loop Header: Depth=2
	s_mov_b32 s22, exec_lo
	s_delay_alu instid0(VALU_DEP_1)
	v_cmpx_gt_u64_e64 s[12:13], v[4:5]
	s_cbranch_execz .LBB37_157
; %bb.160:                              ;   in Loop: Header=BB37_159 Depth=2
	ds_load_u16 v11, v10
	s_wait_dscnt 0x0
	v_bfe_i32 v28, v11, 0, 16
	s_delay_alu instid0(VALU_DEP_1) | instskip(NEXT) | instid1(VALU_DEP_1)
	v_add_nc_u32_e32 v28, 0x8000, v28
	v_and_b32_e32 v28, v28, v46
	s_delay_alu instid0(VALU_DEP_1)
	v_cmp_eq_u32_e32 vcc_lo, v28, v40
	s_and_b32 exec_lo, exec_lo, vcc_lo
	s_cbranch_execz .LBB37_157
; %bb.161:                              ;   in Loop: Header=BB37_159 Depth=2
	v_perm_b32 v11, v11, 1, 0x5040100
	ds_store_b32 v3, v11 offset:3072
	s_branch .LBB37_157
.LBB37_162:                             ;   in Loop: Header=BB37_159 Depth=2
	v_add_co_u32 v4, vcc_lo, v4, s56
	s_wait_alu 0xfffd
	v_add_co_ci_u32_e64 v5, null, 0, v5, vcc_lo
	v_add_nc_u32_e32 v10, s98, v10
	s_mov_b32 s58, 0
	s_delay_alu instid0(VALU_DEP_2)
	v_cmp_le_i64_e32 vcc_lo, s[6:7], v[4:5]
	s_or_not1_b32 s22, vcc_lo, exec_lo
	s_branch .LBB37_158
.LBB37_163:                             ;   in Loop: Header=BB37_16 Depth=1
	s_or_b32 exec_lo, exec_lo, s15
	v_lshrrev_b32_e32 v47, 16, v11
	s_and_not1_b32 s6, s25, exec_lo
	s_wait_alu 0xfffe
	s_and_b32 s7, s21, exec_lo
	s_wait_alu 0xfffe
	s_or_b32 s25, s6, s7
.LBB37_164:                             ;   in Loop: Header=BB37_16 Depth=1
	s_or_b32 exec_lo, exec_lo, s14
	s_mov_b32 s21, 0
	s_mov_b32 s22, -1
.LBB37_165:                             ;   in Loop: Header=BB37_16 Depth=1
	s_wait_alu 0xfffe
	s_or_not1_b32 s6, s25, exec_lo
.LBB37_166:                             ;   in Loop: Header=BB37_16 Depth=1
	s_wait_alu 0xfffe
	s_or_b32 exec_lo, exec_lo, s23
	s_mov_b32 s7, 0
	s_and_saveexec_b32 s23, s6
	s_cbranch_execz .LBB37_272
; %bb.167:                              ;   in Loop: Header=BB37_16 Depth=1
	v_mov_b32_e32 v4, 1
	v_dual_mov_b32 v5, 0 :: v_dual_mov_b32 v2, 1
	s_xor_b32 s12, s24, -1
	s_wait_alu 0xfffe
	s_and_saveexec_b32 s6, s12
	s_cbranch_execz .LBB37_177
; %bb.168:                              ;   in Loop: Header=BB37_16 Depth=1
	s_mov_b32 s7, exec_lo
	v_cmpx_le_i64_e64 v[8:9], v[6:7]
	s_wait_alu 0xfffe
	s_xor_b32 s7, exec_lo, s7
	s_cbranch_execz .LBB37_174
; %bb.169:                              ;   in Loop: Header=BB37_16 Depth=1
	ds_load_b64 v[4:5], v3 offset:5120
	s_lshl_b32 s12, 1, s99
	v_or_b32_e32 v46, s16, v46
	s_wait_alu 0xfffe
	v_and_or_b32 v40, v40, s20, s12
	s_wait_dscnt 0x0
	v_cmp_ne_u64_e32 vcc_lo, 0, v[4:5]
	s_cbranch_vccnz .LBB37_173
; %bb.170:                              ;   in Loop: Header=BB37_16 Depth=1
	s_and_saveexec_b32 s12, s2
; %bb.171:                              ;   in Loop: Header=BB37_16 Depth=1
	ds_store_b64 v3, v[6:7] offset:5128
; %bb.172:                              ;   in Loop: Header=BB37_16 Depth=1
	s_wait_alu 0xfffe
	s_or_b32 exec_lo, exec_lo, s12
	s_wait_loadcnt_dscnt 0x0
	s_barrier_signal -1
	s_barrier_wait -1
	global_inv scope:SCOPE_SE
.LBB37_173:                             ;   in Loop: Header=BB37_16 Depth=1
                                        ; implicit-def: $vgpr4_vgpr5_vgpr6_vgpr7
.LBB37_174:                             ;   in Loop: Header=BB37_16 Depth=1
	s_wait_alu 0xfffe
	s_or_saveexec_b32 s7, s7
	v_mov_b32_e32 v2, 8
	s_mov_b32 s12, 0
	s_wait_alu 0xfffe
	s_xor_b32 exec_lo, exec_lo, s7
; %bb.175:                              ;   in Loop: Header=BB37_16 Depth=1
	v_sub_co_u32 v8, vcc_lo, v8, v6
	s_wait_alu 0xfffd
	v_sub_co_ci_u32_e64 v9, null, v9, v7, vcc_lo
	v_mov_b32_e32 v2, 0
	s_mov_b32 s12, exec_lo
; %bb.176:                              ;   in Loop: Header=BB37_16 Depth=1
	s_or_b32 exec_lo, exec_lo, s7
	s_delay_alu instid0(VALU_DEP_2)
	v_dual_mov_b32 v4, v8 :: v_dual_mov_b32 v5, v9
	s_wait_alu 0xfffe
	s_and_b32 s7, s12, exec_lo
.LBB37_177:                             ;   in Loop: Header=BB37_16 Depth=1
	s_wait_alu 0xfffe
	s_or_b32 exec_lo, exec_lo, s6
	s_mov_b32 s6, -1
                                        ; implicit-def: $sgpr25
                                        ; implicit-def: $sgpr74
	s_and_saveexec_b32 s24, s7
	s_cbranch_execz .LBB37_271
; %bb.178:                              ;   in Loop: Header=BB37_16 Depth=1
	v_cmp_eq_u64_e32 vcc_lo, 1, v[4:5]
	s_cmp_eq_u64 s[10:11], 1
                                        ; implicit-def: $sgpr74
                                        ; implicit-def: $sgpr25
	s_cselect_b32 s6, -1, 0
	s_wait_alu 0xfffe
	s_and_b32 s75, s6, vcc_lo
	s_mov_b32 s6, -1
	s_wait_alu 0xfffe
	s_and_saveexec_b32 s76, s75
	s_cbranch_execz .LBB37_212
; %bb.179:                              ;   in Loop: Header=BB37_16 Depth=1
	ds_load_b64 v[6:7], v3 offset:5120
	s_wait_loadcnt_dscnt 0x0
	s_barrier_signal -1
	s_barrier_wait -1
	global_inv scope:SCOPE_SE
	v_readfirstlane_b32 s12, v6
	v_readfirstlane_b32 s13, v7
	s_and_saveexec_b32 s6, s3
; %bb.180:                              ;   in Loop: Header=BB37_16 Depth=1
	ds_store_b16 v36, v3
; %bb.181:                              ;   in Loop: Header=BB37_16 Depth=1
	s_wait_alu 0xfffe
	s_or_b32 exec_lo, exec_lo, s6
	s_lshl_b32 s6, 2, s99
	v_or_b32_e32 v46, s16, v46
	s_wait_alu 0xfffe
	v_and_or_b32 v40, v40, s20, s6
	v_cmp_gt_i64_e64 s6, s[12:13], 0
	s_mov_b32 s25, -1
	s_mov_b32 s74, 0
	s_mov_b32 s77, 0
	s_mov_b32 s7, -1
	s_wait_loadcnt_dscnt 0x0
	s_and_b32 vcc_lo, exec_lo, s6
	s_barrier_signal -1
	s_barrier_wait -1
	global_inv scope:SCOPE_SE
                                        ; implicit-def: $vgpr47
	s_wait_alu 0xfffe
	s_cbranch_vccnz .LBB37_197
; %bb.182:                              ;   in Loop: Header=BB37_16 Depth=1
	s_mov_b32 s6, s59
	s_mov_b32 s7, s67
	s_wait_alu 0xfffe
	s_cmp_lg_u64 s[6:7], 0
	s_cbranch_scc0 .LBB37_238
; %bb.183:                              ;   in Loop: Header=BB37_16 Depth=1
	s_add_nc_u64 s[6:7], s[56:57], 0
	s_wait_alu 0xfffe
	s_xor_b64 s[6:7], s[6:7], 0
	s_wait_alu 0xfffe
	s_cvt_f32_u32 s14, s6
	s_cvt_f32_u32 s15, s7
	s_sub_nc_u64 s[78:79], 0, s[6:7]
	s_wait_alu 0xfffe
	s_delay_alu instid0(SALU_CYCLE_1) | instskip(SKIP_1) | instid1(SALU_CYCLE_2)
	s_fmamk_f32 s14, s15, 0x4f800000, s14
	s_wait_alu 0xfffe
	v_s_rcp_f32 s14, s14
	s_delay_alu instid0(TRANS32_DEP_1) | instskip(SKIP_1) | instid1(SALU_CYCLE_2)
	s_mul_f32 s14, s14, 0x5f7ffffc
	s_wait_alu 0xfffe
	s_mul_f32 s15, s14, 0x2f800000
	s_wait_alu 0xfffe
	s_delay_alu instid0(SALU_CYCLE_2) | instskip(SKIP_1) | instid1(SALU_CYCLE_2)
	s_trunc_f32 s15, s15
	s_wait_alu 0xfffe
	s_fmamk_f32 s14, s15, 0xcf800000, s14
	s_cvt_u32_f32 s15, s15
	s_wait_alu 0xfffe
	s_delay_alu instid0(SALU_CYCLE_1) | instskip(SKIP_1) | instid1(SALU_CYCLE_2)
	s_cvt_u32_f32 s14, s14
	s_wait_alu 0xfffe
	s_mul_u64 s[80:81], s[78:79], s[14:15]
	s_wait_alu 0xfffe
	s_mul_hi_u32 s83, s14, s81
	s_mul_i32 s82, s14, s81
	s_mul_hi_u32 s58, s14, s80
	s_mul_i32 s84, s15, s80
	s_wait_alu 0xfffe
	s_add_nc_u64 s[82:83], s[58:59], s[82:83]
	s_mul_hi_u32 s77, s15, s80
	s_mul_hi_u32 s85, s15, s81
	s_wait_alu 0xfffe
	s_add_co_u32 s58, s82, s84
	s_add_co_ci_u32 s58, s83, s77
	s_mul_i32 s80, s15, s81
	s_add_co_ci_u32 s81, s85, 0
	s_wait_alu 0xfffe
	s_add_nc_u64 s[80:81], s[58:59], s[80:81]
	s_wait_alu 0xfffe
	s_add_co_u32 s14, s14, s80
	s_cselect_b32 s58, -1, 0
	s_wait_alu 0xfffe
	s_cmp_lg_u32 s58, 0
	s_add_co_ci_u32 s15, s15, s81
	s_wait_alu 0xfffe
	s_mul_u64 s[78:79], s[78:79], s[14:15]
	s_wait_alu 0xfffe
	s_mul_hi_u32 s81, s14, s79
	s_mul_i32 s80, s14, s79
	s_mul_hi_u32 s58, s14, s78
	s_mul_i32 s82, s15, s78
	s_wait_alu 0xfffe
	s_add_nc_u64 s[80:81], s[58:59], s[80:81]
	s_mul_hi_u32 s77, s15, s78
	s_mul_hi_u32 s83, s15, s79
	s_wait_alu 0xfffe
	s_add_co_u32 s58, s80, s82
	s_add_co_ci_u32 s58, s81, s77
	s_mul_i32 s78, s15, s79
	s_add_co_ci_u32 s79, s83, 0
	s_wait_alu 0xfffe
	s_add_nc_u64 s[78:79], s[58:59], s[78:79]
	s_wait_alu 0xfffe
	s_add_co_u32 s77, s14, s78
	s_cselect_b32 s14, -1, 0
	s_wait_alu 0xfffe
	s_cmp_lg_u32 s14, 0
	s_add_co_ci_u32 s82, s15, s79
	s_ashr_i32 s14, s67, 31
	s_wait_alu 0xfffe
	s_mov_b32 s15, s14
	s_wait_alu 0xfffe
	s_add_nc_u64 s[78:79], s[66:67], s[14:15]
	s_wait_alu 0xfffe
	s_xor_b64 s[78:79], s[78:79], s[14:15]
	s_wait_alu 0xfffe
	s_mul_hi_u32 s81, s78, s82
	s_mul_i32 s80, s78, s82
	s_mul_hi_u32 s58, s78, s77
	s_mul_hi_u32 s84, s79, s77
	s_mul_i32 s77, s79, s77
	s_wait_alu 0xfffe
	s_add_nc_u64 s[80:81], s[58:59], s[80:81]
	s_mul_hi_u32 s83, s79, s82
	s_wait_alu 0xfffe
	s_add_co_u32 s58, s80, s77
	s_add_co_ci_u32 s58, s81, s84
	s_mul_i32 s82, s79, s82
	s_add_co_ci_u32 s83, s83, 0
	s_wait_alu 0xfffe
	s_add_nc_u64 s[80:81], s[58:59], s[82:83]
	s_wait_alu 0xfffe
	s_mul_u64 s[80:81], s[6:7], s[80:81]
	s_wait_alu 0xfffe
	s_sub_co_u32 s58, s78, s80
	s_cselect_b32 s77, -1, 0
	s_sub_co_i32 s78, s79, s81
	s_wait_alu 0xfffe
	s_cmp_lg_u32 s77, 0
	s_sub_co_ci_u32 s78, s78, s7
	s_sub_co_u32 s80, s58, s6
	s_cselect_b32 s82, -1, 0
	s_wait_alu 0xfffe
	s_cmp_lg_u32 s82, 0
	s_sub_co_ci_u32 s83, s78, 0
	s_wait_alu 0xfffe
	s_cmp_ge_u32 s83, s7
	s_cselect_b32 s84, -1, 0
	s_cmp_ge_u32 s80, s6
	s_cselect_b32 s85, -1, 0
	s_cmp_eq_u32 s83, s7
	s_wait_alu 0xfffe
	s_cselect_b32 s84, s85, s84
	s_cmp_lg_u32 s82, 0
	s_sub_co_ci_u32 s78, s78, s7
	s_sub_co_u32 s82, s80, s6
	s_cselect_b32 s85, -1, 0
	s_wait_alu 0xfffe
	s_cmp_lg_u32 s85, 0
	s_sub_co_ci_u32 s78, s78, 0
	s_cmp_lg_u32 s84, 0
	s_cselect_b32 s80, s82, s80
	s_wait_alu 0xfffe
	s_cselect_b32 s78, s78, s83
	s_cmp_lg_u32 s77, 0
	s_sub_co_ci_u32 s77, s79, s81
	s_wait_alu 0xfffe
	s_cmp_ge_u32 s77, s7
	s_cselect_b32 s79, -1, 0
	s_cmp_ge_u32 s58, s6
	s_cselect_b32 s6, -1, 0
	s_cmp_eq_u32 s77, s7
	s_wait_alu 0xfffe
	s_cselect_b32 s6, s6, s79
	s_wait_alu 0xfffe
	s_cmp_lg_u32 s6, 0
	s_cselect_b32 s7, s78, s77
	s_cselect_b32 s6, s80, s58
	s_wait_alu 0xfffe
	s_xor_b64 s[6:7], s[6:7], s[14:15]
	s_wait_alu 0xfffe
	s_sub_nc_u64 s[6:7], s[6:7], s[14:15]
	s_cbranch_execnz .LBB37_185
.LBB37_184:                             ;   in Loop: Header=BB37_16 Depth=1
	v_cvt_f32_u32_e32 v6, s56
	s_sub_co_i32 s7, 0, s56
	s_delay_alu instid0(VALU_DEP_1) | instskip(NEXT) | instid1(TRANS32_DEP_1)
	v_rcp_iflag_f32_e32 v6, v6
	v_mul_f32_e32 v6, 0x4f7ffffe, v6
	s_delay_alu instid0(VALU_DEP_1) | instskip(NEXT) | instid1(VALU_DEP_1)
	v_cvt_u32_f32_e32 v6, v6
	v_readfirstlane_b32 s6, v6
	s_wait_alu 0xfffe
	s_mul_i32 s7, s7, s6
	s_wait_alu 0xfffe
	s_mul_hi_u32 s7, s6, s7
	s_wait_alu 0xfffe
	s_add_co_i32 s6, s6, s7
	s_wait_alu 0xfffe
	s_mul_hi_u32 s6, s66, s6
	s_wait_alu 0xfffe
	s_mul_i32 s6, s6, s56
	s_wait_alu 0xfffe
	s_sub_co_i32 s6, s66, s6
	s_wait_alu 0xfffe
	s_sub_co_i32 s7, s6, s56
	s_cmp_ge_u32 s6, s56
	s_wait_alu 0xfffe
	s_cselect_b32 s6, s7, s6
	s_wait_alu 0xfffe
	s_sub_co_i32 s7, s6, s56
	s_cmp_ge_u32 s6, s56
	s_wait_alu 0xfffe
	s_cselect_b32 s58, s7, s6
	s_wait_alu 0xfffe
	s_mov_b64 s[6:7], s[58:59]
.LBB37_185:                             ;   in Loop: Header=BB37_16 Depth=1
	s_wait_alu 0xfffe
	s_sub_nc_u64 s[14:15], s[66:67], s[6:7]
	s_mov_b32 s7, 0
	s_mov_b32 s77, 0
	s_mov_b32 s58, exec_lo
                                        ; implicit-def: $vgpr47
	s_wait_alu 0xfffe
	v_cmpx_gt_i64_e64 s[14:15], v[0:1]
	s_cbranch_execz .LBB37_196
; %bb.186:                              ;   in Loop: Header=BB37_16 Depth=1
	v_dual_mov_b32 v6, v12 :: v_dual_mov_b32 v7, v13
	v_dual_mov_b32 v9, v1 :: v_dual_mov_b32 v8, v0
                                        ; implicit-def: $sgpr78
	s_branch .LBB37_189
.LBB37_187:                             ;   in Loop: Header=BB37_189 Depth=2
	s_wait_alu 0xfffe
	s_or_b32 exec_lo, exec_lo, s6
	s_wait_loadcnt_dscnt 0x0
	s_barrier_signal -1
	s_barrier_wait -1
	global_inv scope:SCOPE_SE
	ds_load_b32 v10, v3 offset:3072
	s_mov_b32 s6, -1
	s_mov_b32 s79, -1
	s_wait_loadcnt_dscnt 0x0
	s_barrier_signal -1
	s_barrier_wait -1
	global_inv scope:SCOPE_SE
	v_and_b32_e32 v11, 0xffff, v10
	s_delay_alu instid0(VALU_DEP_1)
	v_cmp_ne_u32_e32 vcc_lo, 0, v11
	s_cbranch_vccz .LBB37_192
.LBB37_188:                             ;   in Loop: Header=BB37_189 Depth=2
	s_wait_alu 0xfffe
	s_and_b32 s6, exec_lo, s6
	s_wait_alu 0xfffe
	s_or_b32 s77, s6, s77
	s_and_not1_b32 s6, s78, exec_lo
	s_and_b32 s78, s79, exec_lo
	s_wait_alu 0xfffe
	s_or_b32 s78, s6, s78
	s_and_not1_b32 exec_lo, exec_lo, s77
	s_cbranch_execz .LBB37_195
.LBB37_189:                             ;   Parent Loop BB37_16 Depth=1
                                        ; =>  This Inner Loop Header: Depth=2
	s_mov_b32 s6, exec_lo
	s_delay_alu instid0(VALU_DEP_1)
	v_cmpx_gt_i64_e64 s[36:37], v[8:9]
	s_cbranch_execz .LBB37_187
; %bb.190:                              ;   in Loop: Header=BB37_189 Depth=2
	global_load_u16 v10, v[6:7], off
	s_wait_loadcnt 0x0
	v_bfe_i32 v11, v10, 0, 16
	s_delay_alu instid0(VALU_DEP_1) | instskip(NEXT) | instid1(VALU_DEP_1)
	v_add_nc_u32_e32 v11, 0x8000, v11
	v_and_b32_e32 v11, v11, v46
	s_delay_alu instid0(VALU_DEP_1)
	v_cmp_eq_u32_e32 vcc_lo, v11, v40
	s_and_b32 exec_lo, exec_lo, vcc_lo
	s_cbranch_execz .LBB37_187
; %bb.191:                              ;   in Loop: Header=BB37_189 Depth=2
	v_perm_b32 v10, v10, 1, 0x5040100
	ds_store_b32 v3, v10 offset:3072
	s_branch .LBB37_187
.LBB37_192:                             ;   in Loop: Header=BB37_189 Depth=2
	v_add_co_u32 v8, vcc_lo, v8, s56
	s_wait_alu 0xfffd
	v_add_co_ci_u32_e64 v9, null, 0, v9, vcc_lo
	v_add_co_u32 v6, s6, v6, s60
	s_wait_alu 0xf1fe
	v_add_co_ci_u32_e64 v7, null, s61, v7, s6
	s_delay_alu instid0(VALU_DEP_3)
	v_cmp_le_i64_e32 vcc_lo, s[14:15], v[8:9]
	s_mov_b32 s79, 0
	s_or_not1_b32 s6, vcc_lo, exec_lo
	s_branch .LBB37_188
.LBB37_193:                             ;   in Loop: Header=BB37_16 Depth=1
                                        ; implicit-def: $sgpr6_sgpr7
	s_branch .LBB37_138
.LBB37_194:                             ;   in Loop: Header=BB37_16 Depth=1
                                        ; implicit-def: $sgpr14_sgpr15
	s_branch .LBB37_154
.LBB37_195:                             ;   in Loop: Header=BB37_16 Depth=1
	s_or_b32 exec_lo, exec_lo, s77
	v_lshrrev_b32_e32 v47, 16, v10
	s_wait_alu 0xfffe
	s_and_b32 s77, s78, exec_lo
.LBB37_196:                             ;   in Loop: Header=BB37_16 Depth=1
	s_or_b32 exec_lo, exec_lo, s58
.LBB37_197:                             ;   in Loop: Header=BB37_16 Depth=1
	s_delay_alu instid0(SALU_CYCLE_1)
	s_and_b32 vcc_lo, exec_lo, s7
	s_wait_alu 0xfffe
	s_cbranch_vccz .LBB37_211
; %bb.198:                              ;   in Loop: Header=BB37_16 Depth=1
	s_add_nc_u64 s[6:7], s[12:13], s[64:65]
	s_mov_b32 s14, s59
	s_wait_alu 0xfffe
	s_mov_b32 s15, s7
	s_wait_alu 0xfffe
	s_cmp_lg_u64 s[14:15], 0
	s_cbranch_scc0 .LBB37_239
; %bb.199:                              ;   in Loop: Header=BB37_16 Depth=1
	s_add_nc_u64 s[14:15], s[56:57], 0
	s_wait_alu 0xfffe
	s_xor_b64 s[14:15], s[14:15], 0
	s_wait_alu 0xfffe
	s_cvt_f32_u32 s25, s14
	s_cvt_f32_u32 s58, s15
	s_sub_nc_u64 s[80:81], 0, s[14:15]
	s_wait_alu 0xfffe
	s_delay_alu instid0(SALU_CYCLE_1) | instskip(SKIP_1) | instid1(SALU_CYCLE_2)
	s_fmamk_f32 s25, s58, 0x4f800000, s25
	s_wait_alu 0xfffe
	v_s_rcp_f32 s25, s25
	s_delay_alu instid0(TRANS32_DEP_1) | instskip(SKIP_1) | instid1(SALU_CYCLE_2)
	s_mul_f32 s25, s25, 0x5f7ffffc
	s_wait_alu 0xfffe
	s_mul_f32 s58, s25, 0x2f800000
	s_wait_alu 0xfffe
	s_delay_alu instid0(SALU_CYCLE_2) | instskip(SKIP_1) | instid1(SALU_CYCLE_2)
	s_trunc_f32 s58, s58
	s_wait_alu 0xfffe
	s_fmamk_f32 s25, s58, 0xcf800000, s25
	s_cvt_u32_f32 s79, s58
	s_wait_alu 0xfffe
	s_delay_alu instid0(SALU_CYCLE_1) | instskip(SKIP_1) | instid1(SALU_CYCLE_2)
	s_cvt_u32_f32 s78, s25
	s_wait_alu 0xfffe
	s_mul_u64 s[82:83], s[80:81], s[78:79]
	s_wait_alu 0xfffe
	s_mul_hi_u32 s85, s78, s83
	s_mul_i32 s84, s78, s83
	s_mul_hi_u32 s58, s78, s82
	s_mul_i32 s74, s79, s82
	s_wait_alu 0xfffe
	s_add_nc_u64 s[84:85], s[58:59], s[84:85]
	s_mul_hi_u32 s25, s79, s82
	s_mul_hi_u32 s86, s79, s83
	s_wait_alu 0xfffe
	s_add_co_u32 s58, s84, s74
	s_add_co_ci_u32 s58, s85, s25
	s_mul_i32 s82, s79, s83
	s_add_co_ci_u32 s83, s86, 0
	s_wait_alu 0xfffe
	s_add_nc_u64 s[82:83], s[58:59], s[82:83]
	s_wait_alu 0xfffe
	s_add_co_u32 s78, s78, s82
	s_cselect_b32 s25, -1, 0
	s_wait_alu 0xfffe
	s_cmp_lg_u32 s25, 0
	s_add_co_ci_u32 s79, s79, s83
	s_wait_alu 0xfffe
	s_mul_u64 s[80:81], s[80:81], s[78:79]
	s_wait_alu 0xfffe
	s_mul_hi_u32 s83, s78, s81
	s_mul_i32 s82, s78, s81
	s_mul_hi_u32 s58, s78, s80
	s_mul_i32 s74, s79, s80
	s_wait_alu 0xfffe
	s_add_nc_u64 s[82:83], s[58:59], s[82:83]
	s_mul_hi_u32 s25, s79, s80
	s_mul_hi_u32 s84, s79, s81
	s_wait_alu 0xfffe
	s_add_co_u32 s58, s82, s74
	s_add_co_ci_u32 s58, s83, s25
	s_mul_i32 s80, s79, s81
	s_add_co_ci_u32 s81, s84, 0
	s_wait_alu 0xfffe
	s_add_nc_u64 s[80:81], s[58:59], s[80:81]
	s_wait_alu 0xfffe
	s_add_co_u32 s25, s78, s80
	s_cselect_b32 s58, -1, 0
	s_wait_alu 0xfffe
	s_cmp_lg_u32 s58, 0
	s_add_co_ci_u32 s74, s79, s81
	s_ashr_i32 s78, s7, 31
	s_wait_alu 0xfffe
	s_mov_b32 s79, s78
	s_wait_alu 0xfffe
	s_add_nc_u64 s[80:81], s[6:7], s[78:79]
	s_wait_alu 0xfffe
	s_xor_b64 s[80:81], s[80:81], s[78:79]
	s_wait_alu 0xfffe
	s_mul_hi_u32 s83, s80, s74
	s_mul_i32 s82, s80, s74
	s_mul_hi_u32 s58, s80, s25
	s_mul_hi_u32 s86, s81, s25
	s_mul_i32 s25, s81, s25
	s_wait_alu 0xfffe
	s_add_nc_u64 s[82:83], s[58:59], s[82:83]
	s_mul_hi_u32 s85, s81, s74
	s_wait_alu 0xfffe
	s_add_co_u32 s25, s82, s25
	s_add_co_ci_u32 s58, s83, s86
	s_mul_i32 s84, s81, s74
	s_add_co_ci_u32 s85, s85, 0
	s_wait_alu 0xfffe
	s_add_nc_u64 s[82:83], s[58:59], s[84:85]
	s_wait_alu 0xfffe
	s_mul_u64 s[82:83], s[14:15], s[82:83]
	s_wait_alu 0xfffe
	s_sub_co_u32 s25, s80, s82
	s_cselect_b32 s58, -1, 0
	s_sub_co_i32 s74, s81, s83
	s_wait_alu 0xfffe
	s_cmp_lg_u32 s58, 0
	s_sub_co_ci_u32 s74, s74, s15
	s_sub_co_u32 s80, s25, s14
	s_cselect_b32 s82, -1, 0
	s_wait_alu 0xfffe
	s_cmp_lg_u32 s82, 0
	s_sub_co_ci_u32 s84, s74, 0
	s_wait_alu 0xfffe
	s_cmp_ge_u32 s84, s15
	s_cselect_b32 s85, -1, 0
	s_cmp_ge_u32 s80, s14
	s_cselect_b32 s86, -1, 0
	s_cmp_eq_u32 s84, s15
	s_wait_alu 0xfffe
	s_cselect_b32 s85, s86, s85
	s_cmp_lg_u32 s82, 0
	s_sub_co_ci_u32 s74, s74, s15
	s_sub_co_u32 s82, s80, s14
	s_cselect_b32 s86, -1, 0
	s_wait_alu 0xfffe
	s_cmp_lg_u32 s86, 0
	s_sub_co_ci_u32 s74, s74, 0
	s_cmp_lg_u32 s85, 0
	s_cselect_b32 s80, s82, s80
	s_wait_alu 0xfffe
	s_cselect_b32 s74, s74, s84
	s_cmp_lg_u32 s58, 0
	s_sub_co_ci_u32 s58, s81, s83
	s_wait_alu 0xfffe
	s_cmp_ge_u32 s58, s15
	s_cselect_b32 s81, -1, 0
	s_cmp_ge_u32 s25, s14
	s_cselect_b32 s14, -1, 0
	s_cmp_eq_u32 s58, s15
	s_wait_alu 0xfffe
	s_cselect_b32 s14, s14, s81
	s_wait_alu 0xfffe
	s_cmp_lg_u32 s14, 0
	s_cselect_b32 s15, s74, s58
	s_cselect_b32 s14, s80, s25
	s_wait_alu 0xfffe
	s_xor_b64 s[14:15], s[14:15], s[78:79]
	s_wait_alu 0xfffe
	s_sub_nc_u64 s[14:15], s[14:15], s[78:79]
	s_cbranch_execnz .LBB37_201
.LBB37_200:                             ;   in Loop: Header=BB37_16 Depth=1
	v_cvt_f32_u32_e32 v6, s56
	s_sub_co_i32 s15, 0, s56
	s_delay_alu instid0(VALU_DEP_1) | instskip(NEXT) | instid1(TRANS32_DEP_1)
	v_rcp_iflag_f32_e32 v6, v6
	v_mul_f32_e32 v6, 0x4f7ffffe, v6
	s_delay_alu instid0(VALU_DEP_1) | instskip(NEXT) | instid1(VALU_DEP_1)
	v_cvt_u32_f32_e32 v6, v6
	v_readfirstlane_b32 s14, v6
	s_wait_alu 0xfffe
	s_mul_i32 s15, s15, s14
	s_wait_alu 0xfffe
	s_mul_hi_u32 s15, s14, s15
	s_wait_alu 0xfffe
	s_add_co_i32 s14, s14, s15
	s_wait_alu 0xfffe
	s_mul_hi_u32 s14, s6, s14
	s_wait_alu 0xfffe
	s_mul_i32 s14, s14, s56
	s_wait_alu 0xfffe
	s_sub_co_i32 s14, s6, s14
	s_wait_alu 0xfffe
	s_sub_co_i32 s15, s14, s56
	s_cmp_ge_u32 s14, s56
	s_wait_alu 0xfffe
	s_cselect_b32 s14, s15, s14
	s_wait_alu 0xfffe
	s_sub_co_i32 s15, s14, s56
	s_cmp_ge_u32 s14, s56
	s_wait_alu 0xfffe
	s_cselect_b32 s58, s15, s14
	s_wait_alu 0xfffe
	s_mov_b64 s[14:15], s[58:59]
.LBB37_201:                             ;   in Loop: Header=BB37_16 Depth=1
	s_wait_alu 0xfffe
	s_sub_nc_u64 s[6:7], s[6:7], s[14:15]
	s_mov_b32 s14, exec_lo
                                        ; implicit-def: $vgpr47
	s_wait_alu 0xfffe
	v_cmpx_gt_i64_e64 s[6:7], v[0:1]
	s_cbranch_execz .LBB37_210
; %bb.202:                              ;   in Loop: Header=BB37_16 Depth=1
	v_dual_mov_b32 v8, v35 :: v_dual_mov_b32 v7, v1
	v_mov_b32_e32 v6, v0
	s_mov_b32 s15, 0
                                        ; implicit-def: $sgpr25
	s_branch .LBB37_205
.LBB37_203:                             ;   in Loop: Header=BB37_205 Depth=2
	s_wait_alu 0xfffe
	s_or_b32 exec_lo, exec_lo, s58
	s_wait_loadcnt_dscnt 0x0
	s_barrier_signal -1
	s_barrier_wait -1
	global_inv scope:SCOPE_SE
	ds_load_b32 v9, v3 offset:3072
	s_mov_b32 s58, -1
	s_mov_b32 s74, -1
	s_wait_loadcnt_dscnt 0x0
	s_barrier_signal -1
	s_barrier_wait -1
	global_inv scope:SCOPE_SE
	v_and_b32_e32 v10, 0xffff, v9
	s_delay_alu instid0(VALU_DEP_1)
	v_cmp_eq_u32_e32 vcc_lo, 0, v10
	s_cbranch_vccnz .LBB37_208
.LBB37_204:                             ;   in Loop: Header=BB37_205 Depth=2
	s_wait_alu 0xfffe
	s_and_b32 s58, exec_lo, s58
	s_wait_alu 0xfffe
	s_or_b32 s15, s58, s15
	s_and_not1_b32 s25, s25, exec_lo
	s_and_b32 s58, s74, exec_lo
	s_wait_alu 0xfffe
	s_or_b32 s25, s25, s58
	s_and_not1_b32 exec_lo, exec_lo, s15
	s_cbranch_execz .LBB37_209
.LBB37_205:                             ;   Parent Loop BB37_16 Depth=1
                                        ; =>  This Inner Loop Header: Depth=2
	s_mov_b32 s58, exec_lo
	s_delay_alu instid0(VALU_DEP_1)
	v_cmpx_gt_u64_e64 s[12:13], v[6:7]
	s_cbranch_execz .LBB37_203
; %bb.206:                              ;   in Loop: Header=BB37_205 Depth=2
	ds_load_u16 v9, v8
	s_wait_dscnt 0x0
	v_bfe_i32 v10, v9, 0, 16
	s_delay_alu instid0(VALU_DEP_1) | instskip(NEXT) | instid1(VALU_DEP_1)
	v_add_nc_u32_e32 v10, 0x8000, v10
	v_and_b32_e32 v10, v10, v46
	s_delay_alu instid0(VALU_DEP_1)
	v_cmp_eq_u32_e32 vcc_lo, v10, v40
	s_and_b32 exec_lo, exec_lo, vcc_lo
	s_cbranch_execz .LBB37_203
; %bb.207:                              ;   in Loop: Header=BB37_205 Depth=2
	v_perm_b32 v9, v9, 1, 0x5040100
	ds_store_b32 v3, v9 offset:3072
	s_branch .LBB37_203
.LBB37_208:                             ;   in Loop: Header=BB37_205 Depth=2
	v_add_co_u32 v6, vcc_lo, v6, s56
	s_wait_alu 0xfffd
	v_add_co_ci_u32_e64 v7, null, 0, v7, vcc_lo
	v_add_nc_u32_e32 v8, s98, v8
	s_mov_b32 s74, 0
	s_delay_alu instid0(VALU_DEP_2)
	v_cmp_le_i64_e32 vcc_lo, s[6:7], v[6:7]
	s_or_not1_b32 s58, vcc_lo, exec_lo
	s_branch .LBB37_204
.LBB37_209:                             ;   in Loop: Header=BB37_16 Depth=1
	s_or_b32 exec_lo, exec_lo, s15
	v_lshrrev_b32_e32 v47, 16, v9
	s_and_not1_b32 s6, s77, exec_lo
	s_wait_alu 0xfffe
	s_and_b32 s7, s25, exec_lo
	s_wait_alu 0xfffe
	s_or_b32 s77, s6, s7
.LBB37_210:                             ;   in Loop: Header=BB37_16 Depth=1
	s_or_b32 exec_lo, exec_lo, s14
	s_mov_b32 s25, 0
	s_mov_b32 s74, -1
.LBB37_211:                             ;   in Loop: Header=BB37_16 Depth=1
	s_wait_alu 0xfffe
	s_or_not1_b32 s6, s77, exec_lo
.LBB37_212:                             ;   in Loop: Header=BB37_16 Depth=1
	s_wait_alu 0xfffe
	s_or_b32 exec_lo, exec_lo, s76
	s_mov_b32 s7, 0
	s_and_saveexec_b32 s14, s6
	s_cbranch_execz .LBB37_270
; %bb.213:                              ;   in Loop: Header=BB37_16 Depth=1
	v_mov_b32_e32 v6, 1
	v_dual_mov_b32 v7, 0 :: v_dual_mov_b32 v2, 1
	s_xor_b32 s12, s75, -1
	s_wait_alu 0xfffe
	s_and_saveexec_b32 s6, s12
	s_cbranch_execz .LBB37_222
; %bb.214:                              ;   in Loop: Header=BB37_16 Depth=1
	s_mov_b32 s7, exec_lo
	v_cmpx_ge_i64_e64 s[10:11], v[4:5]
	s_wait_alu 0xfffe
	s_xor_b32 s7, exec_lo, s7
	s_cbranch_execz .LBB37_219
; %bb.215:                              ;   in Loop: Header=BB37_16 Depth=1
	ds_load_b64 v[6:7], v3 offset:5120
	s_lshl_b32 s12, 2, s99
	v_or_b32_e32 v46, s16, v46
	s_wait_alu 0xfffe
	v_and_or_b32 v40, v40, s20, s12
	s_wait_dscnt 0x0
	v_cmp_ne_u64_e32 vcc_lo, 0, v[6:7]
	s_cbranch_vccnz .LBB37_219
; %bb.216:                              ;   in Loop: Header=BB37_16 Depth=1
	s_and_saveexec_b32 s12, s2
; %bb.217:                              ;   in Loop: Header=BB37_16 Depth=1
	v_dual_mov_b32 v6, s10 :: v_dual_mov_b32 v7, s11
	ds_store_b64 v3, v[6:7] offset:5128
; %bb.218:                              ;   in Loop: Header=BB37_16 Depth=1
	s_wait_alu 0xfffe
	s_or_b32 exec_lo, exec_lo, s12
	s_wait_loadcnt_dscnt 0x0
	s_barrier_signal -1
	s_barrier_wait -1
	global_inv scope:SCOPE_SE
.LBB37_219:                             ;   in Loop: Header=BB37_16 Depth=1
	s_wait_alu 0xfffe
	s_or_saveexec_b32 s7, s7
	v_mov_b32_e32 v2, 8
	s_mov_b32 s12, 0
	s_wait_alu 0xfffe
	s_xor_b32 exec_lo, exec_lo, s7
; %bb.220:                              ;   in Loop: Header=BB37_16 Depth=1
	v_sub_co_u32 v4, vcc_lo, v4, s10
	s_wait_alu 0xfffd
	v_subrev_co_ci_u32_e64 v5, null, s11, v5, vcc_lo
	v_mov_b32_e32 v2, 0
	s_mov_b32 s12, exec_lo
; %bb.221:                              ;   in Loop: Header=BB37_16 Depth=1
	s_or_b32 exec_lo, exec_lo, s7
	s_delay_alu instid0(VALU_DEP_2)
	v_dual_mov_b32 v7, v5 :: v_dual_mov_b32 v6, v4
	s_wait_alu 0xfffe
	s_and_b32 s7, s12, exec_lo
.LBB37_222:                             ;   in Loop: Header=BB37_16 Depth=1
	s_wait_alu 0xfffe
	s_or_b32 exec_lo, exec_lo, s6
	s_mov_b32 s6, -1
                                        ; implicit-def: $sgpr77
                                        ; implicit-def: $sgpr76
	s_and_saveexec_b32 s15, s7
	s_cbranch_execz .LBB37_269
; %bb.223:                              ;   in Loop: Header=BB37_16 Depth=1
	v_cmp_eq_u64_e32 vcc_lo, 1, v[6:7]
	s_cmp_eq_u64 s[8:9], 1
	s_mov_b32 s7, -1
	s_cselect_b32 s6, -1, 0
                                        ; implicit-def: $sgpr77
                                        ; implicit-def: $sgpr76
	s_wait_alu 0xfffe
	s_and_b32 s20, s6, vcc_lo
	s_wait_alu 0xfffe
	s_and_saveexec_b32 s75, s20
	s_cbranch_execz .LBB37_257
; %bb.224:                              ;   in Loop: Header=BB37_16 Depth=1
	ds_load_b64 v[4:5], v3 offset:5120
	s_wait_loadcnt_dscnt 0x0
	s_barrier_signal -1
	s_barrier_wait -1
	global_inv scope:SCOPE_SE
	v_readfirstlane_b32 s10, v4
	v_readfirstlane_b32 s11, v5
	s_and_saveexec_b32 s6, s3
; %bb.225:                              ;   in Loop: Header=BB37_16 Depth=1
	ds_store_b16 v36, v3
; %bb.226:                              ;   in Loop: Header=BB37_16 Depth=1
	s_wait_alu 0xfffe
	s_or_b32 exec_lo, exec_lo, s6
	v_cmp_gt_i64_e64 s6, s[10:11], 0
	v_or_b32_e32 v40, s16, v40
	v_or_b32_e32 v46, s16, v46
	s_mov_b32 s76, -1
	s_mov_b32 s77, 0
	s_mov_b32 s78, 0
	s_and_b32 vcc_lo, exec_lo, s6
	s_wait_loadcnt_dscnt 0x0
	s_barrier_signal -1
	s_barrier_wait -1
	global_inv scope:SCOPE_SE
                                        ; implicit-def: $vgpr47
	s_wait_alu 0xfffe
	s_cbranch_vccnz .LBB37_242
; %bb.227:                              ;   in Loop: Header=BB37_16 Depth=1
	s_mov_b32 s6, s59
	s_mov_b32 s7, s67
	s_wait_alu 0xfffe
	s_cmp_lg_u64 s[6:7], 0
	s_cbranch_scc0 .LBB37_276
; %bb.228:                              ;   in Loop: Header=BB37_16 Depth=1
	s_add_nc_u64 s[6:7], s[56:57], 0
	s_wait_alu 0xfffe
	s_xor_b64 s[6:7], s[6:7], 0
	s_wait_alu 0xfffe
	s_cvt_f32_u32 s12, s6
	s_cvt_f32_u32 s13, s7
	s_sub_nc_u64 s[78:79], 0, s[6:7]
	s_wait_alu 0xfffe
	s_delay_alu instid0(SALU_CYCLE_1) | instskip(SKIP_1) | instid1(SALU_CYCLE_2)
	s_fmamk_f32 s12, s13, 0x4f800000, s12
	s_wait_alu 0xfffe
	v_s_rcp_f32 s12, s12
	s_delay_alu instid0(TRANS32_DEP_1) | instskip(SKIP_1) | instid1(SALU_CYCLE_2)
	s_mul_f32 s12, s12, 0x5f7ffffc
	s_wait_alu 0xfffe
	s_mul_f32 s13, s12, 0x2f800000
	s_wait_alu 0xfffe
	s_delay_alu instid0(SALU_CYCLE_2) | instskip(SKIP_1) | instid1(SALU_CYCLE_2)
	s_trunc_f32 s13, s13
	s_wait_alu 0xfffe
	s_fmamk_f32 s12, s13, 0xcf800000, s12
	s_cvt_u32_f32 s13, s13
	s_wait_alu 0xfffe
	s_delay_alu instid0(SALU_CYCLE_1) | instskip(SKIP_1) | instid1(SALU_CYCLE_2)
	s_cvt_u32_f32 s12, s12
	s_wait_alu 0xfffe
	s_mul_u64 s[80:81], s[78:79], s[12:13]
	s_wait_alu 0xfffe
	s_mul_hi_u32 s83, s12, s81
	s_mul_i32 s82, s12, s81
	s_mul_hi_u32 s58, s12, s80
	s_mul_i32 s85, s13, s80
	s_wait_alu 0xfffe
	s_add_nc_u64 s[82:83], s[58:59], s[82:83]
	s_mul_hi_u32 s84, s13, s80
	s_mul_hi_u32 s86, s13, s81
	s_wait_alu 0xfffe
	s_add_co_u32 s58, s82, s85
	s_add_co_ci_u32 s58, s83, s84
	s_mul_i32 s80, s13, s81
	s_add_co_ci_u32 s81, s86, 0
	s_wait_alu 0xfffe
	s_add_nc_u64 s[80:81], s[58:59], s[80:81]
	s_wait_alu 0xfffe
	s_add_co_u32 s12, s12, s80
	s_cselect_b32 s58, -1, 0
	s_wait_alu 0xfffe
	s_cmp_lg_u32 s58, 0
	s_add_co_ci_u32 s13, s13, s81
	s_wait_alu 0xfffe
	s_mul_u64 s[78:79], s[78:79], s[12:13]
	s_wait_alu 0xfffe
	s_mul_hi_u32 s81, s12, s79
	s_mul_i32 s80, s12, s79
	s_mul_hi_u32 s58, s12, s78
	s_mul_i32 s83, s13, s78
	s_wait_alu 0xfffe
	s_add_nc_u64 s[80:81], s[58:59], s[80:81]
	s_mul_hi_u32 s82, s13, s78
	s_mul_hi_u32 s84, s13, s79
	s_wait_alu 0xfffe
	s_add_co_u32 s58, s80, s83
	s_add_co_ci_u32 s58, s81, s82
	s_mul_i32 s78, s13, s79
	s_add_co_ci_u32 s79, s84, 0
	s_wait_alu 0xfffe
	s_add_nc_u64 s[78:79], s[58:59], s[78:79]
	s_wait_alu 0xfffe
	s_add_co_u32 s82, s12, s78
	s_cselect_b32 s12, -1, 0
	s_wait_alu 0xfffe
	s_cmp_lg_u32 s12, 0
	s_add_co_ci_u32 s83, s13, s79
	s_ashr_i32 s12, s67, 31
	s_wait_alu 0xfffe
	s_mov_b32 s13, s12
	s_wait_alu 0xfffe
	s_add_nc_u64 s[78:79], s[66:67], s[12:13]
	s_wait_alu 0xfffe
	s_xor_b64 s[78:79], s[78:79], s[12:13]
	s_wait_alu 0xfffe
	s_mul_hi_u32 s81, s78, s83
	s_mul_i32 s80, s78, s83
	s_mul_hi_u32 s58, s78, s82
	s_mul_i32 s86, s79, s82
	s_wait_alu 0xfffe
	s_add_nc_u64 s[80:81], s[58:59], s[80:81]
	s_mul_hi_u32 s85, s79, s82
	s_mul_hi_u32 s84, s79, s83
	s_wait_alu 0xfffe
	s_add_co_u32 s58, s80, s86
	s_add_co_ci_u32 s58, s81, s85
	s_mul_i32 s82, s79, s83
	s_add_co_ci_u32 s83, s84, 0
	s_wait_alu 0xfffe
	s_add_nc_u64 s[80:81], s[58:59], s[82:83]
	s_wait_alu 0xfffe
	s_mul_u64 s[80:81], s[6:7], s[80:81]
	s_wait_alu 0xfffe
	s_sub_co_u32 s58, s78, s80
	s_cselect_b32 s78, -1, 0
	s_sub_co_i32 s80, s79, s81
	s_wait_alu 0xfffe
	s_cmp_lg_u32 s78, 0
	s_sub_co_ci_u32 s80, s80, s7
	s_sub_co_u32 s82, s58, s6
	s_cselect_b32 s83, -1, 0
	s_wait_alu 0xfffe
	s_cmp_lg_u32 s83, 0
	s_sub_co_ci_u32 s84, s80, 0
	s_wait_alu 0xfffe
	s_cmp_ge_u32 s84, s7
	s_cselect_b32 s85, -1, 0
	s_cmp_ge_u32 s82, s6
	s_cselect_b32 s86, -1, 0
	s_cmp_eq_u32 s84, s7
	s_wait_alu 0xfffe
	s_cselect_b32 s85, s86, s85
	s_cmp_lg_u32 s83, 0
	s_sub_co_ci_u32 s80, s80, s7
	s_sub_co_u32 s83, s82, s6
	s_cselect_b32 s86, -1, 0
	s_wait_alu 0xfffe
	s_cmp_lg_u32 s86, 0
	s_sub_co_ci_u32 s80, s80, 0
	s_cmp_lg_u32 s85, 0
	s_cselect_b32 s82, s83, s82
	s_wait_alu 0xfffe
	s_cselect_b32 s80, s80, s84
	s_cmp_lg_u32 s78, 0
	s_sub_co_ci_u32 s78, s79, s81
	s_wait_alu 0xfffe
	s_cmp_ge_u32 s78, s7
	s_cselect_b32 s79, -1, 0
	s_cmp_ge_u32 s58, s6
	s_cselect_b32 s6, -1, 0
	s_cmp_eq_u32 s78, s7
	s_wait_alu 0xfffe
	s_cselect_b32 s6, s6, s79
	s_wait_alu 0xfffe
	s_cmp_lg_u32 s6, 0
	s_cselect_b32 s7, s80, s78
	s_cselect_b32 s6, s82, s58
	s_wait_alu 0xfffe
	s_xor_b64 s[6:7], s[6:7], s[12:13]
	s_wait_alu 0xfffe
	s_sub_nc_u64 s[6:7], s[6:7], s[12:13]
	s_cbranch_execnz .LBB37_230
.LBB37_229:                             ;   in Loop: Header=BB37_16 Depth=1
	v_cvt_f32_u32_e32 v4, s56
	s_sub_co_i32 s7, 0, s56
	s_delay_alu instid0(VALU_DEP_1) | instskip(NEXT) | instid1(TRANS32_DEP_1)
	v_rcp_iflag_f32_e32 v4, v4
	v_mul_f32_e32 v4, 0x4f7ffffe, v4
	s_delay_alu instid0(VALU_DEP_1) | instskip(NEXT) | instid1(VALU_DEP_1)
	v_cvt_u32_f32_e32 v4, v4
	v_readfirstlane_b32 s6, v4
	s_wait_alu 0xfffe
	s_mul_i32 s7, s7, s6
	s_wait_alu 0xfffe
	s_mul_hi_u32 s7, s6, s7
	s_wait_alu 0xfffe
	s_add_co_i32 s6, s6, s7
	s_wait_alu 0xfffe
	s_mul_hi_u32 s6, s66, s6
	s_wait_alu 0xfffe
	s_mul_i32 s6, s6, s56
	s_wait_alu 0xfffe
	s_sub_co_i32 s6, s66, s6
	s_wait_alu 0xfffe
	s_sub_co_i32 s7, s6, s56
	s_cmp_ge_u32 s6, s56
	s_wait_alu 0xfffe
	s_cselect_b32 s6, s7, s6
	s_wait_alu 0xfffe
	s_sub_co_i32 s7, s6, s56
	s_cmp_ge_u32 s6, s56
	s_wait_alu 0xfffe
	s_cselect_b32 s58, s7, s6
	s_wait_alu 0xfffe
	s_mov_b64 s[6:7], s[58:59]
.LBB37_230:                             ;   in Loop: Header=BB37_16 Depth=1
	s_wait_alu 0xfffe
	s_sub_nc_u64 s[12:13], s[66:67], s[6:7]
	s_mov_b32 s7, 0
	s_mov_b32 s78, 0
	s_mov_b32 s58, exec_lo
                                        ; implicit-def: $vgpr47
	s_wait_alu 0xfffe
	v_cmpx_gt_i64_e64 s[12:13], v[0:1]
	s_cbranch_execz .LBB37_241
; %bb.231:                              ;   in Loop: Header=BB37_16 Depth=1
	v_dual_mov_b32 v4, v12 :: v_dual_mov_b32 v5, v13
	v_dual_mov_b32 v9, v1 :: v_dual_mov_b32 v8, v0
                                        ; implicit-def: $sgpr79
	s_branch .LBB37_234
.LBB37_232:                             ;   in Loop: Header=BB37_234 Depth=2
	s_wait_alu 0xfffe
	s_or_b32 exec_lo, exec_lo, s6
	s_wait_loadcnt_dscnt 0x0
	s_barrier_signal -1
	s_barrier_wait -1
	global_inv scope:SCOPE_SE
	ds_load_b32 v10, v3 offset:3072
	s_mov_b32 s6, -1
	s_mov_b32 s80, -1
	s_wait_loadcnt_dscnt 0x0
	s_barrier_signal -1
	s_barrier_wait -1
	global_inv scope:SCOPE_SE
	v_and_b32_e32 v11, 0xffff, v10
	s_delay_alu instid0(VALU_DEP_1)
	v_cmp_ne_u32_e32 vcc_lo, 0, v11
	s_cbranch_vccz .LBB37_237
.LBB37_233:                             ;   in Loop: Header=BB37_234 Depth=2
	s_wait_alu 0xfffe
	s_and_b32 s6, exec_lo, s6
	s_wait_alu 0xfffe
	s_or_b32 s78, s6, s78
	s_and_not1_b32 s6, s79, exec_lo
	s_and_b32 s79, s80, exec_lo
	s_wait_alu 0xfffe
	s_or_b32 s79, s6, s79
	s_and_not1_b32 exec_lo, exec_lo, s78
	s_cbranch_execz .LBB37_240
.LBB37_234:                             ;   Parent Loop BB37_16 Depth=1
                                        ; =>  This Inner Loop Header: Depth=2
	s_mov_b32 s6, exec_lo
	s_delay_alu instid0(VALU_DEP_1)
	v_cmpx_gt_i64_e64 s[36:37], v[8:9]
	s_cbranch_execz .LBB37_232
; %bb.235:                              ;   in Loop: Header=BB37_234 Depth=2
	global_load_u16 v10, v[4:5], off
	s_wait_loadcnt 0x0
	v_bfe_i32 v11, v10, 0, 16
	s_delay_alu instid0(VALU_DEP_1) | instskip(NEXT) | instid1(VALU_DEP_1)
	v_add_nc_u32_e32 v11, 0x8000, v11
	v_and_b32_e32 v11, v11, v46
	s_delay_alu instid0(VALU_DEP_1)
	v_cmp_eq_u32_e32 vcc_lo, v11, v40
	s_and_b32 exec_lo, exec_lo, vcc_lo
	s_cbranch_execz .LBB37_232
; %bb.236:                              ;   in Loop: Header=BB37_234 Depth=2
	v_perm_b32 v10, v10, 1, 0x5040100
	ds_store_b32 v3, v10 offset:3072
	s_branch .LBB37_232
.LBB37_237:                             ;   in Loop: Header=BB37_234 Depth=2
	v_add_co_u32 v8, vcc_lo, v8, s56
	s_wait_alu 0xfffd
	v_add_co_ci_u32_e64 v9, null, 0, v9, vcc_lo
	v_add_co_u32 v4, s6, v4, s60
	s_wait_alu 0xf1fe
	v_add_co_ci_u32_e64 v5, null, s61, v5, s6
	s_delay_alu instid0(VALU_DEP_3)
	v_cmp_le_i64_e32 vcc_lo, s[12:13], v[8:9]
	s_mov_b32 s80, 0
	s_or_not1_b32 s6, vcc_lo, exec_lo
	s_branch .LBB37_233
.LBB37_238:                             ;   in Loop: Header=BB37_16 Depth=1
                                        ; implicit-def: $sgpr6_sgpr7
	s_branch .LBB37_184
.LBB37_239:                             ;   in Loop: Header=BB37_16 Depth=1
                                        ; implicit-def: $sgpr14_sgpr15
	s_branch .LBB37_200
.LBB37_240:                             ;   in Loop: Header=BB37_16 Depth=1
	s_or_b32 exec_lo, exec_lo, s78
	v_lshrrev_b32_e32 v47, 16, v10
	s_wait_alu 0xfffe
	s_and_b32 s78, s79, exec_lo
.LBB37_241:                             ;   in Loop: Header=BB37_16 Depth=1
	s_or_b32 exec_lo, exec_lo, s58
.LBB37_242:                             ;   in Loop: Header=BB37_16 Depth=1
	s_delay_alu instid0(SALU_CYCLE_1)
	s_and_b32 vcc_lo, exec_lo, s7
	s_wait_alu 0xfffe
	s_cbranch_vccz .LBB37_256
; %bb.243:                              ;   in Loop: Header=BB37_16 Depth=1
	s_add_nc_u64 s[6:7], s[10:11], s[64:65]
	s_mov_b32 s12, s59
	s_wait_alu 0xfffe
	s_mov_b32 s13, s7
	s_wait_alu 0xfffe
	s_cmp_lg_u64 s[12:13], 0
	s_cbranch_scc0 .LBB37_277
; %bb.244:                              ;   in Loop: Header=BB37_16 Depth=1
	s_add_nc_u64 s[12:13], s[56:57], 0
	s_wait_alu 0xfffe
	s_xor_b64 s[12:13], s[12:13], 0
	s_wait_alu 0xfffe
	s_cvt_f32_u32 s58, s12
	s_cvt_f32_u32 s76, s13
	s_sub_nc_u64 s[80:81], 0, s[12:13]
	s_wait_alu 0xfffe
	s_delay_alu instid0(SALU_CYCLE_1) | instskip(SKIP_1) | instid1(SALU_CYCLE_2)
	s_fmamk_f32 s58, s76, 0x4f800000, s58
	s_wait_alu 0xfffe
	v_s_rcp_f32 s58, s58
	s_delay_alu instid0(TRANS32_DEP_1) | instskip(SKIP_1) | instid1(SALU_CYCLE_2)
	s_mul_f32 s58, s58, 0x5f7ffffc
	s_wait_alu 0xfffe
	s_mul_f32 s76, s58, 0x2f800000
	s_wait_alu 0xfffe
	s_delay_alu instid0(SALU_CYCLE_2) | instskip(SKIP_1) | instid1(SALU_CYCLE_2)
	s_trunc_f32 s76, s76
	s_wait_alu 0xfffe
	s_fmamk_f32 s58, s76, 0xcf800000, s58
	s_cvt_u32_f32 s77, s76
	s_wait_alu 0xfffe
	s_delay_alu instid0(SALU_CYCLE_1) | instskip(SKIP_1) | instid1(SALU_CYCLE_2)
	s_cvt_u32_f32 s76, s58
	s_wait_alu 0xfffe
	s_mul_u64 s[82:83], s[80:81], s[76:77]
	s_wait_alu 0xfffe
	s_mul_hi_u32 s85, s76, s83
	s_mul_i32 s84, s76, s83
	s_mul_hi_u32 s58, s76, s82
	s_mul_i32 s86, s77, s82
	s_wait_alu 0xfffe
	s_add_nc_u64 s[84:85], s[58:59], s[84:85]
	s_mul_hi_u32 s79, s77, s82
	s_mul_hi_u32 s87, s77, s83
	s_wait_alu 0xfffe
	s_add_co_u32 s58, s84, s86
	s_add_co_ci_u32 s58, s85, s79
	s_mul_i32 s82, s77, s83
	s_add_co_ci_u32 s83, s87, 0
	s_wait_alu 0xfffe
	s_add_nc_u64 s[82:83], s[58:59], s[82:83]
	s_wait_alu 0xfffe
	s_add_co_u32 s76, s76, s82
	s_cselect_b32 s58, -1, 0
	s_wait_alu 0xfffe
	s_cmp_lg_u32 s58, 0
	s_add_co_ci_u32 s77, s77, s83
	s_wait_alu 0xfffe
	s_mul_u64 s[80:81], s[80:81], s[76:77]
	s_wait_alu 0xfffe
	s_mul_hi_u32 s83, s76, s81
	s_mul_i32 s82, s76, s81
	s_mul_hi_u32 s58, s76, s80
	s_mul_i32 s84, s77, s80
	s_wait_alu 0xfffe
	s_add_nc_u64 s[82:83], s[58:59], s[82:83]
	s_mul_hi_u32 s79, s77, s80
	s_mul_hi_u32 s85, s77, s81
	s_wait_alu 0xfffe
	s_add_co_u32 s58, s82, s84
	s_add_co_ci_u32 s58, s83, s79
	s_mul_i32 s80, s77, s81
	s_add_co_ci_u32 s81, s85, 0
	s_wait_alu 0xfffe
	s_add_nc_u64 s[80:81], s[58:59], s[80:81]
	s_wait_alu 0xfffe
	s_add_co_u32 s79, s76, s80
	s_cselect_b32 s58, -1, 0
	s_wait_alu 0xfffe
	s_cmp_lg_u32 s58, 0
	s_add_co_ci_u32 s84, s77, s81
	s_ashr_i32 s76, s7, 31
	s_wait_alu 0xfffe
	s_mov_b32 s77, s76
	s_wait_alu 0xfffe
	s_add_nc_u64 s[80:81], s[6:7], s[76:77]
	s_wait_alu 0xfffe
	s_xor_b64 s[80:81], s[80:81], s[76:77]
	s_wait_alu 0xfffe
	s_mul_hi_u32 s83, s80, s84
	s_mul_i32 s82, s80, s84
	s_mul_hi_u32 s58, s80, s79
	s_mul_hi_u32 s86, s81, s79
	s_mul_i32 s79, s81, s79
	s_wait_alu 0xfffe
	s_add_nc_u64 s[82:83], s[58:59], s[82:83]
	s_mul_hi_u32 s85, s81, s84
	s_wait_alu 0xfffe
	s_add_co_u32 s58, s82, s79
	s_add_co_ci_u32 s58, s83, s86
	s_mul_i32 s84, s81, s84
	s_add_co_ci_u32 s85, s85, 0
	s_wait_alu 0xfffe
	s_add_nc_u64 s[82:83], s[58:59], s[84:85]
	s_wait_alu 0xfffe
	s_mul_u64 s[82:83], s[12:13], s[82:83]
	s_wait_alu 0xfffe
	s_sub_co_u32 s58, s80, s82
	s_cselect_b32 s79, -1, 0
	s_sub_co_i32 s80, s81, s83
	s_wait_alu 0xfffe
	s_cmp_lg_u32 s79, 0
	s_sub_co_ci_u32 s80, s80, s13
	s_sub_co_u32 s82, s58, s12
	s_cselect_b32 s84, -1, 0
	s_wait_alu 0xfffe
	s_cmp_lg_u32 s84, 0
	s_sub_co_ci_u32 s85, s80, 0
	s_wait_alu 0xfffe
	s_cmp_ge_u32 s85, s13
	s_cselect_b32 s86, -1, 0
	s_cmp_ge_u32 s82, s12
	s_cselect_b32 s87, -1, 0
	s_cmp_eq_u32 s85, s13
	s_wait_alu 0xfffe
	s_cselect_b32 s86, s87, s86
	s_cmp_lg_u32 s84, 0
	s_sub_co_ci_u32 s80, s80, s13
	s_sub_co_u32 s84, s82, s12
	s_cselect_b32 s87, -1, 0
	s_wait_alu 0xfffe
	s_cmp_lg_u32 s87, 0
	s_sub_co_ci_u32 s80, s80, 0
	s_cmp_lg_u32 s86, 0
	s_cselect_b32 s82, s84, s82
	s_wait_alu 0xfffe
	s_cselect_b32 s80, s80, s85
	s_cmp_lg_u32 s79, 0
	s_sub_co_ci_u32 s79, s81, s83
	s_wait_alu 0xfffe
	s_cmp_ge_u32 s79, s13
	s_cselect_b32 s81, -1, 0
	s_cmp_ge_u32 s58, s12
	s_cselect_b32 s12, -1, 0
	s_cmp_eq_u32 s79, s13
	s_wait_alu 0xfffe
	s_cselect_b32 s12, s12, s81
	s_wait_alu 0xfffe
	s_cmp_lg_u32 s12, 0
	s_cselect_b32 s13, s80, s79
	s_cselect_b32 s12, s82, s58
	s_wait_alu 0xfffe
	s_xor_b64 s[12:13], s[12:13], s[76:77]
	s_wait_alu 0xfffe
	s_sub_nc_u64 s[12:13], s[12:13], s[76:77]
	s_cbranch_execnz .LBB37_246
.LBB37_245:                             ;   in Loop: Header=BB37_16 Depth=1
	v_cvt_f32_u32_e32 v4, s56
	s_sub_co_i32 s13, 0, s56
	s_delay_alu instid0(VALU_DEP_1) | instskip(NEXT) | instid1(TRANS32_DEP_1)
	v_rcp_iflag_f32_e32 v4, v4
	v_mul_f32_e32 v4, 0x4f7ffffe, v4
	s_delay_alu instid0(VALU_DEP_1) | instskip(NEXT) | instid1(VALU_DEP_1)
	v_cvt_u32_f32_e32 v4, v4
	v_readfirstlane_b32 s12, v4
	s_wait_alu 0xfffe
	s_mul_i32 s13, s13, s12
	s_wait_alu 0xfffe
	s_mul_hi_u32 s13, s12, s13
	s_wait_alu 0xfffe
	s_add_co_i32 s12, s12, s13
	s_wait_alu 0xfffe
	s_mul_hi_u32 s12, s6, s12
	s_wait_alu 0xfffe
	s_mul_i32 s12, s12, s56
	s_wait_alu 0xfffe
	s_sub_co_i32 s12, s6, s12
	s_wait_alu 0xfffe
	s_sub_co_i32 s13, s12, s56
	s_cmp_ge_u32 s12, s56
	s_wait_alu 0xfffe
	s_cselect_b32 s12, s13, s12
	s_wait_alu 0xfffe
	s_sub_co_i32 s13, s12, s56
	s_cmp_ge_u32 s12, s56
	s_wait_alu 0xfffe
	s_cselect_b32 s58, s13, s12
	s_wait_alu 0xfffe
	s_mov_b64 s[12:13], s[58:59]
.LBB37_246:                             ;   in Loop: Header=BB37_16 Depth=1
	s_wait_alu 0xfffe
	s_sub_nc_u64 s[6:7], s[6:7], s[12:13]
	s_mov_b32 s12, exec_lo
                                        ; implicit-def: $vgpr47
	s_wait_alu 0xfffe
	v_cmpx_gt_i64_e64 s[6:7], v[0:1]
	s_cbranch_execz .LBB37_255
; %bb.247:                              ;   in Loop: Header=BB37_16 Depth=1
	v_dual_mov_b32 v8, v35 :: v_dual_mov_b32 v5, v1
	v_mov_b32_e32 v4, v0
	s_mov_b32 s13, 0
                                        ; implicit-def: $sgpr58
	s_branch .LBB37_250
.LBB37_248:                             ;   in Loop: Header=BB37_250 Depth=2
	s_wait_alu 0xfffe
	s_or_b32 exec_lo, exec_lo, s76
	s_wait_loadcnt_dscnt 0x0
	s_barrier_signal -1
	s_barrier_wait -1
	global_inv scope:SCOPE_SE
	ds_load_b32 v9, v3 offset:3072
	s_mov_b32 s76, -1
	s_mov_b32 s77, -1
	s_wait_loadcnt_dscnt 0x0
	s_barrier_signal -1
	s_barrier_wait -1
	global_inv scope:SCOPE_SE
	v_and_b32_e32 v10, 0xffff, v9
	s_delay_alu instid0(VALU_DEP_1)
	v_cmp_eq_u32_e32 vcc_lo, 0, v10
	s_cbranch_vccnz .LBB37_253
.LBB37_249:                             ;   in Loop: Header=BB37_250 Depth=2
	s_wait_alu 0xfffe
	s_and_b32 s76, exec_lo, s76
	s_wait_alu 0xfffe
	s_or_b32 s13, s76, s13
	s_and_not1_b32 s58, s58, exec_lo
	s_and_b32 s76, s77, exec_lo
	s_wait_alu 0xfffe
	s_or_b32 s58, s58, s76
	s_and_not1_b32 exec_lo, exec_lo, s13
	s_cbranch_execz .LBB37_254
.LBB37_250:                             ;   Parent Loop BB37_16 Depth=1
                                        ; =>  This Inner Loop Header: Depth=2
	s_mov_b32 s76, exec_lo
	s_delay_alu instid0(VALU_DEP_1)
	v_cmpx_gt_u64_e64 s[10:11], v[4:5]
	s_cbranch_execz .LBB37_248
; %bb.251:                              ;   in Loop: Header=BB37_250 Depth=2
	ds_load_u16 v9, v8
	s_wait_dscnt 0x0
	v_bfe_i32 v10, v9, 0, 16
	s_delay_alu instid0(VALU_DEP_1) | instskip(NEXT) | instid1(VALU_DEP_1)
	v_add_nc_u32_e32 v10, 0x8000, v10
	v_and_b32_e32 v10, v10, v46
	s_delay_alu instid0(VALU_DEP_1)
	v_cmp_eq_u32_e32 vcc_lo, v10, v40
	s_and_b32 exec_lo, exec_lo, vcc_lo
	s_cbranch_execz .LBB37_248
; %bb.252:                              ;   in Loop: Header=BB37_250 Depth=2
	v_perm_b32 v9, v9, 1, 0x5040100
	ds_store_b32 v3, v9 offset:3072
	s_branch .LBB37_248
.LBB37_253:                             ;   in Loop: Header=BB37_250 Depth=2
	v_add_co_u32 v4, vcc_lo, v4, s56
	s_wait_alu 0xfffd
	v_add_co_ci_u32_e64 v5, null, 0, v5, vcc_lo
	v_add_nc_u32_e32 v8, s98, v8
	s_mov_b32 s77, 0
	s_delay_alu instid0(VALU_DEP_2)
	v_cmp_le_i64_e32 vcc_lo, s[6:7], v[4:5]
	s_or_not1_b32 s76, vcc_lo, exec_lo
	s_branch .LBB37_249
.LBB37_254:                             ;   in Loop: Header=BB37_16 Depth=1
	s_or_b32 exec_lo, exec_lo, s13
	v_lshrrev_b32_e32 v47, 16, v9
	s_and_not1_b32 s6, s78, exec_lo
	s_wait_alu 0xfffe
	s_and_b32 s7, s58, exec_lo
	s_wait_alu 0xfffe
	s_or_b32 s78, s6, s7
.LBB37_255:                             ;   in Loop: Header=BB37_16 Depth=1
	s_or_b32 exec_lo, exec_lo, s12
	s_mov_b32 s76, 0
	s_mov_b32 s77, -1
.LBB37_256:                             ;   in Loop: Header=BB37_16 Depth=1
	s_wait_alu 0xfffe
	s_or_not1_b32 s7, s78, exec_lo
.LBB37_257:                             ;   in Loop: Header=BB37_16 Depth=1
	s_wait_alu 0xfffe
	s_or_b32 exec_lo, exec_lo, s75
	s_mov_b32 s10, 0
	s_and_saveexec_b32 s6, s7
	s_cbranch_execz .LBB37_268
; %bb.258:                              ;   in Loop: Header=BB37_16 Depth=1
	v_mov_b32_e32 v4, 1
	v_dual_mov_b32 v5, 0 :: v_dual_mov_b32 v2, 1
	s_xor_b32 s10, s20, -1
	s_wait_alu 0xfffe
	s_and_saveexec_b32 s7, s10
	s_cbranch_execz .LBB37_267
; %bb.259:                              ;   in Loop: Header=BB37_16 Depth=1
	s_mov_b32 s10, exec_lo
	v_cmpx_ge_i64_e64 s[8:9], v[6:7]
	s_wait_alu 0xfffe
	s_xor_b32 s10, exec_lo, s10
	s_cbranch_execz .LBB37_264
; %bb.260:                              ;   in Loop: Header=BB37_16 Depth=1
	ds_load_b64 v[4:5], v3 offset:5120
	v_or_b32_e32 v40, s16, v40
	v_or_b32_e32 v46, s16, v46
	s_wait_dscnt 0x0
	v_cmp_ne_u64_e32 vcc_lo, 0, v[4:5]
	s_cbranch_vccnz .LBB37_264
; %bb.261:                              ;   in Loop: Header=BB37_16 Depth=1
	s_and_saveexec_b32 s11, s2
; %bb.262:                              ;   in Loop: Header=BB37_16 Depth=1
	v_dual_mov_b32 v4, s8 :: v_dual_mov_b32 v5, s9
	ds_store_b64 v3, v[4:5] offset:5128
; %bb.263:                              ;   in Loop: Header=BB37_16 Depth=1
	s_wait_alu 0xfffe
	s_or_b32 exec_lo, exec_lo, s11
	s_wait_loadcnt_dscnt 0x0
	s_barrier_signal -1
	s_barrier_wait -1
	global_inv scope:SCOPE_SE
.LBB37_264:                             ;   in Loop: Header=BB37_16 Depth=1
	s_wait_alu 0xfffe
	s_and_not1_saveexec_b32 s10, s10
; %bb.265:                              ;   in Loop: Header=BB37_16 Depth=1
	v_sub_co_u32 v6, vcc_lo, v6, s8
	s_wait_alu 0xfffd
	v_subrev_co_ci_u32_e64 v7, null, s9, v7, vcc_lo
; %bb.266:                              ;   in Loop: Header=BB37_16 Depth=1
	s_wait_alu 0xfffe
	s_or_b32 exec_lo, exec_lo, s10
	v_mov_b32_e32 v4, v6
	s_delay_alu instid0(VALU_DEP_2)
	v_dual_mov_b32 v2, 8 :: v_dual_mov_b32 v5, v7
.LBB37_267:                             ;   in Loop: Header=BB37_16 Depth=1
	s_wait_alu 0xfffe
	s_or_b32 exec_lo, exec_lo, s7
	s_delay_alu instid0(VALU_DEP_1)
	v_dual_mov_b32 v7, v5 :: v_dual_mov_b32 v6, v4
	s_mov_b32 s10, exec_lo
.LBB37_268:                             ;   in Loop: Header=BB37_16 Depth=1
	s_wait_alu 0xfffe
	s_or_b32 exec_lo, exec_lo, s6
	s_delay_alu instid0(SALU_CYCLE_1)
	s_or_not1_b32 s6, s10, exec_lo
.LBB37_269:                             ;   in Loop: Header=BB37_16 Depth=1
	s_wait_alu 0xfffe
	s_or_b32 exec_lo, exec_lo, s15
	v_dual_mov_b32 v4, v6 :: v_dual_mov_b32 v5, v7
	s_and_not1_b32 s7, s74, exec_lo
	s_and_b32 s8, s77, exec_lo
	s_and_not1_b32 s9, s25, exec_lo
	s_and_b32 s10, s76, exec_lo
	s_wait_alu 0xfffe
	s_or_b32 s74, s7, s8
	s_or_b32 s25, s9, s10
	s_and_b32 s7, s6, exec_lo
.LBB37_270:                             ;   in Loop: Header=BB37_16 Depth=1
	s_wait_alu 0xfffe
	s_or_b32 exec_lo, exec_lo, s14
	s_delay_alu instid0(SALU_CYCLE_1)
	s_or_not1_b32 s6, s7, exec_lo
.LBB37_271:                             ;   in Loop: Header=BB37_16 Depth=1
	s_wait_alu 0xfffe
	s_or_b32 exec_lo, exec_lo, s24
	v_dual_mov_b32 v9, v5 :: v_dual_mov_b32 v8, v4
	s_and_not1_b32 s7, s22, exec_lo
	s_and_b32 s8, s74, exec_lo
	s_and_not1_b32 s9, s21, exec_lo
	s_and_b32 s10, s25, exec_lo
	s_wait_alu 0xfffe
	s_or_b32 s22, s7, s8
	s_or_b32 s21, s9, s10
	s_and_b32 s7, s6, exec_lo
.LBB37_272:                             ;   in Loop: Header=BB37_16 Depth=1
	s_wait_alu 0xfffe
	s_or_b32 exec_lo, exec_lo, s23
	s_delay_alu instid0(SALU_CYCLE_1)
	s_or_not1_b32 s6, s7, exec_lo
.LBB37_273:                             ;   in Loop: Header=BB37_16 Depth=1
	s_wait_alu 0xfffe
	s_or_b32 exec_lo, exec_lo, s19
	s_mov_b32 s7, 0
	s_and_saveexec_b32 s8, s6
	s_wait_alu 0xfffe
	s_xor_b32 s6, exec_lo, s8
	s_cbranch_execz .LBB37_14
; %bb.274:                              ;   in Loop: Header=BB37_16 Depth=1
	v_and_b32_e32 v2, 7, v2
	s_mov_b32 s8, -1
	s_mov_b32 s7, -1
	s_mov_b32 s9, exec_lo
	s_delay_alu instid0(VALU_DEP_1)
	v_cmpx_eq_u32_e32 0, v2
	s_cbranch_execz .LBB37_13
; %bb.275:                              ;   in Loop: Header=BB37_16 Depth=1
	s_xor_b32 s101, s101, 1
	s_add_co_i32 s10, s99, -2
	s_cmp_eq_u32 s99, 0
	s_wait_alu 0xfffe
	s_mov_b32 s99, s10
	s_cselect_b32 s8, -1, 0
	s_xor_b32 s7, exec_lo, -1
	s_wait_alu 0xfffe
	s_or_not1_b32 s8, s8, exec_lo
	s_branch .LBB37_13
.LBB37_276:                             ;   in Loop: Header=BB37_16 Depth=1
                                        ; implicit-def: $sgpr6_sgpr7
	s_branch .LBB37_229
.LBB37_277:                             ;   in Loop: Header=BB37_16 Depth=1
                                        ; implicit-def: $sgpr12_sgpr13
	s_branch .LBB37_245
.LBB37_278:
	s_or_b32 exec_lo, exec_lo, s100
	s_xor_b32 s5, s53, -1
	s_wait_alu 0xfffe
	s_xor_b32 s1, vcc_hi, -1
	s_xor_b32 s4, s102, -1
	s_mov_b32 s3, 0
	s_and_saveexec_b32 s6, s1
	s_wait_alu 0xfffe
	s_xor_b32 s1, exec_lo, s6
	s_cbranch_execnz .LBB37_283
; %bb.279:
	s_and_not1_saveexec_b32 s0, s1
	s_cbranch_execnz .LBB37_308
.LBB37_280:
	s_wait_alu 0xfffe
	s_or_b32 exec_lo, exec_lo, s0
	s_and_saveexec_b32 s0, s3
.LBB37_281:
	; divergent unreachable
.LBB37_282:
	s_endpgm
.LBB37_283:
	s_and_saveexec_b32 s3, s5
	s_delay_alu instid0(SALU_CYCLE_1)
	s_xor_b32 s3, exec_lo, s3
	s_cbranch_execz .LBB37_306
; %bb.284:
	s_and_saveexec_b32 s5, s4
	s_wait_alu 0xfffe
	s_xor_b32 s4, exec_lo, s5
; %bb.285:
	v_xor_b32_e32 v47, 0xffff8000, v40
; %bb.286:
	s_wait_alu 0xfffe
	s_or_b32 exec_lo, exec_lo, s4
	s_and_saveexec_b32 s4, s2
; %bb.287:
	v_dual_mov_b32 v2, 0 :: v_dual_mov_b32 v3, s36
	ds_store_b32 v2, v3 offset:5140
; %bb.288:
	s_wait_alu 0xfffe
	s_or_b32 exec_lo, exec_lo, s4
	s_wait_loadcnt_dscnt 0x0
	s_barrier_signal -1
	s_barrier_wait -1
	global_inv scope:SCOPE_SE
	s_and_saveexec_b32 s4, s0
	s_cbranch_execz .LBB37_303
; %bb.289:
	v_mov_b32_e32 v2, 0
	s_mov_b32 s5, 0
                                        ; implicit-def: $sgpr6
                                        ; implicit-def: $sgpr7
                                        ; implicit-def: $sgpr8
	ds_load_b32 v4, v2 offset:5140
	s_wait_dscnt 0x0
	v_ashrrev_i32_e32 v5, 31, v4
	s_branch .LBB37_292
.LBB37_290:                             ;   in Loop: Header=BB37_292 Depth=1
	s_wait_alu 0xfffe
	s_or_b32 exec_lo, exec_lo, s11
	s_delay_alu instid0(SALU_CYCLE_1)
	s_and_not1_b32 s8, s8, exec_lo
	s_and_b32 s10, s10, exec_lo
	s_and_not1_b32 s7, s7, exec_lo
	s_and_b32 s0, s0, exec_lo
	s_wait_alu 0xfffe
	s_or_b32 s8, s8, s10
	s_or_b32 s7, s7, s0
.LBB37_291:                             ;   in Loop: Header=BB37_292 Depth=1
	s_wait_alu 0xfffe
	s_or_b32 exec_lo, exec_lo, s9
	s_delay_alu instid0(SALU_CYCLE_1)
	s_and_b32 s0, exec_lo, s7
	s_wait_alu 0xfffe
	s_or_b32 s5, s0, s5
	s_and_not1_b32 s0, s6, exec_lo
	s_and_b32 s6, s8, exec_lo
	s_wait_alu 0xfffe
	s_or_b32 s6, s0, s6
	s_and_not1_b32 exec_lo, exec_lo, s5
	s_cbranch_execz .LBB37_298
.LBB37_292:                             ; =>This Inner Loop Header: Depth=1
	v_dual_mov_b32 v3, v1 :: v_dual_mov_b32 v2, v0
	s_or_b32 s8, s8, exec_lo
	s_or_b32 s7, s7, exec_lo
	s_mov_b32 s9, exec_lo
                                        ; implicit-def: $vgpr0_vgpr1
	s_delay_alu instid0(VALU_DEP_1)
	v_cmpx_lt_i64_e64 v[2:3], v[4:5]
	s_cbranch_execz .LBB37_291
; %bb.293:                              ;   in Loop: Header=BB37_292 Depth=1
	global_load_u16 v0, v[12:13], off
	s_mov_b32 s0, -1
	s_mov_b32 s10, 0
	s_wait_loadcnt 0x0
	v_cmp_ne_u16_e32 vcc_lo, v0, v47
                                        ; implicit-def: $vgpr0_vgpr1
	s_and_saveexec_b32 s11, vcc_lo
	s_cbranch_execz .LBB37_290
; %bb.294:                              ;   in Loop: Header=BB37_292 Depth=1
	v_add_co_u32 v0, vcc_lo, v2, s56
	s_wait_alu 0xfffd
	v_add_co_ci_u32_e64 v1, null, 0, v3, vcc_lo
	v_add_co_u32 v12, s0, v12, s60
	s_wait_alu 0xf1fe
	v_add_co_ci_u32_e64 v13, null, s61, v13, s0
	s_delay_alu instid0(VALU_DEP_3)
	v_cmp_le_i64_e32 vcc_lo, s[36:37], v[0:1]
	s_mov_b32 s10, exec_lo
	s_or_not1_b32 s0, vcc_lo, exec_lo
	s_branch .LBB37_290
.LBB37_295:
                                        ; implicit-def: $sgpr12_sgpr13
	s_branch .LBB37_3
.LBB37_296:
                                        ; implicit-def: $sgpr48_sgpr49
	s_branch .LBB37_6
.LBB37_297:
                                        ; implicit-def: $sgpr50_sgpr51
	s_branch .LBB37_9
.LBB37_298:
	s_or_b32 exec_lo, exec_lo, s5
	s_wait_alu 0xfffe
	s_xor_b32 s0, s6, -1
	s_wait_alu 0xfffe
	s_and_saveexec_b32 s5, s0
	s_wait_alu 0xfffe
	s_xor_b32 s5, exec_lo, s5
	s_cbranch_execz .LBB37_303
; %bb.299:
	s_mov_b32 s5, exec_lo
	s_brev_b32 s0, -2
.LBB37_300:                             ; =>This Inner Loop Header: Depth=1
	s_wait_alu 0xfffe
	s_ctz_i32_b32 s6, s5
	s_wait_alu 0xfffe
	v_readlane_b32 s7, v2, s6
	s_lshl_b32 s6, 1, s6
	s_wait_alu 0xfffe
	s_and_not1_b32 s5, s5, s6
	s_min_i32 s0, s0, s7
	s_wait_alu 0xfffe
	s_cmp_lg_u32 s5, 0
	s_cbranch_scc1 .LBB37_300
; %bb.301:
	v_mbcnt_lo_u32_b32 v0, exec_lo, 0
	s_mov_b32 s5, exec_lo
	s_delay_alu instid0(VALU_DEP_1)
	v_cmpx_eq_u32_e32 0, v0
	s_wait_alu 0xfffe
	s_xor_b32 s5, exec_lo, s5
; %bb.302:
	v_dual_mov_b32 v0, 0 :: v_dual_mov_b32 v1, s0
	ds_min_i32 v0, v1 offset:5140
.LBB37_303:
	s_wait_alu 0xfffe
	s_or_b32 exec_lo, exec_lo, s4
	s_wait_loadcnt_dscnt 0x0
	s_barrier_signal -1
	s_barrier_wait -1
	global_inv scope:SCOPE_SE
	s_and_saveexec_b32 s0, s2
	s_cbranch_execz .LBB37_305
; %bb.304:
	v_mov_b32_e32 v2, 0
	s_mul_u64 s[8:9], s[50:51], s[40:41]
	v_readlane_b32 s12, v55, 0
	s_mul_u64 s[4:5], s[48:49], s[34:35]
	v_readlane_b32 s13, v55, 1
	ds_load_b32 v0, v2 offset:5140
	s_mul_u64 s[10:11], s[50:51], s[28:29]
	s_wait_alu 0xfffe
	s_sub_nc_u64 s[8:9], s[26:27], s[8:9]
	s_mul_u64 s[6:7], s[48:49], s[44:45]
	s_sub_nc_u64 s[4:5], s[26:27], s[4:5]
	s_lshl_b64 s[10:11], s[10:11], 3
	s_wait_alu 0xfffe
	s_mul_u64 s[8:9], s[8:9], s[30:31]
	s_lshl_b64 s[6:7], s[6:7], 1
	s_mul_u64 s[4:5], s[4:5], s[46:47]
	s_add_nc_u64 s[10:11], s[12:13], s[10:11]
	s_wait_alu 0xfffe
	s_lshl_b64 s[8:9], s[8:9], 3
	s_add_nc_u64 s[6:7], s[54:55], s[6:7]
	s_lshl_b64 s[4:5], s[4:5], 1
	s_wait_alu 0xfffe
	s_add_nc_u64 s[8:9], s[10:11], s[8:9]
	s_add_nc_u64 s[4:5], s[6:7], s[4:5]
	s_wait_dscnt 0x0
	v_ashrrev_i32_e32 v1, 31, v0
	s_clause 0x1
	global_store_b64 v2, v[0:1], s[8:9]
	global_store_b16 v2, v47, s[4:5]
.LBB37_305:
	s_wait_alu 0xfffe
	s_or_b32 exec_lo, exec_lo, s0
.LBB37_306:
	s_or_saveexec_b32 s0, s3
	s_mov_b32 s2, 0
	s_wait_alu 0xfffe
	s_xor_b32 exec_lo, exec_lo, s0
	s_cbranch_execnz .LBB37_309
.LBB37_307:
	s_or_b32 exec_lo, exec_lo, s0
	s_delay_alu instid0(SALU_CYCLE_1)
	s_and_b32 s3, s2, exec_lo
	s_and_not1_saveexec_b32 s0, s1
	s_cbranch_execz .LBB37_280
.LBB37_308:
	s_or_b32 s3, s3, exec_lo
	s_trap 2
	s_wait_alu 0xfffe
	s_or_b32 exec_lo, exec_lo, s0
	s_and_saveexec_b32 s0, s3
	s_cbranch_execnz .LBB37_281
	s_branch .LBB37_282
.LBB37_309:
	s_mov_b32 s2, exec_lo
	s_trap 2
	s_branch .LBB37_307
	.section	.rodata,"a",@progbits
	.p2align	6, 0x0
	.amdhsa_kernel _ZN2at6native12_GLOBAL__N_114gatherKthValueIslLi2EEEvNS_4cuda6detail10TensorInfoIKT_T0_EES8_S8_S8_S8_NS5_IS6_S8_EENS5_IlS8_EE
		.amdhsa_group_segment_fixed_size 5144
		.amdhsa_private_segment_fixed_size 0
		.amdhsa_kernarg_size 1536
		.amdhsa_user_sgpr_count 2
		.amdhsa_user_sgpr_dispatch_ptr 0
		.amdhsa_user_sgpr_queue_ptr 0
		.amdhsa_user_sgpr_kernarg_segment_ptr 1
		.amdhsa_user_sgpr_dispatch_id 0
		.amdhsa_user_sgpr_private_segment_size 0
		.amdhsa_wavefront_size32 1
		.amdhsa_uses_dynamic_stack 0
		.amdhsa_enable_private_segment 0
		.amdhsa_system_sgpr_workgroup_id_x 1
		.amdhsa_system_sgpr_workgroup_id_y 1
		.amdhsa_system_sgpr_workgroup_id_z 1
		.amdhsa_system_sgpr_workgroup_info 0
		.amdhsa_system_vgpr_workitem_id 0
		.amdhsa_next_free_vgpr 56
		.amdhsa_next_free_sgpr 105
		.amdhsa_reserve_vcc 1
		.amdhsa_float_round_mode_32 0
		.amdhsa_float_round_mode_16_64 0
		.amdhsa_float_denorm_mode_32 3
		.amdhsa_float_denorm_mode_16_64 3
		.amdhsa_fp16_overflow 0
		.amdhsa_workgroup_processor_mode 1
		.amdhsa_memory_ordered 1
		.amdhsa_forward_progress 1
		.amdhsa_inst_pref_size 169
		.amdhsa_round_robin_scheduling 0
		.amdhsa_exception_fp_ieee_invalid_op 0
		.amdhsa_exception_fp_denorm_src 0
		.amdhsa_exception_fp_ieee_div_zero 0
		.amdhsa_exception_fp_ieee_overflow 0
		.amdhsa_exception_fp_ieee_underflow 0
		.amdhsa_exception_fp_ieee_inexact 0
		.amdhsa_exception_int_div_zero 0
	.end_amdhsa_kernel
	.section	.text._ZN2at6native12_GLOBAL__N_114gatherKthValueIslLi2EEEvNS_4cuda6detail10TensorInfoIKT_T0_EES8_S8_S8_S8_NS5_IS6_S8_EENS5_IlS8_EE,"axG",@progbits,_ZN2at6native12_GLOBAL__N_114gatherKthValueIslLi2EEEvNS_4cuda6detail10TensorInfoIKT_T0_EES8_S8_S8_S8_NS5_IS6_S8_EENS5_IlS8_EE,comdat
.Lfunc_end37:
	.size	_ZN2at6native12_GLOBAL__N_114gatherKthValueIslLi2EEEvNS_4cuda6detail10TensorInfoIKT_T0_EES8_S8_S8_S8_NS5_IS6_S8_EENS5_IlS8_EE, .Lfunc_end37-_ZN2at6native12_GLOBAL__N_114gatherKthValueIslLi2EEEvNS_4cuda6detail10TensorInfoIKT_T0_EES8_S8_S8_S8_NS5_IS6_S8_EENS5_IlS8_EE
                                        ; -- End function
	.set _ZN2at6native12_GLOBAL__N_114gatherKthValueIslLi2EEEvNS_4cuda6detail10TensorInfoIKT_T0_EES8_S8_S8_S8_NS5_IS6_S8_EENS5_IlS8_EE.num_vgpr, 56
	.set _ZN2at6native12_GLOBAL__N_114gatherKthValueIslLi2EEEvNS_4cuda6detail10TensorInfoIKT_T0_EES8_S8_S8_S8_NS5_IS6_S8_EENS5_IlS8_EE.num_agpr, 0
	.set _ZN2at6native12_GLOBAL__N_114gatherKthValueIslLi2EEEvNS_4cuda6detail10TensorInfoIKT_T0_EES8_S8_S8_S8_NS5_IS6_S8_EENS5_IlS8_EE.numbered_sgpr, 105
	.set _ZN2at6native12_GLOBAL__N_114gatherKthValueIslLi2EEEvNS_4cuda6detail10TensorInfoIKT_T0_EES8_S8_S8_S8_NS5_IS6_S8_EENS5_IlS8_EE.num_named_barrier, 0
	.set _ZN2at6native12_GLOBAL__N_114gatherKthValueIslLi2EEEvNS_4cuda6detail10TensorInfoIKT_T0_EES8_S8_S8_S8_NS5_IS6_S8_EENS5_IlS8_EE.private_seg_size, 0
	.set _ZN2at6native12_GLOBAL__N_114gatherKthValueIslLi2EEEvNS_4cuda6detail10TensorInfoIKT_T0_EES8_S8_S8_S8_NS5_IS6_S8_EENS5_IlS8_EE.uses_vcc, 1
	.set _ZN2at6native12_GLOBAL__N_114gatherKthValueIslLi2EEEvNS_4cuda6detail10TensorInfoIKT_T0_EES8_S8_S8_S8_NS5_IS6_S8_EENS5_IlS8_EE.uses_flat_scratch, 0
	.set _ZN2at6native12_GLOBAL__N_114gatherKthValueIslLi2EEEvNS_4cuda6detail10TensorInfoIKT_T0_EES8_S8_S8_S8_NS5_IS6_S8_EENS5_IlS8_EE.has_dyn_sized_stack, 0
	.set _ZN2at6native12_GLOBAL__N_114gatherKthValueIslLi2EEEvNS_4cuda6detail10TensorInfoIKT_T0_EES8_S8_S8_S8_NS5_IS6_S8_EENS5_IlS8_EE.has_recursion, 0
	.set _ZN2at6native12_GLOBAL__N_114gatherKthValueIslLi2EEEvNS_4cuda6detail10TensorInfoIKT_T0_EES8_S8_S8_S8_NS5_IS6_S8_EENS5_IlS8_EE.has_indirect_call, 0
	.section	.AMDGPU.csdata,"",@progbits
; Kernel info:
; codeLenInByte = 21616
; TotalNumSgprs: 107
; NumVgprs: 56
; ScratchSize: 0
; MemoryBound: 0
; FloatMode: 240
; IeeeMode: 1
; LDSByteSize: 5144 bytes/workgroup (compile time only)
; SGPRBlocks: 0
; VGPRBlocks: 6
; NumSGPRsForWavesPerEU: 107
; NumVGPRsForWavesPerEU: 56
; Occupancy: 16
; WaveLimiterHint : 1
; COMPUTE_PGM_RSRC2:SCRATCH_EN: 0
; COMPUTE_PGM_RSRC2:USER_SGPR: 2
; COMPUTE_PGM_RSRC2:TRAP_HANDLER: 0
; COMPUTE_PGM_RSRC2:TGID_X_EN: 1
; COMPUTE_PGM_RSRC2:TGID_Y_EN: 1
; COMPUTE_PGM_RSRC2:TGID_Z_EN: 1
; COMPUTE_PGM_RSRC2:TIDIG_COMP_CNT: 0
	.section	.text._ZN2at6native12_GLOBAL__N_114gatherKthValueIslLi3EEEvNS_4cuda6detail10TensorInfoIKT_T0_EES8_S8_S8_S8_NS5_IS6_S8_EENS5_IlS8_EE,"axG",@progbits,_ZN2at6native12_GLOBAL__N_114gatherKthValueIslLi3EEEvNS_4cuda6detail10TensorInfoIKT_T0_EES8_S8_S8_S8_NS5_IS6_S8_EENS5_IlS8_EE,comdat
	.globl	_ZN2at6native12_GLOBAL__N_114gatherKthValueIslLi3EEEvNS_4cuda6detail10TensorInfoIKT_T0_EES8_S8_S8_S8_NS5_IS6_S8_EENS5_IlS8_EE ; -- Begin function _ZN2at6native12_GLOBAL__N_114gatherKthValueIslLi3EEEvNS_4cuda6detail10TensorInfoIKT_T0_EES8_S8_S8_S8_NS5_IS6_S8_EENS5_IlS8_EE
	.p2align	8
	.type	_ZN2at6native12_GLOBAL__N_114gatherKthValueIslLi3EEEvNS_4cuda6detail10TensorInfoIKT_T0_EES8_S8_S8_S8_NS5_IS6_S8_EENS5_IlS8_EE,@function
_ZN2at6native12_GLOBAL__N_114gatherKthValueIslLi3EEEvNS_4cuda6detail10TensorInfoIKT_T0_EES8_S8_S8_S8_NS5_IS6_S8_EENS5_IlS8_EE: ; @_ZN2at6native12_GLOBAL__N_114gatherKthValueIslLi3EEEvNS_4cuda6detail10TensorInfoIKT_T0_EES8_S8_S8_S8_NS5_IS6_S8_EENS5_IlS8_EE
; %bb.0:
	s_clause 0x1
	s_load_b64 s[12:13], s[0:1], 0x500
	s_load_b256 s[36:43], s[0:1], 0x1a0
	s_lshr_b32 s2, ttmp7, 16
	s_and_b32 s3, ttmp7, 0xffff
	s_mov_b32 s27, 0
	s_wait_kmcnt 0x0
	s_mul_i32 s2, s13, s2
	s_delay_alu instid0(SALU_CYCLE_1) | instskip(NEXT) | instid1(SALU_CYCLE_1)
	s_add_co_i32 s2, s2, s3
	s_mul_i32 s2, s2, s12
	s_delay_alu instid0(SALU_CYCLE_1) | instskip(NEXT) | instid1(SALU_CYCLE_1)
	s_add_co_i32 s26, s2, ttmp9
	v_cmp_le_i64_e64 s2, s[40:41], s[26:27]
	s_and_b32 vcc_lo, exec_lo, s2
	s_cbranch_vccnz .LBB38_298
; %bb.1:
	s_load_b128 s[4:7], s[0:1], 0x10
	s_mov_b32 s2, s27
	s_wait_kmcnt 0x0
	s_mov_b32 s3, s7
	s_delay_alu instid0(SALU_CYCLE_1)
	s_cmp_lg_u64 s[2:3], 0
	s_add_nc_u64 s[2:3], s[26:27], 0
	s_cbranch_scc0 .LBB38_18
; %bb.2:
	s_ashr_i32 s8, s7, 31
	s_mov_b32 s17, 0
	s_mov_b32 s9, s8
	s_delay_alu instid0(SALU_CYCLE_1) | instskip(NEXT) | instid1(SALU_CYCLE_1)
	s_add_nc_u64 s[10:11], s[6:7], s[8:9]
	s_xor_b64 s[10:11], s[10:11], s[8:9]
	s_delay_alu instid0(SALU_CYCLE_1) | instskip(SKIP_2) | instid1(SALU_CYCLE_2)
	s_cvt_f32_u32 s13, s10
	s_cvt_f32_u32 s14, s11
	s_sub_nc_u64 s[18:19], 0, s[10:11]
	s_fmamk_f32 s13, s14, 0x4f800000, s13
	s_delay_alu instid0(SALU_CYCLE_3) | instskip(NEXT) | instid1(TRANS32_DEP_1)
	v_s_rcp_f32 s13, s13
	s_mul_f32 s13, s13, 0x5f7ffffc
	s_wait_alu 0xfffe
	s_delay_alu instid0(SALU_CYCLE_2) | instskip(NEXT) | instid1(SALU_CYCLE_3)
	s_mul_f32 s14, s13, 0x2f800000
	s_trunc_f32 s14, s14
	s_delay_alu instid0(SALU_CYCLE_3) | instskip(SKIP_2) | instid1(SALU_CYCLE_1)
	s_fmamk_f32 s13, s14, 0xcf800000, s13
	s_cvt_u32_f32 s15, s14
	s_wait_alu 0xfffe
	s_cvt_u32_f32 s14, s13
	s_delay_alu instid0(SALU_CYCLE_3) | instskip(NEXT) | instid1(SALU_CYCLE_1)
	s_mul_u64 s[20:21], s[18:19], s[14:15]
	s_mul_hi_u32 s23, s14, s21
	s_mul_i32 s22, s14, s21
	s_mul_hi_u32 s16, s14, s20
	s_mul_i32 s24, s15, s20
	s_add_nc_u64 s[22:23], s[16:17], s[22:23]
	s_mul_hi_u32 s13, s15, s20
	s_mul_hi_u32 s25, s15, s21
	s_add_co_u32 s16, s22, s24
	s_wait_alu 0xfffe
	s_add_co_ci_u32 s16, s23, s13
	s_mul_i32 s20, s15, s21
	s_add_co_ci_u32 s21, s25, 0
	s_delay_alu instid0(SALU_CYCLE_1) | instskip(NEXT) | instid1(SALU_CYCLE_1)
	s_add_nc_u64 s[20:21], s[16:17], s[20:21]
	s_add_co_u32 s14, s14, s20
	s_cselect_b32 s13, -1, 0
	s_wait_alu 0xfffe
	s_cmp_lg_u32 s13, 0
	s_add_co_ci_u32 s15, s15, s21
	s_delay_alu instid0(SALU_CYCLE_1) | instskip(NEXT) | instid1(SALU_CYCLE_1)
	s_mul_u64 s[18:19], s[18:19], s[14:15]
	s_mul_hi_u32 s21, s14, s19
	s_mul_i32 s20, s14, s19
	s_mul_hi_u32 s16, s14, s18
	s_mul_i32 s22, s15, s18
	s_add_nc_u64 s[20:21], s[16:17], s[20:21]
	s_mul_hi_u32 s13, s15, s18
	s_mul_hi_u32 s23, s15, s19
	s_add_co_u32 s16, s20, s22
	s_wait_alu 0xfffe
	s_add_co_ci_u32 s16, s21, s13
	s_mul_i32 s18, s15, s19
	s_add_co_ci_u32 s19, s23, 0
	s_delay_alu instid0(SALU_CYCLE_1) | instskip(NEXT) | instid1(SALU_CYCLE_1)
	s_add_nc_u64 s[18:19], s[16:17], s[18:19]
	s_add_co_u32 s13, s14, s18
	s_cselect_b32 s14, -1, 0
	s_delay_alu instid0(SALU_CYCLE_1) | instskip(SKIP_2) | instid1(SALU_CYCLE_1)
	s_cmp_lg_u32 s14, 0
	s_add_co_ci_u32 s20, s15, s19
	s_xor_b64 s[14:15], s[2:3], 0
	s_mul_hi_u32 s19, s14, s20
	s_mul_i32 s18, s14, s20
	s_wait_alu 0xfffe
	s_mul_hi_u32 s16, s14, s13
	s_mul_hi_u32 s22, s15, s13
	s_mul_i32 s13, s15, s13
	s_add_nc_u64 s[18:19], s[16:17], s[18:19]
	s_mul_hi_u32 s21, s15, s20
	s_wait_alu 0xfffe
	s_add_co_u32 s13, s18, s13
	s_add_co_ci_u32 s16, s19, s22
	s_mul_i32 s20, s15, s20
	s_add_co_ci_u32 s21, s21, 0
	s_delay_alu instid0(SALU_CYCLE_1) | instskip(NEXT) | instid1(SALU_CYCLE_1)
	s_add_nc_u64 s[18:19], s[16:17], s[20:21]
	s_mul_u64 s[20:21], s[10:11], s[18:19]
	s_delay_alu instid0(SALU_CYCLE_1)
	s_sub_co_u32 s13, s14, s20
	s_cselect_b32 s14, -1, 0
	s_sub_co_i32 s16, s15, s21
	s_cmp_lg_u32 s14, 0
	s_sub_co_ci_u32 s16, s16, s11
	s_wait_alu 0xfffe
	s_sub_co_u32 s20, s13, s10
	s_cselect_b32 s22, -1, 0
	s_delay_alu instid0(SALU_CYCLE_1) | instskip(SKIP_2) | instid1(SALU_CYCLE_1)
	s_cmp_lg_u32 s22, 0
	s_add_nc_u64 s[22:23], s[18:19], 1
	s_sub_co_ci_u32 s16, s16, 0
	s_cmp_ge_u32 s16, s11
	s_cselect_b32 s24, -1, 0
	s_cmp_ge_u32 s20, s10
	s_cselect_b32 s20, -1, 0
	s_cmp_eq_u32 s16, s11
	s_cselect_b32 s16, s20, s24
	s_add_nc_u64 s[24:25], s[18:19], 2
	s_cmp_lg_u32 s16, 0
	s_cselect_b32 s16, s24, s22
	s_cselect_b32 s20, s25, s23
	s_cmp_lg_u32 s14, 0
	s_sub_co_ci_u32 s14, s15, s21
	s_delay_alu instid0(SALU_CYCLE_1)
	s_cmp_ge_u32 s14, s11
	s_cselect_b32 s15, -1, 0
	s_cmp_ge_u32 s13, s10
	s_cselect_b32 s10, -1, 0
	s_cmp_eq_u32 s14, s11
	s_cselect_b32 s10, s10, s15
	s_delay_alu instid0(SALU_CYCLE_1) | instskip(SKIP_3) | instid1(SALU_CYCLE_1)
	s_cmp_lg_u32 s10, 0
	s_cselect_b32 s11, s20, s19
	s_cselect_b32 s10, s16, s18
	s_xor_b64 s[8:9], 0, s[8:9]
	s_xor_b64 s[10:11], s[10:11], s[8:9]
	s_delay_alu instid0(SALU_CYCLE_1)
	s_sub_nc_u64 s[14:15], s[10:11], s[8:9]
	s_cbranch_execnz .LBB38_4
.LBB38_3:
	v_cvt_f32_u32_e32 v1, s6
	s_sub_co_i32 s9, 0, s6
	s_mov_b32 s15, 0
	s_delay_alu instid0(VALU_DEP_1) | instskip(NEXT) | instid1(TRANS32_DEP_1)
	v_rcp_iflag_f32_e32 v1, v1
	v_mul_f32_e32 v1, 0x4f7ffffe, v1
	s_delay_alu instid0(VALU_DEP_1) | instskip(NEXT) | instid1(VALU_DEP_1)
	v_cvt_u32_f32_e32 v1, v1
	v_readfirstlane_b32 s8, v1
	s_mul_i32 s9, s9, s8
	s_delay_alu instid0(SALU_CYCLE_1) | instskip(NEXT) | instid1(SALU_CYCLE_1)
	s_mul_hi_u32 s9, s8, s9
	s_add_co_i32 s8, s8, s9
	s_delay_alu instid0(SALU_CYCLE_1) | instskip(NEXT) | instid1(SALU_CYCLE_1)
	s_mul_hi_u32 s8, s26, s8
	s_mul_i32 s9, s8, s6
	s_add_co_i32 s10, s8, 1
	s_sub_co_i32 s9, s26, s9
	s_delay_alu instid0(SALU_CYCLE_1)
	s_sub_co_i32 s11, s9, s6
	s_cmp_ge_u32 s9, s6
	s_cselect_b32 s8, s10, s8
	s_cselect_b32 s9, s11, s9
	s_add_co_i32 s10, s8, 1
	s_cmp_ge_u32 s9, s6
	s_cselect_b32 s14, s10, s8
.LBB38_4:
	s_delay_alu instid0(SALU_CYCLE_1) | instskip(SKIP_1) | instid1(SALU_CYCLE_1)
	s_or_b64 s[8:9], s[14:15], s[4:5]
	s_mov_b32 s8, 0
	s_cmp_lg_u64 s[8:9], 0
	s_cbranch_scc0 .LBB38_19
; %bb.5:
	s_ashr_i32 s10, s5, 31
	s_mov_b32 s23, s8
	s_mov_b32 s11, s10
	;; [unrolled: 1-line block ×3, first 2 shown]
	s_add_nc_u64 s[16:17], s[4:5], s[10:11]
	s_delay_alu instid0(SALU_CYCLE_1) | instskip(NEXT) | instid1(SALU_CYCLE_1)
	s_xor_b64 s[16:17], s[16:17], s[10:11]
	s_cvt_f32_u32 s9, s16
	s_cvt_f32_u32 s13, s17
	s_sub_nc_u64 s[20:21], 0, s[16:17]
	s_wait_alu 0xfffe
	s_delay_alu instid0(SALU_CYCLE_1) | instskip(NEXT) | instid1(SALU_CYCLE_3)
	s_fmamk_f32 s9, s13, 0x4f800000, s9
	v_s_rcp_f32 s9, s9
	s_delay_alu instid0(TRANS32_DEP_1) | instskip(SKIP_1) | instid1(SALU_CYCLE_2)
	s_mul_f32 s9, s9, 0x5f7ffffc
	s_wait_alu 0xfffe
	s_mul_f32 s13, s9, 0x2f800000
	s_wait_alu 0xfffe
	s_delay_alu instid0(SALU_CYCLE_2) | instskip(SKIP_1) | instid1(SALU_CYCLE_2)
	s_trunc_f32 s13, s13
	s_wait_alu 0xfffe
	s_fmamk_f32 s9, s13, 0xcf800000, s9
	s_cvt_u32_f32 s19, s13
	s_wait_alu 0xfffe
	s_delay_alu instid0(SALU_CYCLE_1) | instskip(NEXT) | instid1(SALU_CYCLE_3)
	s_cvt_u32_f32 s18, s9
	s_mul_u64 s[24:25], s[20:21], s[18:19]
	s_delay_alu instid0(SALU_CYCLE_1)
	s_mul_hi_u32 s31, s18, s25
	s_mul_i32 s30, s18, s25
	s_mul_hi_u32 s22, s18, s24
	s_mul_i32 s13, s19, s24
	s_add_nc_u64 s[22:23], s[22:23], s[30:31]
	s_mul_hi_u32 s9, s19, s24
	s_mul_hi_u32 s33, s19, s25
	s_wait_alu 0xfffe
	s_add_co_u32 s13, s22, s13
	s_add_co_ci_u32 s28, s23, s9
	s_mul_i32 s24, s19, s25
	s_add_co_ci_u32 s25, s33, 0
	s_delay_alu instid0(SALU_CYCLE_1)
	s_add_nc_u64 s[22:23], s[28:29], s[24:25]
	s_mov_b32 s25, s8
	s_add_co_u32 s18, s18, s22
	s_cselect_b32 s9, -1, 0
	s_wait_alu 0xfffe
	s_cmp_lg_u32 s9, 0
	s_add_co_ci_u32 s19, s19, s23
	s_mov_b32 s23, s8
	s_mul_u64 s[20:21], s[20:21], s[18:19]
	s_delay_alu instid0(SALU_CYCLE_1)
	s_mul_hi_u32 s29, s18, s21
	s_mul_i32 s28, s18, s21
	s_mul_hi_u32 s22, s18, s20
	s_mul_i32 s13, s19, s20
	s_add_nc_u64 s[22:23], s[22:23], s[28:29]
	s_mul_hi_u32 s9, s19, s20
	s_mul_hi_u32 s30, s19, s21
	s_wait_alu 0xfffe
	s_add_co_u32 s13, s22, s13
	s_add_co_ci_u32 s24, s23, s9
	s_mul_i32 s20, s19, s21
	s_add_co_ci_u32 s21, s30, 0
	s_mov_b32 s23, s8
	s_add_nc_u64 s[20:21], s[24:25], s[20:21]
	s_delay_alu instid0(SALU_CYCLE_1)
	s_add_co_u32 s9, s18, s20
	s_cselect_b32 s13, -1, 0
	s_wait_alu 0xfffe
	s_cmp_lg_u32 s13, 0
	s_add_co_ci_u32 s13, s19, s21
	s_ashr_i32 s18, s15, 31
	s_delay_alu instid0(SALU_CYCLE_1) | instskip(NEXT) | instid1(SALU_CYCLE_1)
	s_mov_b32 s19, s18
	s_add_nc_u64 s[20:21], s[14:15], s[18:19]
	s_delay_alu instid0(SALU_CYCLE_1)
	s_xor_b64 s[20:21], s[20:21], s[18:19]
	s_wait_alu 0xfffe
	s_mul_hi_u32 s29, s20, s13
	s_mul_i32 s28, s20, s13
	s_mul_hi_u32 s22, s20, s9
	s_mul_hi_u32 s24, s21, s9
	s_mul_i32 s9, s21, s9
	s_add_nc_u64 s[22:23], s[22:23], s[28:29]
	s_mul_hi_u32 s30, s21, s13
	s_wait_alu 0xfffe
	s_add_co_u32 s9, s22, s9
	s_add_co_ci_u32 s24, s23, s24
	s_mul_i32 s28, s21, s13
	s_add_co_ci_u32 s29, s30, 0
	s_delay_alu instid0(SALU_CYCLE_1) | instskip(NEXT) | instid1(SALU_CYCLE_1)
	s_add_nc_u64 s[22:23], s[24:25], s[28:29]
	s_mul_u64 s[24:25], s[16:17], s[22:23]
	s_delay_alu instid0(SALU_CYCLE_1)
	s_sub_co_u32 s9, s20, s24
	s_cselect_b32 s13, -1, 0
	s_sub_co_i32 s20, s21, s25
	s_wait_alu 0xfffe
	s_cmp_lg_u32 s13, 0
	s_sub_co_ci_u32 s20, s20, s17
	s_sub_co_u32 s24, s9, s16
	s_cselect_b32 s28, -1, 0
	s_delay_alu instid0(SALU_CYCLE_1) | instskip(SKIP_2) | instid1(SALU_CYCLE_1)
	s_cmp_lg_u32 s28, 0
	s_add_nc_u64 s[28:29], s[22:23], 1
	s_sub_co_ci_u32 s20, s20, 0
	s_cmp_ge_u32 s20, s17
	s_cselect_b32 s30, -1, 0
	s_cmp_ge_u32 s24, s16
	s_cselect_b32 s24, -1, 0
	s_cmp_eq_u32 s20, s17
	s_cselect_b32 s20, s24, s30
	s_add_nc_u64 s[30:31], s[22:23], 2
	s_cmp_lg_u32 s20, 0
	s_cselect_b32 s20, s30, s28
	s_cselect_b32 s24, s31, s29
	s_cmp_lg_u32 s13, 0
	s_sub_co_ci_u32 s13, s21, s25
	s_wait_alu 0xfffe
	s_cmp_ge_u32 s13, s17
	s_cselect_b32 s21, -1, 0
	s_cmp_ge_u32 s9, s16
	s_cselect_b32 s9, -1, 0
	s_cmp_eq_u32 s13, s17
	s_wait_alu 0xfffe
	s_cselect_b32 s9, s9, s21
	s_wait_alu 0xfffe
	s_cmp_lg_u32 s9, 0
	s_cselect_b32 s17, s24, s23
	s_cselect_b32 s16, s20, s22
	s_xor_b64 s[10:11], s[18:19], s[10:11]
	s_delay_alu instid0(SALU_CYCLE_1) | instskip(NEXT) | instid1(SALU_CYCLE_1)
	s_xor_b64 s[16:17], s[16:17], s[10:11]
	s_sub_nc_u64 s[16:17], s[16:17], s[10:11]
	s_load_b128 s[28:31], s[0:1], 0x1d0
	s_and_not1_b32 vcc_lo, exec_lo, s8
	s_cbranch_vccnz .LBB38_7
.LBB38_6:
	v_cvt_f32_u32_e32 v1, s4
	s_sub_co_i32 s9, 0, s4
	s_mov_b32 s17, 0
	s_delay_alu instid0(VALU_DEP_1) | instskip(NEXT) | instid1(TRANS32_DEP_1)
	v_rcp_iflag_f32_e32 v1, v1
	v_mul_f32_e32 v1, 0x4f7ffffe, v1
	s_delay_alu instid0(VALU_DEP_1) | instskip(NEXT) | instid1(VALU_DEP_1)
	v_cvt_u32_f32_e32 v1, v1
	v_readfirstlane_b32 s8, v1
	s_wait_alu 0xfffe
	s_mul_i32 s9, s9, s8
	s_wait_alu 0xfffe
	s_mul_hi_u32 s9, s8, s9
	s_wait_alu 0xfffe
	s_add_co_i32 s8, s8, s9
	s_wait_alu 0xfffe
	s_mul_hi_u32 s8, s14, s8
	s_wait_alu 0xfffe
	s_mul_i32 s9, s8, s4
	s_add_co_i32 s10, s8, 1
	s_wait_alu 0xfffe
	s_sub_co_i32 s9, s14, s9
	s_wait_alu 0xfffe
	s_sub_co_i32 s11, s9, s4
	s_cmp_ge_u32 s9, s4
	s_cselect_b32 s8, s10, s8
	s_cselect_b32 s9, s11, s9
	s_wait_alu 0xfffe
	s_add_co_i32 s10, s8, 1
	s_cmp_ge_u32 s9, s4
	s_cselect_b32 s16, s10, s8
.LBB38_7:
	s_mov_b32 s8, 0
	s_wait_kmcnt 0x0
	s_mov_b32 s9, s31
	s_wait_alu 0xfffe
	s_cmp_lg_u64 s[8:9], 0
	s_cbranch_scc0 .LBB38_20
; %bb.8:
	s_ashr_i32 s10, s31, 31
	s_mov_b32 s25, s8
	s_mov_b32 s11, s10
	s_mov_b32 s41, s8
	s_add_nc_u64 s[18:19], s[30:31], s[10:11]
	s_delay_alu instid0(SALU_CYCLE_1) | instskip(NEXT) | instid1(SALU_CYCLE_1)
	s_xor_b64 s[18:19], s[18:19], s[10:11]
	s_cvt_f32_u32 s9, s18
	s_cvt_f32_u32 s13, s19
	s_sub_nc_u64 s[22:23], 0, s[18:19]
	s_wait_alu 0xfffe
	s_delay_alu instid0(SALU_CYCLE_1) | instskip(SKIP_1) | instid1(SALU_CYCLE_2)
	s_fmamk_f32 s9, s13, 0x4f800000, s9
	s_wait_alu 0xfffe
	v_s_rcp_f32 s9, s9
	s_delay_alu instid0(TRANS32_DEP_1) | instskip(SKIP_1) | instid1(SALU_CYCLE_2)
	s_mul_f32 s9, s9, 0x5f7ffffc
	s_wait_alu 0xfffe
	s_mul_f32 s13, s9, 0x2f800000
	s_wait_alu 0xfffe
	s_delay_alu instid0(SALU_CYCLE_2) | instskip(SKIP_1) | instid1(SALU_CYCLE_2)
	s_trunc_f32 s13, s13
	s_wait_alu 0xfffe
	s_fmamk_f32 s9, s13, 0xcf800000, s9
	s_cvt_u32_f32 s21, s13
	s_wait_alu 0xfffe
	s_delay_alu instid0(SALU_CYCLE_1) | instskip(NEXT) | instid1(SALU_CYCLE_3)
	s_cvt_u32_f32 s20, s9
	s_mul_u64 s[34:35], s[22:23], s[20:21]
	s_delay_alu instid0(SALU_CYCLE_1)
	s_mul_hi_u32 s45, s20, s35
	s_mul_i32 s44, s20, s35
	s_mul_hi_u32 s24, s20, s34
	s_mul_i32 s13, s21, s34
	s_add_nc_u64 s[24:25], s[24:25], s[44:45]
	s_mul_hi_u32 s9, s21, s34
	s_mul_hi_u32 s33, s21, s35
	s_wait_alu 0xfffe
	s_add_co_u32 s13, s24, s13
	s_add_co_ci_u32 s40, s25, s9
	s_mul_i32 s34, s21, s35
	s_add_co_ci_u32 s35, s33, 0
	s_wait_alu 0xfffe
	s_add_nc_u64 s[24:25], s[40:41], s[34:35]
	s_mov_b32 s35, s8
	s_add_co_u32 s20, s20, s24
	s_cselect_b32 s9, -1, 0
	s_wait_alu 0xfffe
	s_cmp_lg_u32 s9, 0
	s_add_co_ci_u32 s21, s21, s25
	s_mov_b32 s25, s8
	s_mul_u64 s[22:23], s[22:23], s[20:21]
	s_delay_alu instid0(SALU_CYCLE_1)
	s_mul_hi_u32 s41, s20, s23
	s_mul_i32 s40, s20, s23
	s_mul_hi_u32 s24, s20, s22
	s_mul_i32 s13, s21, s22
	s_wait_alu 0xfffe
	s_add_nc_u64 s[24:25], s[24:25], s[40:41]
	s_mul_hi_u32 s9, s21, s22
	s_mul_hi_u32 s33, s21, s23
	s_add_co_u32 s13, s24, s13
	s_wait_alu 0xfffe
	s_add_co_ci_u32 s34, s25, s9
	s_mul_i32 s22, s21, s23
	s_add_co_ci_u32 s23, s33, 0
	s_mov_b32 s25, s8
	s_add_nc_u64 s[22:23], s[34:35], s[22:23]
	s_delay_alu instid0(SALU_CYCLE_1)
	s_add_co_u32 s9, s20, s22
	s_cselect_b32 s13, -1, 0
	s_wait_alu 0xfffe
	s_cmp_lg_u32 s13, 0
	s_add_co_ci_u32 s13, s21, s23
	s_xor_b64 s[20:21], s[2:3], 0
	s_mov_b32 s23, s8
	s_wait_alu 0xfffe
	s_mul_hi_u32 s35, s20, s13
	s_mul_i32 s34, s20, s13
	s_mul_hi_u32 s24, s20, s9
	s_mul_hi_u32 s22, s21, s9
	s_mul_i32 s9, s21, s9
	s_add_nc_u64 s[24:25], s[24:25], s[34:35]
	s_mul_hi_u32 s33, s21, s13
	s_wait_alu 0xfffe
	s_add_co_u32 s9, s24, s9
	s_add_co_ci_u32 s22, s25, s22
	s_mul_i32 s34, s21, s13
	s_add_co_ci_u32 s35, s33, 0
	s_delay_alu instid0(SALU_CYCLE_1) | instskip(NEXT) | instid1(SALU_CYCLE_1)
	s_add_nc_u64 s[22:23], s[22:23], s[34:35]
	s_mul_u64 s[24:25], s[18:19], s[22:23]
	s_add_nc_u64 s[34:35], s[22:23], 1
	s_sub_co_u32 s9, s20, s24
	s_cselect_b32 s13, -1, 0
	s_sub_co_i32 s20, s21, s25
	s_wait_alu 0xfffe
	s_cmp_lg_u32 s13, 0
	s_add_nc_u64 s[40:41], s[22:23], 2
	s_sub_co_ci_u32 s20, s20, s19
	s_sub_co_u32 s24, s9, s18
	s_cselect_b32 s33, -1, 0
	s_delay_alu instid0(SALU_CYCLE_1) | instskip(SKIP_1) | instid1(SALU_CYCLE_1)
	s_cmp_lg_u32 s33, 0
	s_sub_co_ci_u32 s20, s20, 0
	s_cmp_ge_u32 s20, s19
	s_cselect_b32 s33, -1, 0
	s_cmp_ge_u32 s24, s18
	s_cselect_b32 s24, -1, 0
	s_cmp_eq_u32 s20, s19
	s_cselect_b32 s20, s24, s33
	s_delay_alu instid0(SALU_CYCLE_1)
	s_cmp_lg_u32 s20, 0
	s_wait_alu 0xfffe
	s_cselect_b32 s20, s40, s34
	s_cselect_b32 s24, s41, s35
	s_cmp_lg_u32 s13, 0
	s_sub_co_ci_u32 s13, s21, s25
	s_wait_alu 0xfffe
	s_cmp_ge_u32 s13, s19
	s_cselect_b32 s21, -1, 0
	s_cmp_ge_u32 s9, s18
	s_cselect_b32 s9, -1, 0
	s_cmp_eq_u32 s13, s19
	s_wait_alu 0xfffe
	s_cselect_b32 s9, s9, s21
	s_wait_alu 0xfffe
	s_cmp_lg_u32 s9, 0
	s_cselect_b32 s19, s24, s23
	s_cselect_b32 s18, s20, s22
	s_xor_b64 s[10:11], 0, s[10:11]
	s_delay_alu instid0(SALU_CYCLE_1) | instskip(NEXT) | instid1(SALU_CYCLE_1)
	s_xor_b64 s[18:19], s[18:19], s[10:11]
	s_sub_nc_u64 s[34:35], s[18:19], s[10:11]
	s_and_not1_b32 vcc_lo, exec_lo, s8
	s_cbranch_vccnz .LBB38_10
.LBB38_9:
	v_cvt_f32_u32_e32 v1, s30
	s_sub_co_i32 s9, 0, s30
	s_mov_b32 s35, 0
	s_delay_alu instid0(VALU_DEP_1) | instskip(NEXT) | instid1(TRANS32_DEP_1)
	v_rcp_iflag_f32_e32 v1, v1
	v_mul_f32_e32 v1, 0x4f7ffffe, v1
	s_delay_alu instid0(VALU_DEP_1) | instskip(NEXT) | instid1(VALU_DEP_1)
	v_cvt_u32_f32_e32 v1, v1
	v_readfirstlane_b32 s8, v1
	s_wait_alu 0xfffe
	s_mul_i32 s9, s9, s8
	s_wait_alu 0xfffe
	s_mul_hi_u32 s9, s8, s9
	s_wait_alu 0xfffe
	s_add_co_i32 s8, s8, s9
	s_wait_alu 0xfffe
	s_mul_hi_u32 s8, s26, s8
	s_wait_alu 0xfffe
	s_mul_i32 s9, s8, s30
	s_add_co_i32 s10, s8, 1
	s_wait_alu 0xfffe
	s_sub_co_i32 s9, s26, s9
	s_wait_alu 0xfffe
	s_sub_co_i32 s11, s9, s30
	s_cmp_ge_u32 s9, s30
	s_cselect_b32 s8, s10, s8
	s_cselect_b32 s9, s11, s9
	s_wait_alu 0xfffe
	s_add_co_i32 s10, s8, 1
	s_cmp_ge_u32 s9, s30
	s_cselect_b32 s34, s10, s8
.LBB38_10:
	s_delay_alu instid0(SALU_CYCLE_1)
	s_or_b64 s[8:9], s[34:35], s[28:29]
	s_mov_b32 s8, 0
	s_wait_alu 0xfffe
	s_cmp_lg_u64 s[8:9], 0
	s_cbranch_scc0 .LBB38_21
; %bb.11:
	s_ashr_i32 s10, s29, 31
	s_mov_b32 s25, s8
	s_mov_b32 s11, s10
	;; [unrolled: 1-line block ×3, first 2 shown]
	s_add_nc_u64 s[18:19], s[28:29], s[10:11]
	s_delay_alu instid0(SALU_CYCLE_1) | instskip(NEXT) | instid1(SALU_CYCLE_1)
	s_xor_b64 s[18:19], s[18:19], s[10:11]
	s_cvt_f32_u32 s9, s18
	s_cvt_f32_u32 s13, s19
	s_sub_nc_u64 s[22:23], 0, s[18:19]
	s_wait_alu 0xfffe
	s_delay_alu instid0(SALU_CYCLE_1) | instskip(SKIP_1) | instid1(SALU_CYCLE_2)
	s_fmamk_f32 s9, s13, 0x4f800000, s9
	s_wait_alu 0xfffe
	v_s_rcp_f32 s9, s9
	s_delay_alu instid0(TRANS32_DEP_1) | instskip(SKIP_1) | instid1(SALU_CYCLE_2)
	s_mul_f32 s9, s9, 0x5f7ffffc
	s_wait_alu 0xfffe
	s_mul_f32 s13, s9, 0x2f800000
	s_wait_alu 0xfffe
	s_delay_alu instid0(SALU_CYCLE_2) | instskip(SKIP_1) | instid1(SALU_CYCLE_2)
	s_trunc_f32 s13, s13
	s_wait_alu 0xfffe
	s_fmamk_f32 s9, s13, 0xcf800000, s9
	s_cvt_u32_f32 s21, s13
	s_wait_alu 0xfffe
	s_delay_alu instid0(SALU_CYCLE_1) | instskip(NEXT) | instid1(SALU_CYCLE_3)
	s_cvt_u32_f32 s20, s9
	s_mul_u64 s[40:41], s[22:23], s[20:21]
	s_wait_alu 0xfffe
	s_mul_hi_u32 s47, s20, s41
	s_mul_i32 s46, s20, s41
	s_mul_hi_u32 s24, s20, s40
	s_mul_i32 s13, s21, s40
	s_add_nc_u64 s[24:25], s[24:25], s[46:47]
	s_mul_hi_u32 s9, s21, s40
	s_mul_hi_u32 s33, s21, s41
	s_wait_alu 0xfffe
	s_add_co_u32 s13, s24, s13
	s_add_co_ci_u32 s44, s25, s9
	s_mul_i32 s40, s21, s41
	s_add_co_ci_u32 s41, s33, 0
	s_wait_alu 0xfffe
	s_add_nc_u64 s[24:25], s[44:45], s[40:41]
	s_mov_b32 s41, s8
	s_add_co_u32 s20, s20, s24
	s_cselect_b32 s9, -1, 0
	s_wait_alu 0xfffe
	s_cmp_lg_u32 s9, 0
	s_add_co_ci_u32 s21, s21, s25
	s_mov_b32 s25, s8
	s_mul_u64 s[22:23], s[22:23], s[20:21]
	s_delay_alu instid0(SALU_CYCLE_1)
	s_mul_hi_u32 s45, s20, s23
	s_mul_i32 s44, s20, s23
	s_mul_hi_u32 s24, s20, s22
	s_mul_i32 s13, s21, s22
	s_add_nc_u64 s[24:25], s[24:25], s[44:45]
	s_mul_hi_u32 s9, s21, s22
	s_mul_hi_u32 s33, s21, s23
	s_wait_alu 0xfffe
	s_add_co_u32 s13, s24, s13
	s_add_co_ci_u32 s40, s25, s9
	s_mul_i32 s22, s21, s23
	s_add_co_ci_u32 s23, s33, 0
	s_mov_b32 s25, s8
	s_wait_alu 0xfffe
	s_add_nc_u64 s[22:23], s[40:41], s[22:23]
	s_delay_alu instid0(SALU_CYCLE_1)
	s_add_co_u32 s9, s20, s22
	s_cselect_b32 s13, -1, 0
	s_wait_alu 0xfffe
	s_cmp_lg_u32 s13, 0
	s_add_co_ci_u32 s13, s21, s23
	s_ashr_i32 s20, s35, 31
	s_delay_alu instid0(SALU_CYCLE_1) | instskip(NEXT) | instid1(SALU_CYCLE_1)
	s_mov_b32 s21, s20
	s_add_nc_u64 s[22:23], s[34:35], s[20:21]
	s_delay_alu instid0(SALU_CYCLE_1)
	s_xor_b64 s[22:23], s[22:23], s[20:21]
	s_wait_alu 0xfffe
	s_mul_hi_u32 s45, s22, s13
	s_mul_i32 s44, s22, s13
	s_mul_hi_u32 s24, s22, s9
	s_mul_hi_u32 s40, s23, s9
	s_mul_i32 s9, s23, s9
	s_add_nc_u64 s[24:25], s[24:25], s[44:45]
	s_mul_hi_u32 s33, s23, s13
	s_wait_alu 0xfffe
	s_add_co_u32 s9, s24, s9
	s_add_co_ci_u32 s40, s25, s40
	s_mul_i32 s44, s23, s13
	s_add_co_ci_u32 s45, s33, 0
	s_wait_alu 0xfffe
	s_add_nc_u64 s[24:25], s[40:41], s[44:45]
	s_delay_alu instid0(SALU_CYCLE_1)
	s_mul_u64 s[40:41], s[18:19], s[24:25]
	s_add_nc_u64 s[44:45], s[24:25], 1
	s_wait_alu 0xfffe
	s_sub_co_u32 s9, s22, s40
	s_cselect_b32 s13, -1, 0
	s_sub_co_i32 s22, s23, s41
	s_wait_alu 0xfffe
	s_cmp_lg_u32 s13, 0
	s_add_nc_u64 s[46:47], s[24:25], 2
	s_sub_co_ci_u32 s22, s22, s19
	s_sub_co_u32 s33, s9, s18
	s_cselect_b32 s40, -1, 0
	s_wait_alu 0xfffe
	s_cmp_lg_u32 s40, 0
	s_sub_co_ci_u32 s22, s22, 0
	s_delay_alu instid0(SALU_CYCLE_1)
	s_cmp_ge_u32 s22, s19
	s_cselect_b32 s40, -1, 0
	s_cmp_ge_u32 s33, s18
	s_cselect_b32 s33, -1, 0
	s_cmp_eq_u32 s22, s19
	s_wait_alu 0xfffe
	s_cselect_b32 s22, s33, s40
	s_delay_alu instid0(SALU_CYCLE_1)
	s_cmp_lg_u32 s22, 0
	s_cselect_b32 s22, s46, s44
	s_cselect_b32 s33, s47, s45
	s_cmp_lg_u32 s13, 0
	s_sub_co_ci_u32 s13, s23, s41
	s_wait_alu 0xfffe
	s_cmp_ge_u32 s13, s19
	s_cselect_b32 s23, -1, 0
	s_cmp_ge_u32 s9, s18
	s_cselect_b32 s9, -1, 0
	s_cmp_eq_u32 s13, s19
	s_wait_alu 0xfffe
	s_cselect_b32 s9, s9, s23
	s_wait_alu 0xfffe
	s_cmp_lg_u32 s9, 0
	s_cselect_b32 s19, s33, s25
	s_cselect_b32 s18, s22, s24
	s_xor_b64 s[10:11], s[20:21], s[10:11]
	s_delay_alu instid0(SALU_CYCLE_1) | instskip(NEXT) | instid1(SALU_CYCLE_1)
	s_xor_b64 s[18:19], s[18:19], s[10:11]
	s_sub_nc_u64 s[40:41], s[18:19], s[10:11]
	s_load_b128 s[44:47], s[0:1], 0x370
	s_and_not1_b32 vcc_lo, exec_lo, s8
	s_cbranch_vccnz .LBB38_13
.LBB38_12:
	v_cvt_f32_u32_e32 v1, s28
	s_sub_co_i32 s9, 0, s28
	s_mov_b32 s41, 0
	s_delay_alu instid0(VALU_DEP_1) | instskip(NEXT) | instid1(TRANS32_DEP_1)
	v_rcp_iflag_f32_e32 v1, v1
	v_mul_f32_e32 v1, 0x4f7ffffe, v1
	s_delay_alu instid0(VALU_DEP_1) | instskip(NEXT) | instid1(VALU_DEP_1)
	v_cvt_u32_f32_e32 v1, v1
	v_readfirstlane_b32 s8, v1
	s_wait_alu 0xfffe
	s_mul_i32 s9, s9, s8
	s_wait_alu 0xfffe
	s_mul_hi_u32 s9, s8, s9
	s_wait_alu 0xfffe
	s_add_co_i32 s8, s8, s9
	s_wait_alu 0xfffe
	s_mul_hi_u32 s8, s34, s8
	s_wait_alu 0xfffe
	s_mul_i32 s9, s8, s28
	s_add_co_i32 s10, s8, 1
	s_wait_alu 0xfffe
	s_sub_co_i32 s9, s34, s9
	s_wait_alu 0xfffe
	s_sub_co_i32 s11, s9, s28
	s_cmp_ge_u32 s9, s28
	s_cselect_b32 s8, s10, s8
	s_cselect_b32 s9, s11, s9
	s_wait_alu 0xfffe
	s_add_co_i32 s10, s8, 1
	s_cmp_ge_u32 s9, s28
	s_cselect_b32 s40, s10, s8
.LBB38_13:
	s_mov_b32 s8, 0
	s_wait_kmcnt 0x0
	s_mov_b32 s9, s47
	s_wait_alu 0xfffe
	s_cmp_lg_u64 s[8:9], 0
	s_cbranch_scc0 .LBB38_22
; %bb.14:
	s_ashr_i32 s10, s47, 31
	s_mov_b32 s25, s8
	s_mov_b32 s11, s10
	;; [unrolled: 1-line block ×3, first 2 shown]
	s_add_nc_u64 s[18:19], s[46:47], s[10:11]
	s_delay_alu instid0(SALU_CYCLE_1) | instskip(NEXT) | instid1(SALU_CYCLE_1)
	s_xor_b64 s[18:19], s[18:19], s[10:11]
	s_cvt_f32_u32 s9, s18
	s_cvt_f32_u32 s13, s19
	s_sub_nc_u64 s[22:23], 0, s[18:19]
	s_wait_alu 0xfffe
	s_delay_alu instid0(SALU_CYCLE_1) | instskip(SKIP_1) | instid1(SALU_CYCLE_2)
	s_fmamk_f32 s9, s13, 0x4f800000, s9
	s_wait_alu 0xfffe
	v_s_rcp_f32 s9, s9
	s_delay_alu instid0(TRANS32_DEP_1) | instskip(SKIP_1) | instid1(SALU_CYCLE_2)
	s_mul_f32 s9, s9, 0x5f7ffffc
	s_wait_alu 0xfffe
	s_mul_f32 s13, s9, 0x2f800000
	s_wait_alu 0xfffe
	s_delay_alu instid0(SALU_CYCLE_2) | instskip(SKIP_1) | instid1(SALU_CYCLE_2)
	s_trunc_f32 s13, s13
	s_wait_alu 0xfffe
	s_fmamk_f32 s9, s13, 0xcf800000, s9
	s_cvt_u32_f32 s21, s13
	s_wait_alu 0xfffe
	s_delay_alu instid0(SALU_CYCLE_1) | instskip(NEXT) | instid1(SALU_CYCLE_3)
	s_cvt_u32_f32 s20, s9
	s_mul_u64 s[48:49], s[22:23], s[20:21]
	s_delay_alu instid0(SALU_CYCLE_1)
	s_mul_hi_u32 s53, s20, s49
	s_mul_i32 s52, s20, s49
	s_mul_hi_u32 s24, s20, s48
	s_mul_i32 s13, s21, s48
	s_add_nc_u64 s[24:25], s[24:25], s[52:53]
	s_mul_hi_u32 s9, s21, s48
	s_mul_hi_u32 s33, s21, s49
	s_wait_alu 0xfffe
	s_add_co_u32 s13, s24, s13
	s_add_co_ci_u32 s50, s25, s9
	s_mul_i32 s48, s21, s49
	s_add_co_ci_u32 s49, s33, 0
	s_delay_alu instid0(SALU_CYCLE_1)
	s_add_nc_u64 s[24:25], s[50:51], s[48:49]
	s_mov_b32 s49, s8
	s_add_co_u32 s20, s20, s24
	s_cselect_b32 s9, -1, 0
	s_wait_alu 0xfffe
	s_cmp_lg_u32 s9, 0
	s_add_co_ci_u32 s21, s21, s25
	s_mov_b32 s25, s8
	s_mul_u64 s[22:23], s[22:23], s[20:21]
	s_delay_alu instid0(SALU_CYCLE_1)
	s_mul_hi_u32 s51, s20, s23
	s_mul_i32 s50, s20, s23
	s_mul_hi_u32 s24, s20, s22
	s_mul_i32 s13, s21, s22
	s_add_nc_u64 s[24:25], s[24:25], s[50:51]
	s_mul_hi_u32 s9, s21, s22
	s_mul_hi_u32 s33, s21, s23
	s_wait_alu 0xfffe
	s_add_co_u32 s13, s24, s13
	s_add_co_ci_u32 s48, s25, s9
	s_mul_i32 s22, s21, s23
	s_add_co_ci_u32 s23, s33, 0
	s_mov_b32 s25, s8
	s_add_nc_u64 s[22:23], s[48:49], s[22:23]
	s_delay_alu instid0(SALU_CYCLE_1)
	s_add_co_u32 s9, s20, s22
	s_cselect_b32 s13, -1, 0
	s_wait_alu 0xfffe
	s_cmp_lg_u32 s13, 0
	s_add_co_ci_u32 s13, s21, s23
	s_xor_b64 s[2:3], s[2:3], 0
	s_mov_b32 s21, s8
	s_wait_alu 0xfffe
	s_mul_hi_u32 s23, s2, s13
	s_mul_i32 s22, s2, s13
	s_mul_hi_u32 s24, s2, s9
	s_mul_hi_u32 s20, s3, s9
	s_mul_i32 s9, s3, s9
	s_add_nc_u64 s[22:23], s[24:25], s[22:23]
	s_mul_hi_u32 s33, s3, s13
	s_wait_alu 0xfffe
	s_add_co_u32 s9, s22, s9
	s_add_co_ci_u32 s20, s23, s20
	s_mul_i32 s24, s3, s13
	s_add_co_ci_u32 s25, s33, 0
	s_delay_alu instid0(SALU_CYCLE_1) | instskip(NEXT) | instid1(SALU_CYCLE_1)
	s_add_nc_u64 s[20:21], s[20:21], s[24:25]
	s_mul_u64 s[22:23], s[18:19], s[20:21]
	s_add_nc_u64 s[48:49], s[20:21], 2
	s_sub_co_u32 s2, s2, s22
	s_cselect_b32 s9, -1, 0
	s_sub_co_i32 s13, s3, s23
	s_wait_alu 0xfffe
	s_cmp_lg_u32 s9, 0
	s_sub_co_ci_u32 s13, s13, s19
	s_sub_co_u32 s22, s2, s18
	s_cselect_b32 s24, -1, 0
	s_delay_alu instid0(SALU_CYCLE_1)
	s_cmp_lg_u32 s24, 0
	s_add_nc_u64 s[24:25], s[20:21], 1
	s_wait_alu 0xfffe
	s_sub_co_ci_u32 s13, s13, 0
	s_wait_alu 0xfffe
	s_cmp_ge_u32 s13, s19
	s_cselect_b32 s33, -1, 0
	s_cmp_ge_u32 s22, s18
	s_cselect_b32 s22, -1, 0
	s_cmp_eq_u32 s13, s19
	s_cselect_b32 s13, s22, s33
	s_wait_alu 0xfffe
	s_cmp_lg_u32 s13, 0
	s_cselect_b32 s13, s48, s24
	s_cselect_b32 s22, s49, s25
	s_cmp_lg_u32 s9, 0
	s_sub_co_ci_u32 s3, s3, s23
	s_delay_alu instid0(SALU_CYCLE_1)
	s_cmp_ge_u32 s3, s19
	s_cselect_b32 s9, -1, 0
	s_cmp_ge_u32 s2, s18
	s_cselect_b32 s2, -1, 0
	s_cmp_eq_u32 s3, s19
	s_wait_alu 0xfffe
	s_cselect_b32 s2, s2, s9
	s_delay_alu instid0(SALU_CYCLE_1) | instskip(SKIP_3) | instid1(SALU_CYCLE_1)
	s_cmp_lg_u32 s2, 0
	s_cselect_b32 s3, s22, s21
	s_cselect_b32 s2, s13, s20
	s_xor_b64 s[10:11], 0, s[10:11]
	s_xor_b64 s[2:3], s[2:3], s[10:11]
	s_delay_alu instid0(SALU_CYCLE_1)
	s_sub_nc_u64 s[56:57], s[2:3], s[10:11]
	s_and_not1_b32 vcc_lo, exec_lo, s8
	s_cbranch_vccnz .LBB38_16
.LBB38_15:
	v_cvt_f32_u32_e32 v1, s46
	s_sub_co_i32 s3, 0, s46
	s_mov_b32 s57, 0
	s_delay_alu instid0(VALU_DEP_1) | instskip(NEXT) | instid1(TRANS32_DEP_1)
	v_rcp_iflag_f32_e32 v1, v1
	v_mul_f32_e32 v1, 0x4f7ffffe, v1
	s_delay_alu instid0(VALU_DEP_1) | instskip(NEXT) | instid1(VALU_DEP_1)
	v_cvt_u32_f32_e32 v1, v1
	v_readfirstlane_b32 s2, v1
	s_mul_i32 s3, s3, s2
	s_delay_alu instid0(SALU_CYCLE_1) | instskip(NEXT) | instid1(SALU_CYCLE_1)
	s_mul_hi_u32 s3, s2, s3
	s_add_co_i32 s2, s2, s3
	s_delay_alu instid0(SALU_CYCLE_1) | instskip(NEXT) | instid1(SALU_CYCLE_1)
	s_mul_hi_u32 s2, s26, s2
	s_mul_i32 s3, s2, s46
	s_add_co_i32 s8, s2, 1
	s_sub_co_i32 s3, s26, s3
	s_delay_alu instid0(SALU_CYCLE_1)
	s_sub_co_i32 s9, s3, s46
	s_cmp_ge_u32 s3, s46
	s_wait_alu 0xfffe
	s_cselect_b32 s2, s8, s2
	s_cselect_b32 s3, s9, s3
	s_add_co_i32 s8, s2, 1
	s_cmp_ge_u32 s3, s46
	s_wait_alu 0xfffe
	s_cselect_b32 s56, s8, s2
.LBB38_16:
	s_clause 0x1
	s_load_b64 s[18:19], s[0:1], 0xe0
	s_load_b128 s[8:11], s[0:1], 0xd0
	s_or_b64 s[2:3], s[56:57], s[44:45]
	s_mov_b32 s2, 0
	s_delay_alu instid0(SALU_CYCLE_1)
	s_cmp_lg_u64 s[2:3], 0
	s_cbranch_scc0 .LBB38_23
; %bb.17:
	s_ashr_i32 s20, s45, 31
	s_mov_b32 s51, s2
	s_mov_b32 s21, s20
	;; [unrolled: 1-line block ×3, first 2 shown]
	s_add_nc_u64 s[22:23], s[44:45], s[20:21]
	s_delay_alu instid0(SALU_CYCLE_1) | instskip(NEXT) | instid1(SALU_CYCLE_1)
	s_xor_b64 s[22:23], s[22:23], s[20:21]
	s_cvt_f32_u32 s3, s22
	s_cvt_f32_u32 s13, s23
	s_sub_nc_u64 s[48:49], 0, s[22:23]
	s_wait_alu 0xfffe
	s_delay_alu instid0(SALU_CYCLE_1) | instskip(NEXT) | instid1(SALU_CYCLE_3)
	s_fmamk_f32 s3, s13, 0x4f800000, s3
	v_s_rcp_f32 s3, s3
	s_delay_alu instid0(TRANS32_DEP_1) | instskip(SKIP_1) | instid1(SALU_CYCLE_2)
	s_mul_f32 s3, s3, 0x5f7ffffc
	s_wait_alu 0xfffe
	s_mul_f32 s13, s3, 0x2f800000
	s_wait_alu 0xfffe
	s_delay_alu instid0(SALU_CYCLE_2) | instskip(SKIP_1) | instid1(SALU_CYCLE_2)
	s_trunc_f32 s13, s13
	s_wait_alu 0xfffe
	s_fmamk_f32 s3, s13, 0xcf800000, s3
	s_cvt_u32_f32 s25, s13
	s_wait_alu 0xfffe
	s_delay_alu instid0(SALU_CYCLE_1) | instskip(NEXT) | instid1(SALU_CYCLE_3)
	s_cvt_u32_f32 s24, s3
	s_mul_u64 s[52:53], s[48:49], s[24:25]
	s_delay_alu instid0(SALU_CYCLE_1)
	s_mul_hi_u32 s59, s24, s53
	s_mul_i32 s58, s24, s53
	s_mul_hi_u32 s50, s24, s52
	s_mul_i32 s13, s25, s52
	s_add_nc_u64 s[50:51], s[50:51], s[58:59]
	s_mul_hi_u32 s3, s25, s52
	s_mul_hi_u32 s33, s25, s53
	s_wait_alu 0xfffe
	s_add_co_u32 s13, s50, s13
	s_add_co_ci_u32 s54, s51, s3
	s_mul_i32 s52, s25, s53
	s_add_co_ci_u32 s53, s33, 0
	s_delay_alu instid0(SALU_CYCLE_1)
	s_add_nc_u64 s[50:51], s[54:55], s[52:53]
	s_mov_b32 s53, s2
	s_add_co_u32 s24, s24, s50
	s_cselect_b32 s3, -1, 0
	s_wait_alu 0xfffe
	s_cmp_lg_u32 s3, 0
	s_add_co_ci_u32 s25, s25, s51
	s_mov_b32 s51, s2
	s_mul_u64 s[48:49], s[48:49], s[24:25]
	s_delay_alu instid0(SALU_CYCLE_1)
	s_mul_hi_u32 s55, s24, s49
	s_mul_i32 s54, s24, s49
	s_mul_hi_u32 s50, s24, s48
	s_mul_i32 s13, s25, s48
	s_add_nc_u64 s[50:51], s[50:51], s[54:55]
	s_mul_hi_u32 s3, s25, s48
	s_mul_hi_u32 s33, s25, s49
	s_wait_alu 0xfffe
	s_add_co_u32 s13, s50, s13
	s_add_co_ci_u32 s52, s51, s3
	s_mul_i32 s48, s25, s49
	s_add_co_ci_u32 s49, s33, 0
	s_mov_b32 s51, s2
	s_add_nc_u64 s[48:49], s[52:53], s[48:49]
	s_delay_alu instid0(SALU_CYCLE_1)
	s_add_co_u32 s3, s24, s48
	s_cselect_b32 s13, -1, 0
	s_wait_alu 0xfffe
	s_cmp_lg_u32 s13, 0
	s_add_co_ci_u32 s13, s25, s49
	s_ashr_i32 s24, s57, 31
	s_delay_alu instid0(SALU_CYCLE_1) | instskip(NEXT) | instid1(SALU_CYCLE_1)
	s_mov_b32 s25, s24
	s_add_nc_u64 s[48:49], s[56:57], s[24:25]
	s_delay_alu instid0(SALU_CYCLE_1)
	s_xor_b64 s[48:49], s[48:49], s[24:25]
	s_wait_alu 0xfffe
	s_mul_hi_u32 s55, s48, s13
	s_mul_i32 s54, s48, s13
	s_mul_hi_u32 s50, s48, s3
	s_mul_hi_u32 s52, s49, s3
	s_mul_i32 s3, s49, s3
	s_add_nc_u64 s[50:51], s[50:51], s[54:55]
	s_mul_hi_u32 s33, s49, s13
	s_wait_alu 0xfffe
	s_add_co_u32 s3, s50, s3
	s_add_co_ci_u32 s52, s51, s52
	s_mul_i32 s54, s49, s13
	s_add_co_ci_u32 s55, s33, 0
	s_delay_alu instid0(SALU_CYCLE_1) | instskip(NEXT) | instid1(SALU_CYCLE_1)
	s_add_nc_u64 s[50:51], s[52:53], s[54:55]
	s_mul_u64 s[52:53], s[22:23], s[50:51]
	s_add_nc_u64 s[54:55], s[50:51], 1
	s_sub_co_u32 s3, s48, s52
	s_cselect_b32 s13, -1, 0
	s_sub_co_i32 s33, s49, s53
	s_wait_alu 0xfffe
	s_cmp_lg_u32 s13, 0
	s_add_nc_u64 s[58:59], s[50:51], 2
	s_sub_co_ci_u32 s33, s33, s23
	s_sub_co_u32 s48, s3, s22
	s_cselect_b32 s52, -1, 0
	s_delay_alu instid0(SALU_CYCLE_1) | instskip(SKIP_1) | instid1(SALU_CYCLE_1)
	s_cmp_lg_u32 s52, 0
	s_sub_co_ci_u32 s33, s33, 0
	s_cmp_ge_u32 s33, s23
	s_cselect_b32 s52, -1, 0
	s_cmp_ge_u32 s48, s22
	s_cselect_b32 s48, -1, 0
	s_cmp_eq_u32 s33, s23
	s_cselect_b32 s33, s48, s52
	s_delay_alu instid0(SALU_CYCLE_1)
	s_cmp_lg_u32 s33, 0
	s_cselect_b32 s33, s58, s54
	s_cselect_b32 s48, s59, s55
	s_cmp_lg_u32 s13, 0
	s_sub_co_ci_u32 s13, s49, s53
	s_wait_alu 0xfffe
	s_cmp_ge_u32 s13, s23
	s_cselect_b32 s49, -1, 0
	s_cmp_ge_u32 s3, s22
	s_cselect_b32 s3, -1, 0
	s_cmp_eq_u32 s13, s23
	s_wait_alu 0xfffe
	s_cselect_b32 s3, s3, s49
	s_wait_alu 0xfffe
	s_cmp_lg_u32 s3, 0
	s_cselect_b32 s23, s48, s51
	s_cselect_b32 s22, s33, s50
	s_xor_b64 s[20:21], s[24:25], s[20:21]
	s_delay_alu instid0(SALU_CYCLE_1) | instskip(NEXT) | instid1(SALU_CYCLE_1)
	s_xor_b64 s[22:23], s[22:23], s[20:21]
	s_sub_nc_u64 s[62:63], s[22:23], s[20:21]
	s_branch .LBB38_24
.LBB38_18:
                                        ; implicit-def: $sgpr14_sgpr15
	s_branch .LBB38_3
.LBB38_19:
                                        ; implicit-def: $sgpr16_sgpr17
	s_load_b128 s[28:31], s[0:1], 0x1d0
	s_branch .LBB38_6
.LBB38_20:
                                        ; implicit-def: $sgpr34_sgpr35
	s_branch .LBB38_9
.LBB38_21:
                                        ; implicit-def: $sgpr40_sgpr41
	s_load_b128 s[44:47], s[0:1], 0x370
	s_branch .LBB38_12
.LBB38_22:
                                        ; implicit-def: $sgpr56_sgpr57
	s_branch .LBB38_15
.LBB38_23:
	s_mov_b32 s2, -1
                                        ; implicit-def: $sgpr62_sgpr63
.LBB38_24:
	s_load_b64 s[20:21], s[0:1], 0x440
                                        ; implicit-def: $vgpr55 : SGPR spill to VGPR lane
	s_and_not1_b32 vcc_lo, exec_lo, s2
	s_wait_kmcnt 0x0
	v_writelane_b32 v55, s20, 0
	v_writelane_b32 v55, s21, 1
	s_load_b128 s[20:23], s[0:1], 0x430
	s_wait_kmcnt 0x0
	v_writelane_b32 v55, s20, 2
	v_writelane_b32 v55, s21, 3
	;; [unrolled: 1-line block ×4, first 2 shown]
	s_load_b64 s[20:21], s[0:1], 0x2a0
	s_wait_kmcnt 0x0
	v_writelane_b32 v55, s20, 6
	v_writelane_b32 v55, s21, 7
	s_load_b128 s[20:23], s[0:1], 0x290
	s_wait_kmcnt 0x0
	v_writelane_b32 v55, s20, 8
	v_writelane_b32 v55, s21, 9
	v_writelane_b32 v55, s22, 10
	v_writelane_b32 v55, s23, 11
	s_cbranch_vccnz .LBB38_26
; %bb.25:
	v_cvt_f32_u32_e32 v1, s44
	s_sub_co_i32 s3, 0, s44
	s_mov_b32 s63, 0
	s_delay_alu instid0(VALU_DEP_1) | instskip(NEXT) | instid1(TRANS32_DEP_1)
	v_rcp_iflag_f32_e32 v1, v1
	v_mul_f32_e32 v1, 0x4f7ffffe, v1
	s_delay_alu instid0(VALU_DEP_1) | instskip(NEXT) | instid1(VALU_DEP_1)
	v_cvt_u32_f32_e32 v1, v1
	v_readfirstlane_b32 s2, v1
	s_wait_alu 0xfffe
	s_mul_i32 s3, s3, s2
	s_wait_alu 0xfffe
	s_mul_hi_u32 s3, s2, s3
	s_wait_alu 0xfffe
	s_add_co_i32 s2, s2, s3
	s_wait_alu 0xfffe
	s_mul_hi_u32 s2, s56, s2
	s_wait_alu 0xfffe
	s_mul_i32 s3, s2, s44
	s_add_co_i32 s13, s2, 1
	s_wait_alu 0xfffe
	s_sub_co_i32 s3, s56, s3
	s_wait_alu 0xfffe
	s_sub_co_i32 s20, s3, s44
	s_cmp_ge_u32 s3, s44
	s_cselect_b32 s2, s13, s2
	s_wait_alu 0xfffe
	s_cselect_b32 s3, s20, s3
	s_add_co_i32 s13, s2, 1
	s_wait_alu 0xfffe
	s_cmp_ge_u32 s3, s44
	s_cselect_b32 s62, s13, s2
.LBB38_26:
	s_load_b64 s[22:23], s[0:1], 0x0
	v_cmp_eq_u32_e64 s2, 0, v0
	s_add_nc_u64 s[20:21], s[0:1], 0x500
	s_mov_b32 s71, 0
	s_and_saveexec_b32 s3, s2
	s_cbranch_execz .LBB38_28
; %bb.27:
	v_dual_mov_b32 v1, 0 :: v_dual_mov_b32 v4, s37
	s_delay_alu instid0(VALU_DEP_1)
	v_dual_mov_b32 v3, s36 :: v_dual_mov_b32 v2, v1
	ds_store_b32 v1, v1 offset:5136
	ds_store_b128 v1, v[1:4] offset:5120
.LBB38_28:
	s_wait_alu 0xfffe
	s_or_b32 exec_lo, exec_lo, s3
	s_clause 0x1
	s_load_b64 s[24:25], s[0:1], 0x360
	s_load_b64 s[0:1], s[0:1], 0x1c0
	v_lshlrev_b32_e32 v39, 3, v0
	v_mad_co_u64_u32 v[4:5], null, s42, v0, 0
	s_mul_u64 s[4:5], s[16:17], s[4:5]
	s_mul_u64 s[6:7], s[14:15], s[6:7]
	v_or_b32_e32 v10, 6, v39
	s_wait_alu 0xfffe
	s_sub_nc_u64 s[4:5], s[14:15], s[4:5]
	v_mbcnt_lo_u32_b32 v34, -1, 0
	v_cmp_gt_u32_e32 vcc_lo, 32, v0
	v_dual_mov_b32 v3, 0 :: v_dual_lshlrev_b32 v16, 2, v0
	v_mad_co_u64_u32 v[21:22], null, s42, v10, 0
	v_lshlrev_b32_e32 v35, 1, v0
	v_mov_b32_e32 v1, v5
	v_lshlrev_b64_e64 v[8:9], v34, -1
	s_wait_dscnt 0x0
	s_barrier_signal -1
	s_wait_kmcnt 0x0
	v_writelane_b32 v55, s24, 12
	v_add_nc_u32_e32 v36, 0xc00, v35
	v_mad_co_u64_u32 v[1:2], null, s43, v0, v[1:2]
	v_add_nc_u32_e32 v2, 2, v0
	v_writelane_b32 v55, s25, 13
	v_not_b32_e32 v37, v8
	v_not_b32_e32 v8, v0
	s_barrier_wait -1
	global_inv scope:SCOPE_SE
	v_writelane_b32 v55, s0, 14
	v_mov_b32_e32 v5, v1
	v_or_b32_e32 v12, 4, v39
	v_or_b32_e32 v13, 2, v39
	v_cmp_lt_i64_e64 s102, 0x600, s[36:37]
	v_writelane_b32 v55, s1, 15
	s_wait_alu 0xfffe
	s_mul_u64 s[0:1], s[4:5], s[10:11]
	s_mul_u64 s[4:5], s[16:17], s[8:9]
	v_lshlrev_b64_e32 v[6:7], 1, v[4:5]
	s_wait_alu 0xfffe
	s_lshl_b64 s[8:9], s[4:5], 1
	s_sub_nc_u64 s[4:5], s[26:27], s[6:7]
	s_wait_alu 0xfffe
	s_add_nc_u64 s[10:11], s[22:23], s[8:9]
	s_lshl_b64 s[6:7], s[0:1], 1
	s_mul_u64 s[0:1], s[4:5], s[18:19]
	s_wait_alu 0xfffe
	s_add_nc_u64 s[4:5], s[10:11], s[6:7]
	s_lshl_b64 s[10:11], s[0:1], 1
	v_cmp_gt_i32_e64 s0, 4, v34
	s_wait_alu 0xfffe
	s_add_nc_u64 s[74:75], s[4:5], s[10:11]
	s_load_b32 s4, s[20:21], 0xc
	v_mad_co_u64_u32 v[23:24], null, s42, v12, 0
	s_and_b32 s33, vcc_lo, s0
	v_add_co_u32 v14, vcc_lo, s74, v6
	s_delay_alu instid0(VALU_DEP_1)
	v_add_co_ci_u32_e64 v15, null, s75, v7, vcc_lo
	v_cmp_gt_i64_e32 vcc_lo, s[36:37], v[2:3]
	v_mad_co_u64_u32 v[25:26], null, s42, v13, 0
	v_mov_b32_e32 v17, v3
	s_add_nc_u64 s[8:9], s[8:9], s[10:11]
	s_mov_b32 s69, s71
	s_wait_alu 0xfffd
	v_cndmask_b32_e64 v2, v2, s36, vcc_lo
	v_cndmask_b32_e64 v9, 0, s37, vcc_lo
	s_wait_alu 0xfffe
	s_add_nc_u64 s[6:7], s[8:9], s[6:7]
	v_cmp_eq_u32_e64 s1, 0, v34
	s_wait_alu 0xfffe
	s_add_nc_u64 s[80:81], s[22:23], s[6:7]
	v_add_co_u32 v8, vcc_lo, v2, v8
	v_mov_b32_e32 v1, v3
	s_wait_alu 0xfffd
	v_add_co_ci_u32_e64 v9, null, -1, v9, vcc_lo
	s_delay_alu instid0(VALU_DEP_3)
	v_and_b32_e32 v18, -2, v8
	s_wait_kmcnt 0x0
	s_and_b32 s68, s4, 0xffff
	s_bfe_u32 s13, s4, 0xb0005
	s_cmp_gt_u32 s68, 31
	s_movk_i32 s4, 0x3e0
	v_add_co_u32 v20, vcc_lo, v18, v0
	s_wait_alu 0xfffd
	v_add_co_ci_u32_e64 v2, null, 0, v9, vcc_lo
	v_mov_b32_e32 v2, v22
	s_cselect_b32 s103, -1, 0
	s_cmp_lt_u32 ttmp9, s12
	s_wait_alu 0xfffe
	v_and_or_b32 v38, v0, s4, 0xc00
	s_cselect_b32 s70, 12, 18
	v_mad_co_u64_u32 v[10:11], null, s43, v10, v[2:3]
	v_mov_b32_e32 v19, v9
	s_add_co_i32 s5, s13, -1
	s_bfe_u32 s59, s68, 0x30005
	s_wait_alu 0xfffe
	s_and_b32 s5, s5, 0xffff
	v_cmp_lt_u64_e64 s4, 1, v[8:9]
	s_wait_alu 0xfffe
	s_cmp_gt_u32 s5, 6
	v_mov_b32_e32 v22, v10
	v_cmp_ne_u64_e64 s5, v[8:9], v[18:19]
	v_dual_mov_b32 v8, v24 :: v_dual_mov_b32 v9, v26
	v_mov_b32_e32 v28, s38
	s_cselect_b32 vcc_hi, -1, 0
	s_and_b32 s60, s13, 0x7f8
	s_cmp_lg_u32 s59, 0
	v_mad_co_u64_u32 v[11:12], null, s43, v12, v[8:9]
	v_mad_co_u64_u32 v[8:9], null, s43, v13, v[9:10]
	s_cselect_b32 s61, -1, 0
	s_lshl_b64 s[82:83], s[42:43], 1
	v_add_co_u32 v42, s6, s36, v0
	v_mul_lo_u32 v45, 0, s82
	v_add_co_u32 v12, vcc_lo, s80, v6
	v_cmp_gt_i64_e64 s0, s[36:37], v[0:1]
	v_lshlrev_b64_e32 v[26:27], 3, v[4:5]
	v_cmp_gt_u32_e64 s3, 2, v0
	v_dual_mov_b32 v24, v11 :: v_dual_mov_b32 v41, v8
	v_mov_b32_e32 v40, 0
	s_wait_alu 0xf1ff
	v_add_co_ci_u32_e64 v43, null, s37, 0, s6
	v_lshl_or_b32 v44, v34, 3, 0xc00
	s_wait_alu 0xfffd
	v_add_co_ci_u32_e64 v13, null, s81, v7, vcc_lo
	v_dual_mov_b32 v29, s39 :: v_dual_mov_b32 v46, 0
	v_mov_b32_e32 v47, 0
	s_add_nc_u64 s[76:77], s[68:69], -1
	s_mul_u64 s[6:7], s[42:43], s[68:69]
	s_add_nc_u64 s[78:79], s[76:77], s[36:37]
	s_mov_b32 s104, s42
	s_mov_b32 s58, s43
	s_lshl_b64 s[84:85], s[42:43], 3
	s_wait_alu 0xfffe
	s_lshl_b64 s[72:73], s[6:7], 1
	s_lshl_b32 s64, s68, 1
	s_mov_b32 s65, 14
	s_add_nc_u64 s[38:39], s[20:21], s[70:71]
	s_mov_b32 s66, 0
	s_mov_b32 s67, 0
                                        ; implicit-def: $sgpr51
                                        ; implicit-def: $sgpr53
                                        ; implicit-def: $sgpr48
                                        ; implicit-def: $sgpr50
                                        ; implicit-def: $sgpr52
                                        ; implicit-def: $sgpr49
	s_branch .LBB38_32
.LBB38_29:                              ;   in Loop: Header=BB38_32 Depth=1
	s_wait_alu 0xfffe
	s_or_b32 exec_lo, exec_lo, s9
	s_delay_alu instid0(SALU_CYCLE_1)
	s_and_b32 s7, s7, exec_lo
	s_and_not1_b32 s22, s22, exec_lo
	s_and_not1_b32 s21, s21, exec_lo
	s_or_not1_b32 s18, s8, exec_lo
.LBB38_30:                              ;   in Loop: Header=BB38_32 Depth=1
	s_wait_alu 0xfffe
	s_or_b32 exec_lo, exec_lo, s6
	s_delay_alu instid0(SALU_CYCLE_1)
	s_and_not1_b32 s6, s49, exec_lo
	s_and_b32 s7, s7, exec_lo
	s_and_not1_b32 s8, s50, exec_lo
	s_wait_alu 0xfffe
	s_or_b32 s49, s6, s7
	s_and_not1_b32 s6, s52, exec_lo
	s_and_b32 s7, s22, exec_lo
	s_and_b32 s9, s21, exec_lo
	s_wait_alu 0xfffe
	s_or_b32 s52, s6, s7
	s_or_b32 s50, s8, s9
	s_or_not1_b32 s18, s18, exec_lo
.LBB38_31:                              ;   in Loop: Header=BB38_32 Depth=1
	s_wait_alu 0xfffe
	s_or_b32 exec_lo, exec_lo, s17
	s_delay_alu instid0(SALU_CYCLE_1)
	s_and_b32 s6, exec_lo, s18
	v_dual_mov_b32 v29, v9 :: v_dual_mov_b32 v28, v8
	s_wait_alu 0xfffe
	s_or_b32 s66, s6, s66
	s_and_not1_b32 s6, s48, exec_lo
	s_and_b32 s7, s49, exec_lo
	s_and_not1_b32 s8, s53, exec_lo
	s_wait_alu 0xfffe
	s_or_b32 s48, s6, s7
	s_and_b32 s6, s52, exec_lo
	s_and_not1_b32 s7, s51, exec_lo
	s_and_b32 s9, s50, exec_lo
	s_wait_alu 0xfffe
	s_or_b32 s53, s8, s6
	s_or_b32 s51, s7, s9
	s_and_not1_b32 exec_lo, exec_lo, s66
	s_cbranch_execz .LBB38_294
.LBB38_32:                              ; =>This Loop Header: Depth=1
                                        ;     Child Loop BB38_37 Depth 2
                                        ;     Child Loop BB38_51 Depth 2
	;; [unrolled: 1-line block ×17, first 2 shown]
	ds_load_b128 v[4:7], v3 offset:5120
	s_wait_dscnt 0x0
	v_readfirstlane_b32 s87, v5
	v_readfirstlane_b32 s86, v4
	s_wait_alu 0xf1ff
	s_delay_alu instid0(VALU_DEP_1)
	v_cmp_gt_i64_e64 s6, s[86:87], 0
	s_and_b32 vcc_lo, exec_lo, s6
	s_wait_alu 0xfffe
	s_cbranch_vccnz .LBB38_64
; %bb.33:                               ;   in Loop: Header=BB38_32 Depth=1
	s_and_b32 vcc_lo, exec_lo, s102
	s_wait_alu 0xfffe
	s_cbranch_vccz .LBB38_45
; %bb.34:                               ;   in Loop: Header=BB38_32 Depth=1
	v_cmp_gt_i64_e32 vcc_lo, 0x601, v[6:7]
	s_mov_b32 s8, 0
	s_mov_b32 s6, 0
	s_cbranch_vccz .LBB38_46
; %bb.35:                               ;   in Loop: Header=BB38_32 Depth=1
	global_load_u16 v2, v3, s[38:39]
	global_load_u16 v8, v[14:15], off
	s_mov_b32 s9, 0
	s_wait_loadcnt 0x1
	v_and_b32_e32 v2, 0xffff, v2
	s_delay_alu instid0(VALU_DEP_1) | instskip(SKIP_3) | instid1(VALU_DEP_3)
	v_add_co_u32 v4, s6, v0, v2
	s_wait_alu 0xf1fe
	v_add_co_ci_u32_e64 v5, null, 0, 0, s6
	v_mul_lo_u32 v6, v2, s83
	v_mul_lo_u32 v10, s83, v4
	v_mul_hi_u32 v11, v2, s82
	s_delay_alu instid0(VALU_DEP_4) | instskip(SKIP_2) | instid1(VALU_DEP_2)
	v_mul_lo_u32 v7, s82, v5
	v_mad_co_u64_u32 v[4:5], null, s82, v4, s[80:81]
	v_add_nc_u32_e32 v6, v6, v45
	v_add3_u32 v5, v10, v5, v7
	s_delay_alu instid0(VALU_DEP_2)
	v_dual_mov_b32 v7, v1 :: v_dual_add_nc_u32 v10, v6, v11
	v_mul_lo_u32 v9, v2, s82
	v_mov_b32_e32 v6, v0
	s_branch .LBB38_37
.LBB38_36:                              ;   in Loop: Header=BB38_37 Depth=2
	s_wait_alu 0xfffe
	s_or_b32 exec_lo, exec_lo, s7
	v_add_co_u32 v4, vcc_lo, v4, v9
	s_wait_alu 0xfffd
	v_add_co_ci_u32_e64 v5, null, v5, v10, vcc_lo
	v_mov_b32_e32 v8, v11
	s_and_not1_b32 exec_lo, exec_lo, s9
	s_cbranch_execz .LBB38_98
.LBB38_37:                              ;   Parent Loop BB38_32 Depth=1
                                        ; =>  This Inner Loop Header: Depth=2
	s_delay_alu instid0(VALU_DEP_1)
	v_add_co_u32 v6, vcc_lo, v6, v2
	s_wait_alu 0xfffd
	v_add_co_ci_u32_e64 v7, null, 0, v7, vcc_lo
	s_wait_dscnt 0x0
	v_dual_mov_b32 v30, 0 :: v_dual_mov_b32 v11, 0
	s_mov_b32 s7, exec_lo
	s_delay_alu instid0(VALU_DEP_2)
	v_cmp_le_i64_e32 vcc_lo, s[36:37], v[6:7]
	v_cmpx_gt_i64_e64 s[36:37], v[6:7]
	s_cbranch_execz .LBB38_39
; %bb.38:                               ;   in Loop: Header=BB38_37 Depth=2
	global_load_u16 v11, v[4:5], off
.LBB38_39:                              ;   in Loop: Header=BB38_37 Depth=2
	s_wait_alu 0xfffe
	s_or_b32 exec_lo, exec_lo, s7
	s_wait_loadcnt 0x0
	v_bfe_i32 v31, v8, 0, 16
	s_delay_alu instid0(VALU_DEP_1) | instskip(NEXT) | instid1(VALU_DEP_1)
	v_add_nc_u32_e32 v31, 0x8000, v31
	v_and_b32_e32 v31, v31, v46
	s_delay_alu instid0(VALU_DEP_1)
	v_cmp_eq_u32_e64 s6, v31, v40
	s_cmp_lg_u32 s6, 0
	s_cselect_b32 s7, -1, 0
	s_wait_alu 0xfffe
	s_and_b32 s7, s1, s7
	s_wait_alu 0xfffe
	s_and_saveexec_b32 s10, s7
	s_cbranch_execz .LBB38_43
; %bb.40:                               ;   in Loop: Header=BB38_37 Depth=2
	s_mov_b32 s13, exec_lo
	s_bcnt1_i32_b32 s11, s6
	s_wait_alu 0xfffe
	v_mbcnt_lo_u32_b32 v30, s13, 0
	s_mov_b32 s12, exec_lo
                                        ; implicit-def: $vgpr31
	s_delay_alu instid0(VALU_DEP_1)
	v_cmpx_eq_u32_e32 0, v30
; %bb.41:                               ;   in Loop: Header=BB38_37 Depth=2
	s_bcnt1_i32_b32 s7, s13
	s_wait_alu 0xfffe
	s_mul_i32 s7, s11, s7
	s_wait_alu 0xfffe
	v_mov_b32_e32 v31, s7
	ds_add_rtn_u32 v31, v3, v31 offset:5136
; %bb.42:                               ;   in Loop: Header=BB38_37 Depth=2
	s_or_b32 exec_lo, exec_lo, s12
	s_wait_dscnt 0x0
	v_readfirstlane_b32 s7, v31
	s_wait_alu 0xf1ff
	s_delay_alu instid0(VALU_DEP_1)
	v_mad_u32_u24 v30, s11, v30, s7
.LBB38_43:                              ;   in Loop: Header=BB38_37 Depth=2
	s_wait_alu 0xfffe
	s_or_b32 exec_lo, exec_lo, s10
	ds_bpermute_b32 v30, v3, v30
	s_and_b32 s7, exec_lo, vcc_lo
	s_wait_alu 0xfffe
	s_or_b32 s9, s7, s9
	s_and_saveexec_b32 s7, s6
	s_cbranch_execz .LBB38_36
; %bb.44:                               ;   in Loop: Header=BB38_37 Depth=2
	v_and_b32_e32 v31, s6, v37
	s_delay_alu instid0(VALU_DEP_1) | instskip(NEXT) | instid1(VALU_DEP_1)
	v_bcnt_u32_b32 v31, v31, 0
	v_lshlrev_b32_e32 v31, 1, v31
	s_wait_dscnt 0x0
	s_delay_alu instid0(VALU_DEP_1)
	v_lshl_add_u32 v30, v30, 1, v31
	ds_store_b16 v30, v8
	s_branch .LBB38_36
.LBB38_45:                              ;   in Loop: Header=BB38_32 Depth=1
	s_mov_b32 s8, -1
	s_mov_b32 s6, 0
.LBB38_46:                              ;   in Loop: Header=BB38_32 Depth=1
	s_wait_alu 0xfffe
	s_and_b32 vcc_lo, exec_lo, s8
	s_wait_alu 0xfffe
	s_cbranch_vccz .LBB38_62
.LBB38_47:                              ;   in Loop: Header=BB38_32 Depth=1
	s_and_saveexec_b32 s7, s0
	s_cbranch_execz .LBB38_59
; %bb.48:                               ;   in Loop: Header=BB38_32 Depth=1
	global_load_u16 v4, v3, s[38:39]
	global_load_u16 v30, v[14:15], off
	v_mov_b32_e32 v6, v0
	s_mov_b32 s12, exec_lo
	s_wait_loadcnt 0x1
	v_and_b32_e32 v2, 0xffff, v4
	v_readfirstlane_b32 s6, v4
	s_delay_alu instid0(VALU_DEP_2) | instskip(NEXT) | instid1(VALU_DEP_1)
	v_add_nc_u32_e32 v2, v2, v0
	v_cmpx_gt_i64_e64 s[36:37], v[2:3]
	s_cbranch_execz .LBB38_58
; %bb.49:                               ;   in Loop: Header=BB38_32 Depth=1
	s_and_b32 s70, s6, 0xffff
	v_dual_mov_b32 v9, v1 :: v_dual_mov_b32 v8, v0
	s_wait_alu 0xfffe
	s_cmp_eq_u32 s70, 1
	v_dual_mov_b32 v5, v3 :: v_dual_mov_b32 v4, v2
	s_cselect_b32 s6, -1, 0
                                        ; implicit-def: $vgpr6_vgpr7
	s_wait_alu 0xfffe
	s_and_b32 s9, s4, s6
	s_mov_b32 s6, -1
	s_wait_alu 0xfffe
	s_and_saveexec_b32 s8, s9
	s_cbranch_execz .LBB38_53
; %bb.50:                               ;   in Loop: Header=BB38_32 Depth=1
	v_add_co_u32 v4, s6, v2, 1
	s_wait_alu 0xf1ff
	v_add_co_ci_u32_e64 v5, null, 0, 0, s6
	s_wait_loadcnt 0x0
	v_dual_mov_b32 v8, v18 :: v_dual_lshlrev_b32 v11, 16, v30
	v_dual_mov_b32 v9, v19 :: v_dual_mov_b32 v10, v35
	s_delay_alu instid0(VALU_DEP_3)
	v_mov_b32_e32 v7, v5
	v_dual_mov_b32 v6, v4 :: v_dual_mov_b32 v5, v3
	v_mov_b32_e32 v4, v2
	s_mov_b32 s9, 0
.LBB38_51:                              ;   Parent Loop BB38_32 Depth=1
                                        ; =>  This Inner Loop Header: Depth=2
	s_delay_alu instid0(VALU_DEP_2) | instskip(NEXT) | instid1(VALU_DEP_2)
	v_mul_lo_u32 v48, v5, s104
	v_mul_lo_u32 v49, v4, s58
	v_mad_co_u64_u32 v[30:31], null, v4, s104, 0
	v_mul_lo_u32 v50, v7, s42
	v_mul_lo_u32 v51, v6, s43
	v_mad_co_u64_u32 v[32:33], null, v6, s42, 0
	s_delay_alu instid0(VALU_DEP_4) | instskip(NEXT) | instid1(VALU_DEP_2)
	v_add3_u32 v31, v31, v49, v48
	v_add3_u32 v33, v33, v51, v50
	s_delay_alu instid0(VALU_DEP_2) | instskip(NEXT) | instid1(VALU_DEP_2)
	v_lshlrev_b64_e32 v[30:31], 1, v[30:31]
	v_lshlrev_b64_e32 v[32:33], 1, v[32:33]
	s_delay_alu instid0(VALU_DEP_2) | instskip(SKIP_1) | instid1(VALU_DEP_3)
	v_add_co_u32 v30, vcc_lo, s74, v30
	s_wait_alu 0xfffd
	v_add_co_ci_u32_e64 v31, null, s75, v31, vcc_lo
	s_delay_alu instid0(VALU_DEP_3)
	v_add_co_u32 v32, vcc_lo, s74, v32
	s_wait_alu 0xfffd
	v_add_co_ci_u32_e64 v33, null, s75, v33, vcc_lo
	s_clause 0x1
	global_load_u16 v31, v[30:31], off
	global_load_u16 v30, v[32:33], off
	v_add_co_u32 v8, vcc_lo, v8, -2
	s_wait_alu 0xfffd
	v_add_co_ci_u32_e64 v9, null, -1, v9, vcc_lo
	v_add_co_u32 v6, vcc_lo, v6, 2
	s_wait_alu 0xfffd
	v_add_co_ci_u32_e64 v7, null, 0, v7, vcc_lo
	s_delay_alu instid0(VALU_DEP_3) | instskip(SKIP_4) | instid1(VALU_DEP_3)
	v_cmp_eq_u64_e64 s6, 0, v[8:9]
	v_add_co_u32 v4, vcc_lo, v4, 2
	s_wait_alu 0xfffd
	v_add_co_ci_u32_e64 v5, null, 0, v5, vcc_lo
	s_wait_alu 0xfffe
	s_or_b32 s9, s6, s9
	s_wait_loadcnt 0x1
	v_alignbit_b32 v11, v31, v11, 16
	s_wait_loadcnt 0x0
	v_perm_b32 v31, v30, v31, 0x5040100
	ds_store_b32 v10, v11
	v_dual_mov_b32 v11, v31 :: v_dual_add_nc_u32 v10, 4, v10
	s_wait_alu 0xfffe
	s_and_not1_b32 exec_lo, exec_lo, s9
	s_cbranch_execnz .LBB38_51
; %bb.52:                               ;   in Loop: Header=BB38_32 Depth=1
	s_or_b32 exec_lo, exec_lo, s9
	v_add_co_u32 v4, vcc_lo, v2, v18
	s_wait_alu 0xfffd
	v_add_co_ci_u32_e64 v5, null, 0, v19, vcc_lo
	v_dual_mov_b32 v8, v20 :: v_dual_mov_b32 v9, v21
	s_delay_alu instid0(VALU_DEP_3)
	v_add_co_u32 v6, vcc_lo, v4, -1
	s_or_not1_b32 s6, s5, exec_lo
	s_wait_alu 0xfffd
	v_add_co_ci_u32_e64 v2, null, -1, v5, vcc_lo
.LBB38_53:                              ;   in Loop: Header=BB38_32 Depth=1
	s_wait_alu 0xfffe
	s_or_b32 exec_lo, exec_lo, s8
	s_and_saveexec_b32 s13, s6
	s_cbranch_execz .LBB38_57
; %bb.54:                               ;   in Loop: Header=BB38_32 Depth=1
	v_mad_co_u64_u32 v[10:11], null, s82, v4, s[80:81]
	v_mul_lo_u32 v2, s82, v5
	v_mul_lo_u32 v6, s83, v4
	s_sub_nc_u64 s[8:9], 0, s[70:71]
	s_mul_u64 s[10:11], s[82:83], s[70:71]
	s_mov_b32 s14, 0
	s_delay_alu instid0(VALU_DEP_1)
	v_add3_u32 v11, v6, v11, v2
.LBB38_55:                              ;   Parent Loop BB38_32 Depth=1
                                        ; =>  This Inner Loop Header: Depth=2
	global_load_u16 v2, v[10:11], off
	v_dual_mov_b32 v7, v5 :: v_dual_mov_b32 v6, v4
	v_lshlrev_b32_e32 v8, 1, v8
	s_wait_alu 0xfffe
	v_add_co_u32 v10, vcc_lo, v10, s10
	s_wait_alu 0xfffd
	v_add_co_ci_u32_e64 v11, null, s11, v11, vcc_lo
	v_add_co_u32 v4, s6, v6, s70
	s_wait_alu 0xf1ff
	v_add_co_ci_u32_e64 v5, null, 0, v7, s6
	s_wait_loadcnt 0x1
	ds_store_b16 v8, v30
	v_dual_mov_b32 v9, v7 :: v_dual_mov_b32 v8, v6
	v_cmp_le_i64_e32 vcc_lo, s[36:37], v[4:5]
	v_add_co_u32 v6, s6, s8, v4
	s_wait_alu 0xf1ff
	v_add_co_ci_u32_e64 v7, null, s9, v5, s6
	s_or_b32 s14, vcc_lo, s14
	s_wait_loadcnt 0x0
	v_mov_b32_e32 v30, v2
	s_wait_alu 0xfffe
	s_and_not1_b32 exec_lo, exec_lo, s14
	s_cbranch_execnz .LBB38_55
; %bb.56:                               ;   in Loop: Header=BB38_32 Depth=1
	s_or_b32 exec_lo, exec_lo, s14
	v_mov_b32_e32 v30, v2
.LBB38_57:                              ;   in Loop: Header=BB38_32 Depth=1
	s_wait_alu 0xfffe
	s_or_b32 exec_lo, exec_lo, s13
.LBB38_58:                              ;   in Loop: Header=BB38_32 Depth=1
	s_wait_alu 0xfffe
	s_or_b32 exec_lo, exec_lo, s12
	v_lshlrev_b32_e32 v2, 1, v6
	s_wait_loadcnt 0x0
	ds_store_b16 v2, v30
.LBB38_59:                              ;   in Loop: Header=BB38_32 Depth=1
	s_wait_alu 0xfffe
	s_or_b32 exec_lo, exec_lo, s7
	s_wait_loadcnt_dscnt 0x0
	s_barrier_signal -1
	s_barrier_wait -1
	global_inv scope:SCOPE_SE
	s_and_saveexec_b32 s6, s2
; %bb.60:                               ;   in Loop: Header=BB38_32 Depth=1
	v_dual_mov_b32 v4, s36 :: v_dual_mov_b32 v5, s37
	ds_store_b64 v3, v[4:5] offset:5120
; %bb.61:                               ;   in Loop: Header=BB38_32 Depth=1
	s_wait_alu 0xfffe
	s_or_b32 exec_lo, exec_lo, s6
	s_mov_b32 s6, -1
	s_wait_loadcnt_dscnt 0x0
	s_barrier_signal -1
	s_barrier_wait -1
.LBB38_62:                              ;   in Loop: Header=BB38_32 Depth=1
	s_wait_alu 0xfffe
	s_and_b32 vcc_lo, exec_lo, s6
	s_wait_alu 0xfffe
	s_cbranch_vccz .LBB38_64
; %bb.63:                               ;   in Loop: Header=BB38_32 Depth=1
	s_wait_loadcnt 0x0
	global_inv scope:SCOPE_SE
	ds_load_b64 v[4:5], v3 offset:5120
	s_wait_dscnt 0x0
	v_readfirstlane_b32 s86, v4
.LBB38_64:                              ;   in Loop: Header=BB38_32 Depth=1
	s_delay_alu instid0(VALU_DEP_1)
	s_cmp_lt_i32 s86, 1
	s_mov_b32 s6, -1
                                        ; implicit-def: $vgpr4_vgpr5
                                        ; implicit-def: $vgpr8_vgpr9
	s_cbranch_scc1 .LBB38_74
; %bb.65:                               ;   in Loop: Header=BB38_32 Depth=1
	s_wait_alu 0xfffe
	s_and_b32 vcc_lo, exec_lo, s6
	s_wait_alu 0xfffe
	s_cbranch_vccnz .LBB38_88
.LBB38_66:                              ;   in Loop: Header=BB38_32 Depth=1
	s_lshl_b32 s6, s67, 7
	s_and_saveexec_b32 s7, s1
	s_cbranch_execz .LBB38_68
.LBB38_67:                              ;   in Loop: Header=BB38_32 Depth=1
	s_wait_alu 0xfffe
	v_lshl_add_u32 v2, s6, 3, v38
	ds_store_b128 v2, v[4:7]
	ds_store_b128 v2, v[8:11] offset:16
.LBB38_68:                              ;   in Loop: Header=BB38_32 Depth=1
	s_wait_alu 0xfffe
	s_or_b32 exec_lo, exec_lo, s7
	s_wait_loadcnt_dscnt 0x0
	s_barrier_signal -1
	s_barrier_wait -1
	global_inv scope:SCOPE_SE
	s_and_saveexec_b32 s7, s33
	s_cbranch_execz .LBB38_105
; %bb.69:                               ;   in Loop: Header=BB38_32 Depth=1
	v_mov_b32_e32 v4, 0
	v_mov_b32_e32 v5, 0
	s_and_not1_b32 vcc_lo, exec_lo, s103
	s_wait_alu 0xfffe
	s_cbranch_vccnz .LBB38_104
; %bb.70:                               ;   in Loop: Header=BB38_32 Depth=1
	v_mov_b32_e32 v4, 0
	v_mov_b32_e32 v5, 0
	s_and_not1_b32 vcc_lo, exec_lo, vcc_hi
	s_wait_alu 0xfffe
	s_cbranch_vccnz .LBB38_101
; %bb.71:                               ;   in Loop: Header=BB38_32 Depth=1
	v_lshl_add_u32 v2, s67, 10, v44
	s_mov_b32 s8, 0
.LBB38_72:                              ;   Parent Loop BB38_32 Depth=1
                                        ; =>  This Inner Loop Header: Depth=2
	ds_load_2addr_b64 v[6:9], v2 offset1:4
	ds_load_2addr_b64 v[30:33], v2 offset0:8 offset1:12
	ds_load_2addr_b64 v[48:51], v2 offset0:16 offset1:20
	s_wait_alu 0xfffe
	s_add_co_i32 s8, s8, 8
	s_wait_alu 0xfffe
	s_cmp_eq_u32 s60, s8
	s_wait_dscnt 0x2
	v_add_co_u32 v4, vcc_lo, v6, v4
	s_wait_alu 0xfffd
	v_add_co_ci_u32_e64 v5, null, v7, v5, vcc_lo
	s_delay_alu instid0(VALU_DEP_2) | instskip(SKIP_1) | instid1(VALU_DEP_2)
	v_add_co_u32 v8, vcc_lo, v8, v4
	s_wait_alu 0xfffd
	v_add_co_ci_u32_e64 v9, null, v9, v5, vcc_lo
	ds_load_2addr_b64 v[4:7], v2 offset0:24 offset1:28
	s_wait_dscnt 0x2
	v_add_co_u32 v8, vcc_lo, v30, v8
	s_wait_alu 0xfffd
	v_add_co_ci_u32_e64 v9, null, v31, v9, vcc_lo
	v_add_nc_u32_e32 v2, 0x100, v2
	s_delay_alu instid0(VALU_DEP_3) | instskip(SKIP_1) | instid1(VALU_DEP_3)
	v_add_co_u32 v8, vcc_lo, v32, v8
	s_wait_alu 0xfffd
	v_add_co_ci_u32_e64 v9, null, v33, v9, vcc_lo
	s_wait_dscnt 0x1
	s_delay_alu instid0(VALU_DEP_2) | instskip(SKIP_1) | instid1(VALU_DEP_2)
	v_add_co_u32 v8, vcc_lo, v48, v8
	s_wait_alu 0xfffd
	v_add_co_ci_u32_e64 v9, null, v49, v9, vcc_lo
	s_delay_alu instid0(VALU_DEP_2) | instskip(SKIP_1) | instid1(VALU_DEP_2)
	v_add_co_u32 v8, vcc_lo, v50, v8
	s_wait_alu 0xfffd
	v_add_co_ci_u32_e64 v9, null, v51, v9, vcc_lo
	s_wait_dscnt 0x0
	s_delay_alu instid0(VALU_DEP_2) | instskip(SKIP_1) | instid1(VALU_DEP_2)
	v_add_co_u32 v4, vcc_lo, v4, v8
	s_wait_alu 0xfffd
	v_add_co_ci_u32_e64 v5, null, v5, v9, vcc_lo
	s_delay_alu instid0(VALU_DEP_2) | instskip(SKIP_1) | instid1(VALU_DEP_2)
	v_add_co_u32 v4, vcc_lo, v6, v4
	s_wait_alu 0xfffd
	v_add_co_ci_u32_e64 v5, null, v7, v5, vcc_lo
	s_cbranch_scc0 .LBB38_72
; %bb.73:                               ;   in Loop: Header=BB38_32 Depth=1
	s_mov_b32 s8, s60
	s_and_not1_b32 vcc_lo, exec_lo, s61
	s_wait_alu 0xfffe
	s_cbranch_vccz .LBB38_102
	s_branch .LBB38_104
.LBB38_74:                              ;   in Loop: Header=BB38_32 Depth=1
	global_load_u16 v2, v3, s[38:39]
	s_mov_b32 s7, s37
	s_wait_loadcnt 0x0
	v_readfirstlane_b32 s6, v2
	s_wait_alu 0xfffe
	s_and_b32 s8, 0xffff, s6
	s_mov_b32 s6, s71
	s_wait_alu 0xfffe
	s_lshl_b32 s88, s8, 2
	s_cmp_lg_u64 s[6:7], 0
	s_cbranch_scc0 .LBB38_97
; %bb.75:                               ;   in Loop: Header=BB38_32 Depth=1
	s_mov_b32 s89, s71
	s_wait_alu 0xfffe
	s_add_nc_u64 s[6:7], s[88:89], 0
	s_wait_alu 0xfffe
	s_xor_b64 s[6:7], s[6:7], 0
	s_wait_alu 0xfffe
	s_cvt_f32_u32 s8, s6
	s_cvt_f32_u32 s9, s7
	s_sub_nc_u64 s[10:11], 0, s[6:7]
	s_wait_alu 0xfffe
	s_delay_alu instid0(SALU_CYCLE_1) | instskip(SKIP_1) | instid1(SALU_CYCLE_2)
	s_fmamk_f32 s8, s9, 0x4f800000, s8
	s_wait_alu 0xfffe
	v_s_rcp_f32 s8, s8
	s_delay_alu instid0(TRANS32_DEP_1) | instskip(SKIP_1) | instid1(SALU_CYCLE_2)
	s_mul_f32 s8, s8, 0x5f7ffffc
	s_wait_alu 0xfffe
	s_mul_f32 s9, s8, 0x2f800000
	s_wait_alu 0xfffe
	s_delay_alu instid0(SALU_CYCLE_2) | instskip(SKIP_1) | instid1(SALU_CYCLE_2)
	s_trunc_f32 s9, s9
	s_wait_alu 0xfffe
	s_fmamk_f32 s8, s9, 0xcf800000, s8
	s_cvt_u32_f32 s9, s9
	s_wait_alu 0xfffe
	s_delay_alu instid0(SALU_CYCLE_1) | instskip(SKIP_1) | instid1(SALU_CYCLE_2)
	s_cvt_u32_f32 s8, s8
	s_wait_alu 0xfffe
	s_mul_u64 s[12:13], s[10:11], s[8:9]
	s_wait_alu 0xfffe
	s_mul_hi_u32 s15, s8, s13
	s_mul_i32 s14, s8, s13
	s_mul_hi_u32 s70, s8, s12
	s_mul_i32 s17, s9, s12
	s_wait_alu 0xfffe
	s_add_nc_u64 s[14:15], s[70:71], s[14:15]
	s_mul_hi_u32 s16, s9, s12
	s_mul_hi_u32 s18, s9, s13
	s_mul_i32 s12, s9, s13
	s_wait_alu 0xfffe
	s_add_co_u32 s13, s14, s17
	s_add_co_ci_u32 s70, s15, s16
	s_add_co_ci_u32 s13, s18, 0
	s_wait_alu 0xfffe
	s_add_nc_u64 s[12:13], s[70:71], s[12:13]
	s_wait_alu 0xfffe
	s_add_co_u32 s8, s8, s12
	s_cselect_b32 s12, -1, 0
	s_wait_alu 0xfffe
	s_cmp_lg_u32 s12, 0
	s_add_co_ci_u32 s9, s9, s13
	s_wait_alu 0xfffe
	s_mul_u64 s[10:11], s[10:11], s[8:9]
	s_wait_alu 0xfffe
	s_mul_hi_u32 s13, s8, s11
	s_mul_i32 s12, s8, s11
	s_mul_hi_u32 s70, s8, s10
	s_mul_i32 s15, s9, s10
	s_wait_alu 0xfffe
	s_add_nc_u64 s[12:13], s[70:71], s[12:13]
	s_mul_hi_u32 s14, s9, s10
	s_mul_hi_u32 s16, s9, s11
	s_mul_i32 s10, s9, s11
	s_wait_alu 0xfffe
	s_add_co_u32 s11, s12, s15
	s_add_co_ci_u32 s70, s13, s14
	s_add_co_ci_u32 s11, s16, 0
	s_wait_alu 0xfffe
	s_add_nc_u64 s[10:11], s[70:71], s[10:11]
	s_wait_alu 0xfffe
	s_add_co_u32 s14, s8, s10
	s_cselect_b32 s8, -1, 0
	s_wait_alu 0xfffe
	s_cmp_lg_u32 s8, 0
	s_add_co_ci_u32 s15, s9, s11
	s_ashr_i32 s8, s37, 31
	s_wait_alu 0xfffe
	s_mov_b32 s9, s8
	s_wait_alu 0xfffe
	s_add_nc_u64 s[10:11], s[36:37], s[8:9]
	s_wait_alu 0xfffe
	s_xor_b64 s[10:11], s[10:11], s[8:9]
	s_wait_alu 0xfffe
	s_mul_hi_u32 s13, s10, s15
	s_mul_i32 s12, s10, s15
	s_mul_hi_u32 s70, s10, s14
	s_mul_i32 s18, s11, s14
	s_wait_alu 0xfffe
	s_add_nc_u64 s[12:13], s[70:71], s[12:13]
	s_mul_hi_u32 s17, s11, s14
	s_mul_hi_u32 s16, s11, s15
	s_wait_alu 0xfffe
	s_add_co_u32 s12, s12, s18
	s_add_co_ci_u32 s70, s13, s17
	s_mul_i32 s14, s11, s15
	s_add_co_ci_u32 s15, s16, 0
	s_wait_alu 0xfffe
	s_add_nc_u64 s[12:13], s[70:71], s[14:15]
	s_wait_alu 0xfffe
	s_mul_u64 s[12:13], s[6:7], s[12:13]
	s_wait_alu 0xfffe
	s_sub_co_u32 s10, s10, s12
	s_cselect_b32 s12, -1, 0
	s_sub_co_i32 s14, s11, s13
	s_wait_alu 0xfffe
	s_cmp_lg_u32 s12, 0
	s_sub_co_ci_u32 s14, s14, s7
	s_sub_co_u32 s15, s10, s6
	s_cselect_b32 s16, -1, 0
	s_wait_alu 0xfffe
	s_cmp_lg_u32 s16, 0
	s_sub_co_ci_u32 s17, s14, 0
	s_wait_alu 0xfffe
	s_cmp_ge_u32 s17, s7
	s_cselect_b32 s18, -1, 0
	s_cmp_ge_u32 s15, s6
	s_cselect_b32 s19, -1, 0
	s_cmp_eq_u32 s17, s7
	s_wait_alu 0xfffe
	s_cselect_b32 s18, s19, s18
	s_cmp_lg_u32 s16, 0
	s_sub_co_ci_u32 s14, s14, s7
	s_sub_co_u32 s16, s15, s6
	s_cselect_b32 s19, -1, 0
	s_wait_alu 0xfffe
	s_cmp_lg_u32 s19, 0
	s_sub_co_ci_u32 s14, s14, 0
	s_cmp_lg_u32 s18, 0
	s_cselect_b32 s15, s16, s15
	s_wait_alu 0xfffe
	s_cselect_b32 s14, s14, s17
	s_cmp_lg_u32 s12, 0
	s_sub_co_ci_u32 s11, s11, s13
	s_wait_alu 0xfffe
	s_cmp_ge_u32 s11, s7
	s_cselect_b32 s12, -1, 0
	s_cmp_ge_u32 s10, s6
	s_cselect_b32 s6, -1, 0
	s_cmp_eq_u32 s11, s7
	s_wait_alu 0xfffe
	s_cselect_b32 s6, s6, s12
	s_wait_alu 0xfffe
	s_cmp_lg_u32 s6, 0
	s_cselect_b32 s7, s14, s11
	s_cselect_b32 s6, s15, s10
	s_wait_alu 0xfffe
	s_xor_b64 s[6:7], s[6:7], s[8:9]
	s_wait_alu 0xfffe
	s_sub_nc_u64 s[90:91], s[6:7], s[8:9]
	s_cbranch_execnz .LBB38_77
.LBB38_76:                              ;   in Loop: Header=BB38_32 Depth=1
	s_wait_alu 0xfffe
	v_cvt_f32_u32_e32 v4, s88
	s_sub_co_i32 s7, 0, s88
	s_delay_alu instid0(VALU_DEP_1) | instskip(NEXT) | instid1(TRANS32_DEP_1)
	v_rcp_iflag_f32_e32 v4, v4
	v_mul_f32_e32 v4, 0x4f7ffffe, v4
	s_delay_alu instid0(VALU_DEP_1) | instskip(NEXT) | instid1(VALU_DEP_1)
	v_cvt_u32_f32_e32 v4, v4
	v_readfirstlane_b32 s6, v4
	s_wait_alu 0xfffe
	s_mul_i32 s7, s7, s6
	s_wait_alu 0xfffe
	s_mul_hi_u32 s7, s6, s7
	s_wait_alu 0xfffe
	s_add_co_i32 s6, s6, s7
	s_wait_alu 0xfffe
	s_mul_hi_u32 s6, s36, s6
	s_wait_alu 0xfffe
	s_mul_i32 s6, s6, s88
	s_wait_alu 0xfffe
	s_sub_co_i32 s6, s36, s6
	s_wait_alu 0xfffe
	s_sub_co_i32 s7, s6, s88
	s_cmp_ge_u32 s6, s88
	s_wait_alu 0xfffe
	s_cselect_b32 s6, s7, s6
	s_wait_alu 0xfffe
	s_sub_co_i32 s7, s6, s88
	s_cmp_ge_u32 s6, s88
	s_wait_alu 0xfffe
	s_cselect_b32 s70, s7, s6
	s_wait_alu 0xfffe
	s_mov_b64 s[90:91], s[70:71]
.LBB38_77:                              ;   in Loop: Header=BB38_32 Depth=1
	v_mov_b32_e32 v4, 0
	v_dual_mov_b32 v8, 0 :: v_dual_mov_b32 v5, 0
	v_dual_mov_b32 v6, 0 :: v_dual_mov_b32 v9, 0
	;; [unrolled: 1-line block ×3, first 2 shown]
	v_dual_mov_b32 v11, 0 :: v_dual_and_b32 v2, 0xffff, v2
	s_wait_alu 0xfffe
	s_sub_nc_u64 s[92:93], s[36:37], s[90:91]
	s_mov_b32 s25, exec_lo
	s_wait_alu 0xfffe
	v_cmpx_gt_i64_e64 s[92:93], v[16:17]
	s_cbranch_execz .LBB38_81
; %bb.78:                               ;   in Loop: Header=BB38_32 Depth=1
	v_mul_lo_u32 v4, v2, s85
	v_mul_lo_u32 v5, 0, s84
	v_mul_hi_u32 v6, v2, s84
	v_mul_lo_u32 v48, v2, s84
	v_dual_mov_b32 v33, v17 :: v_dual_mov_b32 v32, v16
	s_mov_b64 s[94:95], 0
	s_mov_b32 s54, 0
	s_mov_b64 s[96:97], 0
	s_delay_alu instid0(VALU_DEP_4) | instskip(SKIP_3) | instid1(VALU_DEP_2)
	v_add_nc_u32_e32 v4, v4, v5
	v_dual_mov_b32 v30, s74 :: v_dual_mov_b32 v31, s75
	s_mov_b64 s[98:99], 0
	s_mov_b64 s[100:101], 0
	v_add_nc_u32_e32 v49, v4, v6
.LBB38_79:                              ;   Parent Loop BB38_32 Depth=1
                                        ; =>  This Inner Loop Header: Depth=2
	s_delay_alu instid0(VALU_DEP_2)
	v_add_co_u32 v4, vcc_lo, v30, v26
	s_wait_alu 0xfffd
	v_add_co_ci_u32_e64 v5, null, v31, v27, vcc_lo
	global_load_i16 v6, v[4:5], off
	v_add_co_u32 v4, vcc_lo, v30, v25
	s_wait_alu 0xfffd
	v_add_co_ci_u32_e64 v5, null, v31, v41, vcc_lo
	global_load_i16 v7, v[4:5], off
	;; [unrolled: 4-line block ×4, first 2 shown]
	s_wait_loadcnt 0x3
	v_add_nc_u32_e32 v5, 0x8000, v6
	s_delay_alu instid0(VALU_DEP_1) | instskip(SKIP_1) | instid1(VALU_DEP_2)
	v_and_b32_e32 v6, v5, v46
	v_bfe_u32 v5, v5, s65, 2
	v_cmp_eq_u32_e32 vcc_lo, v6, v40
	s_wait_loadcnt 0x2
	v_add_nc_u32_e32 v6, 0x8000, v7
	s_delay_alu instid0(VALU_DEP_3)
	v_cmp_eq_u32_e64 s9, 0, v5
	v_cmp_eq_u32_e64 s10, 1, v5
	;; [unrolled: 1-line block ×4, first 2 shown]
	v_and_b32_e32 v7, v6, v46
	v_bfe_u32 v5, v6, s65, 2
	s_and_b32 s9, vcc_lo, s9
	s_and_b32 s10, vcc_lo, s10
	s_and_b32 s11, vcc_lo, s11
	v_cmp_eq_u32_e64 s6, v7, v40
	s_wait_loadcnt 0x1
	v_add_nc_u32_e32 v7, 0x8000, v8
	v_cmp_eq_u32_e64 s13, 0, v5
	s_wait_loadcnt 0x0
	v_add_nc_u32_e32 v4, 0x8000, v4
	v_cmp_eq_u32_e64 s14, 1, v5
	v_cmp_eq_u32_e64 s15, 2, v5
	v_and_b32_e32 v8, v7, v46
	v_cmp_eq_u32_e64 s16, 3, v5
	v_bfe_u32 v5, v7, s65, 2
	s_and_b32 s13, s6, s13
	s_and_b32 s14, s6, s14
	v_cmp_eq_u32_e64 s7, v8, v40
	v_and_b32_e32 v8, v4, v46
	v_bfe_u32 v4, v4, s65, 2
	v_cmp_eq_u32_e64 s17, 0, v5
	v_cmp_eq_u32_e64 s18, 1, v5
	;; [unrolled: 1-line block ×8, first 2 shown]
	s_wait_alu 0xfffe
	v_cndmask_b32_e64 v4, 0, 1, s9
	s_and_b32 s17, s7, s17
	s_and_b32 s21, s8, s21
	;; [unrolled: 1-line block ×4, first 2 shown]
	v_cmp_ne_u32_e64 s9, 0, v4
	v_cndmask_b32_e64 v4, 0, 1, s13
	s_and_b32 s15, s6, s15
	s_and_b32 s19, s7, s19
	;; [unrolled: 1-line block ×3, first 2 shown]
	s_and_b32 s12, vcc_lo, s12
	v_cmp_ne_u32_e64 s13, 0, v4
	s_wait_alu 0xfffe
	v_cndmask_b32_e64 v4, 0, 1, s17
	v_cmp_eq_u32_e64 s20, 3, v5
	s_and_b32 s6, s6, s16
	s_and_b32 s8, s8, s24
	v_add_co_u32 v30, s16, v30, v48
	v_cmp_ne_u32_e64 s17, 0, v4
	v_cndmask_b32_e64 v4, 0, 1, s21
	s_and_b32 s7, s7, s20
	s_bcnt1_i32_b32 s9, s9
	s_bcnt1_i32_b32 s13, s13
	v_add_co_ci_u32_e64 v31, null, v31, v49, s16
	v_cmp_ne_u32_e64 s21, 0, v4
	v_cndmask_b32_e64 v4, 0, 1, s10
	s_bcnt1_i32_b32 s16, s17
	s_wait_alu 0xfffe
	s_add_co_i32 s9, s13, s9
	s_bcnt1_i32_b32 s17, s21
	v_cmp_ne_u32_e64 s10, 0, v4
	v_cndmask_b32_e64 v4, 0, 1, s14
	s_wait_alu 0xfffe
	s_add_co_i32 s9, s9, s16
	s_wait_alu 0xfffe
	s_add_co_i32 s70, s9, s17
	s_bcnt1_i32_b32 s10, s10
	v_cmp_ne_u32_e64 s14, 0, v4
	v_cndmask_b32_e64 v4, 0, 1, s18
	s_wait_alu 0xfffe
	s_add_nc_u64 s[100:101], s[100:101], s[70:71]
	s_bcnt1_i32_b32 s14, s14
	s_delay_alu instid0(VALU_DEP_1) | instskip(SKIP_4) | instid1(VALU_DEP_1)
	v_cmp_ne_u32_e64 s18, 0, v4
	v_cndmask_b32_e64 v4, 0, 1, s22
	s_wait_alu 0xfffe
	s_add_co_i32 s10, s14, s10
	s_bcnt1_i32_b32 s18, s18
	v_cmp_ne_u32_e64 s22, 0, v4
	v_cndmask_b32_e64 v4, 0, 1, s11
	s_wait_alu 0xfffe
	s_add_co_i32 s10, s10, s18
	s_bcnt1_i32_b32 s20, s22
	s_delay_alu instid0(VALU_DEP_1)
	v_cmp_ne_u32_e64 s11, 0, v4
	v_cndmask_b32_e64 v4, 0, 1, s15
	s_wait_alu 0xfffe
	s_add_co_i32 s70, s10, s20
	s_wait_alu 0xfffe
	s_add_nc_u64 s[98:99], s[98:99], s[70:71]
	s_bcnt1_i32_b32 s11, s11
	v_cmp_ne_u32_e64 s15, 0, v4
	v_cndmask_b32_e64 v4, 0, 1, s19
	s_wait_alu 0xfffe
	v_dual_mov_b32 v6, s98 :: v_dual_mov_b32 v7, s99
	s_bcnt1_i32_b32 s15, s15
	s_delay_alu instid0(VALU_DEP_2) | instskip(SKIP_4) | instid1(VALU_DEP_1)
	v_cmp_ne_u32_e64 s19, 0, v4
	v_cndmask_b32_e64 v4, 0, 1, s23
	s_wait_alu 0xfffe
	s_add_co_i32 s11, s15, s11
	s_bcnt1_i32_b32 s19, s19
	v_cmp_ne_u32_e64 s23, 0, v4
	v_cndmask_b32_e64 v4, 0, 1, s12
	v_add_co_u32 v32, s12, v32, s88
	s_wait_alu 0xfffe
	s_add_co_i32 s11, s11, s19
	s_bcnt1_i32_b32 s21, s23
	v_cmp_ne_u32_e32 vcc_lo, 0, v4
	v_cndmask_b32_e64 v4, 0, 1, s6
	v_add_co_ci_u32_e64 v33, null, 0, v33, s12
	s_wait_alu 0xfffe
	s_add_co_i32 s70, s11, s21
	s_bcnt1_i32_b32 s22, vcc_lo
	v_cmp_ne_u32_e64 s6, 0, v4
	v_cndmask_b32_e64 v4, 0, 1, s7
	s_wait_alu 0xfffe
	s_add_nc_u64 s[96:97], s[96:97], s[70:71]
	v_cmp_le_i64_e64 s12, s[92:93], v[32:33]
	s_wait_alu 0xfffe
	v_mov_b32_e32 v8, s96
	s_bcnt1_i32_b32 s6, s6
	v_cmp_ne_u32_e64 s7, 0, v4
	v_cndmask_b32_e64 v4, 0, 1, s8
	s_wait_alu 0xfffe
	s_add_co_i32 s6, s6, s22
	v_mov_b32_e32 v9, s97
	s_bcnt1_i32_b32 s7, s7
	v_cmp_ne_u32_e64 s8, 0, v4
	s_wait_alu 0xfffe
	s_add_co_i32 s6, s6, s7
	v_dual_mov_b32 v4, s100 :: v_dual_mov_b32 v5, s101
	s_bcnt1_i32_b32 s8, s8
	s_wait_alu 0xfffe
	s_add_co_i32 s70, s6, s8
	s_or_b32 s54, s12, s54
	s_wait_alu 0xfffe
	s_add_nc_u64 s[94:95], s[94:95], s[70:71]
	s_wait_alu 0xfffe
	v_dual_mov_b32 v10, s94 :: v_dual_mov_b32 v11, s95
	s_and_not1_b32 exec_lo, exec_lo, s54
	s_cbranch_execnz .LBB38_79
; %bb.80:                               ;   in Loop: Header=BB38_32 Depth=1
	s_or_b32 exec_lo, exec_lo, s54
.LBB38_81:                              ;   in Loop: Header=BB38_32 Depth=1
	s_wait_alu 0xfffe
	s_or_b32 exec_lo, exec_lo, s25
	v_add_co_u32 v30, s6, s92, v0
	s_wait_alu 0xf1ff
	v_add_co_ci_u32_e64 v31, null, s93, 0, s6
	s_mov_b32 s10, exec_lo
	v_cmpx_gt_i64_e64 s[36:37], v[30:31]
	s_cbranch_execz .LBB38_87
; %bb.82:                               ;   in Loop: Header=BB38_32 Depth=1
	v_mul_lo_u32 v48, v31, s42
	v_mul_lo_u32 v49, v30, s43
	v_mad_co_u64_u32 v[32:33], null, v30, s42, 0
	v_mul_hi_u32 v52, v2, s82
	s_mov_b32 s11, 0
	s_delay_alu instid0(VALU_DEP_2) | instskip(SKIP_1) | instid1(VALU_DEP_2)
	v_add3_u32 v33, v33, v49, v48
	v_mul_lo_u32 v48, v2, s83
	v_lshlrev_b64_e32 v[32:33], 1, v[32:33]
	s_delay_alu instid0(VALU_DEP_2) | instskip(SKIP_1) | instid1(VALU_DEP_3)
	v_add_nc_u32_e32 v53, v48, v45
	v_mul_lo_u32 v48, v2, s82
	v_add_co_u32 v32, vcc_lo, s74, v32
	s_wait_alu 0xfffd
	s_delay_alu instid0(VALU_DEP_4) | instskip(SKIP_4) | instid1(VALU_DEP_2)
	v_add_co_ci_u32_e64 v33, null, s75, v33, vcc_lo
	global_load_u16 v51, v[32:33], off
	v_add_co_u32 v32, vcc_lo, v42, v2
	s_wait_alu 0xfffd
	v_add_co_ci_u32_e64 v33, null, 0, v43, vcc_lo
	v_sub_co_u32 v32, vcc_lo, v32, s90
	s_wait_alu 0xfffd
	s_delay_alu instid0(VALU_DEP_2) | instskip(NEXT) | instid1(VALU_DEP_2)
	v_subrev_co_ci_u32_e64 v33, null, s91, v33, vcc_lo
	v_mul_lo_u32 v50, s83, v32
	s_delay_alu instid0(VALU_DEP_2) | instskip(SKIP_1) | instid1(VALU_DEP_1)
	v_mul_lo_u32 v49, s82, v33
	v_mad_co_u64_u32 v[32:33], null, s82, v32, s[80:81]
	v_add3_u32 v33, v50, v33, v49
	v_add_nc_u32_e32 v49, v53, v52
	s_branch .LBB38_84
.LBB38_83:                              ;   in Loop: Header=BB38_84 Depth=2
	s_wait_alu 0xfffe
	s_or_b32 exec_lo, exec_lo, s7
	s_wait_loadcnt 0x0
	v_bfe_i32 v51, v51, 0, 16
	s_and_b32 s8, exec_lo, vcc_lo
	s_wait_alu 0xfffe
	s_or_b32 s11, s8, s11
	s_delay_alu instid0(VALU_DEP_1) | instskip(NEXT) | instid1(VALU_DEP_1)
	v_add_nc_u32_e32 v51, 0x8000, v51
	v_and_b32_e32 v52, v51, v46
	v_bfe_u32 v51, v51, s65, 2
	s_delay_alu instid0(VALU_DEP_2) | instskip(NEXT) | instid1(VALU_DEP_2)
	v_cmp_eq_u32_e64 s6, v52, v40
	v_cmp_eq_u32_e64 s7, 0, v51
	v_cmp_eq_u32_e32 vcc_lo, 1, v51
	v_cmp_eq_u32_e64 s8, 2, v51
	s_and_b32 s7, s6, s7
	s_wait_alu 0xfffe
	v_cndmask_b32_e64 v52, 0, 1, s7
	s_and_b32 s7, s6, vcc_lo
	v_cmp_eq_u32_e32 vcc_lo, 3, v51
	s_wait_alu 0xfffe
	v_cndmask_b32_e64 v53, 0, 1, s7
	s_and_b32 s7, s6, s8
	s_wait_alu 0xfffe
	v_cndmask_b32_e64 v54, 0, 1, s7
	v_cmp_ne_u32_e64 s7, 0, v52
	v_cmp_ne_u32_e64 s8, 0, v53
	s_and_b32 s6, s6, vcc_lo
	s_wait_alu 0xfffe
	v_cndmask_b32_e64 v51, 0, 1, s6
	s_bcnt1_i32_b32 s6, s7
	v_cmp_ne_u32_e64 s9, 0, v54
	s_bcnt1_i32_b32 s7, s8
	s_wait_alu 0xfffe
	v_add_co_u32 v4, vcc_lo, v4, s6
	s_wait_alu 0xfffd
	v_add_co_ci_u32_e64 v5, null, 0, v5, vcc_lo
	v_add_co_u32 v6, vcc_lo, v6, s7
	s_wait_alu 0xfffd
	v_add_co_ci_u32_e64 v7, null, 0, v7, vcc_lo
	v_cmp_ne_u32_e32 vcc_lo, 0, v51
	s_bcnt1_i32_b32 s8, s9
	v_mov_b32_e32 v51, v50
	s_wait_alu 0xfffe
	v_add_co_u32 v8, s6, v8, s8
	s_wait_alu 0xf1ff
	v_add_co_ci_u32_e64 v9, null, 0, v9, s6
	s_bcnt1_i32_b32 s6, vcc_lo
	s_wait_alu 0xfffe
	v_add_co_u32 v10, vcc_lo, v10, s6
	s_wait_alu 0xfffd
	v_add_co_ci_u32_e64 v11, null, 0, v11, vcc_lo
	v_add_co_u32 v32, vcc_lo, v32, v48
	s_wait_alu 0xfffd
	v_add_co_ci_u32_e64 v33, null, v33, v49, vcc_lo
	s_and_not1_b32 exec_lo, exec_lo, s11
	s_cbranch_execz .LBB38_86
.LBB38_84:                              ;   Parent Loop BB38_32 Depth=1
                                        ; =>  This Inner Loop Header: Depth=2
	v_add_co_u32 v30, vcc_lo, v30, v2
	s_wait_alu 0xfffd
	v_add_co_ci_u32_e64 v31, null, 0, v31, vcc_lo
	v_mov_b32_e32 v50, 0
	s_mov_b32 s7, exec_lo
	s_delay_alu instid0(VALU_DEP_2)
	v_cmp_le_i64_e32 vcc_lo, s[36:37], v[30:31]
	v_cmpx_gt_i64_e64 s[36:37], v[30:31]
	s_cbranch_execz .LBB38_83
; %bb.85:                               ;   in Loop: Header=BB38_84 Depth=2
	global_load_u16 v50, v[32:33], off
	s_branch .LBB38_83
.LBB38_86:                              ;   in Loop: Header=BB38_32 Depth=1
	s_or_b32 exec_lo, exec_lo, s11
.LBB38_87:                              ;   in Loop: Header=BB38_32 Depth=1
	s_wait_alu 0xfffe
	s_or_b32 exec_lo, exec_lo, s10
	s_branch .LBB38_66
.LBB38_88:                              ;   in Loop: Header=BB38_32 Depth=1
	global_load_u16 v2, v3, s[38:39]
	v_mov_b32_e32 v6, 0
	v_mov_b32_e32 v8, 0
	v_dual_mov_b32 v10, 0 :: v_dual_mov_b32 v9, 0
	v_mov_b32_e32 v11, 0
	s_mov_b32 s96, exec_lo
	v_mov_b32_e32 v7, 0
	s_wait_loadcnt 0x0
	v_readfirstlane_b32 s6, v2
	v_and_b32_e32 v2, 0xffff, v2
	s_and_b32 s54, 0xffff, s6
	s_wait_alu 0xfffe
	s_lshl_b32 s87, s54, 2
	s_wait_alu 0xfffe
	s_cvt_f32_u32 s6, s87
	s_sub_co_i32 s7, 0, s87
	s_wait_alu 0xfffe
	s_delay_alu instid0(SALU_CYCLE_1) | instskip(NEXT) | instid1(TRANS32_DEP_1)
	v_rcp_iflag_f32_e32 v4, s6
	v_readfirstlane_b32 s6, v4
	s_mul_f32 s6, s6, 0x4f7ffffe
	s_wait_alu 0xfffe
	s_delay_alu instid0(SALU_CYCLE_2) | instskip(SKIP_1) | instid1(SALU_CYCLE_2)
	s_cvt_u32_f32 s6, s6
	s_wait_alu 0xfffe
	s_mul_i32 s7, s7, s6
	s_wait_alu 0xfffe
	s_mul_hi_u32 s7, s6, s7
	s_wait_alu 0xfffe
	s_add_co_i32 s6, s6, s7
	s_wait_alu 0xfffe
	s_mul_hi_u32 s6, s86, s6
	s_wait_alu 0xfffe
	s_mul_i32 s7, s6, s87
	s_add_co_i32 s8, s6, 1
	s_wait_alu 0xfffe
	s_sub_co_i32 s7, s86, s7
	s_wait_alu 0xfffe
	s_sub_co_i32 s9, s7, s87
	s_cmp_ge_u32 s7, s87
	s_cselect_b32 s6, s8, s6
	s_wait_alu 0xfffe
	s_cselect_b32 s7, s9, s7
	s_add_co_i32 s8, s6, 1
	s_wait_alu 0xfffe
	s_cmp_ge_u32 s7, s87
	s_cselect_b32 s55, s8, s6
	s_wait_alu 0xfffe
	v_mul_hi_u32 v5, s55, v2
	v_mul_lo_u32 v4, s55, v2
	s_delay_alu instid0(VALU_DEP_1) | instskip(SKIP_2) | instid1(VALU_DEP_3)
	v_lshlrev_b64_e32 v[30:31], 2, v[4:5]
	v_mov_b32_e32 v4, 0
	v_mov_b32_e32 v5, 0
	v_cmpx_gt_u64_e64 v[30:31], v[16:17]
	s_cbranch_execz .LBB38_92
; %bb.89:                               ;   in Loop: Header=BB38_32 Depth=1
	v_dual_mov_b32 v48, v39 :: v_dual_mov_b32 v33, v17
	v_mov_b32_e32 v32, v16
	s_lshl_b32 s97, s54, 3
	s_mov_b64 s[88:89], 0
	s_mov_b32 s98, 0
	s_mov_b64 s[90:91], 0
	s_mov_b64 s[92:93], 0
	;; [unrolled: 1-line block ×3, first 2 shown]
.LBB38_90:                              ;   Parent Loop BB38_32 Depth=1
                                        ; =>  This Inner Loop Header: Depth=2
	ds_load_b64 v[4:5], v48
	v_add_co_u32 v32, vcc_lo, v32, s87
	s_wait_alu 0xfffd
	v_add_co_ci_u32_e64 v33, null, 0, v33, vcc_lo
	s_delay_alu instid0(VALU_DEP_1)
	v_cmp_ge_u64_e32 vcc_lo, v[32:33], v[30:31]
	s_wait_dscnt 0x0
	v_bfe_i32 v6, v4, 0, 16
	v_ashrrev_i32_e32 v4, 16, v4
	v_bfe_i32 v7, v5, 0, 16
	v_ashrrev_i32_e32 v5, 16, v5
	s_delay_alu instid0(VALU_DEP_4) | instskip(NEXT) | instid1(VALU_DEP_4)
	v_add_nc_u32_e32 v6, 0x8000, v6
	v_add_nc_u32_e32 v4, 0x8000, v4
	s_delay_alu instid0(VALU_DEP_4) | instskip(NEXT) | instid1(VALU_DEP_4)
	v_add_nc_u32_e32 v7, 0x8000, v7
	v_add_nc_u32_e32 v5, 0x8000, v5
	s_delay_alu instid0(VALU_DEP_4) | instskip(NEXT) | instid1(VALU_DEP_4)
	v_and_b32_e32 v8, v6, v46
	v_and_b32_e32 v9, v4, v46
	v_bfe_u32 v6, v6, s65, 2
	v_bfe_u32 v4, v4, s65, 2
	s_delay_alu instid0(VALU_DEP_4)
	v_cmp_eq_u32_e64 s6, v8, v40
	v_and_b32_e32 v8, v7, v46
	v_bfe_u32 v7, v7, s65, 2
	v_cmp_eq_u32_e64 s7, v9, v40
	v_and_b32_e32 v9, v5, v46
	v_bfe_u32 v5, v5, s65, 2
	v_cmp_eq_u32_e64 s10, 0, v6
	v_cmp_eq_u32_e64 s11, 0, v4
	;; [unrolled: 1-line block ×9, first 2 shown]
	s_and_b32 s10, s6, s10
	s_and_b32 s11, s7, s11
	v_cmp_eq_u32_e64 s15, 1, v4
	v_cmp_eq_u32_e64 s18, 2, v6
	;; [unrolled: 1-line block ×7, first 2 shown]
	s_and_b32 s12, s8, s12
	s_wait_alu 0xfffe
	v_cndmask_b32_e64 v4, 0, 1, s10
	v_cndmask_b32_e64 v5, 0, 1, s11
	s_and_b32 s13, s9, s13
	v_cmp_eq_u32_e64 s20, 2, v7
	v_cmp_eq_u32_e64 s24, 3, v7
	v_cndmask_b32_e64 v6, 0, 1, s12
	s_and_b32 s14, s6, s14
	s_and_b32 s16, s8, s16
	;; [unrolled: 1-line block ×3, first 2 shown]
	s_wait_alu 0xfffe
	v_cndmask_b32_e64 v7, 0, 1, s13
	s_and_b32 s15, s7, s15
	s_and_b32 s18, s6, s18
	;; [unrolled: 1-line block ×5, first 2 shown]
	v_cndmask_b32_e64 v8, 0, 1, s14
	v_cmp_ne_u32_e64 s6, 0, v4
	v_cndmask_b32_e64 v4, 0, 1, s16
	v_cmp_ne_u32_e64 s7, 0, v5
	v_cndmask_b32_e64 v5, 0, 1, s17
	s_wait_alu 0xfffe
	v_cndmask_b32_e64 v9, 0, 1, s15
	s_and_b32 s20, s8, s20
	s_and_b32 s24, s8, s24
	v_cmp_ne_u32_e64 s8, 0, v6
	v_cndmask_b32_e64 v6, 0, 1, s18
	s_and_b32 s21, s9, s21
	s_and_b32 s25, s9, s25
	v_cmp_ne_u32_e64 s9, 0, v7
	v_cndmask_b32_e64 v7, 0, 1, s19
	v_cmp_ne_u32_e64 s10, 0, v8
	s_wait_alu 0xfffe
	v_cndmask_b32_e64 v8, 0, 1, s20
	v_cmp_ne_u32_e64 s12, 0, v4
	v_cndmask_b32_e64 v4, 0, 1, s22
	v_cmp_ne_u32_e64 s13, 0, v5
	;; [unrolled: 2-line block ×5, first 2 shown]
	v_cndmask_b32_e64 v7, 0, 1, s25
	s_bcnt1_i32_b32 s6, s6
	s_bcnt1_i32_b32 s7, s7
	v_cmp_ne_u32_e64 s16, 0, v8
	v_cmp_ne_u32_e64 s18, 0, v4
	;; [unrolled: 1-line block ×3, first 2 shown]
	s_bcnt1_i32_b32 s8, s8
	s_bcnt1_i32_b32 s10, s10
	;; [unrolled: 1-line block ×3, first 2 shown]
	s_wait_alu 0xfffe
	s_add_co_i32 s6, s7, s6
	v_cmp_ne_u32_e64 s17, 0, v9
	v_cmp_ne_u32_e64 s20, 0, v6
	s_bcnt1_i32_b32 s9, s9
	s_bcnt1_i32_b32 s12, s12
	;; [unrolled: 1-line block ×4, first 2 shown]
	s_add_co_i32 s7, s11, s10
	s_wait_alu 0xfffe
	s_add_co_i32 s6, s6, s8
	v_cmp_ne_u32_e64 s21, 0, v7
	s_bcnt1_i32_b32 s13, s13
	s_bcnt1_i32_b32 s16, s16
	;; [unrolled: 1-line block ×4, first 2 shown]
	s_add_co_i32 s10, s15, s14
	s_add_co_i32 s7, s7, s12
	s_wait_alu 0xfffe
	s_add_co_i32 s70, s6, s9
	s_bcnt1_i32_b32 s17, s17
	s_bcnt1_i32_b32 s20, s20
	s_add_co_i32 s11, s19, s18
	s_add_co_i32 s8, s10, s16
	s_wait_alu 0xfffe
	s_add_nc_u64 s[94:95], s[94:95], s[70:71]
	s_add_co_i32 s70, s7, s13
	s_bcnt1_i32_b32 s21, s21
	s_add_co_i32 s10, s11, s20
	s_wait_alu 0xfffe
	s_add_nc_u64 s[92:93], s[92:93], s[70:71]
	s_add_co_i32 s70, s8, s17
	v_mov_b32_e32 v4, s94
	s_wait_alu 0xfffe
	s_add_nc_u64 s[90:91], s[90:91], s[70:71]
	s_add_co_i32 s70, s10, s21
	v_mov_b32_e32 v6, s92
	s_wait_alu 0xfffe
	s_add_nc_u64 s[88:89], s[88:89], s[70:71]
	v_mov_b32_e32 v8, s90
	s_wait_alu 0xfffe
	v_mov_b32_e32 v10, s88
	v_dual_mov_b32 v5, s95 :: v_dual_add_nc_u32 v48, s97, v48
	v_mov_b32_e32 v7, s93
	v_mov_b32_e32 v9, s91
	;; [unrolled: 1-line block ×3, first 2 shown]
	s_or_b32 s98, vcc_lo, s98
	s_wait_alu 0xfffe
	s_and_not1_b32 exec_lo, exec_lo, s98
	s_cbranch_execnz .LBB38_90
; %bb.91:                               ;   in Loop: Header=BB38_32 Depth=1
	s_or_b32 exec_lo, exec_lo, s98
.LBB38_92:                              ;   in Loop: Header=BB38_32 Depth=1
	s_delay_alu instid0(SALU_CYCLE_1)
	s_or_b32 exec_lo, exec_lo, s96
	v_add_co_u32 v30, vcc_lo, v30, v0
	s_wait_alu 0xfffd
	v_add_co_ci_u32_e64 v31, null, 0, v31, vcc_lo
	s_and_b32 s70, s86, 0x7fffffff
	s_mov_b32 s11, exec_lo
	s_wait_alu 0xfffe
	v_cmpx_gt_u64_e64 s[70:71], v[30:31]
	s_cbranch_execz .LBB38_96
; %bb.93:                               ;   in Loop: Header=BB38_32 Depth=1
	s_mul_i32 s55, s55, s54
	s_lshl_b32 s13, s54, 1
	s_wait_alu 0xfffe
	v_lshl_add_u32 v32, s55, 3, v35
	s_mov_b32 s12, 0
.LBB38_94:                              ;   Parent Loop BB38_32 Depth=1
                                        ; =>  This Inner Loop Header: Depth=2
	ds_load_i16 v33, v32
	v_add_co_u32 v30, vcc_lo, v30, v2
	s_wait_alu 0xfffd
	v_add_co_ci_u32_e64 v31, null, 0, v31, vcc_lo
	v_add_nc_u32_e32 v32, s13, v32
	s_delay_alu instid0(VALU_DEP_2) | instskip(SKIP_2) | instid1(VALU_DEP_1)
	v_cmp_le_u64_e32 vcc_lo, s[70:71], v[30:31]
	s_wait_dscnt 0x0
	v_add_nc_u32_e32 v33, 0x8000, v33
	v_and_b32_e32 v48, v33, v46
	v_bfe_u32 v33, v33, s65, 2
	s_delay_alu instid0(VALU_DEP_2) | instskip(NEXT) | instid1(VALU_DEP_2)
	v_cmp_eq_u32_e64 s6, v48, v40
	v_cmp_eq_u32_e64 s7, 0, v33
	;; [unrolled: 1-line block ×5, first 2 shown]
	s_and_b32 s7, s6, s7
	s_wait_alu 0xfffe
	v_cndmask_b32_e64 v33, 0, 1, s7
	s_and_b32 s7, s6, s8
	s_wait_alu 0xfffe
	v_cndmask_b32_e64 v48, 0, 1, s7
	s_and_b32 s7, s6, s9
	s_and_b32 s6, s6, s10
	s_wait_alu 0xfffe
	v_cndmask_b32_e64 v49, 0, 1, s7
	v_cndmask_b32_e64 v50, 0, 1, s6
	v_cmp_ne_u32_e64 s6, 0, v33
	v_cmp_ne_u32_e64 s7, 0, v48
	s_delay_alu instid0(VALU_DEP_4) | instskip(NEXT) | instid1(VALU_DEP_4)
	v_cmp_ne_u32_e64 s8, 0, v49
	v_cmp_ne_u32_e64 s9, 0, v50
	s_bcnt1_i32_b32 s6, s6
	s_bcnt1_i32_b32 s7, s7
	s_wait_alu 0xfffe
	v_add_co_u32 v4, s6, v4, s6
	s_bcnt1_i32_b32 s8, s8
	v_add_co_ci_u32_e64 v5, null, 0, v5, s6
	v_add_co_u32 v6, s6, v6, s7
	s_bcnt1_i32_b32 s9, s9
	v_add_co_ci_u32_e64 v7, null, 0, v7, s6
	s_wait_alu 0xfffe
	v_add_co_u32 v8, s6, v8, s8
	s_wait_alu 0xf1ff
	v_add_co_ci_u32_e64 v9, null, 0, v9, s6
	v_add_co_u32 v10, s6, v10, s9
	s_wait_alu 0xf1ff
	v_add_co_ci_u32_e64 v11, null, 0, v11, s6
	s_or_b32 s12, vcc_lo, s12
	s_wait_alu 0xfffe
	s_and_not1_b32 exec_lo, exec_lo, s12
	s_cbranch_execnz .LBB38_94
; %bb.95:                               ;   in Loop: Header=BB38_32 Depth=1
	s_or_b32 exec_lo, exec_lo, s12
.LBB38_96:                              ;   in Loop: Header=BB38_32 Depth=1
	s_delay_alu instid0(SALU_CYCLE_1)
	s_or_b32 exec_lo, exec_lo, s11
	s_lshl_b32 s6, s67, 7
	s_and_saveexec_b32 s7, s1
	s_cbranch_execnz .LBB38_67
	s_branch .LBB38_68
.LBB38_97:                              ;   in Loop: Header=BB38_32 Depth=1
                                        ; implicit-def: $sgpr90_sgpr91
	s_branch .LBB38_76
.LBB38_98:                              ;   in Loop: Header=BB38_32 Depth=1
	s_or_b32 exec_lo, exec_lo, s9
	s_wait_dscnt 0x0
	s_barrier_signal -1
	s_barrier_wait -1
	global_inv scope:SCOPE_SE
	s_and_saveexec_b32 s6, s2
	s_cbranch_execz .LBB38_100
; %bb.99:                               ;   in Loop: Header=BB38_32 Depth=1
	ds_load_b32 v4, v3 offset:5136
	s_wait_dscnt 0x0
	v_ashrrev_i32_e32 v5, 31, v4
	ds_store_b64 v3, v[4:5] offset:5120
.LBB38_100:                             ;   in Loop: Header=BB38_32 Depth=1
	s_wait_alu 0xfffe
	s_or_b32 exec_lo, exec_lo, s6
	s_wait_loadcnt_dscnt 0x0
	s_barrier_signal -1
	s_mov_b32 s6, -1
	s_barrier_wait -1
	s_and_b32 vcc_lo, exec_lo, s8
	s_wait_alu 0xfffe
	s_cbranch_vccnz .LBB38_47
	s_branch .LBB38_62
.LBB38_101:                             ;   in Loop: Header=BB38_32 Depth=1
	s_mov_b32 s8, 0
	s_and_not1_b32 vcc_lo, exec_lo, s61
	s_wait_alu 0xfffe
	s_cbranch_vccnz .LBB38_104
.LBB38_102:                             ;   in Loop: Header=BB38_32 Depth=1
	s_lshl_b32 s9, s67, 10
	s_lshl_b32 s8, s8, 5
	s_wait_alu 0xfffe
	v_add3_u32 v2, s9, s8, v44
	s_mov_b32 s8, s59
.LBB38_103:                             ;   Parent Loop BB38_32 Depth=1
                                        ; =>  This Inner Loop Header: Depth=2
	ds_load_b64 v[6:7], v2
	v_add_nc_u32_e32 v2, 32, v2
	s_wait_alu 0xfffe
	s_add_co_i32 s8, s8, -1
	s_wait_alu 0xfffe
	s_cmp_lg_u32 s8, 0
	s_wait_dscnt 0x0
	v_add_co_u32 v4, vcc_lo, v6, v4
	s_wait_alu 0xfffd
	v_add_co_ci_u32_e64 v5, null, v7, v5, vcc_lo
	s_cbranch_scc1 .LBB38_103
.LBB38_104:                             ;   in Loop: Header=BB38_32 Depth=1
	v_add_lshl_u32 v2, s6, v34, 3
	ds_store_b64 v2, v[4:5] offset:3072
.LBB38_105:                             ;   in Loop: Header=BB38_32 Depth=1
	s_wait_alu 0xfffe
	s_or_b32 exec_lo, exec_lo, s7
	s_lshl_b32 s6, s6, 3
	s_wait_loadcnt_dscnt 0x0
	s_wait_alu 0xfffe
	v_mov_b32_e32 v2, s6
	s_barrier_signal -1
	s_barrier_wait -1
	global_inv scope:SCOPE_SE
	v_cmp_eq_u64_e32 vcc_lo, 1, v[28:29]
	ds_load_b128 v[4:7], v2 offset:3072
	ds_load_b128 v[8:11], v2 offset:3088
	s_lshl_b32 s16, 3, s65
	s_mov_b32 s18, -1
	s_wait_alu 0xfffe
	s_not_b32 s20, s16
                                        ; implicit-def: $sgpr22
                                        ; implicit-def: $sgpr21
	s_wait_dscnt 0x1
	v_cmp_eq_u64_e64 s6, 1, v[4:5]
	s_wait_dscnt 0x0
	v_readfirstlane_b32 s10, v8
	v_readfirstlane_b32 s11, v9
	;; [unrolled: 1-line block ×4, first 2 shown]
	s_and_b32 s19, s6, vcc_lo
	s_mov_b32 s6, -1
	s_wait_alu 0xfffe
	s_and_saveexec_b32 s17, s19
	s_cbranch_execz .LBB38_137
; %bb.106:                              ;   in Loop: Header=BB38_32 Depth=1
	ds_load_b64 v[8:9], v3 offset:5120
	s_wait_loadcnt_dscnt 0x0
	s_barrier_signal -1
	s_barrier_wait -1
	global_inv scope:SCOPE_SE
	v_readfirstlane_b32 s12, v8
	v_readfirstlane_b32 s13, v9
	s_and_saveexec_b32 s6, s3
; %bb.107:                              ;   in Loop: Header=BB38_32 Depth=1
	ds_store_b16 v36, v3
; %bb.108:                              ;   in Loop: Header=BB38_32 Depth=1
	s_wait_alu 0xfffe
	s_or_b32 exec_lo, exec_lo, s6
	v_cmp_lt_i64_e64 s6, s[12:13], 1
	v_and_b32_e32 v40, s20, v40
	v_or_b32_e32 v46, s16, v46
	s_mov_b32 s21, -1
	s_mov_b32 s22, 0
	s_mov_b32 s23, 0
	s_and_b32 vcc_lo, exec_lo, s6
	s_mov_b32 s7, -1
	s_wait_loadcnt_dscnt 0x0
	s_barrier_signal -1
	s_barrier_wait -1
	global_inv scope:SCOPE_SE
                                        ; implicit-def: $vgpr47
	s_wait_alu 0xfffe
	s_cbranch_vccz .LBB38_122
; %bb.109:                              ;   in Loop: Header=BB38_32 Depth=1
	s_mov_b32 s6, s71
	s_mov_b32 s7, s79
	s_wait_alu 0xfffe
	s_cmp_lg_u64 s[6:7], 0
	s_cbranch_scc0 .LBB38_163
; %bb.110:                              ;   in Loop: Header=BB38_32 Depth=1
	s_add_nc_u64 s[6:7], s[68:69], 0
	s_wait_alu 0xfffe
	s_xor_b64 s[6:7], s[6:7], 0
	s_wait_alu 0xfffe
	s_cvt_f32_u32 s14, s6
	s_cvt_f32_u32 s15, s7
	s_sub_nc_u64 s[24:25], 0, s[6:7]
	s_wait_alu 0xfffe
	s_delay_alu instid0(SALU_CYCLE_1) | instskip(SKIP_1) | instid1(SALU_CYCLE_2)
	s_fmamk_f32 s14, s15, 0x4f800000, s14
	s_wait_alu 0xfffe
	v_s_rcp_f32 s14, s14
	s_delay_alu instid0(TRANS32_DEP_1) | instskip(SKIP_1) | instid1(SALU_CYCLE_2)
	s_mul_f32 s14, s14, 0x5f7ffffc
	s_wait_alu 0xfffe
	s_mul_f32 s15, s14, 0x2f800000
	s_wait_alu 0xfffe
	s_delay_alu instid0(SALU_CYCLE_2) | instskip(SKIP_1) | instid1(SALU_CYCLE_2)
	s_trunc_f32 s15, s15
	s_wait_alu 0xfffe
	s_fmamk_f32 s14, s15, 0xcf800000, s14
	s_cvt_u32_f32 s15, s15
	s_wait_alu 0xfffe
	s_delay_alu instid0(SALU_CYCLE_1) | instskip(SKIP_1) | instid1(SALU_CYCLE_2)
	s_cvt_u32_f32 s14, s14
	s_wait_alu 0xfffe
	s_mul_u64 s[54:55], s[24:25], s[14:15]
	s_wait_alu 0xfffe
	s_mul_hi_u32 s87, s14, s55
	s_mul_i32 s86, s14, s55
	s_mul_hi_u32 s70, s14, s54
	s_mul_i32 s88, s15, s54
	s_wait_alu 0xfffe
	s_add_nc_u64 s[86:87], s[70:71], s[86:87]
	s_mul_hi_u32 s23, s15, s54
	s_mul_hi_u32 s89, s15, s55
	s_mul_i32 s54, s15, s55
	s_wait_alu 0xfffe
	s_add_co_u32 s55, s86, s88
	s_add_co_ci_u32 s70, s87, s23
	s_add_co_ci_u32 s55, s89, 0
	s_wait_alu 0xfffe
	s_add_nc_u64 s[54:55], s[70:71], s[54:55]
	s_wait_alu 0xfffe
	s_add_co_u32 s14, s14, s54
	s_cselect_b32 s23, -1, 0
	s_wait_alu 0xfffe
	s_cmp_lg_u32 s23, 0
	s_add_co_ci_u32 s15, s15, s55
	s_wait_alu 0xfffe
	s_mul_u64 s[24:25], s[24:25], s[14:15]
	s_wait_alu 0xfffe
	s_mul_hi_u32 s55, s14, s25
	s_mul_i32 s54, s14, s25
	s_mul_hi_u32 s70, s14, s24
	s_mul_i32 s86, s15, s24
	s_wait_alu 0xfffe
	s_add_nc_u64 s[54:55], s[70:71], s[54:55]
	s_mul_hi_u32 s23, s15, s24
	s_mul_hi_u32 s87, s15, s25
	s_mul_i32 s24, s15, s25
	s_wait_alu 0xfffe
	s_add_co_u32 s25, s54, s86
	s_add_co_ci_u32 s70, s55, s23
	s_add_co_ci_u32 s25, s87, 0
	s_wait_alu 0xfffe
	s_add_nc_u64 s[24:25], s[70:71], s[24:25]
	s_wait_alu 0xfffe
	s_add_co_u32 s23, s14, s24
	s_cselect_b32 s14, -1, 0
	s_wait_alu 0xfffe
	s_cmp_lg_u32 s14, 0
	s_add_co_ci_u32 s86, s15, s25
	s_ashr_i32 s14, s79, 31
	s_wait_alu 0xfffe
	s_mov_b32 s15, s14
	s_wait_alu 0xfffe
	s_add_nc_u64 s[24:25], s[78:79], s[14:15]
	s_wait_alu 0xfffe
	s_xor_b64 s[24:25], s[24:25], s[14:15]
	s_wait_alu 0xfffe
	s_mul_hi_u32 s55, s24, s86
	s_mul_i32 s54, s24, s86
	s_mul_hi_u32 s70, s24, s23
	s_mul_hi_u32 s88, s25, s23
	s_mul_i32 s23, s25, s23
	s_wait_alu 0xfffe
	s_add_nc_u64 s[54:55], s[70:71], s[54:55]
	s_mul_hi_u32 s87, s25, s86
	s_wait_alu 0xfffe
	s_add_co_u32 s23, s54, s23
	s_add_co_ci_u32 s70, s55, s88
	s_mul_i32 s86, s25, s86
	s_add_co_ci_u32 s87, s87, 0
	s_wait_alu 0xfffe
	s_add_nc_u64 s[54:55], s[70:71], s[86:87]
	s_wait_alu 0xfffe
	s_mul_u64 s[54:55], s[6:7], s[54:55]
	s_wait_alu 0xfffe
	s_sub_co_u32 s23, s24, s54
	s_cselect_b32 s24, -1, 0
	s_sub_co_i32 s54, s25, s55
	s_wait_alu 0xfffe
	s_cmp_lg_u32 s24, 0
	s_sub_co_ci_u32 s54, s54, s7
	s_sub_co_u32 s70, s23, s6
	s_cselect_b32 s86, -1, 0
	s_wait_alu 0xfffe
	s_cmp_lg_u32 s86, 0
	s_sub_co_ci_u32 s87, s54, 0
	s_wait_alu 0xfffe
	s_cmp_ge_u32 s87, s7
	s_cselect_b32 s88, -1, 0
	s_cmp_ge_u32 s70, s6
	s_cselect_b32 s89, -1, 0
	s_cmp_eq_u32 s87, s7
	s_wait_alu 0xfffe
	s_cselect_b32 s88, s89, s88
	s_cmp_lg_u32 s86, 0
	s_sub_co_ci_u32 s54, s54, s7
	s_sub_co_u32 s86, s70, s6
	s_cselect_b32 s89, -1, 0
	s_wait_alu 0xfffe
	s_cmp_lg_u32 s89, 0
	s_sub_co_ci_u32 s54, s54, 0
	s_cmp_lg_u32 s88, 0
	s_cselect_b32 s70, s86, s70
	s_wait_alu 0xfffe
	s_cselect_b32 s54, s54, s87
	s_cmp_lg_u32 s24, 0
	s_sub_co_ci_u32 s24, s25, s55
	s_wait_alu 0xfffe
	s_cmp_ge_u32 s24, s7
	s_cselect_b32 s25, -1, 0
	s_cmp_ge_u32 s23, s6
	s_cselect_b32 s6, -1, 0
	s_cmp_eq_u32 s24, s7
	s_wait_alu 0xfffe
	s_cselect_b32 s6, s6, s25
	s_wait_alu 0xfffe
	s_cmp_lg_u32 s6, 0
	s_cselect_b32 s7, s54, s24
	s_cselect_b32 s6, s70, s23
	s_wait_alu 0xfffe
	s_xor_b64 s[6:7], s[6:7], s[14:15]
	s_wait_alu 0xfffe
	s_sub_nc_u64 s[6:7], s[6:7], s[14:15]
	s_cbranch_execnz .LBB38_112
.LBB38_111:                             ;   in Loop: Header=BB38_32 Depth=1
	v_cvt_f32_u32_e32 v2, s68
	s_sub_co_i32 s7, 0, s68
	s_delay_alu instid0(VALU_DEP_1) | instskip(NEXT) | instid1(TRANS32_DEP_1)
	v_rcp_iflag_f32_e32 v2, v2
	v_mul_f32_e32 v2, 0x4f7ffffe, v2
	s_delay_alu instid0(VALU_DEP_1) | instskip(NEXT) | instid1(VALU_DEP_1)
	v_cvt_u32_f32_e32 v2, v2
	v_readfirstlane_b32 s6, v2
	s_wait_alu 0xfffe
	s_mul_i32 s7, s7, s6
	s_wait_alu 0xfffe
	s_mul_hi_u32 s7, s6, s7
	s_wait_alu 0xfffe
	s_add_co_i32 s6, s6, s7
	s_wait_alu 0xfffe
	s_mul_hi_u32 s6, s78, s6
	s_wait_alu 0xfffe
	s_mul_i32 s6, s6, s68
	s_wait_alu 0xfffe
	s_sub_co_i32 s6, s78, s6
	s_wait_alu 0xfffe
	s_sub_co_i32 s7, s6, s68
	s_cmp_ge_u32 s6, s68
	s_wait_alu 0xfffe
	s_cselect_b32 s6, s7, s6
	s_wait_alu 0xfffe
	s_sub_co_i32 s7, s6, s68
	s_cmp_ge_u32 s6, s68
	s_wait_alu 0xfffe
	s_cselect_b32 s70, s7, s6
	s_wait_alu 0xfffe
	s_mov_b64 s[6:7], s[70:71]
.LBB38_112:                             ;   in Loop: Header=BB38_32 Depth=1
	s_wait_alu 0xfffe
	s_sub_nc_u64 s[14:15], s[78:79], s[6:7]
	s_mov_b32 s7, 0
	s_mov_b32 s23, 0
	s_mov_b32 s24, exec_lo
                                        ; implicit-def: $vgpr47
	s_wait_alu 0xfffe
	v_cmpx_gt_i64_e64 s[14:15], v[0:1]
	s_cbranch_execz .LBB38_121
; %bb.113:                              ;   in Loop: Header=BB38_32 Depth=1
	v_dual_mov_b32 v8, v12 :: v_dual_mov_b32 v9, v13
	v_dual_mov_b32 v11, v1 :: v_dual_mov_b32 v10, v0
                                        ; implicit-def: $sgpr25
	s_branch .LBB38_116
.LBB38_114:                             ;   in Loop: Header=BB38_116 Depth=2
	s_wait_alu 0xfffe
	s_or_b32 exec_lo, exec_lo, s6
	s_wait_loadcnt_dscnt 0x0
	s_barrier_signal -1
	s_barrier_wait -1
	global_inv scope:SCOPE_SE
	ds_load_b32 v2, v3 offset:3072
	s_mov_b32 s6, -1
	s_mov_b32 s54, -1
	s_wait_loadcnt_dscnt 0x0
	s_barrier_signal -1
	s_barrier_wait -1
	global_inv scope:SCOPE_SE
	v_and_b32_e32 v30, 0xffff, v2
	s_delay_alu instid0(VALU_DEP_1)
	v_cmp_ne_u32_e32 vcc_lo, 0, v30
	s_cbranch_vccz .LBB38_119
.LBB38_115:                             ;   in Loop: Header=BB38_116 Depth=2
	s_wait_alu 0xfffe
	s_and_b32 s6, exec_lo, s6
	s_wait_alu 0xfffe
	s_or_b32 s23, s6, s23
	s_and_not1_b32 s6, s25, exec_lo
	s_and_b32 s25, s54, exec_lo
	s_wait_alu 0xfffe
	s_or_b32 s25, s6, s25
	s_and_not1_b32 exec_lo, exec_lo, s23
	s_cbranch_execz .LBB38_120
.LBB38_116:                             ;   Parent Loop BB38_32 Depth=1
                                        ; =>  This Inner Loop Header: Depth=2
	s_mov_b32 s6, exec_lo
	s_delay_alu instid0(VALU_DEP_1)
	v_cmpx_gt_i64_e64 s[36:37], v[10:11]
	s_cbranch_execz .LBB38_114
; %bb.117:                              ;   in Loop: Header=BB38_116 Depth=2
	global_load_u16 v2, v[8:9], off
	s_wait_loadcnt 0x0
	v_bfe_i32 v30, v2, 0, 16
	s_delay_alu instid0(VALU_DEP_1) | instskip(NEXT) | instid1(VALU_DEP_1)
	v_add_nc_u32_e32 v30, 0x8000, v30
	v_and_b32_e32 v30, v30, v46
	s_delay_alu instid0(VALU_DEP_1)
	v_cmp_eq_u32_e32 vcc_lo, v30, v40
	s_and_b32 exec_lo, exec_lo, vcc_lo
	s_cbranch_execz .LBB38_114
; %bb.118:                              ;   in Loop: Header=BB38_116 Depth=2
	v_perm_b32 v2, v2, 1, 0x5040100
	ds_store_b32 v3, v2 offset:3072
	s_branch .LBB38_114
.LBB38_119:                             ;   in Loop: Header=BB38_116 Depth=2
	v_add_co_u32 v10, vcc_lo, v10, s68
	s_wait_alu 0xfffd
	v_add_co_ci_u32_e64 v11, null, 0, v11, vcc_lo
	v_add_co_u32 v8, s6, v8, s72
	s_wait_alu 0xf1fe
	v_add_co_ci_u32_e64 v9, null, s73, v9, s6
	s_delay_alu instid0(VALU_DEP_3)
	v_cmp_le_i64_e32 vcc_lo, s[14:15], v[10:11]
	s_mov_b32 s54, 0
	s_or_not1_b32 s6, vcc_lo, exec_lo
	s_branch .LBB38_115
.LBB38_120:                             ;   in Loop: Header=BB38_32 Depth=1
	s_or_b32 exec_lo, exec_lo, s23
	v_lshrrev_b32_e32 v47, 16, v2
	s_wait_alu 0xfffe
	s_and_b32 s23, s25, exec_lo
.LBB38_121:                             ;   in Loop: Header=BB38_32 Depth=1
	s_or_b32 exec_lo, exec_lo, s24
.LBB38_122:                             ;   in Loop: Header=BB38_32 Depth=1
	s_delay_alu instid0(SALU_CYCLE_1)
	s_and_b32 vcc_lo, exec_lo, s7
	s_wait_alu 0xfffe
	s_cbranch_vccz .LBB38_136
; %bb.123:                              ;   in Loop: Header=BB38_32 Depth=1
	s_add_nc_u64 s[6:7], s[12:13], s[76:77]
	s_mov_b32 s14, s71
	s_wait_alu 0xfffe
	s_mov_b32 s15, s7
	s_wait_alu 0xfffe
	s_cmp_lg_u64 s[14:15], 0
	s_cbranch_scc0 .LBB38_164
; %bb.124:                              ;   in Loop: Header=BB38_32 Depth=1
	s_add_nc_u64 s[14:15], s[68:69], 0
	s_wait_alu 0xfffe
	s_xor_b64 s[14:15], s[14:15], 0
	s_wait_alu 0xfffe
	s_cvt_f32_u32 s21, s14
	s_cvt_f32_u32 s22, s15
	s_sub_nc_u64 s[54:55], 0, s[14:15]
	s_wait_alu 0xfffe
	s_delay_alu instid0(SALU_CYCLE_1) | instskip(SKIP_1) | instid1(SALU_CYCLE_2)
	s_fmamk_f32 s21, s22, 0x4f800000, s21
	s_wait_alu 0xfffe
	v_s_rcp_f32 s21, s21
	s_delay_alu instid0(TRANS32_DEP_1) | instskip(SKIP_1) | instid1(SALU_CYCLE_2)
	s_mul_f32 s21, s21, 0x5f7ffffc
	s_wait_alu 0xfffe
	s_mul_f32 s22, s21, 0x2f800000
	s_wait_alu 0xfffe
	s_delay_alu instid0(SALU_CYCLE_2) | instskip(SKIP_1) | instid1(SALU_CYCLE_2)
	s_trunc_f32 s22, s22
	s_wait_alu 0xfffe
	s_fmamk_f32 s21, s22, 0xcf800000, s21
	s_cvt_u32_f32 s25, s22
	s_wait_alu 0xfffe
	s_delay_alu instid0(SALU_CYCLE_1) | instskip(SKIP_1) | instid1(SALU_CYCLE_2)
	s_cvt_u32_f32 s24, s21
	s_wait_alu 0xfffe
	s_mul_u64 s[86:87], s[54:55], s[24:25]
	s_wait_alu 0xfffe
	s_mul_hi_u32 s89, s24, s87
	s_mul_i32 s88, s24, s87
	s_mul_hi_u32 s70, s24, s86
	s_mul_i32 s22, s25, s86
	s_wait_alu 0xfffe
	s_add_nc_u64 s[88:89], s[70:71], s[88:89]
	s_mul_hi_u32 s21, s25, s86
	s_mul_hi_u32 s90, s25, s87
	s_wait_alu 0xfffe
	s_add_co_u32 s22, s88, s22
	s_add_co_ci_u32 s70, s89, s21
	s_mul_i32 s86, s25, s87
	s_add_co_ci_u32 s87, s90, 0
	s_wait_alu 0xfffe
	s_add_nc_u64 s[86:87], s[70:71], s[86:87]
	s_wait_alu 0xfffe
	s_add_co_u32 s24, s24, s86
	s_cselect_b32 s21, -1, 0
	s_wait_alu 0xfffe
	s_cmp_lg_u32 s21, 0
	s_add_co_ci_u32 s25, s25, s87
	s_wait_alu 0xfffe
	s_mul_u64 s[54:55], s[54:55], s[24:25]
	s_wait_alu 0xfffe
	s_mul_hi_u32 s87, s24, s55
	s_mul_i32 s86, s24, s55
	s_mul_hi_u32 s70, s24, s54
	s_mul_i32 s22, s25, s54
	s_wait_alu 0xfffe
	s_add_nc_u64 s[86:87], s[70:71], s[86:87]
	s_mul_hi_u32 s21, s25, s54
	s_mul_hi_u32 s88, s25, s55
	s_wait_alu 0xfffe
	s_add_co_u32 s22, s86, s22
	s_add_co_ci_u32 s70, s87, s21
	s_mul_i32 s54, s25, s55
	s_add_co_ci_u32 s55, s88, 0
	s_wait_alu 0xfffe
	s_add_nc_u64 s[54:55], s[70:71], s[54:55]
	s_wait_alu 0xfffe
	s_add_co_u32 s21, s24, s54
	s_cselect_b32 s22, -1, 0
	s_wait_alu 0xfffe
	s_cmp_lg_u32 s22, 0
	s_add_co_ci_u32 s22, s25, s55
	s_ashr_i32 s24, s7, 31
	s_wait_alu 0xfffe
	s_mov_b32 s25, s24
	s_wait_alu 0xfffe
	s_add_nc_u64 s[54:55], s[6:7], s[24:25]
	s_wait_alu 0xfffe
	s_xor_b64 s[54:55], s[54:55], s[24:25]
	s_wait_alu 0xfffe
	s_mul_hi_u32 s87, s54, s22
	s_mul_i32 s86, s54, s22
	s_mul_hi_u32 s70, s54, s21
	s_mul_hi_u32 s90, s55, s21
	s_mul_i32 s21, s55, s21
	s_wait_alu 0xfffe
	s_add_nc_u64 s[86:87], s[70:71], s[86:87]
	s_mul_hi_u32 s89, s55, s22
	s_wait_alu 0xfffe
	s_add_co_u32 s21, s86, s21
	s_add_co_ci_u32 s70, s87, s90
	s_mul_i32 s88, s55, s22
	s_add_co_ci_u32 s89, s89, 0
	s_wait_alu 0xfffe
	s_add_nc_u64 s[86:87], s[70:71], s[88:89]
	s_wait_alu 0xfffe
	s_mul_u64 s[86:87], s[14:15], s[86:87]
	s_wait_alu 0xfffe
	s_sub_co_u32 s21, s54, s86
	s_cselect_b32 s22, -1, 0
	s_sub_co_i32 s54, s55, s87
	s_wait_alu 0xfffe
	s_cmp_lg_u32 s22, 0
	s_sub_co_ci_u32 s54, s54, s15
	s_sub_co_u32 s70, s21, s14
	s_cselect_b32 s86, -1, 0
	s_wait_alu 0xfffe
	s_cmp_lg_u32 s86, 0
	s_sub_co_ci_u32 s88, s54, 0
	s_wait_alu 0xfffe
	s_cmp_ge_u32 s88, s15
	s_cselect_b32 s89, -1, 0
	s_cmp_ge_u32 s70, s14
	s_cselect_b32 s90, -1, 0
	s_cmp_eq_u32 s88, s15
	s_wait_alu 0xfffe
	s_cselect_b32 s89, s90, s89
	s_cmp_lg_u32 s86, 0
	s_sub_co_ci_u32 s54, s54, s15
	s_sub_co_u32 s86, s70, s14
	s_cselect_b32 s90, -1, 0
	s_wait_alu 0xfffe
	s_cmp_lg_u32 s90, 0
	s_sub_co_ci_u32 s54, s54, 0
	s_cmp_lg_u32 s89, 0
	s_cselect_b32 s70, s86, s70
	s_wait_alu 0xfffe
	s_cselect_b32 s54, s54, s88
	s_cmp_lg_u32 s22, 0
	s_sub_co_ci_u32 s22, s55, s87
	s_wait_alu 0xfffe
	s_cmp_ge_u32 s22, s15
	s_cselect_b32 s55, -1, 0
	s_cmp_ge_u32 s21, s14
	s_cselect_b32 s14, -1, 0
	s_cmp_eq_u32 s22, s15
	s_wait_alu 0xfffe
	s_cselect_b32 s14, s14, s55
	s_wait_alu 0xfffe
	s_cmp_lg_u32 s14, 0
	s_cselect_b32 s15, s54, s22
	s_cselect_b32 s14, s70, s21
	s_wait_alu 0xfffe
	s_xor_b64 s[14:15], s[14:15], s[24:25]
	s_wait_alu 0xfffe
	s_sub_nc_u64 s[14:15], s[14:15], s[24:25]
	s_cbranch_execnz .LBB38_126
.LBB38_125:                             ;   in Loop: Header=BB38_32 Depth=1
	v_cvt_f32_u32_e32 v2, s68
	s_sub_co_i32 s15, 0, s68
	s_delay_alu instid0(VALU_DEP_1) | instskip(NEXT) | instid1(TRANS32_DEP_1)
	v_rcp_iflag_f32_e32 v2, v2
	v_mul_f32_e32 v2, 0x4f7ffffe, v2
	s_delay_alu instid0(VALU_DEP_1) | instskip(NEXT) | instid1(VALU_DEP_1)
	v_cvt_u32_f32_e32 v2, v2
	v_readfirstlane_b32 s14, v2
	s_wait_alu 0xfffe
	s_mul_i32 s15, s15, s14
	s_wait_alu 0xfffe
	s_mul_hi_u32 s15, s14, s15
	s_wait_alu 0xfffe
	s_add_co_i32 s14, s14, s15
	s_wait_alu 0xfffe
	s_mul_hi_u32 s14, s6, s14
	s_wait_alu 0xfffe
	s_mul_i32 s14, s14, s68
	s_wait_alu 0xfffe
	s_sub_co_i32 s14, s6, s14
	s_wait_alu 0xfffe
	s_sub_co_i32 s15, s14, s68
	s_cmp_ge_u32 s14, s68
	s_wait_alu 0xfffe
	s_cselect_b32 s14, s15, s14
	s_wait_alu 0xfffe
	s_sub_co_i32 s15, s14, s68
	s_cmp_ge_u32 s14, s68
	s_wait_alu 0xfffe
	s_cselect_b32 s70, s15, s14
	s_wait_alu 0xfffe
	s_mov_b64 s[14:15], s[70:71]
.LBB38_126:                             ;   in Loop: Header=BB38_32 Depth=1
	s_wait_alu 0xfffe
	s_sub_nc_u64 s[6:7], s[6:7], s[14:15]
	s_mov_b32 s14, exec_lo
                                        ; implicit-def: $vgpr47
	s_wait_alu 0xfffe
	v_cmpx_gt_i64_e64 s[6:7], v[0:1]
	s_cbranch_execz .LBB38_135
; %bb.127:                              ;   in Loop: Header=BB38_32 Depth=1
	v_dual_mov_b32 v2, v35 :: v_dual_mov_b32 v9, v1
	v_mov_b32_e32 v8, v0
	s_mov_b32 s15, 0
                                        ; implicit-def: $sgpr21
	s_branch .LBB38_130
.LBB38_128:                             ;   in Loop: Header=BB38_130 Depth=2
	s_wait_alu 0xfffe
	s_or_b32 exec_lo, exec_lo, s22
	s_wait_loadcnt_dscnt 0x0
	s_barrier_signal -1
	s_barrier_wait -1
	global_inv scope:SCOPE_SE
	ds_load_b32 v10, v3 offset:3072
	s_mov_b32 s22, -1
	s_mov_b32 s24, -1
	s_wait_loadcnt_dscnt 0x0
	s_barrier_signal -1
	s_barrier_wait -1
	global_inv scope:SCOPE_SE
	v_and_b32_e32 v11, 0xffff, v10
	s_delay_alu instid0(VALU_DEP_1)
	v_cmp_ne_u32_e32 vcc_lo, 0, v11
	s_cbranch_vccz .LBB38_133
.LBB38_129:                             ;   in Loop: Header=BB38_130 Depth=2
	s_wait_alu 0xfffe
	s_and_b32 s22, exec_lo, s22
	s_wait_alu 0xfffe
	s_or_b32 s15, s22, s15
	s_and_not1_b32 s21, s21, exec_lo
	s_and_b32 s22, s24, exec_lo
	s_wait_alu 0xfffe
	s_or_b32 s21, s21, s22
	s_and_not1_b32 exec_lo, exec_lo, s15
	s_cbranch_execz .LBB38_134
.LBB38_130:                             ;   Parent Loop BB38_32 Depth=1
                                        ; =>  This Inner Loop Header: Depth=2
	s_mov_b32 s22, exec_lo
	s_delay_alu instid0(VALU_DEP_1)
	v_cmpx_gt_u64_e64 s[12:13], v[8:9]
	s_cbranch_execz .LBB38_128
; %bb.131:                              ;   in Loop: Header=BB38_130 Depth=2
	ds_load_u16 v10, v2
	s_wait_dscnt 0x0
	v_bfe_i32 v11, v10, 0, 16
	s_delay_alu instid0(VALU_DEP_1) | instskip(NEXT) | instid1(VALU_DEP_1)
	v_add_nc_u32_e32 v11, 0x8000, v11
	v_and_b32_e32 v11, v11, v46
	s_delay_alu instid0(VALU_DEP_1)
	v_cmp_eq_u32_e32 vcc_lo, v11, v40
	s_and_b32 exec_lo, exec_lo, vcc_lo
	s_cbranch_execz .LBB38_128
; %bb.132:                              ;   in Loop: Header=BB38_130 Depth=2
	v_perm_b32 v10, v10, 1, 0x5040100
	ds_store_b32 v3, v10 offset:3072
	s_branch .LBB38_128
.LBB38_133:                             ;   in Loop: Header=BB38_130 Depth=2
	v_add_co_u32 v8, vcc_lo, v8, s68
	s_wait_alu 0xfffd
	v_add_co_ci_u32_e64 v9, null, 0, v9, vcc_lo
	v_add_nc_u32_e32 v2, s64, v2
	s_mov_b32 s24, 0
	s_delay_alu instid0(VALU_DEP_2)
	v_cmp_le_i64_e32 vcc_lo, s[6:7], v[8:9]
	s_or_not1_b32 s22, vcc_lo, exec_lo
	s_branch .LBB38_129
.LBB38_134:                             ;   in Loop: Header=BB38_32 Depth=1
	s_or_b32 exec_lo, exec_lo, s15
	v_lshrrev_b32_e32 v47, 16, v10
	s_and_not1_b32 s6, s23, exec_lo
	s_wait_alu 0xfffe
	s_and_b32 s7, s21, exec_lo
	s_wait_alu 0xfffe
	s_or_b32 s23, s6, s7
.LBB38_135:                             ;   in Loop: Header=BB38_32 Depth=1
	s_or_b32 exec_lo, exec_lo, s14
	s_mov_b32 s21, 0
	s_mov_b32 s22, -1
.LBB38_136:                             ;   in Loop: Header=BB38_32 Depth=1
	s_wait_alu 0xfffe
	s_or_not1_b32 s6, s23, exec_lo
.LBB38_137:                             ;   in Loop: Header=BB38_32 Depth=1
	s_wait_alu 0xfffe
	s_or_b32 exec_lo, exec_lo, s17
	s_delay_alu instid0(SALU_CYCLE_1)
	s_and_not1_b32 s7, s52, exec_lo
	s_and_b32 s12, s22, exec_lo
	s_and_not1_b32 s13, s50, exec_lo
	s_and_b32 s14, s21, exec_lo
	s_and_not1_b32 s49, s49, exec_lo
	s_wait_alu 0xfffe
	s_or_b32 s52, s7, s12
	s_or_b32 s50, s13, s14
                                        ; implicit-def: $vgpr8_vgpr9
	s_and_saveexec_b32 s17, s6
	s_cbranch_execz .LBB38_31
; %bb.138:                              ;   in Loop: Header=BB38_32 Depth=1
	v_mov_b32_e32 v8, 1
	v_dual_mov_b32 v9, 0 :: v_dual_mov_b32 v2, 1
	s_xor_b32 s12, s19, -1
	s_mov_b32 s7, 0
	s_wait_alu 0xfffe
	s_and_saveexec_b32 s6, s12
	s_cbranch_execz .LBB38_147
; %bb.139:                              ;   in Loop: Header=BB38_32 Depth=1
	s_mov_b32 s7, exec_lo
	v_cmpx_le_i64_e64 v[28:29], v[4:5]
	s_wait_alu 0xfffe
	s_xor_b32 s7, exec_lo, s7
	s_cbranch_execz .LBB38_144
; %bb.140:                              ;   in Loop: Header=BB38_32 Depth=1
	ds_load_b64 v[8:9], v3 offset:5120
	v_and_b32_e32 v40, s20, v40
	v_or_b32_e32 v46, s16, v46
	s_wait_dscnt 0x0
	v_cmp_ne_u64_e32 vcc_lo, 0, v[8:9]
	s_cbranch_vccnz .LBB38_144
; %bb.141:                              ;   in Loop: Header=BB38_32 Depth=1
	s_and_saveexec_b32 s12, s2
; %bb.142:                              ;   in Loop: Header=BB38_32 Depth=1
	ds_store_b64 v3, v[4:5] offset:5128
; %bb.143:                              ;   in Loop: Header=BB38_32 Depth=1
	s_wait_alu 0xfffe
	s_or_b32 exec_lo, exec_lo, s12
	s_wait_loadcnt_dscnt 0x0
	s_barrier_signal -1
	s_barrier_wait -1
	global_inv scope:SCOPE_SE
.LBB38_144:                             ;   in Loop: Header=BB38_32 Depth=1
	s_wait_alu 0xfffe
	s_or_saveexec_b32 s7, s7
	v_mov_b32_e32 v2, 8
	s_mov_b32 s12, 0
	s_wait_alu 0xfffe
	s_xor_b32 exec_lo, exec_lo, s7
; %bb.145:                              ;   in Loop: Header=BB38_32 Depth=1
	v_sub_co_u32 v28, vcc_lo, v28, v4
	s_wait_alu 0xfffd
	v_sub_co_ci_u32_e64 v29, null, v29, v5, vcc_lo
	v_mov_b32_e32 v2, 0
	s_mov_b32 s12, exec_lo
; %bb.146:                              ;   in Loop: Header=BB38_32 Depth=1
	s_or_b32 exec_lo, exec_lo, s7
	s_delay_alu instid0(VALU_DEP_2)
	v_dual_mov_b32 v8, v28 :: v_dual_mov_b32 v9, v29
	s_wait_alu 0xfffe
	s_and_b32 s7, s12, exec_lo
.LBB38_147:                             ;   in Loop: Header=BB38_32 Depth=1
	s_wait_alu 0xfffe
	s_or_b32 exec_lo, exec_lo, s6
	s_mov_b32 s18, -1
	s_mov_b32 s6, -1
                                        ; implicit-def: $sgpr21
                                        ; implicit-def: $sgpr22
	s_and_saveexec_b32 s12, s7
	s_wait_alu 0xfffe
	s_xor_b32 s19, exec_lo, s12
	s_cbranch_execz .LBB38_289
; %bb.148:                              ;   in Loop: Header=BB38_32 Depth=1
	v_cmp_eq_u64_e32 vcc_lo, 1, v[6:7]
	v_cmp_eq_u64_e64 s6, 1, v[8:9]
                                        ; implicit-def: $sgpr22
                                        ; implicit-def: $sgpr21
	s_and_b32 s24, vcc_lo, s6
	s_mov_b32 s6, -1
	s_wait_alu 0xfffe
	s_and_saveexec_b32 s23, s24
	s_cbranch_execz .LBB38_182
; %bb.149:                              ;   in Loop: Header=BB38_32 Depth=1
	ds_load_b64 v[4:5], v3 offset:5120
	s_wait_loadcnt_dscnt 0x0
	s_barrier_signal -1
	s_barrier_wait -1
	global_inv scope:SCOPE_SE
	v_readfirstlane_b32 s12, v4
	v_readfirstlane_b32 s13, v5
	s_and_saveexec_b32 s6, s3
; %bb.150:                              ;   in Loop: Header=BB38_32 Depth=1
	ds_store_b16 v36, v3
; %bb.151:                              ;   in Loop: Header=BB38_32 Depth=1
	s_wait_alu 0xfffe
	s_or_b32 exec_lo, exec_lo, s6
	s_lshl_b32 s6, 1, s65
	v_or_b32_e32 v46, s16, v46
	s_wait_alu 0xfffe
	v_and_or_b32 v40, v40, s20, s6
	v_cmp_gt_i64_e64 s6, s[12:13], 0
	s_mov_b32 s21, -1
	s_mov_b32 s22, 0
	s_mov_b32 s25, 0
	s_mov_b32 s7, -1
	s_wait_loadcnt_dscnt 0x0
	s_and_b32 vcc_lo, exec_lo, s6
	s_barrier_signal -1
	s_barrier_wait -1
	global_inv scope:SCOPE_SE
                                        ; implicit-def: $vgpr47
	s_wait_alu 0xfffe
	s_cbranch_vccnz .LBB38_167
; %bb.152:                              ;   in Loop: Header=BB38_32 Depth=1
	s_mov_b32 s6, s71
	s_mov_b32 s7, s79
	s_wait_alu 0xfffe
	s_cmp_lg_u64 s[6:7], 0
	s_cbranch_scc0 .LBB38_209
; %bb.153:                              ;   in Loop: Header=BB38_32 Depth=1
	s_add_nc_u64 s[6:7], s[68:69], 0
	s_wait_alu 0xfffe
	s_xor_b64 s[6:7], s[6:7], 0
	s_wait_alu 0xfffe
	s_cvt_f32_u32 s14, s6
	s_cvt_f32_u32 s15, s7
	s_sub_nc_u64 s[54:55], 0, s[6:7]
	s_wait_alu 0xfffe
	s_delay_alu instid0(SALU_CYCLE_1) | instskip(SKIP_1) | instid1(SALU_CYCLE_2)
	s_fmamk_f32 s14, s15, 0x4f800000, s14
	s_wait_alu 0xfffe
	v_s_rcp_f32 s14, s14
	s_delay_alu instid0(TRANS32_DEP_1) | instskip(SKIP_1) | instid1(SALU_CYCLE_2)
	s_mul_f32 s14, s14, 0x5f7ffffc
	s_wait_alu 0xfffe
	s_mul_f32 s15, s14, 0x2f800000
	s_wait_alu 0xfffe
	s_delay_alu instid0(SALU_CYCLE_2) | instskip(SKIP_1) | instid1(SALU_CYCLE_2)
	s_trunc_f32 s15, s15
	s_wait_alu 0xfffe
	s_fmamk_f32 s14, s15, 0xcf800000, s14
	s_cvt_u32_f32 s15, s15
	s_wait_alu 0xfffe
	s_delay_alu instid0(SALU_CYCLE_1) | instskip(SKIP_1) | instid1(SALU_CYCLE_2)
	s_cvt_u32_f32 s14, s14
	s_wait_alu 0xfffe
	s_mul_u64 s[86:87], s[54:55], s[14:15]
	s_wait_alu 0xfffe
	s_mul_hi_u32 s89, s14, s87
	s_mul_i32 s88, s14, s87
	s_mul_hi_u32 s70, s14, s86
	s_mul_i32 s90, s15, s86
	s_wait_alu 0xfffe
	s_add_nc_u64 s[88:89], s[70:71], s[88:89]
	s_mul_hi_u32 s25, s15, s86
	s_mul_hi_u32 s91, s15, s87
	s_wait_alu 0xfffe
	s_add_co_u32 s70, s88, s90
	s_add_co_ci_u32 s70, s89, s25
	s_mul_i32 s86, s15, s87
	s_add_co_ci_u32 s87, s91, 0
	s_wait_alu 0xfffe
	s_add_nc_u64 s[86:87], s[70:71], s[86:87]
	s_wait_alu 0xfffe
	s_add_co_u32 s14, s14, s86
	s_cselect_b32 s25, -1, 0
	s_wait_alu 0xfffe
	s_cmp_lg_u32 s25, 0
	s_add_co_ci_u32 s15, s15, s87
	s_wait_alu 0xfffe
	s_mul_u64 s[54:55], s[54:55], s[14:15]
	s_wait_alu 0xfffe
	s_mul_hi_u32 s87, s14, s55
	s_mul_i32 s86, s14, s55
	s_mul_hi_u32 s70, s14, s54
	s_mul_i32 s88, s15, s54
	s_wait_alu 0xfffe
	s_add_nc_u64 s[86:87], s[70:71], s[86:87]
	s_mul_hi_u32 s25, s15, s54
	s_mul_hi_u32 s89, s15, s55
	s_mul_i32 s54, s15, s55
	s_wait_alu 0xfffe
	s_add_co_u32 s55, s86, s88
	s_add_co_ci_u32 s70, s87, s25
	s_add_co_ci_u32 s55, s89, 0
	s_wait_alu 0xfffe
	s_add_nc_u64 s[54:55], s[70:71], s[54:55]
	s_wait_alu 0xfffe
	s_add_co_u32 s25, s14, s54
	s_cselect_b32 s14, -1, 0
	s_wait_alu 0xfffe
	s_cmp_lg_u32 s14, 0
	s_add_co_ci_u32 s88, s15, s55
	s_ashr_i32 s14, s79, 31
	s_wait_alu 0xfffe
	s_mov_b32 s15, s14
	s_wait_alu 0xfffe
	s_add_nc_u64 s[54:55], s[78:79], s[14:15]
	s_wait_alu 0xfffe
	s_xor_b64 s[54:55], s[54:55], s[14:15]
	s_wait_alu 0xfffe
	s_mul_hi_u32 s87, s54, s88
	s_mul_i32 s86, s54, s88
	s_mul_hi_u32 s70, s54, s25
	s_mul_hi_u32 s90, s55, s25
	s_mul_i32 s25, s55, s25
	s_wait_alu 0xfffe
	s_add_nc_u64 s[86:87], s[70:71], s[86:87]
	s_mul_hi_u32 s89, s55, s88
	s_wait_alu 0xfffe
	s_add_co_u32 s25, s86, s25
	s_add_co_ci_u32 s70, s87, s90
	s_mul_i32 s88, s55, s88
	s_add_co_ci_u32 s89, s89, 0
	s_wait_alu 0xfffe
	s_add_nc_u64 s[86:87], s[70:71], s[88:89]
	s_wait_alu 0xfffe
	s_mul_u64 s[86:87], s[6:7], s[86:87]
	s_wait_alu 0xfffe
	s_sub_co_u32 s25, s54, s86
	s_cselect_b32 s54, -1, 0
	s_sub_co_i32 s70, s55, s87
	s_wait_alu 0xfffe
	s_cmp_lg_u32 s54, 0
	s_sub_co_ci_u32 s70, s70, s7
	s_sub_co_u32 s86, s25, s6
	s_cselect_b32 s88, -1, 0
	s_wait_alu 0xfffe
	s_cmp_lg_u32 s88, 0
	s_sub_co_ci_u32 s89, s70, 0
	s_wait_alu 0xfffe
	s_cmp_ge_u32 s89, s7
	s_cselect_b32 s90, -1, 0
	s_cmp_ge_u32 s86, s6
	s_cselect_b32 s91, -1, 0
	s_cmp_eq_u32 s89, s7
	s_wait_alu 0xfffe
	s_cselect_b32 s90, s91, s90
	s_cmp_lg_u32 s88, 0
	s_sub_co_ci_u32 s70, s70, s7
	s_sub_co_u32 s88, s86, s6
	s_cselect_b32 s91, -1, 0
	s_wait_alu 0xfffe
	s_cmp_lg_u32 s91, 0
	s_sub_co_ci_u32 s70, s70, 0
	s_cmp_lg_u32 s90, 0
	s_cselect_b32 s86, s88, s86
	s_wait_alu 0xfffe
	s_cselect_b32 s70, s70, s89
	s_cmp_lg_u32 s54, 0
	s_sub_co_ci_u32 s54, s55, s87
	s_wait_alu 0xfffe
	s_cmp_ge_u32 s54, s7
	s_cselect_b32 s55, -1, 0
	s_cmp_ge_u32 s25, s6
	s_cselect_b32 s6, -1, 0
	s_cmp_eq_u32 s54, s7
	s_wait_alu 0xfffe
	s_cselect_b32 s6, s6, s55
	s_wait_alu 0xfffe
	s_cmp_lg_u32 s6, 0
	s_cselect_b32 s7, s70, s54
	s_cselect_b32 s6, s86, s25
	s_wait_alu 0xfffe
	s_xor_b64 s[6:7], s[6:7], s[14:15]
	s_wait_alu 0xfffe
	s_sub_nc_u64 s[6:7], s[6:7], s[14:15]
	s_cbranch_execnz .LBB38_155
.LBB38_154:                             ;   in Loop: Header=BB38_32 Depth=1
	v_cvt_f32_u32_e32 v4, s68
	s_sub_co_i32 s7, 0, s68
	s_delay_alu instid0(VALU_DEP_1) | instskip(NEXT) | instid1(TRANS32_DEP_1)
	v_rcp_iflag_f32_e32 v4, v4
	v_mul_f32_e32 v4, 0x4f7ffffe, v4
	s_delay_alu instid0(VALU_DEP_1) | instskip(NEXT) | instid1(VALU_DEP_1)
	v_cvt_u32_f32_e32 v4, v4
	v_readfirstlane_b32 s6, v4
	s_wait_alu 0xfffe
	s_mul_i32 s7, s7, s6
	s_wait_alu 0xfffe
	s_mul_hi_u32 s7, s6, s7
	s_wait_alu 0xfffe
	s_add_co_i32 s6, s6, s7
	s_wait_alu 0xfffe
	s_mul_hi_u32 s6, s78, s6
	s_wait_alu 0xfffe
	s_mul_i32 s6, s6, s68
	s_wait_alu 0xfffe
	s_sub_co_i32 s6, s78, s6
	s_wait_alu 0xfffe
	s_sub_co_i32 s7, s6, s68
	s_cmp_ge_u32 s6, s68
	s_wait_alu 0xfffe
	s_cselect_b32 s6, s7, s6
	s_wait_alu 0xfffe
	s_sub_co_i32 s7, s6, s68
	s_cmp_ge_u32 s6, s68
	s_wait_alu 0xfffe
	s_cselect_b32 s70, s7, s6
	s_wait_alu 0xfffe
	s_mov_b64 s[6:7], s[70:71]
.LBB38_155:                             ;   in Loop: Header=BB38_32 Depth=1
	s_wait_alu 0xfffe
	s_sub_nc_u64 s[14:15], s[78:79], s[6:7]
	s_mov_b32 s7, 0
	s_mov_b32 s25, 0
	s_mov_b32 s54, exec_lo
                                        ; implicit-def: $vgpr47
	s_wait_alu 0xfffe
	v_cmpx_gt_i64_e64 s[14:15], v[0:1]
	s_cbranch_execz .LBB38_166
; %bb.156:                              ;   in Loop: Header=BB38_32 Depth=1
	v_dual_mov_b32 v4, v12 :: v_dual_mov_b32 v5, v13
	v_dual_mov_b32 v11, v1 :: v_dual_mov_b32 v10, v0
                                        ; implicit-def: $sgpr55
	s_branch .LBB38_159
.LBB38_157:                             ;   in Loop: Header=BB38_159 Depth=2
	s_wait_alu 0xfffe
	s_or_b32 exec_lo, exec_lo, s6
	s_wait_loadcnt_dscnt 0x0
	s_barrier_signal -1
	s_barrier_wait -1
	global_inv scope:SCOPE_SE
	ds_load_b32 v28, v3 offset:3072
	s_mov_b32 s6, -1
	s_mov_b32 s70, -1
	s_wait_loadcnt_dscnt 0x0
	s_barrier_signal -1
	s_barrier_wait -1
	global_inv scope:SCOPE_SE
	v_and_b32_e32 v29, 0xffff, v28
	s_delay_alu instid0(VALU_DEP_1)
	v_cmp_ne_u32_e32 vcc_lo, 0, v29
	s_cbranch_vccz .LBB38_162
.LBB38_158:                             ;   in Loop: Header=BB38_159 Depth=2
	s_wait_alu 0xfffe
	s_and_b32 s6, exec_lo, s6
	s_wait_alu 0xfffe
	s_or_b32 s25, s6, s25
	s_and_not1_b32 s6, s55, exec_lo
	s_and_b32 s55, s70, exec_lo
	s_wait_alu 0xfffe
	s_or_b32 s55, s6, s55
	s_and_not1_b32 exec_lo, exec_lo, s25
	s_cbranch_execz .LBB38_165
.LBB38_159:                             ;   Parent Loop BB38_32 Depth=1
                                        ; =>  This Inner Loop Header: Depth=2
	s_mov_b32 s6, exec_lo
	s_delay_alu instid0(VALU_DEP_1)
	v_cmpx_gt_i64_e64 s[36:37], v[10:11]
	s_cbranch_execz .LBB38_157
; %bb.160:                              ;   in Loop: Header=BB38_159 Depth=2
	global_load_u16 v28, v[4:5], off
	s_wait_loadcnt 0x0
	v_bfe_i32 v29, v28, 0, 16
	s_delay_alu instid0(VALU_DEP_1) | instskip(NEXT) | instid1(VALU_DEP_1)
	v_add_nc_u32_e32 v29, 0x8000, v29
	v_and_b32_e32 v29, v29, v46
	s_delay_alu instid0(VALU_DEP_1)
	v_cmp_eq_u32_e32 vcc_lo, v29, v40
	s_and_b32 exec_lo, exec_lo, vcc_lo
	s_cbranch_execz .LBB38_157
; %bb.161:                              ;   in Loop: Header=BB38_159 Depth=2
	v_perm_b32 v28, v28, 1, 0x5040100
	ds_store_b32 v3, v28 offset:3072
	s_branch .LBB38_157
.LBB38_162:                             ;   in Loop: Header=BB38_159 Depth=2
	v_add_co_u32 v10, vcc_lo, v10, s68
	s_wait_alu 0xfffd
	v_add_co_ci_u32_e64 v11, null, 0, v11, vcc_lo
	v_add_co_u32 v4, s6, v4, s72
	s_wait_alu 0xf1fe
	v_add_co_ci_u32_e64 v5, null, s73, v5, s6
	s_delay_alu instid0(VALU_DEP_3)
	v_cmp_le_i64_e32 vcc_lo, s[14:15], v[10:11]
	s_mov_b32 s70, 0
	s_or_not1_b32 s6, vcc_lo, exec_lo
	s_branch .LBB38_158
.LBB38_163:                             ;   in Loop: Header=BB38_32 Depth=1
                                        ; implicit-def: $sgpr6_sgpr7
	s_branch .LBB38_111
.LBB38_164:                             ;   in Loop: Header=BB38_32 Depth=1
                                        ; implicit-def: $sgpr14_sgpr15
	s_branch .LBB38_125
.LBB38_165:                             ;   in Loop: Header=BB38_32 Depth=1
	s_or_b32 exec_lo, exec_lo, s25
	v_lshrrev_b32_e32 v47, 16, v28
	s_wait_alu 0xfffe
	s_and_b32 s25, s55, exec_lo
.LBB38_166:                             ;   in Loop: Header=BB38_32 Depth=1
	s_or_b32 exec_lo, exec_lo, s54
.LBB38_167:                             ;   in Loop: Header=BB38_32 Depth=1
	s_delay_alu instid0(SALU_CYCLE_1)
	s_and_b32 vcc_lo, exec_lo, s7
	s_wait_alu 0xfffe
	s_cbranch_vccz .LBB38_181
; %bb.168:                              ;   in Loop: Header=BB38_32 Depth=1
	s_add_nc_u64 s[6:7], s[12:13], s[76:77]
	s_mov_b32 s14, s71
	s_wait_alu 0xfffe
	s_mov_b32 s15, s7
	s_wait_alu 0xfffe
	s_cmp_lg_u64 s[14:15], 0
	s_cbranch_scc0 .LBB38_210
; %bb.169:                              ;   in Loop: Header=BB38_32 Depth=1
	s_add_nc_u64 s[14:15], s[68:69], 0
	s_wait_alu 0xfffe
	s_xor_b64 s[14:15], s[14:15], 0
	s_wait_alu 0xfffe
	s_cvt_f32_u32 s21, s14
	s_cvt_f32_u32 s22, s15
	s_sub_nc_u64 s[86:87], 0, s[14:15]
	s_wait_alu 0xfffe
	s_delay_alu instid0(SALU_CYCLE_1) | instskip(SKIP_1) | instid1(SALU_CYCLE_2)
	s_fmamk_f32 s21, s22, 0x4f800000, s21
	s_wait_alu 0xfffe
	v_s_rcp_f32 s21, s21
	s_delay_alu instid0(TRANS32_DEP_1) | instskip(SKIP_1) | instid1(SALU_CYCLE_2)
	s_mul_f32 s21, s21, 0x5f7ffffc
	s_wait_alu 0xfffe
	s_mul_f32 s22, s21, 0x2f800000
	s_wait_alu 0xfffe
	s_delay_alu instid0(SALU_CYCLE_2) | instskip(SKIP_1) | instid1(SALU_CYCLE_2)
	s_trunc_f32 s22, s22
	s_wait_alu 0xfffe
	s_fmamk_f32 s21, s22, 0xcf800000, s21
	s_cvt_u32_f32 s55, s22
	s_wait_alu 0xfffe
	s_delay_alu instid0(SALU_CYCLE_1) | instskip(SKIP_1) | instid1(SALU_CYCLE_2)
	s_cvt_u32_f32 s54, s21
	s_wait_alu 0xfffe
	s_mul_u64 s[88:89], s[86:87], s[54:55]
	s_wait_alu 0xfffe
	s_mul_hi_u32 s91, s54, s89
	s_mul_i32 s90, s54, s89
	s_mul_hi_u32 s70, s54, s88
	s_mul_i32 s22, s55, s88
	s_wait_alu 0xfffe
	s_add_nc_u64 s[90:91], s[70:71], s[90:91]
	s_mul_hi_u32 s21, s55, s88
	s_mul_hi_u32 s92, s55, s89
	s_wait_alu 0xfffe
	s_add_co_u32 s22, s90, s22
	s_add_co_ci_u32 s70, s91, s21
	s_mul_i32 s88, s55, s89
	s_add_co_ci_u32 s89, s92, 0
	s_wait_alu 0xfffe
	s_add_nc_u64 s[88:89], s[70:71], s[88:89]
	s_wait_alu 0xfffe
	s_add_co_u32 s54, s54, s88
	s_cselect_b32 s21, -1, 0
	s_wait_alu 0xfffe
	s_cmp_lg_u32 s21, 0
	s_add_co_ci_u32 s55, s55, s89
	s_wait_alu 0xfffe
	s_mul_u64 s[86:87], s[86:87], s[54:55]
	s_wait_alu 0xfffe
	s_mul_hi_u32 s89, s54, s87
	s_mul_i32 s88, s54, s87
	s_mul_hi_u32 s70, s54, s86
	s_mul_i32 s22, s55, s86
	s_wait_alu 0xfffe
	s_add_nc_u64 s[88:89], s[70:71], s[88:89]
	s_mul_hi_u32 s21, s55, s86
	s_mul_hi_u32 s90, s55, s87
	s_wait_alu 0xfffe
	s_add_co_u32 s22, s88, s22
	s_add_co_ci_u32 s70, s89, s21
	s_mul_i32 s86, s55, s87
	s_add_co_ci_u32 s87, s90, 0
	s_wait_alu 0xfffe
	s_add_nc_u64 s[86:87], s[70:71], s[86:87]
	s_wait_alu 0xfffe
	s_add_co_u32 s21, s54, s86
	s_cselect_b32 s22, -1, 0
	s_wait_alu 0xfffe
	s_cmp_lg_u32 s22, 0
	s_add_co_ci_u32 s22, s55, s87
	s_ashr_i32 s54, s7, 31
	s_wait_alu 0xfffe
	s_mov_b32 s55, s54
	s_wait_alu 0xfffe
	s_add_nc_u64 s[86:87], s[6:7], s[54:55]
	s_wait_alu 0xfffe
	s_xor_b64 s[86:87], s[86:87], s[54:55]
	s_wait_alu 0xfffe
	s_mul_hi_u32 s89, s86, s22
	s_mul_i32 s88, s86, s22
	s_mul_hi_u32 s70, s86, s21
	s_mul_hi_u32 s92, s87, s21
	s_mul_i32 s21, s87, s21
	s_wait_alu 0xfffe
	s_add_nc_u64 s[88:89], s[70:71], s[88:89]
	s_mul_hi_u32 s91, s87, s22
	s_wait_alu 0xfffe
	s_add_co_u32 s21, s88, s21
	s_add_co_ci_u32 s70, s89, s92
	s_mul_i32 s90, s87, s22
	s_add_co_ci_u32 s91, s91, 0
	s_wait_alu 0xfffe
	s_add_nc_u64 s[88:89], s[70:71], s[90:91]
	s_wait_alu 0xfffe
	s_mul_u64 s[88:89], s[14:15], s[88:89]
	s_wait_alu 0xfffe
	s_sub_co_u32 s21, s86, s88
	s_cselect_b32 s22, -1, 0
	s_sub_co_i32 s70, s87, s89
	s_wait_alu 0xfffe
	s_cmp_lg_u32 s22, 0
	s_sub_co_ci_u32 s70, s70, s15
	s_sub_co_u32 s86, s21, s14
	s_cselect_b32 s88, -1, 0
	s_wait_alu 0xfffe
	s_cmp_lg_u32 s88, 0
	s_sub_co_ci_u32 s90, s70, 0
	s_wait_alu 0xfffe
	s_cmp_ge_u32 s90, s15
	s_cselect_b32 s91, -1, 0
	s_cmp_ge_u32 s86, s14
	s_cselect_b32 s92, -1, 0
	s_cmp_eq_u32 s90, s15
	s_wait_alu 0xfffe
	s_cselect_b32 s91, s92, s91
	s_cmp_lg_u32 s88, 0
	s_sub_co_ci_u32 s70, s70, s15
	s_sub_co_u32 s88, s86, s14
	s_cselect_b32 s92, -1, 0
	s_wait_alu 0xfffe
	s_cmp_lg_u32 s92, 0
	s_sub_co_ci_u32 s70, s70, 0
	s_cmp_lg_u32 s91, 0
	s_cselect_b32 s86, s88, s86
	s_wait_alu 0xfffe
	s_cselect_b32 s70, s70, s90
	s_cmp_lg_u32 s22, 0
	s_sub_co_ci_u32 s22, s87, s89
	s_wait_alu 0xfffe
	s_cmp_ge_u32 s22, s15
	s_cselect_b32 s87, -1, 0
	s_cmp_ge_u32 s21, s14
	s_cselect_b32 s14, -1, 0
	s_cmp_eq_u32 s22, s15
	s_wait_alu 0xfffe
	s_cselect_b32 s14, s14, s87
	s_wait_alu 0xfffe
	s_cmp_lg_u32 s14, 0
	s_cselect_b32 s15, s70, s22
	s_cselect_b32 s14, s86, s21
	s_wait_alu 0xfffe
	s_xor_b64 s[14:15], s[14:15], s[54:55]
	s_wait_alu 0xfffe
	s_sub_nc_u64 s[14:15], s[14:15], s[54:55]
	s_cbranch_execnz .LBB38_171
.LBB38_170:                             ;   in Loop: Header=BB38_32 Depth=1
	v_cvt_f32_u32_e32 v4, s68
	s_sub_co_i32 s15, 0, s68
	s_delay_alu instid0(VALU_DEP_1) | instskip(NEXT) | instid1(TRANS32_DEP_1)
	v_rcp_iflag_f32_e32 v4, v4
	v_mul_f32_e32 v4, 0x4f7ffffe, v4
	s_delay_alu instid0(VALU_DEP_1) | instskip(NEXT) | instid1(VALU_DEP_1)
	v_cvt_u32_f32_e32 v4, v4
	v_readfirstlane_b32 s14, v4
	s_wait_alu 0xfffe
	s_mul_i32 s15, s15, s14
	s_wait_alu 0xfffe
	s_mul_hi_u32 s15, s14, s15
	s_wait_alu 0xfffe
	s_add_co_i32 s14, s14, s15
	s_wait_alu 0xfffe
	s_mul_hi_u32 s14, s6, s14
	s_wait_alu 0xfffe
	s_mul_i32 s14, s14, s68
	s_wait_alu 0xfffe
	s_sub_co_i32 s14, s6, s14
	s_wait_alu 0xfffe
	s_sub_co_i32 s15, s14, s68
	s_cmp_ge_u32 s14, s68
	s_wait_alu 0xfffe
	s_cselect_b32 s14, s15, s14
	s_wait_alu 0xfffe
	s_sub_co_i32 s15, s14, s68
	s_cmp_ge_u32 s14, s68
	s_wait_alu 0xfffe
	s_cselect_b32 s70, s15, s14
	s_wait_alu 0xfffe
	s_mov_b64 s[14:15], s[70:71]
.LBB38_171:                             ;   in Loop: Header=BB38_32 Depth=1
	s_wait_alu 0xfffe
	s_sub_nc_u64 s[6:7], s[6:7], s[14:15]
	s_mov_b32 s14, exec_lo
                                        ; implicit-def: $vgpr47
	s_wait_alu 0xfffe
	v_cmpx_gt_i64_e64 s[6:7], v[0:1]
	s_cbranch_execz .LBB38_180
; %bb.172:                              ;   in Loop: Header=BB38_32 Depth=1
	v_dual_mov_b32 v10, v35 :: v_dual_mov_b32 v5, v1
	v_mov_b32_e32 v4, v0
	s_mov_b32 s15, 0
                                        ; implicit-def: $sgpr21
	s_branch .LBB38_175
.LBB38_173:                             ;   in Loop: Header=BB38_175 Depth=2
	s_wait_alu 0xfffe
	s_or_b32 exec_lo, exec_lo, s22
	s_wait_loadcnt_dscnt 0x0
	s_barrier_signal -1
	s_barrier_wait -1
	global_inv scope:SCOPE_SE
	ds_load_b32 v11, v3 offset:3072
	s_mov_b32 s22, -1
	s_mov_b32 s54, -1
	s_wait_loadcnt_dscnt 0x0
	s_barrier_signal -1
	s_barrier_wait -1
	global_inv scope:SCOPE_SE
	v_and_b32_e32 v28, 0xffff, v11
	s_delay_alu instid0(VALU_DEP_1)
	v_cmp_eq_u32_e32 vcc_lo, 0, v28
	s_cbranch_vccnz .LBB38_178
.LBB38_174:                             ;   in Loop: Header=BB38_175 Depth=2
	s_wait_alu 0xfffe
	s_and_b32 s22, exec_lo, s22
	s_wait_alu 0xfffe
	s_or_b32 s15, s22, s15
	s_and_not1_b32 s21, s21, exec_lo
	s_and_b32 s22, s54, exec_lo
	s_wait_alu 0xfffe
	s_or_b32 s21, s21, s22
	s_and_not1_b32 exec_lo, exec_lo, s15
	s_cbranch_execz .LBB38_179
.LBB38_175:                             ;   Parent Loop BB38_32 Depth=1
                                        ; =>  This Inner Loop Header: Depth=2
	s_mov_b32 s22, exec_lo
	s_delay_alu instid0(VALU_DEP_1)
	v_cmpx_gt_u64_e64 s[12:13], v[4:5]
	s_cbranch_execz .LBB38_173
; %bb.176:                              ;   in Loop: Header=BB38_175 Depth=2
	ds_load_u16 v11, v10
	s_wait_dscnt 0x0
	v_bfe_i32 v28, v11, 0, 16
	s_delay_alu instid0(VALU_DEP_1) | instskip(NEXT) | instid1(VALU_DEP_1)
	v_add_nc_u32_e32 v28, 0x8000, v28
	v_and_b32_e32 v28, v28, v46
	s_delay_alu instid0(VALU_DEP_1)
	v_cmp_eq_u32_e32 vcc_lo, v28, v40
	s_and_b32 exec_lo, exec_lo, vcc_lo
	s_cbranch_execz .LBB38_173
; %bb.177:                              ;   in Loop: Header=BB38_175 Depth=2
	v_perm_b32 v11, v11, 1, 0x5040100
	ds_store_b32 v3, v11 offset:3072
	s_branch .LBB38_173
.LBB38_178:                             ;   in Loop: Header=BB38_175 Depth=2
	v_add_co_u32 v4, vcc_lo, v4, s68
	s_wait_alu 0xfffd
	v_add_co_ci_u32_e64 v5, null, 0, v5, vcc_lo
	v_add_nc_u32_e32 v10, s64, v10
	s_mov_b32 s54, 0
	s_delay_alu instid0(VALU_DEP_2)
	v_cmp_le_i64_e32 vcc_lo, s[6:7], v[4:5]
	s_or_not1_b32 s22, vcc_lo, exec_lo
	s_branch .LBB38_174
.LBB38_179:                             ;   in Loop: Header=BB38_32 Depth=1
	s_or_b32 exec_lo, exec_lo, s15
	v_lshrrev_b32_e32 v47, 16, v11
	s_and_not1_b32 s6, s25, exec_lo
	s_wait_alu 0xfffe
	s_and_b32 s7, s21, exec_lo
	s_wait_alu 0xfffe
	s_or_b32 s25, s6, s7
.LBB38_180:                             ;   in Loop: Header=BB38_32 Depth=1
	s_or_b32 exec_lo, exec_lo, s14
	s_mov_b32 s21, 0
	s_mov_b32 s22, -1
.LBB38_181:                             ;   in Loop: Header=BB38_32 Depth=1
	s_wait_alu 0xfffe
	s_or_not1_b32 s6, s25, exec_lo
.LBB38_182:                             ;   in Loop: Header=BB38_32 Depth=1
	s_wait_alu 0xfffe
	s_or_b32 exec_lo, exec_lo, s23
	s_mov_b32 s7, 0
	s_and_saveexec_b32 s23, s6
	s_cbranch_execz .LBB38_288
; %bb.183:                              ;   in Loop: Header=BB38_32 Depth=1
	v_mov_b32_e32 v4, 1
	v_dual_mov_b32 v5, 0 :: v_dual_mov_b32 v2, 1
	s_xor_b32 s12, s24, -1
	s_wait_alu 0xfffe
	s_and_saveexec_b32 s6, s12
	s_cbranch_execz .LBB38_193
; %bb.184:                              ;   in Loop: Header=BB38_32 Depth=1
	s_mov_b32 s7, exec_lo
	v_cmpx_le_i64_e64 v[8:9], v[6:7]
	s_wait_alu 0xfffe
	s_xor_b32 s7, exec_lo, s7
	s_cbranch_execz .LBB38_190
; %bb.185:                              ;   in Loop: Header=BB38_32 Depth=1
	ds_load_b64 v[4:5], v3 offset:5120
	s_lshl_b32 s12, 1, s65
	v_or_b32_e32 v46, s16, v46
	s_wait_alu 0xfffe
	v_and_or_b32 v40, v40, s20, s12
	s_wait_dscnt 0x0
	v_cmp_ne_u64_e32 vcc_lo, 0, v[4:5]
	s_cbranch_vccnz .LBB38_189
; %bb.186:                              ;   in Loop: Header=BB38_32 Depth=1
	s_and_saveexec_b32 s12, s2
; %bb.187:                              ;   in Loop: Header=BB38_32 Depth=1
	ds_store_b64 v3, v[6:7] offset:5128
; %bb.188:                              ;   in Loop: Header=BB38_32 Depth=1
	s_wait_alu 0xfffe
	s_or_b32 exec_lo, exec_lo, s12
	s_wait_loadcnt_dscnt 0x0
	s_barrier_signal -1
	s_barrier_wait -1
	global_inv scope:SCOPE_SE
.LBB38_189:                             ;   in Loop: Header=BB38_32 Depth=1
                                        ; implicit-def: $vgpr4_vgpr5_vgpr6_vgpr7
.LBB38_190:                             ;   in Loop: Header=BB38_32 Depth=1
	s_wait_alu 0xfffe
	s_or_saveexec_b32 s7, s7
	v_mov_b32_e32 v2, 8
	s_mov_b32 s12, 0
	s_wait_alu 0xfffe
	s_xor_b32 exec_lo, exec_lo, s7
; %bb.191:                              ;   in Loop: Header=BB38_32 Depth=1
	v_sub_co_u32 v8, vcc_lo, v8, v6
	s_wait_alu 0xfffd
	v_sub_co_ci_u32_e64 v9, null, v9, v7, vcc_lo
	v_mov_b32_e32 v2, 0
	s_mov_b32 s12, exec_lo
; %bb.192:                              ;   in Loop: Header=BB38_32 Depth=1
	s_or_b32 exec_lo, exec_lo, s7
	s_delay_alu instid0(VALU_DEP_2)
	v_dual_mov_b32 v4, v8 :: v_dual_mov_b32 v5, v9
	s_wait_alu 0xfffe
	s_and_b32 s7, s12, exec_lo
.LBB38_193:                             ;   in Loop: Header=BB38_32 Depth=1
	s_wait_alu 0xfffe
	s_or_b32 exec_lo, exec_lo, s6
	s_mov_b32 s6, -1
                                        ; implicit-def: $sgpr25
                                        ; implicit-def: $sgpr54
	s_and_saveexec_b32 s24, s7
	s_cbranch_execz .LBB38_287
; %bb.194:                              ;   in Loop: Header=BB38_32 Depth=1
	v_cmp_eq_u64_e32 vcc_lo, 1, v[4:5]
	s_cmp_eq_u64 s[10:11], 1
                                        ; implicit-def: $sgpr54
                                        ; implicit-def: $sgpr25
	s_cselect_b32 s6, -1, 0
	s_wait_alu 0xfffe
	s_and_b32 s55, s6, vcc_lo
	s_mov_b32 s6, -1
	s_wait_alu 0xfffe
	s_and_saveexec_b32 s86, s55
	s_cbranch_execz .LBB38_228
; %bb.195:                              ;   in Loop: Header=BB38_32 Depth=1
	ds_load_b64 v[6:7], v3 offset:5120
	s_wait_loadcnt_dscnt 0x0
	s_barrier_signal -1
	s_barrier_wait -1
	global_inv scope:SCOPE_SE
	v_readfirstlane_b32 s12, v6
	v_readfirstlane_b32 s13, v7
	s_and_saveexec_b32 s6, s3
; %bb.196:                              ;   in Loop: Header=BB38_32 Depth=1
	ds_store_b16 v36, v3
; %bb.197:                              ;   in Loop: Header=BB38_32 Depth=1
	s_wait_alu 0xfffe
	s_or_b32 exec_lo, exec_lo, s6
	s_lshl_b32 s6, 2, s65
	v_or_b32_e32 v46, s16, v46
	s_wait_alu 0xfffe
	v_and_or_b32 v40, v40, s20, s6
	v_cmp_gt_i64_e64 s6, s[12:13], 0
	s_mov_b32 s25, -1
	s_mov_b32 s54, 0
	s_mov_b32 s87, 0
	s_mov_b32 s7, -1
	s_wait_loadcnt_dscnt 0x0
	s_and_b32 vcc_lo, exec_lo, s6
	s_barrier_signal -1
	s_barrier_wait -1
	global_inv scope:SCOPE_SE
                                        ; implicit-def: $vgpr47
	s_wait_alu 0xfffe
	s_cbranch_vccnz .LBB38_213
; %bb.198:                              ;   in Loop: Header=BB38_32 Depth=1
	s_mov_b32 s6, s71
	s_mov_b32 s7, s79
	s_wait_alu 0xfffe
	s_cmp_lg_u64 s[6:7], 0
	s_cbranch_scc0 .LBB38_254
; %bb.199:                              ;   in Loop: Header=BB38_32 Depth=1
	s_add_nc_u64 s[6:7], s[68:69], 0
	s_wait_alu 0xfffe
	s_xor_b64 s[6:7], s[6:7], 0
	s_wait_alu 0xfffe
	s_cvt_f32_u32 s14, s6
	s_cvt_f32_u32 s15, s7
	s_sub_nc_u64 s[88:89], 0, s[6:7]
	s_wait_alu 0xfffe
	s_delay_alu instid0(SALU_CYCLE_1) | instskip(SKIP_1) | instid1(SALU_CYCLE_2)
	s_fmamk_f32 s14, s15, 0x4f800000, s14
	s_wait_alu 0xfffe
	v_s_rcp_f32 s14, s14
	s_delay_alu instid0(TRANS32_DEP_1) | instskip(SKIP_1) | instid1(SALU_CYCLE_2)
	s_mul_f32 s14, s14, 0x5f7ffffc
	s_wait_alu 0xfffe
	s_mul_f32 s15, s14, 0x2f800000
	s_wait_alu 0xfffe
	s_delay_alu instid0(SALU_CYCLE_2) | instskip(SKIP_1) | instid1(SALU_CYCLE_2)
	s_trunc_f32 s15, s15
	s_wait_alu 0xfffe
	s_fmamk_f32 s14, s15, 0xcf800000, s14
	s_cvt_u32_f32 s15, s15
	s_wait_alu 0xfffe
	s_delay_alu instid0(SALU_CYCLE_1) | instskip(SKIP_1) | instid1(SALU_CYCLE_2)
	s_cvt_u32_f32 s14, s14
	s_wait_alu 0xfffe
	s_mul_u64 s[90:91], s[88:89], s[14:15]
	s_wait_alu 0xfffe
	s_mul_hi_u32 s93, s14, s91
	s_mul_i32 s92, s14, s91
	s_mul_hi_u32 s70, s14, s90
	s_mul_i32 s94, s15, s90
	s_wait_alu 0xfffe
	s_add_nc_u64 s[92:93], s[70:71], s[92:93]
	s_mul_hi_u32 s87, s15, s90
	s_mul_hi_u32 s95, s15, s91
	s_wait_alu 0xfffe
	s_add_co_u32 s70, s92, s94
	s_add_co_ci_u32 s70, s93, s87
	s_mul_i32 s90, s15, s91
	s_add_co_ci_u32 s91, s95, 0
	s_wait_alu 0xfffe
	s_add_nc_u64 s[90:91], s[70:71], s[90:91]
	s_wait_alu 0xfffe
	s_add_co_u32 s14, s14, s90
	s_cselect_b32 s70, -1, 0
	s_wait_alu 0xfffe
	s_cmp_lg_u32 s70, 0
	s_add_co_ci_u32 s15, s15, s91
	s_wait_alu 0xfffe
	s_mul_u64 s[88:89], s[88:89], s[14:15]
	s_wait_alu 0xfffe
	s_mul_hi_u32 s91, s14, s89
	s_mul_i32 s90, s14, s89
	s_mul_hi_u32 s70, s14, s88
	s_mul_i32 s92, s15, s88
	s_wait_alu 0xfffe
	s_add_nc_u64 s[90:91], s[70:71], s[90:91]
	s_mul_hi_u32 s87, s15, s88
	s_mul_hi_u32 s93, s15, s89
	s_wait_alu 0xfffe
	s_add_co_u32 s70, s90, s92
	s_add_co_ci_u32 s70, s91, s87
	s_mul_i32 s88, s15, s89
	s_add_co_ci_u32 s89, s93, 0
	s_wait_alu 0xfffe
	s_add_nc_u64 s[88:89], s[70:71], s[88:89]
	s_wait_alu 0xfffe
	s_add_co_u32 s87, s14, s88
	s_cselect_b32 s14, -1, 0
	s_wait_alu 0xfffe
	s_cmp_lg_u32 s14, 0
	s_add_co_ci_u32 s92, s15, s89
	s_ashr_i32 s14, s79, 31
	s_wait_alu 0xfffe
	s_mov_b32 s15, s14
	s_wait_alu 0xfffe
	s_add_nc_u64 s[88:89], s[78:79], s[14:15]
	s_wait_alu 0xfffe
	s_xor_b64 s[88:89], s[88:89], s[14:15]
	s_wait_alu 0xfffe
	s_mul_hi_u32 s91, s88, s92
	s_mul_i32 s90, s88, s92
	s_mul_hi_u32 s70, s88, s87
	s_mul_hi_u32 s94, s89, s87
	s_mul_i32 s87, s89, s87
	s_wait_alu 0xfffe
	s_add_nc_u64 s[90:91], s[70:71], s[90:91]
	s_mul_hi_u32 s93, s89, s92
	s_wait_alu 0xfffe
	s_add_co_u32 s70, s90, s87
	s_add_co_ci_u32 s70, s91, s94
	s_mul_i32 s92, s89, s92
	s_add_co_ci_u32 s93, s93, 0
	s_wait_alu 0xfffe
	s_add_nc_u64 s[90:91], s[70:71], s[92:93]
	s_wait_alu 0xfffe
	s_mul_u64 s[90:91], s[6:7], s[90:91]
	s_wait_alu 0xfffe
	s_sub_co_u32 s70, s88, s90
	s_cselect_b32 s87, -1, 0
	s_sub_co_i32 s88, s89, s91
	s_wait_alu 0xfffe
	s_cmp_lg_u32 s87, 0
	s_sub_co_ci_u32 s88, s88, s7
	s_sub_co_u32 s90, s70, s6
	s_cselect_b32 s92, -1, 0
	s_wait_alu 0xfffe
	s_cmp_lg_u32 s92, 0
	s_sub_co_ci_u32 s93, s88, 0
	s_wait_alu 0xfffe
	s_cmp_ge_u32 s93, s7
	s_cselect_b32 s94, -1, 0
	s_cmp_ge_u32 s90, s6
	s_cselect_b32 s95, -1, 0
	s_cmp_eq_u32 s93, s7
	s_wait_alu 0xfffe
	s_cselect_b32 s94, s95, s94
	s_cmp_lg_u32 s92, 0
	s_sub_co_ci_u32 s88, s88, s7
	s_sub_co_u32 s92, s90, s6
	s_cselect_b32 s95, -1, 0
	s_wait_alu 0xfffe
	s_cmp_lg_u32 s95, 0
	s_sub_co_ci_u32 s88, s88, 0
	s_cmp_lg_u32 s94, 0
	s_cselect_b32 s90, s92, s90
	s_wait_alu 0xfffe
	s_cselect_b32 s88, s88, s93
	s_cmp_lg_u32 s87, 0
	s_sub_co_ci_u32 s87, s89, s91
	s_wait_alu 0xfffe
	s_cmp_ge_u32 s87, s7
	s_cselect_b32 s89, -1, 0
	s_cmp_ge_u32 s70, s6
	s_cselect_b32 s6, -1, 0
	s_cmp_eq_u32 s87, s7
	s_wait_alu 0xfffe
	s_cselect_b32 s6, s6, s89
	s_wait_alu 0xfffe
	s_cmp_lg_u32 s6, 0
	s_cselect_b32 s7, s88, s87
	s_cselect_b32 s6, s90, s70
	s_wait_alu 0xfffe
	s_xor_b64 s[6:7], s[6:7], s[14:15]
	s_wait_alu 0xfffe
	s_sub_nc_u64 s[6:7], s[6:7], s[14:15]
	s_cbranch_execnz .LBB38_201
.LBB38_200:                             ;   in Loop: Header=BB38_32 Depth=1
	v_cvt_f32_u32_e32 v6, s68
	s_sub_co_i32 s7, 0, s68
	s_delay_alu instid0(VALU_DEP_1) | instskip(NEXT) | instid1(TRANS32_DEP_1)
	v_rcp_iflag_f32_e32 v6, v6
	v_mul_f32_e32 v6, 0x4f7ffffe, v6
	s_delay_alu instid0(VALU_DEP_1) | instskip(NEXT) | instid1(VALU_DEP_1)
	v_cvt_u32_f32_e32 v6, v6
	v_readfirstlane_b32 s6, v6
	s_wait_alu 0xfffe
	s_mul_i32 s7, s7, s6
	s_wait_alu 0xfffe
	s_mul_hi_u32 s7, s6, s7
	s_wait_alu 0xfffe
	s_add_co_i32 s6, s6, s7
	s_wait_alu 0xfffe
	s_mul_hi_u32 s6, s78, s6
	s_wait_alu 0xfffe
	s_mul_i32 s6, s6, s68
	s_wait_alu 0xfffe
	s_sub_co_i32 s6, s78, s6
	s_wait_alu 0xfffe
	s_sub_co_i32 s7, s6, s68
	s_cmp_ge_u32 s6, s68
	s_wait_alu 0xfffe
	s_cselect_b32 s6, s7, s6
	s_wait_alu 0xfffe
	s_sub_co_i32 s7, s6, s68
	s_cmp_ge_u32 s6, s68
	s_wait_alu 0xfffe
	s_cselect_b32 s70, s7, s6
	s_wait_alu 0xfffe
	s_mov_b64 s[6:7], s[70:71]
.LBB38_201:                             ;   in Loop: Header=BB38_32 Depth=1
	s_wait_alu 0xfffe
	s_sub_nc_u64 s[14:15], s[78:79], s[6:7]
	s_mov_b32 s7, 0
	s_mov_b32 s87, 0
	s_mov_b32 s70, exec_lo
                                        ; implicit-def: $vgpr47
	s_wait_alu 0xfffe
	v_cmpx_gt_i64_e64 s[14:15], v[0:1]
	s_cbranch_execz .LBB38_212
; %bb.202:                              ;   in Loop: Header=BB38_32 Depth=1
	v_dual_mov_b32 v6, v12 :: v_dual_mov_b32 v7, v13
	v_dual_mov_b32 v9, v1 :: v_dual_mov_b32 v8, v0
                                        ; implicit-def: $sgpr88
	s_branch .LBB38_205
.LBB38_203:                             ;   in Loop: Header=BB38_205 Depth=2
	s_wait_alu 0xfffe
	s_or_b32 exec_lo, exec_lo, s6
	s_wait_loadcnt_dscnt 0x0
	s_barrier_signal -1
	s_barrier_wait -1
	global_inv scope:SCOPE_SE
	ds_load_b32 v10, v3 offset:3072
	s_mov_b32 s6, -1
	s_mov_b32 s89, -1
	s_wait_loadcnt_dscnt 0x0
	s_barrier_signal -1
	s_barrier_wait -1
	global_inv scope:SCOPE_SE
	v_and_b32_e32 v11, 0xffff, v10
	s_delay_alu instid0(VALU_DEP_1)
	v_cmp_ne_u32_e32 vcc_lo, 0, v11
	s_cbranch_vccz .LBB38_208
.LBB38_204:                             ;   in Loop: Header=BB38_205 Depth=2
	s_wait_alu 0xfffe
	s_and_b32 s6, exec_lo, s6
	s_wait_alu 0xfffe
	s_or_b32 s87, s6, s87
	s_and_not1_b32 s6, s88, exec_lo
	s_and_b32 s88, s89, exec_lo
	s_wait_alu 0xfffe
	s_or_b32 s88, s6, s88
	s_and_not1_b32 exec_lo, exec_lo, s87
	s_cbranch_execz .LBB38_211
.LBB38_205:                             ;   Parent Loop BB38_32 Depth=1
                                        ; =>  This Inner Loop Header: Depth=2
	s_mov_b32 s6, exec_lo
	s_delay_alu instid0(VALU_DEP_1)
	v_cmpx_gt_i64_e64 s[36:37], v[8:9]
	s_cbranch_execz .LBB38_203
; %bb.206:                              ;   in Loop: Header=BB38_205 Depth=2
	global_load_u16 v10, v[6:7], off
	s_wait_loadcnt 0x0
	v_bfe_i32 v11, v10, 0, 16
	s_delay_alu instid0(VALU_DEP_1) | instskip(NEXT) | instid1(VALU_DEP_1)
	v_add_nc_u32_e32 v11, 0x8000, v11
	v_and_b32_e32 v11, v11, v46
	s_delay_alu instid0(VALU_DEP_1)
	v_cmp_eq_u32_e32 vcc_lo, v11, v40
	s_and_b32 exec_lo, exec_lo, vcc_lo
	s_cbranch_execz .LBB38_203
; %bb.207:                              ;   in Loop: Header=BB38_205 Depth=2
	v_perm_b32 v10, v10, 1, 0x5040100
	ds_store_b32 v3, v10 offset:3072
	s_branch .LBB38_203
.LBB38_208:                             ;   in Loop: Header=BB38_205 Depth=2
	v_add_co_u32 v8, vcc_lo, v8, s68
	s_wait_alu 0xfffd
	v_add_co_ci_u32_e64 v9, null, 0, v9, vcc_lo
	v_add_co_u32 v6, s6, v6, s72
	s_wait_alu 0xf1fe
	v_add_co_ci_u32_e64 v7, null, s73, v7, s6
	s_delay_alu instid0(VALU_DEP_3)
	v_cmp_le_i64_e32 vcc_lo, s[14:15], v[8:9]
	s_mov_b32 s89, 0
	s_or_not1_b32 s6, vcc_lo, exec_lo
	s_branch .LBB38_204
.LBB38_209:                             ;   in Loop: Header=BB38_32 Depth=1
                                        ; implicit-def: $sgpr6_sgpr7
	s_branch .LBB38_154
.LBB38_210:                             ;   in Loop: Header=BB38_32 Depth=1
                                        ; implicit-def: $sgpr14_sgpr15
	s_branch .LBB38_170
.LBB38_211:                             ;   in Loop: Header=BB38_32 Depth=1
	s_or_b32 exec_lo, exec_lo, s87
	v_lshrrev_b32_e32 v47, 16, v10
	s_wait_alu 0xfffe
	s_and_b32 s87, s88, exec_lo
.LBB38_212:                             ;   in Loop: Header=BB38_32 Depth=1
	s_or_b32 exec_lo, exec_lo, s70
.LBB38_213:                             ;   in Loop: Header=BB38_32 Depth=1
	s_delay_alu instid0(SALU_CYCLE_1)
	s_and_b32 vcc_lo, exec_lo, s7
	s_wait_alu 0xfffe
	s_cbranch_vccz .LBB38_227
; %bb.214:                              ;   in Loop: Header=BB38_32 Depth=1
	s_add_nc_u64 s[6:7], s[12:13], s[76:77]
	s_mov_b32 s14, s71
	s_wait_alu 0xfffe
	s_mov_b32 s15, s7
	s_wait_alu 0xfffe
	s_cmp_lg_u64 s[14:15], 0
	s_cbranch_scc0 .LBB38_255
; %bb.215:                              ;   in Loop: Header=BB38_32 Depth=1
	s_add_nc_u64 s[14:15], s[68:69], 0
	s_wait_alu 0xfffe
	s_xor_b64 s[14:15], s[14:15], 0
	s_wait_alu 0xfffe
	s_cvt_f32_u32 s25, s14
	s_cvt_f32_u32 s54, s15
	s_sub_nc_u64 s[90:91], 0, s[14:15]
	s_wait_alu 0xfffe
	s_delay_alu instid0(SALU_CYCLE_1) | instskip(SKIP_1) | instid1(SALU_CYCLE_2)
	s_fmamk_f32 s25, s54, 0x4f800000, s25
	s_wait_alu 0xfffe
	v_s_rcp_f32 s25, s25
	s_delay_alu instid0(TRANS32_DEP_1) | instskip(SKIP_1) | instid1(SALU_CYCLE_2)
	s_mul_f32 s25, s25, 0x5f7ffffc
	s_wait_alu 0xfffe
	s_mul_f32 s54, s25, 0x2f800000
	s_wait_alu 0xfffe
	s_delay_alu instid0(SALU_CYCLE_2) | instskip(SKIP_1) | instid1(SALU_CYCLE_2)
	s_trunc_f32 s54, s54
	s_wait_alu 0xfffe
	s_fmamk_f32 s25, s54, 0xcf800000, s25
	s_cvt_u32_f32 s89, s54
	s_wait_alu 0xfffe
	s_delay_alu instid0(SALU_CYCLE_1) | instskip(SKIP_1) | instid1(SALU_CYCLE_2)
	s_cvt_u32_f32 s88, s25
	s_wait_alu 0xfffe
	s_mul_u64 s[92:93], s[90:91], s[88:89]
	s_wait_alu 0xfffe
	s_mul_hi_u32 s95, s88, s93
	s_mul_i32 s94, s88, s93
	s_mul_hi_u32 s70, s88, s92
	s_mul_i32 s54, s89, s92
	s_wait_alu 0xfffe
	s_add_nc_u64 s[94:95], s[70:71], s[94:95]
	s_mul_hi_u32 s25, s89, s92
	s_mul_hi_u32 s96, s89, s93
	s_wait_alu 0xfffe
	s_add_co_u32 s54, s94, s54
	s_add_co_ci_u32 s70, s95, s25
	s_mul_i32 s92, s89, s93
	s_add_co_ci_u32 s93, s96, 0
	s_wait_alu 0xfffe
	s_add_nc_u64 s[92:93], s[70:71], s[92:93]
	s_wait_alu 0xfffe
	s_add_co_u32 s88, s88, s92
	s_cselect_b32 s25, -1, 0
	s_wait_alu 0xfffe
	s_cmp_lg_u32 s25, 0
	s_add_co_ci_u32 s89, s89, s93
	s_wait_alu 0xfffe
	s_mul_u64 s[90:91], s[90:91], s[88:89]
	s_wait_alu 0xfffe
	s_mul_hi_u32 s93, s88, s91
	s_mul_i32 s92, s88, s91
	s_mul_hi_u32 s70, s88, s90
	s_mul_i32 s54, s89, s90
	s_wait_alu 0xfffe
	s_add_nc_u64 s[92:93], s[70:71], s[92:93]
	s_mul_hi_u32 s25, s89, s90
	s_mul_hi_u32 s94, s89, s91
	s_wait_alu 0xfffe
	s_add_co_u32 s54, s92, s54
	s_add_co_ci_u32 s70, s93, s25
	s_mul_i32 s90, s89, s91
	s_add_co_ci_u32 s91, s94, 0
	s_wait_alu 0xfffe
	s_add_nc_u64 s[90:91], s[70:71], s[90:91]
	s_wait_alu 0xfffe
	s_add_co_u32 s25, s88, s90
	s_cselect_b32 s54, -1, 0
	s_wait_alu 0xfffe
	s_cmp_lg_u32 s54, 0
	s_add_co_ci_u32 s54, s89, s91
	s_ashr_i32 s88, s7, 31
	s_wait_alu 0xfffe
	s_mov_b32 s89, s88
	s_wait_alu 0xfffe
	s_add_nc_u64 s[90:91], s[6:7], s[88:89]
	s_wait_alu 0xfffe
	s_xor_b64 s[90:91], s[90:91], s[88:89]
	s_wait_alu 0xfffe
	s_mul_hi_u32 s93, s90, s54
	s_mul_i32 s92, s90, s54
	s_mul_hi_u32 s70, s90, s25
	s_mul_hi_u32 s96, s91, s25
	s_mul_i32 s25, s91, s25
	s_wait_alu 0xfffe
	s_add_nc_u64 s[92:93], s[70:71], s[92:93]
	s_mul_hi_u32 s95, s91, s54
	s_wait_alu 0xfffe
	s_add_co_u32 s25, s92, s25
	s_add_co_ci_u32 s70, s93, s96
	s_mul_i32 s94, s91, s54
	s_add_co_ci_u32 s95, s95, 0
	s_wait_alu 0xfffe
	s_add_nc_u64 s[92:93], s[70:71], s[94:95]
	s_wait_alu 0xfffe
	s_mul_u64 s[92:93], s[14:15], s[92:93]
	s_wait_alu 0xfffe
	s_sub_co_u32 s25, s90, s92
	s_cselect_b32 s54, -1, 0
	s_sub_co_i32 s70, s91, s93
	s_wait_alu 0xfffe
	s_cmp_lg_u32 s54, 0
	s_sub_co_ci_u32 s70, s70, s15
	s_sub_co_u32 s90, s25, s14
	s_cselect_b32 s92, -1, 0
	s_wait_alu 0xfffe
	s_cmp_lg_u32 s92, 0
	s_sub_co_ci_u32 s94, s70, 0
	s_wait_alu 0xfffe
	s_cmp_ge_u32 s94, s15
	s_cselect_b32 s95, -1, 0
	s_cmp_ge_u32 s90, s14
	s_cselect_b32 s96, -1, 0
	s_cmp_eq_u32 s94, s15
	s_wait_alu 0xfffe
	s_cselect_b32 s95, s96, s95
	s_cmp_lg_u32 s92, 0
	s_sub_co_ci_u32 s70, s70, s15
	s_sub_co_u32 s92, s90, s14
	s_cselect_b32 s96, -1, 0
	s_wait_alu 0xfffe
	s_cmp_lg_u32 s96, 0
	s_sub_co_ci_u32 s70, s70, 0
	s_cmp_lg_u32 s95, 0
	s_cselect_b32 s90, s92, s90
	s_wait_alu 0xfffe
	s_cselect_b32 s70, s70, s94
	s_cmp_lg_u32 s54, 0
	s_sub_co_ci_u32 s54, s91, s93
	s_wait_alu 0xfffe
	s_cmp_ge_u32 s54, s15
	s_cselect_b32 s91, -1, 0
	s_cmp_ge_u32 s25, s14
	s_cselect_b32 s14, -1, 0
	s_cmp_eq_u32 s54, s15
	s_wait_alu 0xfffe
	s_cselect_b32 s14, s14, s91
	s_wait_alu 0xfffe
	s_cmp_lg_u32 s14, 0
	s_cselect_b32 s15, s70, s54
	s_cselect_b32 s14, s90, s25
	s_wait_alu 0xfffe
	s_xor_b64 s[14:15], s[14:15], s[88:89]
	s_wait_alu 0xfffe
	s_sub_nc_u64 s[14:15], s[14:15], s[88:89]
	s_cbranch_execnz .LBB38_217
.LBB38_216:                             ;   in Loop: Header=BB38_32 Depth=1
	v_cvt_f32_u32_e32 v6, s68
	s_sub_co_i32 s15, 0, s68
	s_delay_alu instid0(VALU_DEP_1) | instskip(NEXT) | instid1(TRANS32_DEP_1)
	v_rcp_iflag_f32_e32 v6, v6
	v_mul_f32_e32 v6, 0x4f7ffffe, v6
	s_delay_alu instid0(VALU_DEP_1) | instskip(NEXT) | instid1(VALU_DEP_1)
	v_cvt_u32_f32_e32 v6, v6
	v_readfirstlane_b32 s14, v6
	s_wait_alu 0xfffe
	s_mul_i32 s15, s15, s14
	s_wait_alu 0xfffe
	s_mul_hi_u32 s15, s14, s15
	s_wait_alu 0xfffe
	s_add_co_i32 s14, s14, s15
	s_wait_alu 0xfffe
	s_mul_hi_u32 s14, s6, s14
	s_wait_alu 0xfffe
	s_mul_i32 s14, s14, s68
	s_wait_alu 0xfffe
	s_sub_co_i32 s14, s6, s14
	s_wait_alu 0xfffe
	s_sub_co_i32 s15, s14, s68
	s_cmp_ge_u32 s14, s68
	s_wait_alu 0xfffe
	s_cselect_b32 s14, s15, s14
	s_wait_alu 0xfffe
	s_sub_co_i32 s15, s14, s68
	s_cmp_ge_u32 s14, s68
	s_wait_alu 0xfffe
	s_cselect_b32 s70, s15, s14
	s_wait_alu 0xfffe
	s_mov_b64 s[14:15], s[70:71]
.LBB38_217:                             ;   in Loop: Header=BB38_32 Depth=1
	s_wait_alu 0xfffe
	s_sub_nc_u64 s[6:7], s[6:7], s[14:15]
	s_mov_b32 s14, exec_lo
                                        ; implicit-def: $vgpr47
	s_wait_alu 0xfffe
	v_cmpx_gt_i64_e64 s[6:7], v[0:1]
	s_cbranch_execz .LBB38_226
; %bb.218:                              ;   in Loop: Header=BB38_32 Depth=1
	v_dual_mov_b32 v8, v35 :: v_dual_mov_b32 v7, v1
	v_mov_b32_e32 v6, v0
	s_mov_b32 s15, 0
                                        ; implicit-def: $sgpr25
	s_branch .LBB38_221
.LBB38_219:                             ;   in Loop: Header=BB38_221 Depth=2
	s_wait_alu 0xfffe
	s_or_b32 exec_lo, exec_lo, s54
	s_wait_loadcnt_dscnt 0x0
	s_barrier_signal -1
	s_barrier_wait -1
	global_inv scope:SCOPE_SE
	ds_load_b32 v9, v3 offset:3072
	s_mov_b32 s54, -1
	s_mov_b32 s70, -1
	s_wait_loadcnt_dscnt 0x0
	s_barrier_signal -1
	s_barrier_wait -1
	global_inv scope:SCOPE_SE
	v_and_b32_e32 v10, 0xffff, v9
	s_delay_alu instid0(VALU_DEP_1)
	v_cmp_eq_u32_e32 vcc_lo, 0, v10
	s_cbranch_vccnz .LBB38_224
.LBB38_220:                             ;   in Loop: Header=BB38_221 Depth=2
	s_wait_alu 0xfffe
	s_and_b32 s54, exec_lo, s54
	s_wait_alu 0xfffe
	s_or_b32 s15, s54, s15
	s_and_not1_b32 s25, s25, exec_lo
	s_and_b32 s54, s70, exec_lo
	s_wait_alu 0xfffe
	s_or_b32 s25, s25, s54
	s_and_not1_b32 exec_lo, exec_lo, s15
	s_cbranch_execz .LBB38_225
.LBB38_221:                             ;   Parent Loop BB38_32 Depth=1
                                        ; =>  This Inner Loop Header: Depth=2
	s_mov_b32 s54, exec_lo
	s_delay_alu instid0(VALU_DEP_1)
	v_cmpx_gt_u64_e64 s[12:13], v[6:7]
	s_cbranch_execz .LBB38_219
; %bb.222:                              ;   in Loop: Header=BB38_221 Depth=2
	ds_load_u16 v9, v8
	s_wait_dscnt 0x0
	v_bfe_i32 v10, v9, 0, 16
	s_delay_alu instid0(VALU_DEP_1) | instskip(NEXT) | instid1(VALU_DEP_1)
	v_add_nc_u32_e32 v10, 0x8000, v10
	v_and_b32_e32 v10, v10, v46
	s_delay_alu instid0(VALU_DEP_1)
	v_cmp_eq_u32_e32 vcc_lo, v10, v40
	s_and_b32 exec_lo, exec_lo, vcc_lo
	s_cbranch_execz .LBB38_219
; %bb.223:                              ;   in Loop: Header=BB38_221 Depth=2
	v_perm_b32 v9, v9, 1, 0x5040100
	ds_store_b32 v3, v9 offset:3072
	s_branch .LBB38_219
.LBB38_224:                             ;   in Loop: Header=BB38_221 Depth=2
	v_add_co_u32 v6, vcc_lo, v6, s68
	s_wait_alu 0xfffd
	v_add_co_ci_u32_e64 v7, null, 0, v7, vcc_lo
	v_add_nc_u32_e32 v8, s64, v8
	s_mov_b32 s70, 0
	s_delay_alu instid0(VALU_DEP_2)
	v_cmp_le_i64_e32 vcc_lo, s[6:7], v[6:7]
	s_or_not1_b32 s54, vcc_lo, exec_lo
	s_branch .LBB38_220
.LBB38_225:                             ;   in Loop: Header=BB38_32 Depth=1
	s_or_b32 exec_lo, exec_lo, s15
	v_lshrrev_b32_e32 v47, 16, v9
	s_and_not1_b32 s6, s87, exec_lo
	s_wait_alu 0xfffe
	s_and_b32 s7, s25, exec_lo
	s_wait_alu 0xfffe
	s_or_b32 s87, s6, s7
.LBB38_226:                             ;   in Loop: Header=BB38_32 Depth=1
	s_or_b32 exec_lo, exec_lo, s14
	s_mov_b32 s25, 0
	s_mov_b32 s54, -1
.LBB38_227:                             ;   in Loop: Header=BB38_32 Depth=1
	s_wait_alu 0xfffe
	s_or_not1_b32 s6, s87, exec_lo
.LBB38_228:                             ;   in Loop: Header=BB38_32 Depth=1
	s_wait_alu 0xfffe
	s_or_b32 exec_lo, exec_lo, s86
	s_mov_b32 s7, 0
	s_and_saveexec_b32 s14, s6
	s_cbranch_execz .LBB38_286
; %bb.229:                              ;   in Loop: Header=BB38_32 Depth=1
	v_mov_b32_e32 v6, 1
	v_dual_mov_b32 v7, 0 :: v_dual_mov_b32 v2, 1
	s_xor_b32 s12, s55, -1
	s_wait_alu 0xfffe
	s_and_saveexec_b32 s6, s12
	s_cbranch_execz .LBB38_238
; %bb.230:                              ;   in Loop: Header=BB38_32 Depth=1
	s_mov_b32 s7, exec_lo
	v_cmpx_ge_i64_e64 s[10:11], v[4:5]
	s_wait_alu 0xfffe
	s_xor_b32 s7, exec_lo, s7
	s_cbranch_execz .LBB38_235
; %bb.231:                              ;   in Loop: Header=BB38_32 Depth=1
	ds_load_b64 v[6:7], v3 offset:5120
	s_lshl_b32 s12, 2, s65
	v_or_b32_e32 v46, s16, v46
	s_wait_alu 0xfffe
	v_and_or_b32 v40, v40, s20, s12
	s_wait_dscnt 0x0
	v_cmp_ne_u64_e32 vcc_lo, 0, v[6:7]
	s_cbranch_vccnz .LBB38_235
; %bb.232:                              ;   in Loop: Header=BB38_32 Depth=1
	s_and_saveexec_b32 s12, s2
; %bb.233:                              ;   in Loop: Header=BB38_32 Depth=1
	v_dual_mov_b32 v6, s10 :: v_dual_mov_b32 v7, s11
	ds_store_b64 v3, v[6:7] offset:5128
; %bb.234:                              ;   in Loop: Header=BB38_32 Depth=1
	s_wait_alu 0xfffe
	s_or_b32 exec_lo, exec_lo, s12
	s_wait_loadcnt_dscnt 0x0
	s_barrier_signal -1
	s_barrier_wait -1
	global_inv scope:SCOPE_SE
.LBB38_235:                             ;   in Loop: Header=BB38_32 Depth=1
	s_wait_alu 0xfffe
	s_or_saveexec_b32 s7, s7
	v_mov_b32_e32 v2, 8
	s_mov_b32 s12, 0
	s_wait_alu 0xfffe
	s_xor_b32 exec_lo, exec_lo, s7
; %bb.236:                              ;   in Loop: Header=BB38_32 Depth=1
	v_sub_co_u32 v4, vcc_lo, v4, s10
	s_wait_alu 0xfffd
	v_subrev_co_ci_u32_e64 v5, null, s11, v5, vcc_lo
	v_mov_b32_e32 v2, 0
	s_mov_b32 s12, exec_lo
; %bb.237:                              ;   in Loop: Header=BB38_32 Depth=1
	s_or_b32 exec_lo, exec_lo, s7
	s_delay_alu instid0(VALU_DEP_2)
	v_dual_mov_b32 v7, v5 :: v_dual_mov_b32 v6, v4
	s_wait_alu 0xfffe
	s_and_b32 s7, s12, exec_lo
.LBB38_238:                             ;   in Loop: Header=BB38_32 Depth=1
	s_wait_alu 0xfffe
	s_or_b32 exec_lo, exec_lo, s6
	s_mov_b32 s6, -1
                                        ; implicit-def: $sgpr87
                                        ; implicit-def: $sgpr86
	s_and_saveexec_b32 s15, s7
	s_cbranch_execz .LBB38_285
; %bb.239:                              ;   in Loop: Header=BB38_32 Depth=1
	v_cmp_eq_u64_e32 vcc_lo, 1, v[6:7]
	s_cmp_eq_u64 s[8:9], 1
	s_mov_b32 s7, -1
	s_cselect_b32 s6, -1, 0
                                        ; implicit-def: $sgpr87
                                        ; implicit-def: $sgpr86
	s_wait_alu 0xfffe
	s_and_b32 s20, s6, vcc_lo
	s_wait_alu 0xfffe
	s_and_saveexec_b32 s55, s20
	s_cbranch_execz .LBB38_273
; %bb.240:                              ;   in Loop: Header=BB38_32 Depth=1
	ds_load_b64 v[4:5], v3 offset:5120
	s_wait_loadcnt_dscnt 0x0
	s_barrier_signal -1
	s_barrier_wait -1
	global_inv scope:SCOPE_SE
	v_readfirstlane_b32 s10, v4
	v_readfirstlane_b32 s11, v5
	s_and_saveexec_b32 s6, s3
; %bb.241:                              ;   in Loop: Header=BB38_32 Depth=1
	ds_store_b16 v36, v3
; %bb.242:                              ;   in Loop: Header=BB38_32 Depth=1
	s_wait_alu 0xfffe
	s_or_b32 exec_lo, exec_lo, s6
	v_cmp_gt_i64_e64 s6, s[10:11], 0
	v_or_b32_e32 v40, s16, v40
	v_or_b32_e32 v46, s16, v46
	s_mov_b32 s86, -1
	s_mov_b32 s87, 0
	s_mov_b32 s88, 0
	s_and_b32 vcc_lo, exec_lo, s6
	s_wait_loadcnt_dscnt 0x0
	s_barrier_signal -1
	s_barrier_wait -1
	global_inv scope:SCOPE_SE
                                        ; implicit-def: $vgpr47
	s_wait_alu 0xfffe
	s_cbranch_vccnz .LBB38_258
; %bb.243:                              ;   in Loop: Header=BB38_32 Depth=1
	s_mov_b32 s6, s71
	s_mov_b32 s7, s79
	s_wait_alu 0xfffe
	s_cmp_lg_u64 s[6:7], 0
	s_cbranch_scc0 .LBB38_292
; %bb.244:                              ;   in Loop: Header=BB38_32 Depth=1
	s_add_nc_u64 s[6:7], s[68:69], 0
	s_wait_alu 0xfffe
	s_xor_b64 s[6:7], s[6:7], 0
	s_wait_alu 0xfffe
	s_cvt_f32_u32 s12, s6
	s_cvt_f32_u32 s13, s7
	s_sub_nc_u64 s[88:89], 0, s[6:7]
	s_wait_alu 0xfffe
	s_delay_alu instid0(SALU_CYCLE_1) | instskip(SKIP_1) | instid1(SALU_CYCLE_2)
	s_fmamk_f32 s12, s13, 0x4f800000, s12
	s_wait_alu 0xfffe
	v_s_rcp_f32 s12, s12
	s_delay_alu instid0(TRANS32_DEP_1) | instskip(SKIP_1) | instid1(SALU_CYCLE_2)
	s_mul_f32 s12, s12, 0x5f7ffffc
	s_wait_alu 0xfffe
	s_mul_f32 s13, s12, 0x2f800000
	s_wait_alu 0xfffe
	s_delay_alu instid0(SALU_CYCLE_2) | instskip(SKIP_1) | instid1(SALU_CYCLE_2)
	s_trunc_f32 s13, s13
	s_wait_alu 0xfffe
	s_fmamk_f32 s12, s13, 0xcf800000, s12
	s_cvt_u32_f32 s13, s13
	s_wait_alu 0xfffe
	s_delay_alu instid0(SALU_CYCLE_1) | instskip(SKIP_1) | instid1(SALU_CYCLE_2)
	s_cvt_u32_f32 s12, s12
	s_wait_alu 0xfffe
	s_mul_u64 s[90:91], s[88:89], s[12:13]
	s_wait_alu 0xfffe
	s_mul_hi_u32 s93, s12, s91
	s_mul_i32 s92, s12, s91
	s_mul_hi_u32 s70, s12, s90
	s_mul_i32 s95, s13, s90
	s_wait_alu 0xfffe
	s_add_nc_u64 s[92:93], s[70:71], s[92:93]
	s_mul_hi_u32 s94, s13, s90
	s_mul_hi_u32 s96, s13, s91
	s_wait_alu 0xfffe
	s_add_co_u32 s70, s92, s95
	s_add_co_ci_u32 s70, s93, s94
	s_mul_i32 s90, s13, s91
	s_add_co_ci_u32 s91, s96, 0
	s_wait_alu 0xfffe
	s_add_nc_u64 s[90:91], s[70:71], s[90:91]
	s_wait_alu 0xfffe
	s_add_co_u32 s12, s12, s90
	s_cselect_b32 s70, -1, 0
	s_wait_alu 0xfffe
	s_cmp_lg_u32 s70, 0
	s_add_co_ci_u32 s13, s13, s91
	s_wait_alu 0xfffe
	s_mul_u64 s[88:89], s[88:89], s[12:13]
	s_wait_alu 0xfffe
	s_mul_hi_u32 s91, s12, s89
	s_mul_i32 s90, s12, s89
	s_mul_hi_u32 s70, s12, s88
	s_mul_i32 s93, s13, s88
	s_wait_alu 0xfffe
	s_add_nc_u64 s[90:91], s[70:71], s[90:91]
	s_mul_hi_u32 s92, s13, s88
	s_mul_hi_u32 s94, s13, s89
	s_wait_alu 0xfffe
	s_add_co_u32 s70, s90, s93
	s_add_co_ci_u32 s70, s91, s92
	s_mul_i32 s88, s13, s89
	s_add_co_ci_u32 s89, s94, 0
	s_wait_alu 0xfffe
	s_add_nc_u64 s[88:89], s[70:71], s[88:89]
	s_wait_alu 0xfffe
	s_add_co_u32 s92, s12, s88
	s_cselect_b32 s12, -1, 0
	s_wait_alu 0xfffe
	s_cmp_lg_u32 s12, 0
	s_add_co_ci_u32 s93, s13, s89
	s_ashr_i32 s12, s79, 31
	s_wait_alu 0xfffe
	s_mov_b32 s13, s12
	s_wait_alu 0xfffe
	s_add_nc_u64 s[88:89], s[78:79], s[12:13]
	s_wait_alu 0xfffe
	s_xor_b64 s[88:89], s[88:89], s[12:13]
	s_wait_alu 0xfffe
	s_mul_hi_u32 s91, s88, s93
	s_mul_i32 s90, s88, s93
	s_mul_hi_u32 s70, s88, s92
	s_mul_i32 s96, s89, s92
	s_wait_alu 0xfffe
	s_add_nc_u64 s[90:91], s[70:71], s[90:91]
	s_mul_hi_u32 s95, s89, s92
	s_mul_hi_u32 s94, s89, s93
	s_wait_alu 0xfffe
	s_add_co_u32 s70, s90, s96
	s_add_co_ci_u32 s70, s91, s95
	s_mul_i32 s92, s89, s93
	s_add_co_ci_u32 s93, s94, 0
	s_wait_alu 0xfffe
	s_add_nc_u64 s[90:91], s[70:71], s[92:93]
	s_wait_alu 0xfffe
	s_mul_u64 s[90:91], s[6:7], s[90:91]
	s_wait_alu 0xfffe
	s_sub_co_u32 s70, s88, s90
	s_cselect_b32 s88, -1, 0
	s_sub_co_i32 s90, s89, s91
	s_wait_alu 0xfffe
	s_cmp_lg_u32 s88, 0
	s_sub_co_ci_u32 s90, s90, s7
	s_sub_co_u32 s92, s70, s6
	s_cselect_b32 s93, -1, 0
	s_wait_alu 0xfffe
	s_cmp_lg_u32 s93, 0
	s_sub_co_ci_u32 s94, s90, 0
	s_wait_alu 0xfffe
	s_cmp_ge_u32 s94, s7
	s_cselect_b32 s95, -1, 0
	s_cmp_ge_u32 s92, s6
	s_cselect_b32 s96, -1, 0
	s_cmp_eq_u32 s94, s7
	s_wait_alu 0xfffe
	s_cselect_b32 s95, s96, s95
	s_cmp_lg_u32 s93, 0
	s_sub_co_ci_u32 s90, s90, s7
	s_sub_co_u32 s93, s92, s6
	s_cselect_b32 s96, -1, 0
	s_wait_alu 0xfffe
	s_cmp_lg_u32 s96, 0
	s_sub_co_ci_u32 s90, s90, 0
	s_cmp_lg_u32 s95, 0
	s_cselect_b32 s92, s93, s92
	s_wait_alu 0xfffe
	s_cselect_b32 s90, s90, s94
	s_cmp_lg_u32 s88, 0
	s_sub_co_ci_u32 s88, s89, s91
	s_wait_alu 0xfffe
	s_cmp_ge_u32 s88, s7
	s_cselect_b32 s89, -1, 0
	s_cmp_ge_u32 s70, s6
	s_cselect_b32 s6, -1, 0
	s_cmp_eq_u32 s88, s7
	s_wait_alu 0xfffe
	s_cselect_b32 s6, s6, s89
	s_wait_alu 0xfffe
	s_cmp_lg_u32 s6, 0
	s_cselect_b32 s7, s90, s88
	s_cselect_b32 s6, s92, s70
	s_wait_alu 0xfffe
	s_xor_b64 s[6:7], s[6:7], s[12:13]
	s_wait_alu 0xfffe
	s_sub_nc_u64 s[6:7], s[6:7], s[12:13]
	s_cbranch_execnz .LBB38_246
.LBB38_245:                             ;   in Loop: Header=BB38_32 Depth=1
	v_cvt_f32_u32_e32 v4, s68
	s_sub_co_i32 s7, 0, s68
	s_delay_alu instid0(VALU_DEP_1) | instskip(NEXT) | instid1(TRANS32_DEP_1)
	v_rcp_iflag_f32_e32 v4, v4
	v_mul_f32_e32 v4, 0x4f7ffffe, v4
	s_delay_alu instid0(VALU_DEP_1) | instskip(NEXT) | instid1(VALU_DEP_1)
	v_cvt_u32_f32_e32 v4, v4
	v_readfirstlane_b32 s6, v4
	s_wait_alu 0xfffe
	s_mul_i32 s7, s7, s6
	s_wait_alu 0xfffe
	s_mul_hi_u32 s7, s6, s7
	s_wait_alu 0xfffe
	s_add_co_i32 s6, s6, s7
	s_wait_alu 0xfffe
	s_mul_hi_u32 s6, s78, s6
	s_wait_alu 0xfffe
	s_mul_i32 s6, s6, s68
	s_wait_alu 0xfffe
	s_sub_co_i32 s6, s78, s6
	s_wait_alu 0xfffe
	s_sub_co_i32 s7, s6, s68
	s_cmp_ge_u32 s6, s68
	s_wait_alu 0xfffe
	s_cselect_b32 s6, s7, s6
	s_wait_alu 0xfffe
	s_sub_co_i32 s7, s6, s68
	s_cmp_ge_u32 s6, s68
	s_wait_alu 0xfffe
	s_cselect_b32 s70, s7, s6
	s_wait_alu 0xfffe
	s_mov_b64 s[6:7], s[70:71]
.LBB38_246:                             ;   in Loop: Header=BB38_32 Depth=1
	s_wait_alu 0xfffe
	s_sub_nc_u64 s[12:13], s[78:79], s[6:7]
	s_mov_b32 s7, 0
	s_mov_b32 s88, 0
	s_mov_b32 s70, exec_lo
                                        ; implicit-def: $vgpr47
	s_wait_alu 0xfffe
	v_cmpx_gt_i64_e64 s[12:13], v[0:1]
	s_cbranch_execz .LBB38_257
; %bb.247:                              ;   in Loop: Header=BB38_32 Depth=1
	v_dual_mov_b32 v4, v12 :: v_dual_mov_b32 v5, v13
	v_dual_mov_b32 v9, v1 :: v_dual_mov_b32 v8, v0
                                        ; implicit-def: $sgpr89
	s_branch .LBB38_250
.LBB38_248:                             ;   in Loop: Header=BB38_250 Depth=2
	s_wait_alu 0xfffe
	s_or_b32 exec_lo, exec_lo, s6
	s_wait_loadcnt_dscnt 0x0
	s_barrier_signal -1
	s_barrier_wait -1
	global_inv scope:SCOPE_SE
	ds_load_b32 v10, v3 offset:3072
	s_mov_b32 s6, -1
	s_mov_b32 s90, -1
	s_wait_loadcnt_dscnt 0x0
	s_barrier_signal -1
	s_barrier_wait -1
	global_inv scope:SCOPE_SE
	v_and_b32_e32 v11, 0xffff, v10
	s_delay_alu instid0(VALU_DEP_1)
	v_cmp_ne_u32_e32 vcc_lo, 0, v11
	s_cbranch_vccz .LBB38_253
.LBB38_249:                             ;   in Loop: Header=BB38_250 Depth=2
	s_wait_alu 0xfffe
	s_and_b32 s6, exec_lo, s6
	s_wait_alu 0xfffe
	s_or_b32 s88, s6, s88
	s_and_not1_b32 s6, s89, exec_lo
	s_and_b32 s89, s90, exec_lo
	s_wait_alu 0xfffe
	s_or_b32 s89, s6, s89
	s_and_not1_b32 exec_lo, exec_lo, s88
	s_cbranch_execz .LBB38_256
.LBB38_250:                             ;   Parent Loop BB38_32 Depth=1
                                        ; =>  This Inner Loop Header: Depth=2
	s_mov_b32 s6, exec_lo
	s_delay_alu instid0(VALU_DEP_1)
	v_cmpx_gt_i64_e64 s[36:37], v[8:9]
	s_cbranch_execz .LBB38_248
; %bb.251:                              ;   in Loop: Header=BB38_250 Depth=2
	global_load_u16 v10, v[4:5], off
	s_wait_loadcnt 0x0
	v_bfe_i32 v11, v10, 0, 16
	s_delay_alu instid0(VALU_DEP_1) | instskip(NEXT) | instid1(VALU_DEP_1)
	v_add_nc_u32_e32 v11, 0x8000, v11
	v_and_b32_e32 v11, v11, v46
	s_delay_alu instid0(VALU_DEP_1)
	v_cmp_eq_u32_e32 vcc_lo, v11, v40
	s_and_b32 exec_lo, exec_lo, vcc_lo
	s_cbranch_execz .LBB38_248
; %bb.252:                              ;   in Loop: Header=BB38_250 Depth=2
	v_perm_b32 v10, v10, 1, 0x5040100
	ds_store_b32 v3, v10 offset:3072
	s_branch .LBB38_248
.LBB38_253:                             ;   in Loop: Header=BB38_250 Depth=2
	v_add_co_u32 v8, vcc_lo, v8, s68
	s_wait_alu 0xfffd
	v_add_co_ci_u32_e64 v9, null, 0, v9, vcc_lo
	v_add_co_u32 v4, s6, v4, s72
	s_wait_alu 0xf1fe
	v_add_co_ci_u32_e64 v5, null, s73, v5, s6
	s_delay_alu instid0(VALU_DEP_3)
	v_cmp_le_i64_e32 vcc_lo, s[12:13], v[8:9]
	s_mov_b32 s90, 0
	s_or_not1_b32 s6, vcc_lo, exec_lo
	s_branch .LBB38_249
.LBB38_254:                             ;   in Loop: Header=BB38_32 Depth=1
                                        ; implicit-def: $sgpr6_sgpr7
	s_branch .LBB38_200
.LBB38_255:                             ;   in Loop: Header=BB38_32 Depth=1
                                        ; implicit-def: $sgpr14_sgpr15
	s_branch .LBB38_216
.LBB38_256:                             ;   in Loop: Header=BB38_32 Depth=1
	s_or_b32 exec_lo, exec_lo, s88
	v_lshrrev_b32_e32 v47, 16, v10
	s_wait_alu 0xfffe
	s_and_b32 s88, s89, exec_lo
.LBB38_257:                             ;   in Loop: Header=BB38_32 Depth=1
	s_or_b32 exec_lo, exec_lo, s70
.LBB38_258:                             ;   in Loop: Header=BB38_32 Depth=1
	s_delay_alu instid0(SALU_CYCLE_1)
	s_and_b32 vcc_lo, exec_lo, s7
	s_wait_alu 0xfffe
	s_cbranch_vccz .LBB38_272
; %bb.259:                              ;   in Loop: Header=BB38_32 Depth=1
	s_add_nc_u64 s[6:7], s[10:11], s[76:77]
	s_mov_b32 s12, s71
	s_wait_alu 0xfffe
	s_mov_b32 s13, s7
	s_wait_alu 0xfffe
	s_cmp_lg_u64 s[12:13], 0
	s_cbranch_scc0 .LBB38_293
; %bb.260:                              ;   in Loop: Header=BB38_32 Depth=1
	s_add_nc_u64 s[12:13], s[68:69], 0
	s_wait_alu 0xfffe
	s_xor_b64 s[12:13], s[12:13], 0
	s_wait_alu 0xfffe
	s_cvt_f32_u32 s70, s12
	s_cvt_f32_u32 s86, s13
	s_sub_nc_u64 s[90:91], 0, s[12:13]
	s_wait_alu 0xfffe
	s_delay_alu instid0(SALU_CYCLE_1) | instskip(SKIP_1) | instid1(SALU_CYCLE_2)
	s_fmamk_f32 s70, s86, 0x4f800000, s70
	s_wait_alu 0xfffe
	v_s_rcp_f32 s70, s70
	s_delay_alu instid0(TRANS32_DEP_1) | instskip(SKIP_1) | instid1(SALU_CYCLE_2)
	s_mul_f32 s70, s70, 0x5f7ffffc
	s_wait_alu 0xfffe
	s_mul_f32 s86, s70, 0x2f800000
	s_wait_alu 0xfffe
	s_delay_alu instid0(SALU_CYCLE_2) | instskip(SKIP_1) | instid1(SALU_CYCLE_2)
	s_trunc_f32 s86, s86
	s_wait_alu 0xfffe
	s_fmamk_f32 s70, s86, 0xcf800000, s70
	s_cvt_u32_f32 s87, s86
	s_wait_alu 0xfffe
	s_delay_alu instid0(SALU_CYCLE_1) | instskip(SKIP_1) | instid1(SALU_CYCLE_2)
	s_cvt_u32_f32 s86, s70
	s_wait_alu 0xfffe
	s_mul_u64 s[92:93], s[90:91], s[86:87]
	s_wait_alu 0xfffe
	s_mul_hi_u32 s95, s86, s93
	s_mul_i32 s94, s86, s93
	s_mul_hi_u32 s70, s86, s92
	s_mul_i32 s96, s87, s92
	s_wait_alu 0xfffe
	s_add_nc_u64 s[94:95], s[70:71], s[94:95]
	s_mul_hi_u32 s89, s87, s92
	s_mul_hi_u32 s97, s87, s93
	s_wait_alu 0xfffe
	s_add_co_u32 s70, s94, s96
	s_add_co_ci_u32 s70, s95, s89
	s_mul_i32 s92, s87, s93
	s_add_co_ci_u32 s93, s97, 0
	s_wait_alu 0xfffe
	s_add_nc_u64 s[92:93], s[70:71], s[92:93]
	s_wait_alu 0xfffe
	s_add_co_u32 s86, s86, s92
	s_cselect_b32 s70, -1, 0
	s_wait_alu 0xfffe
	s_cmp_lg_u32 s70, 0
	s_add_co_ci_u32 s87, s87, s93
	s_wait_alu 0xfffe
	s_mul_u64 s[90:91], s[90:91], s[86:87]
	s_wait_alu 0xfffe
	s_mul_hi_u32 s93, s86, s91
	s_mul_i32 s92, s86, s91
	s_mul_hi_u32 s70, s86, s90
	s_mul_i32 s94, s87, s90
	s_wait_alu 0xfffe
	s_add_nc_u64 s[92:93], s[70:71], s[92:93]
	s_mul_hi_u32 s89, s87, s90
	s_mul_hi_u32 s95, s87, s91
	s_wait_alu 0xfffe
	s_add_co_u32 s70, s92, s94
	s_add_co_ci_u32 s70, s93, s89
	s_mul_i32 s90, s87, s91
	s_add_co_ci_u32 s91, s95, 0
	s_wait_alu 0xfffe
	s_add_nc_u64 s[90:91], s[70:71], s[90:91]
	s_wait_alu 0xfffe
	s_add_co_u32 s89, s86, s90
	s_cselect_b32 s70, -1, 0
	s_wait_alu 0xfffe
	s_cmp_lg_u32 s70, 0
	s_add_co_ci_u32 s94, s87, s91
	s_ashr_i32 s86, s7, 31
	s_wait_alu 0xfffe
	s_mov_b32 s87, s86
	s_wait_alu 0xfffe
	s_add_nc_u64 s[90:91], s[6:7], s[86:87]
	s_wait_alu 0xfffe
	s_xor_b64 s[90:91], s[90:91], s[86:87]
	s_wait_alu 0xfffe
	s_mul_hi_u32 s93, s90, s94
	s_mul_i32 s92, s90, s94
	s_mul_hi_u32 s70, s90, s89
	s_mul_hi_u32 s96, s91, s89
	s_mul_i32 s89, s91, s89
	s_wait_alu 0xfffe
	s_add_nc_u64 s[92:93], s[70:71], s[92:93]
	s_mul_hi_u32 s95, s91, s94
	s_wait_alu 0xfffe
	s_add_co_u32 s70, s92, s89
	s_add_co_ci_u32 s70, s93, s96
	s_mul_i32 s94, s91, s94
	s_add_co_ci_u32 s95, s95, 0
	s_wait_alu 0xfffe
	s_add_nc_u64 s[92:93], s[70:71], s[94:95]
	s_wait_alu 0xfffe
	s_mul_u64 s[92:93], s[12:13], s[92:93]
	s_wait_alu 0xfffe
	s_sub_co_u32 s70, s90, s92
	s_cselect_b32 s89, -1, 0
	s_sub_co_i32 s90, s91, s93
	s_wait_alu 0xfffe
	s_cmp_lg_u32 s89, 0
	s_sub_co_ci_u32 s90, s90, s13
	s_sub_co_u32 s92, s70, s12
	s_cselect_b32 s94, -1, 0
	s_wait_alu 0xfffe
	s_cmp_lg_u32 s94, 0
	s_sub_co_ci_u32 s95, s90, 0
	s_wait_alu 0xfffe
	s_cmp_ge_u32 s95, s13
	s_cselect_b32 s96, -1, 0
	s_cmp_ge_u32 s92, s12
	s_cselect_b32 s97, -1, 0
	s_cmp_eq_u32 s95, s13
	s_wait_alu 0xfffe
	s_cselect_b32 s96, s97, s96
	s_cmp_lg_u32 s94, 0
	s_sub_co_ci_u32 s90, s90, s13
	s_sub_co_u32 s94, s92, s12
	s_cselect_b32 s97, -1, 0
	s_wait_alu 0xfffe
	s_cmp_lg_u32 s97, 0
	s_sub_co_ci_u32 s90, s90, 0
	s_cmp_lg_u32 s96, 0
	s_cselect_b32 s92, s94, s92
	s_wait_alu 0xfffe
	s_cselect_b32 s90, s90, s95
	s_cmp_lg_u32 s89, 0
	s_sub_co_ci_u32 s89, s91, s93
	s_wait_alu 0xfffe
	s_cmp_ge_u32 s89, s13
	s_cselect_b32 s91, -1, 0
	s_cmp_ge_u32 s70, s12
	s_cselect_b32 s12, -1, 0
	s_cmp_eq_u32 s89, s13
	s_wait_alu 0xfffe
	s_cselect_b32 s12, s12, s91
	s_wait_alu 0xfffe
	s_cmp_lg_u32 s12, 0
	s_cselect_b32 s13, s90, s89
	s_cselect_b32 s12, s92, s70
	s_wait_alu 0xfffe
	s_xor_b64 s[12:13], s[12:13], s[86:87]
	s_wait_alu 0xfffe
	s_sub_nc_u64 s[12:13], s[12:13], s[86:87]
	s_cbranch_execnz .LBB38_262
.LBB38_261:                             ;   in Loop: Header=BB38_32 Depth=1
	v_cvt_f32_u32_e32 v4, s68
	s_sub_co_i32 s13, 0, s68
	s_delay_alu instid0(VALU_DEP_1) | instskip(NEXT) | instid1(TRANS32_DEP_1)
	v_rcp_iflag_f32_e32 v4, v4
	v_mul_f32_e32 v4, 0x4f7ffffe, v4
	s_delay_alu instid0(VALU_DEP_1) | instskip(NEXT) | instid1(VALU_DEP_1)
	v_cvt_u32_f32_e32 v4, v4
	v_readfirstlane_b32 s12, v4
	s_wait_alu 0xfffe
	s_mul_i32 s13, s13, s12
	s_wait_alu 0xfffe
	s_mul_hi_u32 s13, s12, s13
	s_wait_alu 0xfffe
	s_add_co_i32 s12, s12, s13
	s_wait_alu 0xfffe
	s_mul_hi_u32 s12, s6, s12
	s_wait_alu 0xfffe
	s_mul_i32 s12, s12, s68
	s_wait_alu 0xfffe
	s_sub_co_i32 s12, s6, s12
	s_wait_alu 0xfffe
	s_sub_co_i32 s13, s12, s68
	s_cmp_ge_u32 s12, s68
	s_wait_alu 0xfffe
	s_cselect_b32 s12, s13, s12
	s_wait_alu 0xfffe
	s_sub_co_i32 s13, s12, s68
	s_cmp_ge_u32 s12, s68
	s_wait_alu 0xfffe
	s_cselect_b32 s70, s13, s12
	s_wait_alu 0xfffe
	s_mov_b64 s[12:13], s[70:71]
.LBB38_262:                             ;   in Loop: Header=BB38_32 Depth=1
	s_wait_alu 0xfffe
	s_sub_nc_u64 s[6:7], s[6:7], s[12:13]
	s_mov_b32 s12, exec_lo
                                        ; implicit-def: $vgpr47
	s_wait_alu 0xfffe
	v_cmpx_gt_i64_e64 s[6:7], v[0:1]
	s_cbranch_execz .LBB38_271
; %bb.263:                              ;   in Loop: Header=BB38_32 Depth=1
	v_dual_mov_b32 v8, v35 :: v_dual_mov_b32 v5, v1
	v_mov_b32_e32 v4, v0
	s_mov_b32 s13, 0
                                        ; implicit-def: $sgpr70
	s_branch .LBB38_266
.LBB38_264:                             ;   in Loop: Header=BB38_266 Depth=2
	s_wait_alu 0xfffe
	s_or_b32 exec_lo, exec_lo, s86
	s_wait_loadcnt_dscnt 0x0
	s_barrier_signal -1
	s_barrier_wait -1
	global_inv scope:SCOPE_SE
	ds_load_b32 v9, v3 offset:3072
	s_mov_b32 s86, -1
	s_mov_b32 s87, -1
	s_wait_loadcnt_dscnt 0x0
	s_barrier_signal -1
	s_barrier_wait -1
	global_inv scope:SCOPE_SE
	v_and_b32_e32 v10, 0xffff, v9
	s_delay_alu instid0(VALU_DEP_1)
	v_cmp_eq_u32_e32 vcc_lo, 0, v10
	s_cbranch_vccnz .LBB38_269
.LBB38_265:                             ;   in Loop: Header=BB38_266 Depth=2
	s_wait_alu 0xfffe
	s_and_b32 s86, exec_lo, s86
	s_wait_alu 0xfffe
	s_or_b32 s13, s86, s13
	s_and_not1_b32 s70, s70, exec_lo
	s_and_b32 s86, s87, exec_lo
	s_wait_alu 0xfffe
	s_or_b32 s70, s70, s86
	s_and_not1_b32 exec_lo, exec_lo, s13
	s_cbranch_execz .LBB38_270
.LBB38_266:                             ;   Parent Loop BB38_32 Depth=1
                                        ; =>  This Inner Loop Header: Depth=2
	s_mov_b32 s86, exec_lo
	s_delay_alu instid0(VALU_DEP_1)
	v_cmpx_gt_u64_e64 s[10:11], v[4:5]
	s_cbranch_execz .LBB38_264
; %bb.267:                              ;   in Loop: Header=BB38_266 Depth=2
	ds_load_u16 v9, v8
	s_wait_dscnt 0x0
	v_bfe_i32 v10, v9, 0, 16
	s_delay_alu instid0(VALU_DEP_1) | instskip(NEXT) | instid1(VALU_DEP_1)
	v_add_nc_u32_e32 v10, 0x8000, v10
	v_and_b32_e32 v10, v10, v46
	s_delay_alu instid0(VALU_DEP_1)
	v_cmp_eq_u32_e32 vcc_lo, v10, v40
	s_and_b32 exec_lo, exec_lo, vcc_lo
	s_cbranch_execz .LBB38_264
; %bb.268:                              ;   in Loop: Header=BB38_266 Depth=2
	v_perm_b32 v9, v9, 1, 0x5040100
	ds_store_b32 v3, v9 offset:3072
	s_branch .LBB38_264
.LBB38_269:                             ;   in Loop: Header=BB38_266 Depth=2
	v_add_co_u32 v4, vcc_lo, v4, s68
	s_wait_alu 0xfffd
	v_add_co_ci_u32_e64 v5, null, 0, v5, vcc_lo
	v_add_nc_u32_e32 v8, s64, v8
	s_mov_b32 s87, 0
	s_delay_alu instid0(VALU_DEP_2)
	v_cmp_le_i64_e32 vcc_lo, s[6:7], v[4:5]
	s_or_not1_b32 s86, vcc_lo, exec_lo
	s_branch .LBB38_265
.LBB38_270:                             ;   in Loop: Header=BB38_32 Depth=1
	s_or_b32 exec_lo, exec_lo, s13
	v_lshrrev_b32_e32 v47, 16, v9
	s_and_not1_b32 s6, s88, exec_lo
	s_wait_alu 0xfffe
	s_and_b32 s7, s70, exec_lo
	s_wait_alu 0xfffe
	s_or_b32 s88, s6, s7
.LBB38_271:                             ;   in Loop: Header=BB38_32 Depth=1
	s_or_b32 exec_lo, exec_lo, s12
	s_mov_b32 s86, 0
	s_mov_b32 s87, -1
.LBB38_272:                             ;   in Loop: Header=BB38_32 Depth=1
	s_wait_alu 0xfffe
	s_or_not1_b32 s7, s88, exec_lo
.LBB38_273:                             ;   in Loop: Header=BB38_32 Depth=1
	s_wait_alu 0xfffe
	s_or_b32 exec_lo, exec_lo, s55
	s_mov_b32 s10, 0
	s_and_saveexec_b32 s6, s7
	s_cbranch_execz .LBB38_284
; %bb.274:                              ;   in Loop: Header=BB38_32 Depth=1
	v_mov_b32_e32 v4, 1
	v_dual_mov_b32 v5, 0 :: v_dual_mov_b32 v2, 1
	s_xor_b32 s10, s20, -1
	s_wait_alu 0xfffe
	s_and_saveexec_b32 s7, s10
	s_cbranch_execz .LBB38_283
; %bb.275:                              ;   in Loop: Header=BB38_32 Depth=1
	s_mov_b32 s10, exec_lo
	v_cmpx_ge_i64_e64 s[8:9], v[6:7]
	s_wait_alu 0xfffe
	s_xor_b32 s10, exec_lo, s10
	s_cbranch_execz .LBB38_280
; %bb.276:                              ;   in Loop: Header=BB38_32 Depth=1
	ds_load_b64 v[4:5], v3 offset:5120
	v_or_b32_e32 v40, s16, v40
	v_or_b32_e32 v46, s16, v46
	s_wait_dscnt 0x0
	v_cmp_ne_u64_e32 vcc_lo, 0, v[4:5]
	s_cbranch_vccnz .LBB38_280
; %bb.277:                              ;   in Loop: Header=BB38_32 Depth=1
	s_and_saveexec_b32 s11, s2
; %bb.278:                              ;   in Loop: Header=BB38_32 Depth=1
	v_dual_mov_b32 v4, s8 :: v_dual_mov_b32 v5, s9
	ds_store_b64 v3, v[4:5] offset:5128
; %bb.279:                              ;   in Loop: Header=BB38_32 Depth=1
	s_wait_alu 0xfffe
	s_or_b32 exec_lo, exec_lo, s11
	s_wait_loadcnt_dscnt 0x0
	s_barrier_signal -1
	s_barrier_wait -1
	global_inv scope:SCOPE_SE
.LBB38_280:                             ;   in Loop: Header=BB38_32 Depth=1
	s_wait_alu 0xfffe
	s_and_not1_saveexec_b32 s10, s10
; %bb.281:                              ;   in Loop: Header=BB38_32 Depth=1
	v_sub_co_u32 v6, vcc_lo, v6, s8
	s_wait_alu 0xfffd
	v_subrev_co_ci_u32_e64 v7, null, s9, v7, vcc_lo
; %bb.282:                              ;   in Loop: Header=BB38_32 Depth=1
	s_wait_alu 0xfffe
	s_or_b32 exec_lo, exec_lo, s10
	v_mov_b32_e32 v4, v6
	s_delay_alu instid0(VALU_DEP_2)
	v_dual_mov_b32 v2, 8 :: v_dual_mov_b32 v5, v7
.LBB38_283:                             ;   in Loop: Header=BB38_32 Depth=1
	s_wait_alu 0xfffe
	s_or_b32 exec_lo, exec_lo, s7
	s_delay_alu instid0(VALU_DEP_1)
	v_dual_mov_b32 v7, v5 :: v_dual_mov_b32 v6, v4
	s_mov_b32 s10, exec_lo
.LBB38_284:                             ;   in Loop: Header=BB38_32 Depth=1
	s_wait_alu 0xfffe
	s_or_b32 exec_lo, exec_lo, s6
	s_delay_alu instid0(SALU_CYCLE_1)
	s_or_not1_b32 s6, s10, exec_lo
.LBB38_285:                             ;   in Loop: Header=BB38_32 Depth=1
	s_wait_alu 0xfffe
	s_or_b32 exec_lo, exec_lo, s15
	v_dual_mov_b32 v4, v6 :: v_dual_mov_b32 v5, v7
	s_and_not1_b32 s7, s54, exec_lo
	s_and_b32 s8, s87, exec_lo
	s_and_not1_b32 s9, s25, exec_lo
	s_and_b32 s10, s86, exec_lo
	s_wait_alu 0xfffe
	s_or_b32 s54, s7, s8
	s_or_b32 s25, s9, s10
	s_and_b32 s7, s6, exec_lo
.LBB38_286:                             ;   in Loop: Header=BB38_32 Depth=1
	s_wait_alu 0xfffe
	s_or_b32 exec_lo, exec_lo, s14
	s_delay_alu instid0(SALU_CYCLE_1)
	s_or_not1_b32 s6, s7, exec_lo
.LBB38_287:                             ;   in Loop: Header=BB38_32 Depth=1
	s_wait_alu 0xfffe
	s_or_b32 exec_lo, exec_lo, s24
	v_dual_mov_b32 v9, v5 :: v_dual_mov_b32 v8, v4
	s_and_not1_b32 s7, s22, exec_lo
	s_and_b32 s8, s54, exec_lo
	s_and_not1_b32 s9, s21, exec_lo
	s_and_b32 s10, s25, exec_lo
	s_wait_alu 0xfffe
	s_or_b32 s22, s7, s8
	s_or_b32 s21, s9, s10
	s_and_b32 s7, s6, exec_lo
.LBB38_288:                             ;   in Loop: Header=BB38_32 Depth=1
	s_wait_alu 0xfffe
	s_or_b32 exec_lo, exec_lo, s23
	s_delay_alu instid0(SALU_CYCLE_1)
	s_or_not1_b32 s6, s7, exec_lo
.LBB38_289:                             ;   in Loop: Header=BB38_32 Depth=1
	s_wait_alu 0xfffe
	s_or_b32 exec_lo, exec_lo, s19
	s_mov_b32 s7, 0
	s_and_saveexec_b32 s8, s6
	s_wait_alu 0xfffe
	s_xor_b32 s6, exec_lo, s8
	s_cbranch_execz .LBB38_30
; %bb.290:                              ;   in Loop: Header=BB38_32 Depth=1
	v_and_b32_e32 v2, 7, v2
	s_mov_b32 s8, -1
	s_mov_b32 s7, -1
	s_mov_b32 s9, exec_lo
	s_delay_alu instid0(VALU_DEP_1)
	v_cmpx_eq_u32_e32 0, v2
	s_cbranch_execz .LBB38_29
; %bb.291:                              ;   in Loop: Header=BB38_32 Depth=1
	s_xor_b32 s67, s67, 1
	s_add_co_i32 s10, s65, -2
	s_cmp_eq_u32 s65, 0
	s_wait_alu 0xfffe
	s_mov_b32 s65, s10
	s_cselect_b32 s8, -1, 0
	s_xor_b32 s7, exec_lo, -1
	s_wait_alu 0xfffe
	s_or_not1_b32 s8, s8, exec_lo
	s_branch .LBB38_29
.LBB38_292:                             ;   in Loop: Header=BB38_32 Depth=1
                                        ; implicit-def: $sgpr6_sgpr7
	s_branch .LBB38_245
.LBB38_293:                             ;   in Loop: Header=BB38_32 Depth=1
                                        ; implicit-def: $sgpr12_sgpr13
	s_branch .LBB38_261
.LBB38_294:
	s_or_b32 exec_lo, exec_lo, s66
	s_xor_b32 s5, s53, -1
	s_xor_b32 s1, s51, -1
	;; [unrolled: 1-line block ×3, first 2 shown]
	s_mov_b32 s3, 0
	s_wait_alu 0xfffe
	s_and_saveexec_b32 s6, s1
	s_wait_alu 0xfffe
	s_xor_b32 s1, exec_lo, s6
	s_cbranch_execnz .LBB38_299
; %bb.295:
	s_wait_alu 0xfffe
	s_and_not1_saveexec_b32 s0, s1
	s_cbranch_execnz .LBB38_321
.LBB38_296:
	s_wait_alu 0xfffe
	s_or_b32 exec_lo, exec_lo, s0
	s_and_saveexec_b32 s0, s3
.LBB38_297:
	; divergent unreachable
.LBB38_298:
	s_endpgm
.LBB38_299:
	s_and_saveexec_b32 s3, s5
	s_wait_alu 0xfffe
	s_xor_b32 s3, exec_lo, s3
	s_cbranch_execz .LBB38_319
; %bb.300:
	s_and_saveexec_b32 s5, s4
	s_wait_alu 0xfffe
	s_xor_b32 s4, exec_lo, s5
; %bb.301:
	v_xor_b32_e32 v47, 0xffff8000, v40
; %bb.302:
	s_wait_alu 0xfffe
	s_or_b32 exec_lo, exec_lo, s4
	s_and_saveexec_b32 s4, s2
; %bb.303:
	v_dual_mov_b32 v2, 0 :: v_dual_mov_b32 v3, s36
	ds_store_b32 v2, v3 offset:5140
; %bb.304:
	s_wait_alu 0xfffe
	s_or_b32 exec_lo, exec_lo, s4
	s_wait_loadcnt_dscnt 0x0
	s_barrier_signal -1
	s_barrier_wait -1
	global_inv scope:SCOPE_SE
	s_and_saveexec_b32 s4, s0
	s_cbranch_execz .LBB38_316
; %bb.305:
	v_mov_b32_e32 v2, 0
	s_mov_b32 s5, 0
                                        ; implicit-def: $sgpr6
                                        ; implicit-def: $sgpr7
                                        ; implicit-def: $sgpr8
	ds_load_b32 v4, v2 offset:5140
	s_wait_dscnt 0x0
	v_ashrrev_i32_e32 v5, 31, v4
	s_branch .LBB38_308
.LBB38_306:                             ;   in Loop: Header=BB38_308 Depth=1
	s_wait_alu 0xfffe
	s_or_b32 exec_lo, exec_lo, s11
	s_delay_alu instid0(SALU_CYCLE_1)
	s_and_not1_b32 s8, s8, exec_lo
	s_and_b32 s10, s10, exec_lo
	s_and_not1_b32 s7, s7, exec_lo
	s_and_b32 s0, s0, exec_lo
	s_wait_alu 0xfffe
	s_or_b32 s8, s8, s10
	s_or_b32 s7, s7, s0
.LBB38_307:                             ;   in Loop: Header=BB38_308 Depth=1
	s_wait_alu 0xfffe
	s_or_b32 exec_lo, exec_lo, s9
	s_delay_alu instid0(SALU_CYCLE_1)
	s_and_b32 s0, exec_lo, s7
	s_wait_alu 0xfffe
	s_or_b32 s5, s0, s5
	s_and_not1_b32 s0, s6, exec_lo
	s_and_b32 s6, s8, exec_lo
	s_wait_alu 0xfffe
	s_or_b32 s6, s0, s6
	s_and_not1_b32 exec_lo, exec_lo, s5
	s_cbranch_execz .LBB38_311
.LBB38_308:                             ; =>This Inner Loop Header: Depth=1
	v_dual_mov_b32 v3, v1 :: v_dual_mov_b32 v2, v0
	s_or_b32 s8, s8, exec_lo
	s_or_b32 s7, s7, exec_lo
	s_mov_b32 s9, exec_lo
                                        ; implicit-def: $vgpr0_vgpr1
	s_delay_alu instid0(VALU_DEP_1)
	v_cmpx_lt_i64_e64 v[2:3], v[4:5]
	s_cbranch_execz .LBB38_307
; %bb.309:                              ;   in Loop: Header=BB38_308 Depth=1
	global_load_u16 v0, v[12:13], off
	s_mov_b32 s0, -1
	s_mov_b32 s10, 0
	s_wait_loadcnt 0x0
	v_cmp_ne_u16_e32 vcc_lo, v0, v47
                                        ; implicit-def: $vgpr0_vgpr1
	s_and_saveexec_b32 s11, vcc_lo
	s_cbranch_execz .LBB38_306
; %bb.310:                              ;   in Loop: Header=BB38_308 Depth=1
	v_add_co_u32 v0, vcc_lo, v2, s68
	s_wait_alu 0xfffd
	v_add_co_ci_u32_e64 v1, null, 0, v3, vcc_lo
	v_add_co_u32 v12, s0, v12, s72
	s_wait_alu 0xf1fe
	v_add_co_ci_u32_e64 v13, null, s73, v13, s0
	s_delay_alu instid0(VALU_DEP_3)
	v_cmp_le_i64_e32 vcc_lo, s[36:37], v[0:1]
	s_mov_b32 s10, exec_lo
	s_or_not1_b32 s0, vcc_lo, exec_lo
	s_branch .LBB38_306
.LBB38_311:
	s_or_b32 exec_lo, exec_lo, s5
	s_wait_alu 0xfffe
	s_xor_b32 s0, s6, -1
	s_wait_alu 0xfffe
	s_and_saveexec_b32 s5, s0
	s_wait_alu 0xfffe
	s_xor_b32 s5, exec_lo, s5
	s_cbranch_execz .LBB38_316
; %bb.312:
	s_mov_b32 s5, exec_lo
	s_brev_b32 s0, -2
.LBB38_313:                             ; =>This Inner Loop Header: Depth=1
	s_wait_alu 0xfffe
	s_ctz_i32_b32 s6, s5
	s_wait_alu 0xfffe
	v_readlane_b32 s7, v2, s6
	s_lshl_b32 s6, 1, s6
	s_wait_alu 0xfffe
	s_and_not1_b32 s5, s5, s6
	s_min_i32 s0, s0, s7
	s_wait_alu 0xfffe
	s_cmp_lg_u32 s5, 0
	s_cbranch_scc1 .LBB38_313
; %bb.314:
	v_mbcnt_lo_u32_b32 v0, exec_lo, 0
	s_mov_b32 s5, exec_lo
	s_delay_alu instid0(VALU_DEP_1)
	v_cmpx_eq_u32_e32 0, v0
	s_wait_alu 0xfffe
	s_xor_b32 s5, exec_lo, s5
; %bb.315:
	v_dual_mov_b32 v0, 0 :: v_dual_mov_b32 v1, s0
	ds_min_i32 v0, v1 offset:5140
.LBB38_316:
	s_wait_alu 0xfffe
	s_or_b32 exec_lo, exec_lo, s4
	s_wait_loadcnt_dscnt 0x0
	s_barrier_signal -1
	s_barrier_wait -1
	global_inv scope:SCOPE_SE
	s_and_saveexec_b32 s0, s2
	s_cbranch_execz .LBB38_318
; %bb.317:
	v_readlane_b32 s16, v55, 2
	v_readlane_b32 s17, v55, 3
	v_mov_b32_e32 v2, 0
	s_mul_u64 s[4:5], s[56:57], s[46:47]
	v_readlane_b32 s20, v55, 8
	s_wait_alu 0xfffe
	s_sub_nc_u64 s[4:5], s[26:27], s[4:5]
	s_mul_u64 s[14:15], s[62:63], s[16:17]
	v_readlane_b32 s16, v55, 0
	v_readlane_b32 s17, v55, 1
	ds_load_b32 v0, v2 offset:5140
	s_mul_u64 s[10:11], s[34:35], s[30:31]
	v_readlane_b32 s21, v55, 9
	s_wait_alu 0xfffe
	s_sub_nc_u64 s[10:11], s[26:27], s[10:11]
	s_mul_u64 s[4:5], s[4:5], s[16:17]
	v_readlane_b32 s16, v55, 6
	v_readlane_b32 s17, v55, 7
	s_mul_u64 s[8:9], s[40:41], s[20:21]
	v_readlane_b32 s18, v55, 4
	s_wait_alu 0xfffe
	s_lshl_b64 s[8:9], s[8:9], 1
	v_readlane_b32 s19, v55, 5
	s_mul_u64 s[10:11], s[10:11], s[16:17]
	v_readlane_b32 s16, v55, 14
	v_readlane_b32 s17, v55, 15
	;; [unrolled: 1-line block ×4, first 2 shown]
	s_mul_u64 s[12:13], s[62:63], s[44:45]
	s_mul_u64 s[6:7], s[40:41], s[28:29]
	s_wait_alu 0xfffe
	s_add_nc_u64 s[8:9], s[16:17], s[8:9]
	v_readlane_b32 s16, v55, 12
	v_readlane_b32 s17, v55, 13
	s_sub_nc_u64 s[12:13], s[56:57], s[12:13]
	s_sub_nc_u64 s[6:7], s[34:35], s[6:7]
	s_lshl_b64 s[14:15], s[14:15], 3
	s_wait_alu 0xfffe
	s_mul_u64 s[12:13], s[12:13], s[18:19]
	s_mul_u64 s[6:7], s[6:7], s[22:23]
	s_add_nc_u64 s[14:15], s[16:17], s[14:15]
	s_wait_alu 0xfffe
	s_lshl_b64 s[12:13], s[12:13], 3
	s_lshl_b64 s[6:7], s[6:7], 1
	s_wait_dscnt 0x0
	v_ashrrev_i32_e32 v1, 31, v0
	s_lshl_b64 s[4:5], s[4:5], 3
	s_wait_alu 0xfffe
	s_add_nc_u64 s[12:13], s[14:15], s[12:13]
	s_lshl_b64 s[10:11], s[10:11], 1
	s_add_nc_u64 s[6:7], s[8:9], s[6:7]
	s_wait_alu 0xfffe
	s_add_nc_u64 s[4:5], s[12:13], s[4:5]
	s_add_nc_u64 s[6:7], s[6:7], s[10:11]
	s_clause 0x1
	global_store_b64 v2, v[0:1], s[4:5]
	global_store_b16 v2, v47, s[6:7]
.LBB38_318:
	s_wait_alu 0xfffe
	s_or_b32 exec_lo, exec_lo, s0
.LBB38_319:
	s_wait_alu 0xfffe
	s_or_saveexec_b32 s0, s3
	s_mov_b32 s2, 0
	s_wait_alu 0xfffe
	s_xor_b32 exec_lo, exec_lo, s0
	s_cbranch_execnz .LBB38_322
.LBB38_320:
	s_or_b32 exec_lo, exec_lo, s0
	s_wait_alu 0xfffe
	s_and_b32 s3, s2, exec_lo
	s_and_not1_saveexec_b32 s0, s1
	s_cbranch_execz .LBB38_296
.LBB38_321:
	s_wait_alu 0xfffe
	s_or_b32 s3, s3, exec_lo
	s_trap 2
	s_or_b32 exec_lo, exec_lo, s0
	s_wait_alu 0xfffe
	s_and_saveexec_b32 s0, s3
	s_cbranch_execnz .LBB38_297
	s_branch .LBB38_298
.LBB38_322:
	s_mov_b32 s2, exec_lo
	s_trap 2
	s_branch .LBB38_320
	.section	.rodata,"a",@progbits
	.p2align	6, 0x0
	.amdhsa_kernel _ZN2at6native12_GLOBAL__N_114gatherKthValueIslLi3EEEvNS_4cuda6detail10TensorInfoIKT_T0_EES8_S8_S8_S8_NS5_IS6_S8_EENS5_IlS8_EE
		.amdhsa_group_segment_fixed_size 5144
		.amdhsa_private_segment_fixed_size 0
		.amdhsa_kernarg_size 1536
		.amdhsa_user_sgpr_count 2
		.amdhsa_user_sgpr_dispatch_ptr 0
		.amdhsa_user_sgpr_queue_ptr 0
		.amdhsa_user_sgpr_kernarg_segment_ptr 1
		.amdhsa_user_sgpr_dispatch_id 0
		.amdhsa_user_sgpr_private_segment_size 0
		.amdhsa_wavefront_size32 1
		.amdhsa_uses_dynamic_stack 0
		.amdhsa_enable_private_segment 0
		.amdhsa_system_sgpr_workgroup_id_x 1
		.amdhsa_system_sgpr_workgroup_id_y 1
		.amdhsa_system_sgpr_workgroup_id_z 1
		.amdhsa_system_sgpr_workgroup_info 0
		.amdhsa_system_vgpr_workitem_id 0
		.amdhsa_next_free_vgpr 56
		.amdhsa_next_free_sgpr 105
		.amdhsa_reserve_vcc 1
		.amdhsa_float_round_mode_32 0
		.amdhsa_float_round_mode_16_64 0
		.amdhsa_float_denorm_mode_32 3
		.amdhsa_float_denorm_mode_16_64 3
		.amdhsa_fp16_overflow 0
		.amdhsa_workgroup_processor_mode 1
		.amdhsa_memory_ordered 1
		.amdhsa_forward_progress 1
		.amdhsa_inst_pref_size 190
		.amdhsa_round_robin_scheduling 0
		.amdhsa_exception_fp_ieee_invalid_op 0
		.amdhsa_exception_fp_denorm_src 0
		.amdhsa_exception_fp_ieee_div_zero 0
		.amdhsa_exception_fp_ieee_overflow 0
		.amdhsa_exception_fp_ieee_underflow 0
		.amdhsa_exception_fp_ieee_inexact 0
		.amdhsa_exception_int_div_zero 0
	.end_amdhsa_kernel
	.section	.text._ZN2at6native12_GLOBAL__N_114gatherKthValueIslLi3EEEvNS_4cuda6detail10TensorInfoIKT_T0_EES8_S8_S8_S8_NS5_IS6_S8_EENS5_IlS8_EE,"axG",@progbits,_ZN2at6native12_GLOBAL__N_114gatherKthValueIslLi3EEEvNS_4cuda6detail10TensorInfoIKT_T0_EES8_S8_S8_S8_NS5_IS6_S8_EENS5_IlS8_EE,comdat
.Lfunc_end38:
	.size	_ZN2at6native12_GLOBAL__N_114gatherKthValueIslLi3EEEvNS_4cuda6detail10TensorInfoIKT_T0_EES8_S8_S8_S8_NS5_IS6_S8_EENS5_IlS8_EE, .Lfunc_end38-_ZN2at6native12_GLOBAL__N_114gatherKthValueIslLi3EEEvNS_4cuda6detail10TensorInfoIKT_T0_EES8_S8_S8_S8_NS5_IS6_S8_EENS5_IlS8_EE
                                        ; -- End function
	.set _ZN2at6native12_GLOBAL__N_114gatherKthValueIslLi3EEEvNS_4cuda6detail10TensorInfoIKT_T0_EES8_S8_S8_S8_NS5_IS6_S8_EENS5_IlS8_EE.num_vgpr, 56
	.set _ZN2at6native12_GLOBAL__N_114gatherKthValueIslLi3EEEvNS_4cuda6detail10TensorInfoIKT_T0_EES8_S8_S8_S8_NS5_IS6_S8_EENS5_IlS8_EE.num_agpr, 0
	.set _ZN2at6native12_GLOBAL__N_114gatherKthValueIslLi3EEEvNS_4cuda6detail10TensorInfoIKT_T0_EES8_S8_S8_S8_NS5_IS6_S8_EENS5_IlS8_EE.numbered_sgpr, 105
	.set _ZN2at6native12_GLOBAL__N_114gatherKthValueIslLi3EEEvNS_4cuda6detail10TensorInfoIKT_T0_EES8_S8_S8_S8_NS5_IS6_S8_EENS5_IlS8_EE.num_named_barrier, 0
	.set _ZN2at6native12_GLOBAL__N_114gatherKthValueIslLi3EEEvNS_4cuda6detail10TensorInfoIKT_T0_EES8_S8_S8_S8_NS5_IS6_S8_EENS5_IlS8_EE.private_seg_size, 0
	.set _ZN2at6native12_GLOBAL__N_114gatherKthValueIslLi3EEEvNS_4cuda6detail10TensorInfoIKT_T0_EES8_S8_S8_S8_NS5_IS6_S8_EENS5_IlS8_EE.uses_vcc, 1
	.set _ZN2at6native12_GLOBAL__N_114gatherKthValueIslLi3EEEvNS_4cuda6detail10TensorInfoIKT_T0_EES8_S8_S8_S8_NS5_IS6_S8_EENS5_IlS8_EE.uses_flat_scratch, 0
	.set _ZN2at6native12_GLOBAL__N_114gatherKthValueIslLi3EEEvNS_4cuda6detail10TensorInfoIKT_T0_EES8_S8_S8_S8_NS5_IS6_S8_EENS5_IlS8_EE.has_dyn_sized_stack, 0
	.set _ZN2at6native12_GLOBAL__N_114gatherKthValueIslLi3EEEvNS_4cuda6detail10TensorInfoIKT_T0_EES8_S8_S8_S8_NS5_IS6_S8_EENS5_IlS8_EE.has_recursion, 0
	.set _ZN2at6native12_GLOBAL__N_114gatherKthValueIslLi3EEEvNS_4cuda6detail10TensorInfoIKT_T0_EES8_S8_S8_S8_NS5_IS6_S8_EENS5_IlS8_EE.has_indirect_call, 0
	.section	.AMDGPU.csdata,"",@progbits
; Kernel info:
; codeLenInByte = 24220
; TotalNumSgprs: 107
; NumVgprs: 56
; ScratchSize: 0
; MemoryBound: 0
; FloatMode: 240
; IeeeMode: 1
; LDSByteSize: 5144 bytes/workgroup (compile time only)
; SGPRBlocks: 0
; VGPRBlocks: 6
; NumSGPRsForWavesPerEU: 107
; NumVGPRsForWavesPerEU: 56
; Occupancy: 16
; WaveLimiterHint : 1
; COMPUTE_PGM_RSRC2:SCRATCH_EN: 0
; COMPUTE_PGM_RSRC2:USER_SGPR: 2
; COMPUTE_PGM_RSRC2:TRAP_HANDLER: 0
; COMPUTE_PGM_RSRC2:TGID_X_EN: 1
; COMPUTE_PGM_RSRC2:TGID_Y_EN: 1
; COMPUTE_PGM_RSRC2:TGID_Z_EN: 1
; COMPUTE_PGM_RSRC2:TIDIG_COMP_CNT: 0
	.section	.text._ZN2at6native12_GLOBAL__N_114gatherKthValueIslLin1EEEvNS_4cuda6detail10TensorInfoIKT_T0_EES8_S8_S8_S8_NS5_IS6_S8_EENS5_IlS8_EE,"axG",@progbits,_ZN2at6native12_GLOBAL__N_114gatherKthValueIslLin1EEEvNS_4cuda6detail10TensorInfoIKT_T0_EES8_S8_S8_S8_NS5_IS6_S8_EENS5_IlS8_EE,comdat
	.globl	_ZN2at6native12_GLOBAL__N_114gatherKthValueIslLin1EEEvNS_4cuda6detail10TensorInfoIKT_T0_EES8_S8_S8_S8_NS5_IS6_S8_EENS5_IlS8_EE ; -- Begin function _ZN2at6native12_GLOBAL__N_114gatherKthValueIslLin1EEEvNS_4cuda6detail10TensorInfoIKT_T0_EES8_S8_S8_S8_NS5_IS6_S8_EENS5_IlS8_EE
	.p2align	8
	.type	_ZN2at6native12_GLOBAL__N_114gatherKthValueIslLin1EEEvNS_4cuda6detail10TensorInfoIKT_T0_EES8_S8_S8_S8_NS5_IS6_S8_EENS5_IlS8_EE,@function
_ZN2at6native12_GLOBAL__N_114gatherKthValueIslLin1EEEvNS_4cuda6detail10TensorInfoIKT_T0_EES8_S8_S8_S8_NS5_IS6_S8_EENS5_IlS8_EE: ; @_ZN2at6native12_GLOBAL__N_114gatherKthValueIslLin1EEEvNS_4cuda6detail10TensorInfoIKT_T0_EES8_S8_S8_S8_NS5_IS6_S8_EENS5_IlS8_EE
; %bb.0:
	s_clause 0x1
	s_load_b64 s[4:5], s[0:1], 0x500
	s_load_b256 s[36:43], s[0:1], 0x1a0
	s_lshr_b32 s2, ttmp7, 16
	s_and_b32 s3, ttmp7, 0xffff
	s_wait_kmcnt 0x0
	s_mul_i32 s2, s5, s2
	s_delay_alu instid0(SALU_CYCLE_1) | instskip(SKIP_2) | instid1(SALU_CYCLE_1)
	s_add_co_i32 s2, s2, s3
	s_mov_b32 s3, 0
	s_mul_i32 s2, s2, s4
	s_add_co_i32 s2, s2, ttmp9
	s_delay_alu instid0(SALU_CYCLE_1)
	v_cmp_le_i64_e64 s5, s[40:41], s[2:3]
	s_and_b32 vcc_lo, exec_lo, s5
	s_cbranch_vccnz .LBB39_298
; %bb.1:
	s_load_b32 s5, s[0:1], 0x198
	s_mov_b64 s[6:7], 0
	s_mov_b64 s[10:11], s[2:3]
	s_wait_kmcnt 0x0
	s_cmp_lt_i32 s5, 2
	s_cbranch_scc1 .LBB39_9
; %bb.2:
	s_mov_b32 s8, 0
	s_add_co_i32 s6, s5, -1
	s_mov_b32 s7, s8
	s_add_co_i32 s5, s5, 1
	s_lshl_b64 s[6:7], s[6:7], 3
	s_mov_b64 s[14:15], s[2:3]
	s_add_nc_u64 s[10:11], s[0:1], s[6:7]
	s_mov_b64 s[6:7], 0
	s_add_nc_u64 s[12:13], s[10:11], 8
.LBB39_3:                               ; =>This Inner Loop Header: Depth=1
	s_load_b64 s[16:17], s[12:13], 0x0
	s_wait_kmcnt 0x0
	s_or_b64 s[10:11], s[14:15], s[16:17]
	s_delay_alu instid0(SALU_CYCLE_1)
	s_mov_b32 s9, s11
                                        ; implicit-def: $sgpr10_sgpr11
	s_wait_alu 0xfffe
	s_cmp_lg_u64 s[8:9], 0
	s_mov_b32 s9, -1
	s_cbranch_scc0 .LBB39_5
; %bb.4:                                ;   in Loop: Header=BB39_3 Depth=1
	s_ashr_i32 s10, s17, 31
	s_mov_b32 s25, s8
	s_mov_b32 s11, s10
	;; [unrolled: 1-line block ×3, first 2 shown]
	s_add_nc_u64 s[18:19], s[16:17], s[10:11]
	s_delay_alu instid0(SALU_CYCLE_1) | instskip(NEXT) | instid1(SALU_CYCLE_1)
	s_xor_b64 s[18:19], s[18:19], s[10:11]
	s_cvt_f32_u32 s9, s18
	s_cvt_f32_u32 s20, s19
	s_sub_nc_u64 s[22:23], 0, s[18:19]
	s_wait_alu 0xfffe
	s_delay_alu instid0(SALU_CYCLE_1) | instskip(SKIP_1) | instid1(SALU_CYCLE_2)
	s_fmamk_f32 s9, s20, 0x4f800000, s9
	s_wait_alu 0xfffe
	v_s_rcp_f32 s9, s9
	s_delay_alu instid0(TRANS32_DEP_1) | instskip(SKIP_1) | instid1(SALU_CYCLE_2)
	s_mul_f32 s9, s9, 0x5f7ffffc
	s_wait_alu 0xfffe
	s_mul_f32 s20, s9, 0x2f800000
	s_delay_alu instid0(SALU_CYCLE_3) | instskip(NEXT) | instid1(SALU_CYCLE_3)
	s_trunc_f32 s20, s20
	s_fmamk_f32 s9, s20, 0xcf800000, s9
	s_cvt_u32_f32 s21, s20
	s_wait_alu 0xfffe
	s_delay_alu instid0(SALU_CYCLE_1) | instskip(NEXT) | instid1(SALU_CYCLE_3)
	s_cvt_u32_f32 s20, s9
	s_mul_u64 s[26:27], s[22:23], s[20:21]
	s_delay_alu instid0(SALU_CYCLE_1)
	s_mul_hi_u32 s31, s20, s27
	s_mul_i32 s30, s20, s27
	s_mul_hi_u32 s24, s20, s26
	s_mul_i32 s28, s21, s26
	s_add_nc_u64 s[24:25], s[24:25], s[30:31]
	s_mul_hi_u32 s9, s21, s26
	s_mul_hi_u32 s33, s21, s27
	s_add_co_u32 s24, s24, s28
	s_wait_alu 0xfffe
	s_add_co_ci_u32 s28, s25, s9
	s_mul_i32 s26, s21, s27
	s_add_co_ci_u32 s27, s33, 0
	s_delay_alu instid0(SALU_CYCLE_1)
	s_add_nc_u64 s[24:25], s[28:29], s[26:27]
	s_mov_b32 s27, s8
	s_add_co_u32 s20, s20, s24
	s_cselect_b32 s9, -1, 0
	s_wait_alu 0xfffe
	s_cmp_lg_u32 s9, 0
	s_add_co_ci_u32 s21, s21, s25
	s_mov_b32 s25, s8
	s_mul_u64 s[22:23], s[22:23], s[20:21]
	s_delay_alu instid0(SALU_CYCLE_1)
	s_mul_hi_u32 s29, s20, s23
	s_mul_i32 s28, s20, s23
	s_mul_hi_u32 s24, s20, s22
	s_mul_i32 s26, s21, s22
	s_add_nc_u64 s[24:25], s[24:25], s[28:29]
	s_mul_hi_u32 s9, s21, s22
	s_mul_hi_u32 s30, s21, s23
	s_mul_i32 s22, s21, s23
	s_add_co_u32 s23, s24, s26
	s_wait_alu 0xfffe
	s_add_co_ci_u32 s26, s25, s9
	s_add_co_ci_u32 s23, s30, 0
	s_mov_b32 s25, s8
	s_add_nc_u64 s[22:23], s[26:27], s[22:23]
	s_delay_alu instid0(SALU_CYCLE_1) | instskip(SKIP_1) | instid1(SALU_CYCLE_1)
	s_add_co_u32 s9, s20, s22
	s_cselect_b32 s20, -1, 0
	s_cmp_lg_u32 s20, 0
	s_add_co_ci_u32 s26, s21, s23
	s_ashr_i32 s20, s15, 31
	s_delay_alu instid0(SALU_CYCLE_1) | instskip(NEXT) | instid1(SALU_CYCLE_1)
	s_mov_b32 s21, s20
	s_add_nc_u64 s[22:23], s[14:15], s[20:21]
	s_delay_alu instid0(SALU_CYCLE_1) | instskip(NEXT) | instid1(SALU_CYCLE_1)
	s_xor_b64 s[22:23], s[22:23], s[20:21]
	s_mul_hi_u32 s29, s22, s26
	s_mul_i32 s28, s22, s26
	s_wait_alu 0xfffe
	s_mul_hi_u32 s24, s22, s9
	s_mul_hi_u32 s31, s23, s9
	s_mul_i32 s9, s23, s9
	s_add_nc_u64 s[24:25], s[24:25], s[28:29]
	s_mul_hi_u32 s30, s23, s26
	s_wait_alu 0xfffe
	s_add_co_u32 s9, s24, s9
	s_mul_i32 s28, s23, s26
	s_add_co_ci_u32 s26, s25, s31
	s_add_co_ci_u32 s29, s30, 0
	s_delay_alu instid0(SALU_CYCLE_1) | instskip(NEXT) | instid1(SALU_CYCLE_1)
	s_add_nc_u64 s[24:25], s[26:27], s[28:29]
	s_mul_u64 s[26:27], s[18:19], s[24:25]
	s_delay_alu instid0(SALU_CYCLE_1)
	s_sub_co_u32 s9, s22, s26
	s_cselect_b32 s22, -1, 0
	s_sub_co_i32 s26, s23, s27
	s_cmp_lg_u32 s22, 0
	s_sub_co_ci_u32 s26, s26, s19
	s_wait_alu 0xfffe
	s_sub_co_u32 s28, s9, s18
	s_cselect_b32 s29, -1, 0
	s_delay_alu instid0(SALU_CYCLE_1) | instskip(SKIP_1) | instid1(SALU_CYCLE_1)
	s_cmp_lg_u32 s29, 0
	s_sub_co_ci_u32 s26, s26, 0
	s_cmp_ge_u32 s26, s19
	s_cselect_b32 s30, -1, 0
	s_cmp_ge_u32 s28, s18
	s_add_nc_u64 s[28:29], s[24:25], 1
	s_cselect_b32 s31, -1, 0
	s_cmp_eq_u32 s26, s19
	s_cselect_b32 s26, s31, s30
	s_add_nc_u64 s[30:31], s[24:25], 2
	s_cmp_lg_u32 s26, 0
	s_cselect_b32 s26, s30, s28
	s_cselect_b32 s28, s31, s29
	s_cmp_lg_u32 s22, 0
	s_sub_co_ci_u32 s22, s23, s27
	s_delay_alu instid0(SALU_CYCLE_1)
	s_cmp_ge_u32 s22, s19
	s_cselect_b32 s23, -1, 0
	s_cmp_ge_u32 s9, s18
	s_cselect_b32 s9, -1, 0
	s_cmp_eq_u32 s22, s19
	s_wait_alu 0xfffe
	s_cselect_b32 s9, s9, s23
	s_wait_alu 0xfffe
	s_cmp_lg_u32 s9, 0
	s_mov_b32 s9, 0
	s_cselect_b32 s19, s28, s25
	s_cselect_b32 s18, s26, s24
	s_xor_b64 s[10:11], s[20:21], s[10:11]
	s_delay_alu instid0(SALU_CYCLE_1) | instskip(NEXT) | instid1(SALU_CYCLE_1)
	s_xor_b64 s[18:19], s[18:19], s[10:11]
	s_sub_nc_u64 s[10:11], s[18:19], s[10:11]
.LBB39_5:                               ;   in Loop: Header=BB39_3 Depth=1
	s_wait_alu 0xfffe
	s_and_not1_b32 vcc_lo, exec_lo, s9
	s_cbranch_vccnz .LBB39_7
; %bb.6:                                ;   in Loop: Header=BB39_3 Depth=1
	v_cvt_f32_u32_e32 v1, s16
	s_sub_co_i32 s10, 0, s16
	s_delay_alu instid0(VALU_DEP_1) | instskip(NEXT) | instid1(TRANS32_DEP_1)
	v_rcp_iflag_f32_e32 v1, v1
	v_mul_f32_e32 v1, 0x4f7ffffe, v1
	s_delay_alu instid0(VALU_DEP_1) | instskip(NEXT) | instid1(VALU_DEP_1)
	v_cvt_u32_f32_e32 v1, v1
	v_readfirstlane_b32 s9, v1
	s_mul_i32 s10, s10, s9
	s_delay_alu instid0(SALU_CYCLE_1) | instskip(NEXT) | instid1(SALU_CYCLE_1)
	s_mul_hi_u32 s10, s9, s10
	s_add_co_i32 s9, s9, s10
	s_wait_alu 0xfffe
	s_mul_hi_u32 s9, s14, s9
	s_wait_alu 0xfffe
	s_mul_i32 s10, s9, s16
	s_add_co_i32 s11, s9, 1
	s_sub_co_i32 s10, s14, s10
	s_delay_alu instid0(SALU_CYCLE_1)
	s_sub_co_i32 s18, s10, s16
	s_cmp_ge_u32 s10, s16
	s_cselect_b32 s9, s11, s9
	s_cselect_b32 s10, s18, s10
	s_wait_alu 0xfffe
	s_add_co_i32 s11, s9, 1
	s_cmp_ge_u32 s10, s16
	s_cselect_b32 s10, s11, s9
	s_mov_b32 s11, s8
.LBB39_7:                               ;   in Loop: Header=BB39_3 Depth=1
	s_load_b64 s[18:19], s[12:13], 0xc8
	s_mul_u64 s[16:17], s[10:11], s[16:17]
	s_add_co_i32 s5, s5, -1
	s_wait_alu 0xfffe
	s_sub_nc_u64 s[14:15], s[14:15], s[16:17]
	s_cmp_gt_u32 s5, 2
	s_add_nc_u64 s[12:13], s[12:13], -8
	s_wait_kmcnt 0x0
	s_mul_u64 s[14:15], s[18:19], s[14:15]
	s_delay_alu instid0(SALU_CYCLE_1)
	s_add_nc_u64 s[6:7], s[14:15], s[6:7]
	s_cbranch_scc0 .LBB39_9
; %bb.8:                                ;   in Loop: Header=BB39_3 Depth=1
	s_mov_b64 s[14:15], s[10:11]
	s_branch .LBB39_3
.LBB39_9:
	s_load_b32 s5, s[0:1], 0x358
	s_add_nc_u64 s[8:9], s[0:1], 0x500
	s_add_nc_u64 s[12:13], s[0:1], 0x1c0
	s_mov_b64 s[26:27], 0
	s_mov_b64 s[28:29], s[2:3]
	s_wait_kmcnt 0x0
	s_cmp_lt_i32 s5, 2
	s_cbranch_scc1 .LBB39_17
; %bb.10:
	s_mov_b32 s14, 0
	s_add_co_i32 s16, s5, -1
	s_mov_b32 s17, s14
	s_add_co_i32 s5, s5, 1
	s_wait_alu 0xfffe
	s_lshl_b64 s[16:17], s[16:17], 3
	s_mov_b64 s[18:19], s[2:3]
	s_wait_alu 0xfffe
	s_add_nc_u64 s[16:17], s[12:13], s[16:17]
	s_wait_alu 0xfffe
	s_add_nc_u64 s[16:17], s[16:17], 8
.LBB39_11:                              ; =>This Inner Loop Header: Depth=1
	s_load_b64 s[20:21], s[16:17], 0x0
                                        ; implicit-def: $sgpr28_sgpr29
	s_wait_kmcnt 0x0
	s_or_b64 s[22:23], s[18:19], s[20:21]
	s_delay_alu instid0(SALU_CYCLE_1)
	s_mov_b32 s15, s23
	s_wait_alu 0xfffe
	s_cmp_lg_u64 s[14:15], 0
	s_mov_b32 s15, -1
	s_cbranch_scc0 .LBB39_13
; %bb.12:                               ;   in Loop: Header=BB39_11 Depth=1
	s_ashr_i32 s22, s21, 31
	s_mov_b32 s35, s14
	s_mov_b32 s23, s22
	;; [unrolled: 1-line block ×3, first 2 shown]
	s_add_nc_u64 s[24:25], s[20:21], s[22:23]
	s_delay_alu instid0(SALU_CYCLE_1) | instskip(NEXT) | instid1(SALU_CYCLE_1)
	s_xor_b64 s[24:25], s[24:25], s[22:23]
	s_cvt_f32_u32 s15, s24
	s_cvt_f32_u32 s28, s25
	s_sub_nc_u64 s[30:31], 0, s[24:25]
	s_wait_alu 0xfffe
	s_delay_alu instid0(SALU_CYCLE_1) | instskip(SKIP_1) | instid1(SALU_CYCLE_2)
	s_fmamk_f32 s15, s28, 0x4f800000, s15
	s_wait_alu 0xfffe
	v_s_rcp_f32 s15, s15
	s_delay_alu instid0(TRANS32_DEP_1) | instskip(SKIP_1) | instid1(SALU_CYCLE_2)
	s_mul_f32 s15, s15, 0x5f7ffffc
	s_wait_alu 0xfffe
	s_mul_f32 s28, s15, 0x2f800000
	s_delay_alu instid0(SALU_CYCLE_3) | instskip(NEXT) | instid1(SALU_CYCLE_3)
	s_trunc_f32 s28, s28
	s_fmamk_f32 s15, s28, 0xcf800000, s15
	s_cvt_u32_f32 s29, s28
	s_wait_alu 0xfffe
	s_delay_alu instid0(SALU_CYCLE_1) | instskip(NEXT) | instid1(SALU_CYCLE_3)
	s_cvt_u32_f32 s28, s15
	s_mul_u64 s[40:41], s[30:31], s[28:29]
	s_wait_alu 0xfffe
	s_mul_hi_u32 s47, s28, s41
	s_mul_i32 s46, s28, s41
	s_mul_hi_u32 s34, s28, s40
	s_mul_i32 s33, s29, s40
	s_add_nc_u64 s[34:35], s[34:35], s[46:47]
	s_mul_hi_u32 s15, s29, s40
	s_mul_hi_u32 s48, s29, s41
	s_add_co_u32 s33, s34, s33
	s_wait_alu 0xfffe
	s_add_co_ci_u32 s44, s35, s15
	s_mul_i32 s40, s29, s41
	s_add_co_ci_u32 s41, s48, 0
	s_wait_alu 0xfffe
	s_add_nc_u64 s[34:35], s[44:45], s[40:41]
	s_mov_b32 s41, s14
	s_add_co_u32 s28, s28, s34
	s_cselect_b32 s15, -1, 0
	s_wait_alu 0xfffe
	s_cmp_lg_u32 s15, 0
	s_add_co_ci_u32 s29, s29, s35
	s_mov_b32 s35, s14
	s_mul_u64 s[30:31], s[30:31], s[28:29]
	s_delay_alu instid0(SALU_CYCLE_1)
	s_mul_hi_u32 s45, s28, s31
	s_mul_i32 s44, s28, s31
	s_mul_hi_u32 s34, s28, s30
	s_mul_i32 s33, s29, s30
	s_add_nc_u64 s[34:35], s[34:35], s[44:45]
	s_mul_hi_u32 s15, s29, s30
	s_mul_hi_u32 s46, s29, s31
	s_mul_i32 s30, s29, s31
	s_add_co_u32 s31, s34, s33
	s_wait_alu 0xfffe
	s_add_co_ci_u32 s40, s35, s15
	s_add_co_ci_u32 s31, s46, 0
	s_mov_b32 s35, s14
	s_wait_alu 0xfffe
	s_add_nc_u64 s[30:31], s[40:41], s[30:31]
	s_delay_alu instid0(SALU_CYCLE_1) | instskip(SKIP_1) | instid1(SALU_CYCLE_1)
	s_add_co_u32 s15, s28, s30
	s_cselect_b32 s28, -1, 0
	s_cmp_lg_u32 s28, 0
	s_add_co_ci_u32 s33, s29, s31
	s_ashr_i32 s28, s19, 31
	s_delay_alu instid0(SALU_CYCLE_1) | instskip(NEXT) | instid1(SALU_CYCLE_1)
	s_mov_b32 s29, s28
	s_add_nc_u64 s[30:31], s[18:19], s[28:29]
	s_delay_alu instid0(SALU_CYCLE_1) | instskip(NEXT) | instid1(SALU_CYCLE_1)
	s_xor_b64 s[30:31], s[30:31], s[28:29]
	s_mul_hi_u32 s45, s30, s33
	s_mul_i32 s44, s30, s33
	s_wait_alu 0xfffe
	s_mul_hi_u32 s34, s30, s15
	s_mul_hi_u32 s40, s31, s15
	s_mul_i32 s15, s31, s15
	s_add_nc_u64 s[34:35], s[34:35], s[44:45]
	s_mul_hi_u32 s46, s31, s33
	s_wait_alu 0xfffe
	s_add_co_u32 s15, s34, s15
	s_add_co_ci_u32 s40, s35, s40
	s_mul_i32 s44, s31, s33
	s_add_co_ci_u32 s45, s46, 0
	s_wait_alu 0xfffe
	s_add_nc_u64 s[34:35], s[40:41], s[44:45]
	s_delay_alu instid0(SALU_CYCLE_1)
	s_mul_u64 s[40:41], s[24:25], s[34:35]
	s_wait_alu 0xfffe
	s_sub_co_u32 s15, s30, s40
	s_cselect_b32 s30, -1, 0
	s_sub_co_i32 s33, s31, s41
	s_cmp_lg_u32 s30, 0
	s_sub_co_ci_u32 s33, s33, s25
	s_wait_alu 0xfffe
	s_sub_co_u32 s40, s15, s24
	s_cselect_b32 s44, -1, 0
	s_delay_alu instid0(SALU_CYCLE_1) | instskip(SKIP_2) | instid1(SALU_CYCLE_1)
	s_cmp_lg_u32 s44, 0
	s_add_nc_u64 s[44:45], s[34:35], 1
	s_sub_co_ci_u32 s33, s33, 0
	s_cmp_ge_u32 s33, s25
	s_cselect_b32 s46, -1, 0
	s_wait_alu 0xfffe
	s_cmp_ge_u32 s40, s24
	s_cselect_b32 s40, -1, 0
	s_cmp_eq_u32 s33, s25
	s_wait_alu 0xfffe
	s_cselect_b32 s33, s40, s46
	s_add_nc_u64 s[46:47], s[34:35], 2
	s_cmp_lg_u32 s33, 0
	s_cselect_b32 s33, s46, s44
	s_cselect_b32 s40, s47, s45
	s_cmp_lg_u32 s30, 0
	s_sub_co_ci_u32 s30, s31, s41
	s_delay_alu instid0(SALU_CYCLE_1)
	s_cmp_ge_u32 s30, s25
	s_cselect_b32 s31, -1, 0
	s_cmp_ge_u32 s15, s24
	s_cselect_b32 s15, -1, 0
	s_cmp_eq_u32 s30, s25
	s_wait_alu 0xfffe
	s_cselect_b32 s15, s15, s31
	s_wait_alu 0xfffe
	s_cmp_lg_u32 s15, 0
	s_mov_b32 s15, 0
	s_cselect_b32 s25, s40, s35
	s_cselect_b32 s24, s33, s34
	s_xor_b64 s[22:23], s[28:29], s[22:23]
	s_delay_alu instid0(SALU_CYCLE_1) | instskip(NEXT) | instid1(SALU_CYCLE_1)
	s_xor_b64 s[24:25], s[24:25], s[22:23]
	s_sub_nc_u64 s[28:29], s[24:25], s[22:23]
.LBB39_13:                              ;   in Loop: Header=BB39_11 Depth=1
	s_wait_alu 0xfffe
	s_and_not1_b32 vcc_lo, exec_lo, s15
	s_cbranch_vccnz .LBB39_15
; %bb.14:                               ;   in Loop: Header=BB39_11 Depth=1
	v_cvt_f32_u32_e32 v1, s20
	s_sub_co_i32 s22, 0, s20
	s_mov_b32 s29, s14
	s_delay_alu instid0(VALU_DEP_1) | instskip(NEXT) | instid1(TRANS32_DEP_1)
	v_rcp_iflag_f32_e32 v1, v1
	v_mul_f32_e32 v1, 0x4f7ffffe, v1
	s_delay_alu instid0(VALU_DEP_1) | instskip(NEXT) | instid1(VALU_DEP_1)
	v_cvt_u32_f32_e32 v1, v1
	v_readfirstlane_b32 s15, v1
	s_mul_i32 s22, s22, s15
	s_delay_alu instid0(SALU_CYCLE_1) | instskip(NEXT) | instid1(SALU_CYCLE_1)
	s_mul_hi_u32 s22, s15, s22
	s_add_co_i32 s15, s15, s22
	s_wait_alu 0xfffe
	s_mul_hi_u32 s15, s18, s15
	s_wait_alu 0xfffe
	s_mul_i32 s22, s15, s20
	s_add_co_i32 s23, s15, 1
	s_sub_co_i32 s22, s18, s22
	s_delay_alu instid0(SALU_CYCLE_1)
	s_sub_co_i32 s24, s22, s20
	s_cmp_ge_u32 s22, s20
	s_cselect_b32 s15, s23, s15
	s_cselect_b32 s22, s24, s22
	s_wait_alu 0xfffe
	s_add_co_i32 s23, s15, 1
	s_cmp_ge_u32 s22, s20
	s_cselect_b32 s28, s23, s15
.LBB39_15:                              ;   in Loop: Header=BB39_11 Depth=1
	s_load_b64 s[22:23], s[16:17], 0xc8
	s_mul_u64 s[20:21], s[28:29], s[20:21]
	s_add_co_i32 s5, s5, -1
	s_wait_alu 0xfffe
	s_sub_nc_u64 s[18:19], s[18:19], s[20:21]
	s_cmp_gt_u32 s5, 2
	s_add_nc_u64 s[16:17], s[16:17], -8
	s_wait_kmcnt 0x0
	s_mul_u64 s[18:19], s[22:23], s[18:19]
	s_delay_alu instid0(SALU_CYCLE_1)
	s_add_nc_u64 s[26:27], s[18:19], s[26:27]
	s_cbranch_scc0 .LBB39_17
; %bb.16:                               ;   in Loop: Header=BB39_11 Depth=1
	s_mov_b64 s[18:19], s[28:29]
	s_branch .LBB39_11
.LBB39_17:
	s_clause 0x1
	s_load_b64 s[14:15], s[0:1], 0xd0
	s_load_b32 s5, s[0:1], 0x4f8
	s_mov_b64 s[30:31], 0
	s_wait_kmcnt 0x0
	s_cmp_lt_i32 s5, 2
	s_cbranch_scc1 .LBB39_25
; %bb.18:
	s_mov_b32 s16, 0
	s_add_co_i32 s18, s5, -1
	s_wait_alu 0xfffe
	s_mov_b32 s19, s16
	s_add_nc_u64 s[20:21], s[0:1], 0x360
	s_lshl_b64 s[18:19], s[18:19], 3
	s_add_co_i32 s5, s5, 1
	s_wait_alu 0xfffe
	s_add_nc_u64 s[18:19], s[20:21], s[18:19]
	s_delay_alu instid0(SALU_CYCLE_1)
	s_add_nc_u64 s[18:19], s[18:19], 8
.LBB39_19:                              ; =>This Inner Loop Header: Depth=1
	s_load_b64 s[20:21], s[18:19], 0x0
                                        ; implicit-def: $sgpr34_sgpr35
	s_wait_kmcnt 0x0
	s_or_b64 s[22:23], s[2:3], s[20:21]
	s_delay_alu instid0(SALU_CYCLE_1)
	s_mov_b32 s17, s23
	s_wait_alu 0xfffe
	s_cmp_lg_u64 s[16:17], 0
	s_mov_b32 s17, -1
	s_cbranch_scc0 .LBB39_21
; %bb.20:                               ;   in Loop: Header=BB39_19 Depth=1
	s_ashr_i32 s22, s21, 31
	s_mov_b32 s45, s16
	s_mov_b32 s23, s22
	;; [unrolled: 1-line block ×3, first 2 shown]
	s_add_nc_u64 s[24:25], s[20:21], s[22:23]
	s_delay_alu instid0(SALU_CYCLE_1) | instskip(NEXT) | instid1(SALU_CYCLE_1)
	s_xor_b64 s[24:25], s[24:25], s[22:23]
	s_cvt_f32_u32 s17, s24
	s_cvt_f32_u32 s33, s25
	s_sub_nc_u64 s[40:41], 0, s[24:25]
	s_wait_alu 0xfffe
	s_delay_alu instid0(SALU_CYCLE_1) | instskip(SKIP_1) | instid1(SALU_CYCLE_2)
	s_fmamk_f32 s17, s33, 0x4f800000, s17
	s_wait_alu 0xfffe
	v_s_rcp_f32 s17, s17
	s_delay_alu instid0(TRANS32_DEP_1) | instskip(SKIP_1) | instid1(SALU_CYCLE_2)
	s_mul_f32 s17, s17, 0x5f7ffffc
	s_wait_alu 0xfffe
	s_mul_f32 s33, s17, 0x2f800000
	s_delay_alu instid0(SALU_CYCLE_3) | instskip(NEXT) | instid1(SALU_CYCLE_3)
	s_trunc_f32 s33, s33
	s_fmamk_f32 s17, s33, 0xcf800000, s17
	s_cvt_u32_f32 s35, s33
	s_wait_alu 0xfffe
	s_delay_alu instid0(SALU_CYCLE_1) | instskip(NEXT) | instid1(SALU_CYCLE_3)
	s_cvt_u32_f32 s34, s17
	s_mul_u64 s[46:47], s[40:41], s[34:35]
	s_delay_alu instid0(SALU_CYCLE_1)
	s_mul_hi_u32 s51, s34, s47
	s_mul_i32 s50, s34, s47
	s_mul_hi_u32 s44, s34, s46
	s_mul_i32 s33, s35, s46
	s_add_nc_u64 s[44:45], s[44:45], s[50:51]
	s_mul_hi_u32 s17, s35, s46
	s_mul_hi_u32 s52, s35, s47
	s_add_co_u32 s33, s44, s33
	s_wait_alu 0xfffe
	s_add_co_ci_u32 s48, s45, s17
	s_mul_i32 s46, s35, s47
	s_add_co_ci_u32 s47, s52, 0
	s_delay_alu instid0(SALU_CYCLE_1)
	s_add_nc_u64 s[44:45], s[48:49], s[46:47]
	s_mov_b32 s47, s16
	s_add_co_u32 s34, s34, s44
	s_cselect_b32 s17, -1, 0
	s_wait_alu 0xfffe
	s_cmp_lg_u32 s17, 0
	s_add_co_ci_u32 s35, s35, s45
	s_mov_b32 s45, s16
	s_mul_u64 s[40:41], s[40:41], s[34:35]
	s_wait_alu 0xfffe
	s_mul_hi_u32 s49, s34, s41
	s_mul_i32 s48, s34, s41
	s_mul_hi_u32 s44, s34, s40
	s_mul_i32 s33, s35, s40
	s_add_nc_u64 s[44:45], s[44:45], s[48:49]
	s_mul_hi_u32 s17, s35, s40
	s_mul_hi_u32 s50, s35, s41
	s_add_co_u32 s33, s44, s33
	s_wait_alu 0xfffe
	s_add_co_ci_u32 s46, s45, s17
	s_mul_i32 s40, s35, s41
	s_add_co_ci_u32 s41, s50, 0
	s_mov_b32 s45, s16
	s_wait_alu 0xfffe
	s_add_nc_u64 s[40:41], s[46:47], s[40:41]
	s_wait_alu 0xfffe
	s_add_co_u32 s17, s34, s40
	s_cselect_b32 s33, -1, 0
	s_delay_alu instid0(SALU_CYCLE_1) | instskip(SKIP_2) | instid1(SALU_CYCLE_1)
	s_cmp_lg_u32 s33, 0
	s_add_co_ci_u32 s33, s35, s41
	s_ashr_i32 s34, s3, 31
	s_mov_b32 s35, s34
	s_delay_alu instid0(SALU_CYCLE_1)
	s_add_nc_u64 s[40:41], s[2:3], s[34:35]
	s_wait_alu 0xfffe
	s_xor_b64 s[40:41], s[40:41], s[34:35]
	s_wait_alu 0xfffe
	s_mul_hi_u32 s49, s40, s33
	s_mul_i32 s48, s40, s33
	s_mul_hi_u32 s44, s40, s17
	s_mul_hi_u32 s46, s41, s17
	s_mul_i32 s17, s41, s17
	s_add_nc_u64 s[44:45], s[44:45], s[48:49]
	s_mul_hi_u32 s50, s41, s33
	s_wait_alu 0xfffe
	s_add_co_u32 s17, s44, s17
	s_add_co_ci_u32 s46, s45, s46
	s_mul_i32 s48, s41, s33
	s_add_co_ci_u32 s49, s50, 0
	s_delay_alu instid0(SALU_CYCLE_1) | instskip(NEXT) | instid1(SALU_CYCLE_1)
	s_add_nc_u64 s[44:45], s[46:47], s[48:49]
	s_mul_u64 s[46:47], s[24:25], s[44:45]
	s_delay_alu instid0(SALU_CYCLE_1)
	s_sub_co_u32 s17, s40, s46
	s_cselect_b32 s33, -1, 0
	s_sub_co_i32 s40, s41, s47
	s_cmp_lg_u32 s33, 0
	s_wait_alu 0xfffe
	s_sub_co_ci_u32 s40, s40, s25
	s_sub_co_u32 s46, s17, s24
	s_cselect_b32 s48, -1, 0
	s_delay_alu instid0(SALU_CYCLE_1)
	s_cmp_lg_u32 s48, 0
	s_add_nc_u64 s[48:49], s[44:45], 1
	s_wait_alu 0xfffe
	s_sub_co_ci_u32 s40, s40, 0
	s_wait_alu 0xfffe
	s_cmp_ge_u32 s40, s25
	s_cselect_b32 s50, -1, 0
	s_cmp_ge_u32 s46, s24
	s_cselect_b32 s46, -1, 0
	s_cmp_eq_u32 s40, s25
	s_cselect_b32 s40, s46, s50
	s_add_nc_u64 s[50:51], s[44:45], 2
	s_wait_alu 0xfffe
	s_cmp_lg_u32 s40, 0
	s_cselect_b32 s40, s50, s48
	s_cselect_b32 s46, s51, s49
	s_cmp_lg_u32 s33, 0
	s_sub_co_ci_u32 s33, s41, s47
	s_delay_alu instid0(SALU_CYCLE_1)
	s_cmp_ge_u32 s33, s25
	s_cselect_b32 s41, -1, 0
	s_cmp_ge_u32 s17, s24
	s_cselect_b32 s17, -1, 0
	s_cmp_eq_u32 s33, s25
	s_wait_alu 0xfffe
	s_cselect_b32 s17, s17, s41
	s_wait_alu 0xfffe
	s_cmp_lg_u32 s17, 0
	s_mov_b32 s17, 0
	s_cselect_b32 s25, s46, s45
	s_cselect_b32 s24, s40, s44
	s_xor_b64 s[22:23], s[34:35], s[22:23]
	s_delay_alu instid0(SALU_CYCLE_1) | instskip(NEXT) | instid1(SALU_CYCLE_1)
	s_xor_b64 s[24:25], s[24:25], s[22:23]
	s_sub_nc_u64 s[34:35], s[24:25], s[22:23]
.LBB39_21:                              ;   in Loop: Header=BB39_19 Depth=1
	s_wait_alu 0xfffe
	s_and_not1_b32 vcc_lo, exec_lo, s17
	s_cbranch_vccnz .LBB39_23
; %bb.22:                               ;   in Loop: Header=BB39_19 Depth=1
	v_cvt_f32_u32_e32 v1, s20
	s_sub_co_i32 s22, 0, s20
	s_mov_b32 s35, s16
	s_delay_alu instid0(VALU_DEP_1) | instskip(NEXT) | instid1(TRANS32_DEP_1)
	v_rcp_iflag_f32_e32 v1, v1
	v_mul_f32_e32 v1, 0x4f7ffffe, v1
	s_delay_alu instid0(VALU_DEP_1) | instskip(NEXT) | instid1(VALU_DEP_1)
	v_cvt_u32_f32_e32 v1, v1
	v_readfirstlane_b32 s17, v1
	s_mul_i32 s22, s22, s17
	s_delay_alu instid0(SALU_CYCLE_1) | instskip(NEXT) | instid1(SALU_CYCLE_1)
	s_mul_hi_u32 s22, s17, s22
	s_add_co_i32 s17, s17, s22
	s_wait_alu 0xfffe
	s_mul_hi_u32 s17, s2, s17
	s_wait_alu 0xfffe
	s_mul_i32 s22, s17, s20
	s_add_co_i32 s23, s17, 1
	s_sub_co_i32 s22, s2, s22
	s_delay_alu instid0(SALU_CYCLE_1)
	s_sub_co_i32 s24, s22, s20
	s_cmp_ge_u32 s22, s20
	s_cselect_b32 s17, s23, s17
	s_cselect_b32 s22, s24, s22
	s_wait_alu 0xfffe
	s_add_co_i32 s23, s17, 1
	s_cmp_ge_u32 s22, s20
	s_cselect_b32 s34, s23, s17
.LBB39_23:                              ;   in Loop: Header=BB39_19 Depth=1
	s_load_b64 s[22:23], s[18:19], 0xc8
	s_mul_u64 s[20:21], s[34:35], s[20:21]
	s_add_co_i32 s5, s5, -1
	s_wait_alu 0xfffe
	s_sub_nc_u64 s[2:3], s[2:3], s[20:21]
	s_cmp_gt_u32 s5, 2
	s_add_nc_u64 s[18:19], s[18:19], -8
	s_wait_kmcnt 0x0
	s_wait_alu 0xfffe
	s_mul_u64 s[2:3], s[22:23], s[2:3]
	s_wait_alu 0xfffe
	s_add_nc_u64 s[30:31], s[2:3], s[30:31]
	s_cbranch_scc0 .LBB39_26
; %bb.24:                               ;   in Loop: Header=BB39_19 Depth=1
	s_mov_b64 s[2:3], s[34:35]
	s_branch .LBB39_19
.LBB39_25:
	s_mov_b64 s[34:35], s[2:3]
.LBB39_26:
	s_clause 0x1
	s_load_b64 s[40:41], s[12:13], 0xd0
	s_load_b64 s[12:13], s[0:1], 0x0
	v_cmp_eq_u32_e64 s2, 0, v0
	s_mov_b32 s53, 0
	s_and_saveexec_b32 s3, s2
	s_cbranch_execz .LBB39_28
; %bb.27:
	v_dual_mov_b32 v1, 0 :: v_dual_mov_b32 v4, s37
	s_delay_alu instid0(VALU_DEP_1)
	v_dual_mov_b32 v3, s36 :: v_dual_mov_b32 v2, v1
	ds_store_b32 v1, v1 offset:5136
	ds_store_b128 v1, v[1:4] offset:5120
.LBB39_28:
	s_wait_alu 0xfffe
	s_or_b32 exec_lo, exec_lo, s3
	v_mad_co_u64_u32 v[4:5], null, s42, v0, 0
	v_mbcnt_lo_u32_b32 v41, -1, 0
	s_mul_u64 s[10:11], s[14:15], s[10:11]
	s_clause 0x2
	s_load_b64 s[48:49], s[0:1], 0x430
	s_load_b64 s[44:45], s[0:1], 0x1c0
	;; [unrolled: 1-line block ×3, first 2 shown]
	s_lshl_b64 s[10:11], s[10:11], 1
	v_cmp_gt_u32_e32 vcc_lo, 32, v0
	v_cmp_gt_i32_e64 s0, 4, v41
	v_dual_mov_b32 v1, v5 :: v_dual_lshlrev_b32 v42, 1, v0
	s_wait_kmcnt 0x0
	s_add_nc_u64 s[14:15], s[12:13], s[10:11]
	s_lshl_b64 s[54:55], s[6:7], 1
	v_dual_mov_b32 v3, 0 :: v_dual_lshlrev_b32 v16, 2, v0
	v_mad_co_u64_u32 v[1:2], null, s43, v0, v[1:2]
	s_wait_alu 0xfffe
	s_add_nc_u64 s[56:57], s[14:15], s[54:55]
	s_and_b32 s33, vcc_lo, s0
	v_lshlrev_b64_e64 v[8:9], v41, -1
	s_wait_dscnt 0x0
	s_barrier_signal -1
	s_delay_alu instid0(VALU_DEP_2)
	v_dual_mov_b32 v5, v1 :: v_dual_add_nc_u32 v2, 2, v0
	s_barrier_wait -1
	global_inv scope:SCOPE_SE
	s_load_b32 s5, s[8:9], 0xc
	v_dual_mov_b32 v17, v3 :: v_dual_lshlrev_b32 v46, 3, v0
	v_lshlrev_b64_e32 v[6:7], 1, v[4:5]
	v_not_b32_e32 v44, v8
	v_not_b32_e32 v8, v0
	v_lshlrev_b64_e32 v[4:5], 3, v[4:5]
	v_or_b32_e32 v10, 6, v46
	v_or_b32_e32 v12, 4, v46
	v_add_co_u32 v14, vcc_lo, s56, v6
	s_delay_alu instid0(VALU_DEP_1)
	v_add_co_ci_u32_e64 v15, null, s57, v7, vcc_lo
	v_cmp_gt_i64_e32 vcc_lo, s[36:37], v[2:3]
	v_mad_co_u64_u32 v[21:22], null, s42, v10, s[14:15]
	v_or_b32_e32 v13, 2, v46
	v_add_nc_u32_e32 v43, 0xc00, v42
	v_mad_co_u64_u32 v[23:24], null, s42, v12, s[14:15]
	s_wait_alu 0xfffd
	v_cndmask_b32_e64 v2, v2, s36, vcc_lo
	v_cndmask_b32_e64 v9, 0, s37, vcc_lo
	s_wait_kmcnt 0x0
	s_and_b32 s50, s5, 0xffff
	s_bfe_u32 s6, s5, 0xb0005
	s_cmp_gt_u32 s50, 31
	v_add_co_u32 v8, vcc_lo, v2, v8
	v_mov_b32_e32 v1, v3
	s_wait_alu 0xfffd
	v_add_co_ci_u32_e64 v9, null, -1, v9, vcc_lo
	s_delay_alu instid0(VALU_DEP_3)
	v_and_b32_e32 v18, -2, v8
	v_mad_co_u64_u32 v[25:26], null, s42, v13, s[14:15]
	s_cselect_b32 s87, -1, 0
	s_movk_i32 s5, 0x3e0
	v_add_co_u32 v20, vcc_lo, v18, v0
	s_wait_alu 0xfffd
	v_add_co_ci_u32_e64 v2, null, 0, v9, vcc_lo
	v_mov_b32_e32 v2, v22
	s_cmp_lt_u32 ttmp9, s4
	v_mov_b32_e32 v19, v9
	v_and_or_b32 v45, v0, s5, 0xc00
	s_cselect_b32 s52, 12, 18
	s_add_co_i32 s5, s6, -1
	v_mad_co_u64_u32 v[10:11], null, s43, v10, v[2:3]
	s_wait_alu 0xfffe
	s_and_b32 s5, s5, 0xffff
	s_bfe_u32 s90, s50, 0x30005
	v_cmp_lt_u64_e64 s4, 1, v[8:9]
	s_wait_alu 0xfffe
	s_cmp_gt_u32 s5, 6
	v_cmp_ne_u64_e64 s5, v[8:9], v[18:19]
	v_dual_mov_b32 v8, v24 :: v_dual_mov_b32 v9, v26
	v_mov_b32_e32 v22, v10
	s_cselect_b32 s91, -1, 0
	s_and_b32 s92, s6, 0x7f8
	s_add_nc_u64 s[6:7], s[10:11], s[54:55]
	v_mad_co_u64_u32 v[11:12], null, s43, v12, v[8:9]
	v_mad_co_u64_u32 v[8:9], null, s43, v13, v[9:10]
	s_add_nc_u64 s[64:65], s[12:13], s[6:7]
	v_add_co_u32 v47, s6, s36, v0
	s_cmp_lg_u32 s90, 0
	v_add_co_ci_u32_e64 v49, null, s37, 0, s6
	s_add_nc_u64 s[6:7], s[12:13], s[54:55]
	s_cselect_b32 s93, -1, 0
	s_lshl_b64 s[66:67], s[42:43], 1
	v_add_co_u32 v27, vcc_lo, s14, v4
	s_wait_alu 0xfffe
	s_add_nc_u64 s[6:7], s[6:7], s[10:11]
	v_mul_lo_u32 v51, 0, s66
	s_wait_alu 0xfffd
	v_add_co_ci_u32_e64 v28, null, s15, v5, vcc_lo
	s_wait_alu 0xfffe
	v_add_co_u32 v12, vcc_lo, s6, v6
	v_cmp_lt_i64_e64 s86, 0x600, s[36:37]
	v_cmp_gt_i64_e64 s0, s[36:37], v[0:1]
	s_mov_b32 s51, s53
	v_dual_mov_b32 v24, v11 :: v_dual_mov_b32 v29, s38
	v_cmp_eq_u32_e64 s1, 0, v41
	v_cmp_gt_u32_e64 s3, 2, v0
	v_dual_mov_b32 v26, v8 :: v_dual_mov_b32 v53, 0
	v_lshl_or_b32 v50, v41, 3, 0xc00
	s_wait_alu 0xfffd
	v_add_co_ci_u32_e64 v13, null, s7, v7, vcc_lo
	v_mov_b32_e32 v30, s39
	v_mov_b32_e32 v48, 0
	;; [unrolled: 1-line block ×3, first 2 shown]
	s_add_nc_u64 s[60:61], s[50:51], -1
	s_mul_u64 s[10:11], s[42:43], s[50:51]
	s_add_nc_u64 s[62:63], s[60:61], s[36:37]
	s_mov_b32 s88, s42
	s_mov_b32 s89, s43
	s_lshl_b64 s[68:69], s[42:43], 3
	s_lshl_b64 s[58:59], s[10:11], 1
	s_lshl_b32 s94, s50, 1
	s_mov_b32 s95, 14
	s_add_nc_u64 s[38:39], s[8:9], s[52:53]
	s_mov_b32 s96, 0
	s_mov_b32 s97, 0
                                        ; implicit-def: $sgpr101
                                        ; implicit-def: $sgpr103
                                        ; implicit-def: $sgpr98
                                        ; implicit-def: $sgpr100
                                        ; implicit-def: $sgpr102
                                        ; implicit-def: $sgpr99
	s_branch .LBB39_32
.LBB39_29:                              ;   in Loop: Header=BB39_32 Depth=1
	s_wait_alu 0xfffe
	s_or_b32 exec_lo, exec_lo, s9
	s_delay_alu instid0(SALU_CYCLE_1)
	s_and_b32 s7, s7, exec_lo
	s_and_not1_b32 s22, s22, exec_lo
	s_and_not1_b32 s21, s21, exec_lo
	s_or_not1_b32 s18, s8, exec_lo
.LBB39_30:                              ;   in Loop: Header=BB39_32 Depth=1
	s_wait_alu 0xfffe
	s_or_b32 exec_lo, exec_lo, s6
	s_delay_alu instid0(SALU_CYCLE_1)
	s_and_not1_b32 s6, s99, exec_lo
	s_and_b32 s7, s7, exec_lo
	s_and_not1_b32 s8, s100, exec_lo
	s_wait_alu 0xfffe
	s_or_b32 s99, s6, s7
	s_and_not1_b32 s6, s102, exec_lo
	s_and_b32 s7, s22, exec_lo
	s_and_b32 s9, s21, exec_lo
	s_wait_alu 0xfffe
	s_or_b32 s102, s6, s7
	s_or_b32 s100, s8, s9
	s_or_not1_b32 s18, s18, exec_lo
.LBB39_31:                              ;   in Loop: Header=BB39_32 Depth=1
	s_wait_alu 0xfffe
	s_or_b32 exec_lo, exec_lo, s17
	s_delay_alu instid0(SALU_CYCLE_1)
	s_and_b32 s6, exec_lo, s18
	v_dual_mov_b32 v30, v9 :: v_dual_mov_b32 v29, v8
	s_wait_alu 0xfffe
	s_or_b32 s96, s6, s96
	s_and_not1_b32 s6, s98, exec_lo
	s_and_b32 s7, s99, exec_lo
	s_and_not1_b32 s8, s103, exec_lo
	s_wait_alu 0xfffe
	s_or_b32 s98, s6, s7
	s_and_b32 s6, s102, exec_lo
	s_and_not1_b32 s7, s101, exec_lo
	s_and_b32 s9, s100, exec_lo
	s_wait_alu 0xfffe
	s_or_b32 s103, s8, s6
	s_or_b32 s101, s7, s9
	s_and_not1_b32 exec_lo, exec_lo, s96
	s_cbranch_execz .LBB39_294
.LBB39_32:                              ; =>This Loop Header: Depth=1
                                        ;     Child Loop BB39_37 Depth 2
                                        ;     Child Loop BB39_51 Depth 2
                                        ;     Child Loop BB39_55 Depth 2
                                        ;     Child Loop BB39_90 Depth 2
                                        ;     Child Loop BB39_94 Depth 2
                                        ;     Child Loop BB39_79 Depth 2
                                        ;     Child Loop BB39_84 Depth 2
                                        ;     Child Loop BB39_72 Depth 2
                                        ;     Child Loop BB39_103 Depth 2
                                        ;     Child Loop BB39_116 Depth 2
                                        ;     Child Loop BB39_130 Depth 2
                                        ;     Child Loop BB39_159 Depth 2
                                        ;     Child Loop BB39_175 Depth 2
                                        ;     Child Loop BB39_205 Depth 2
                                        ;     Child Loop BB39_221 Depth 2
                                        ;     Child Loop BB39_250 Depth 2
                                        ;     Child Loop BB39_266 Depth 2
	ds_load_b128 v[4:7], v3 offset:5120
	s_wait_dscnt 0x0
	v_readfirstlane_b32 s71, v5
	v_readfirstlane_b32 s70, v4
	s_wait_alu 0xf1ff
	s_delay_alu instid0(VALU_DEP_1)
	v_cmp_gt_i64_e64 s6, s[70:71], 0
	s_and_b32 vcc_lo, exec_lo, s6
	s_wait_alu 0xfffe
	s_cbranch_vccnz .LBB39_64
; %bb.33:                               ;   in Loop: Header=BB39_32 Depth=1
	s_and_b32 vcc_lo, exec_lo, s86
	s_wait_alu 0xfffe
	s_cbranch_vccz .LBB39_45
; %bb.34:                               ;   in Loop: Header=BB39_32 Depth=1
	v_cmp_gt_i64_e32 vcc_lo, 0x601, v[6:7]
	s_mov_b32 s8, 0
	s_mov_b32 s6, 0
	s_cbranch_vccz .LBB39_46
; %bb.35:                               ;   in Loop: Header=BB39_32 Depth=1
	global_load_u16 v2, v3, s[38:39]
	global_load_u16 v8, v[14:15], off
	s_mov_b32 s9, 0
	s_wait_loadcnt 0x1
	v_and_b32_e32 v2, 0xffff, v2
	s_delay_alu instid0(VALU_DEP_1) | instskip(SKIP_3) | instid1(VALU_DEP_3)
	v_add_co_u32 v4, s6, v0, v2
	s_wait_alu 0xf1fe
	v_add_co_ci_u32_e64 v5, null, 0, 0, s6
	v_mul_lo_u32 v6, v2, s67
	v_mul_lo_u32 v10, s67, v4
	v_mul_hi_u32 v11, v2, s66
	s_delay_alu instid0(VALU_DEP_4) | instskip(SKIP_2) | instid1(VALU_DEP_2)
	v_mul_lo_u32 v7, s66, v5
	v_mad_co_u64_u32 v[4:5], null, s66, v4, s[64:65]
	v_add_nc_u32_e32 v6, v6, v51
	v_add3_u32 v5, v10, v5, v7
	s_delay_alu instid0(VALU_DEP_2)
	v_dual_mov_b32 v7, v1 :: v_dual_add_nc_u32 v10, v6, v11
	v_mul_lo_u32 v9, v2, s66
	v_mov_b32_e32 v6, v0
	s_branch .LBB39_37
.LBB39_36:                              ;   in Loop: Header=BB39_37 Depth=2
	s_wait_alu 0xfffe
	s_or_b32 exec_lo, exec_lo, s7
	v_add_co_u32 v4, vcc_lo, v4, v9
	s_wait_alu 0xfffd
	v_add_co_ci_u32_e64 v5, null, v5, v10, vcc_lo
	v_mov_b32_e32 v8, v11
	s_and_not1_b32 exec_lo, exec_lo, s9
	s_cbranch_execz .LBB39_98
.LBB39_37:                              ;   Parent Loop BB39_32 Depth=1
                                        ; =>  This Inner Loop Header: Depth=2
	s_delay_alu instid0(VALU_DEP_1)
	v_add_co_u32 v6, vcc_lo, v6, v2
	s_wait_alu 0xfffd
	v_add_co_ci_u32_e64 v7, null, 0, v7, vcc_lo
	s_wait_dscnt 0x0
	v_mov_b32_e32 v31, 0
	v_mov_b32_e32 v11, 0
	s_mov_b32 s7, exec_lo
	v_cmp_le_i64_e32 vcc_lo, s[36:37], v[6:7]
	v_cmpx_gt_i64_e64 s[36:37], v[6:7]
	s_cbranch_execz .LBB39_39
; %bb.38:                               ;   in Loop: Header=BB39_37 Depth=2
	global_load_u16 v11, v[4:5], off
.LBB39_39:                              ;   in Loop: Header=BB39_37 Depth=2
	s_wait_alu 0xfffe
	s_or_b32 exec_lo, exec_lo, s7
	s_wait_loadcnt 0x0
	v_bfe_i32 v32, v8, 0, 16
	s_delay_alu instid0(VALU_DEP_1) | instskip(NEXT) | instid1(VALU_DEP_1)
	v_add_nc_u32_e32 v32, 0x8000, v32
	v_and_b32_e32 v32, v32, v52
	s_delay_alu instid0(VALU_DEP_1)
	v_cmp_eq_u32_e64 s6, v32, v48
	s_cmp_lg_u32 s6, 0
	s_cselect_b32 s7, -1, 0
	s_wait_alu 0xfffe
	s_and_b32 s7, s1, s7
	s_wait_alu 0xfffe
	s_and_saveexec_b32 s10, s7
	s_cbranch_execz .LBB39_43
; %bb.40:                               ;   in Loop: Header=BB39_37 Depth=2
	s_mov_b32 s13, exec_lo
	s_bcnt1_i32_b32 s11, s6
	s_wait_alu 0xfffe
	v_mbcnt_lo_u32_b32 v31, s13, 0
	s_mov_b32 s12, exec_lo
                                        ; implicit-def: $vgpr32
	s_delay_alu instid0(VALU_DEP_1)
	v_cmpx_eq_u32_e32 0, v31
; %bb.41:                               ;   in Loop: Header=BB39_37 Depth=2
	s_bcnt1_i32_b32 s7, s13
	s_wait_alu 0xfffe
	s_mul_i32 s7, s11, s7
	s_wait_alu 0xfffe
	v_mov_b32_e32 v32, s7
	ds_add_rtn_u32 v32, v3, v32 offset:5136
; %bb.42:                               ;   in Loop: Header=BB39_37 Depth=2
	s_or_b32 exec_lo, exec_lo, s12
	s_wait_dscnt 0x0
	v_readfirstlane_b32 s7, v32
	s_wait_alu 0xf1ff
	s_delay_alu instid0(VALU_DEP_1)
	v_mad_u32_u24 v31, s11, v31, s7
.LBB39_43:                              ;   in Loop: Header=BB39_37 Depth=2
	s_wait_alu 0xfffe
	s_or_b32 exec_lo, exec_lo, s10
	ds_bpermute_b32 v31, v3, v31
	s_and_b32 s7, exec_lo, vcc_lo
	s_wait_alu 0xfffe
	s_or_b32 s9, s7, s9
	s_and_saveexec_b32 s7, s6
	s_cbranch_execz .LBB39_36
; %bb.44:                               ;   in Loop: Header=BB39_37 Depth=2
	v_and_b32_e32 v32, s6, v44
	s_delay_alu instid0(VALU_DEP_1) | instskip(NEXT) | instid1(VALU_DEP_1)
	v_bcnt_u32_b32 v32, v32, 0
	v_lshlrev_b32_e32 v32, 1, v32
	s_wait_dscnt 0x0
	s_delay_alu instid0(VALU_DEP_1)
	v_lshl_add_u32 v31, v31, 1, v32
	ds_store_b16 v31, v8
	s_branch .LBB39_36
.LBB39_45:                              ;   in Loop: Header=BB39_32 Depth=1
	s_mov_b32 s8, -1
	s_mov_b32 s6, 0
.LBB39_46:                              ;   in Loop: Header=BB39_32 Depth=1
	s_wait_alu 0xfffe
	s_and_b32 vcc_lo, exec_lo, s8
	s_wait_alu 0xfffe
	s_cbranch_vccz .LBB39_62
.LBB39_47:                              ;   in Loop: Header=BB39_32 Depth=1
	s_and_saveexec_b32 s7, s0
	s_cbranch_execz .LBB39_59
; %bb.48:                               ;   in Loop: Header=BB39_32 Depth=1
	global_load_u16 v4, v3, s[38:39]
	global_load_u16 v31, v[14:15], off
	v_mov_b32_e32 v6, v0
	s_mov_b32 s12, exec_lo
	s_wait_loadcnt 0x1
	v_and_b32_e32 v2, 0xffff, v4
	v_readfirstlane_b32 s6, v4
	s_delay_alu instid0(VALU_DEP_2) | instskip(NEXT) | instid1(VALU_DEP_1)
	v_add_nc_u32_e32 v2, v2, v0
	v_cmpx_gt_i64_e64 s[36:37], v[2:3]
	s_cbranch_execz .LBB39_58
; %bb.49:                               ;   in Loop: Header=BB39_32 Depth=1
	s_and_b32 s52, s6, 0xffff
	v_dual_mov_b32 v9, v1 :: v_dual_mov_b32 v8, v0
	s_wait_alu 0xfffe
	s_cmp_eq_u32 s52, 1
	v_dual_mov_b32 v5, v3 :: v_dual_mov_b32 v4, v2
	s_cselect_b32 s6, -1, 0
                                        ; implicit-def: $vgpr6_vgpr7
	s_wait_alu 0xfffe
	s_and_b32 s9, s4, s6
	s_mov_b32 s6, -1
	s_wait_alu 0xfffe
	s_and_saveexec_b32 s8, s9
	s_cbranch_execz .LBB39_53
; %bb.50:                               ;   in Loop: Header=BB39_32 Depth=1
	v_add_co_u32 v4, s6, v2, 1
	s_wait_alu 0xf1ff
	v_add_co_ci_u32_e64 v5, null, 0, 0, s6
	s_wait_loadcnt 0x0
	v_dual_mov_b32 v8, v18 :: v_dual_lshlrev_b32 v11, 16, v31
	v_dual_mov_b32 v9, v19 :: v_dual_mov_b32 v10, v42
	s_delay_alu instid0(VALU_DEP_3)
	v_mov_b32_e32 v7, v5
	v_dual_mov_b32 v6, v4 :: v_dual_mov_b32 v5, v3
	v_mov_b32_e32 v4, v2
	s_mov_b32 s9, 0
.LBB39_51:                              ;   Parent Loop BB39_32 Depth=1
                                        ; =>  This Inner Loop Header: Depth=2
	s_delay_alu instid0(VALU_DEP_2) | instskip(NEXT) | instid1(VALU_DEP_2)
	v_mul_lo_u32 v35, v5, s88
	v_mul_lo_u32 v36, v4, s89
	v_mad_co_u64_u32 v[31:32], null, v4, s88, 0
	v_mul_lo_u32 v37, v7, s42
	v_mul_lo_u32 v38, v6, s43
	v_mad_co_u64_u32 v[33:34], null, v6, s42, 0
	s_delay_alu instid0(VALU_DEP_4) | instskip(NEXT) | instid1(VALU_DEP_2)
	v_add3_u32 v32, v32, v36, v35
	v_add3_u32 v34, v34, v38, v37
	s_delay_alu instid0(VALU_DEP_2) | instskip(NEXT) | instid1(VALU_DEP_2)
	v_lshlrev_b64_e32 v[31:32], 1, v[31:32]
	v_lshlrev_b64_e32 v[33:34], 1, v[33:34]
	s_delay_alu instid0(VALU_DEP_2) | instskip(SKIP_1) | instid1(VALU_DEP_3)
	v_add_co_u32 v31, vcc_lo, s56, v31
	s_wait_alu 0xfffd
	v_add_co_ci_u32_e64 v32, null, s57, v32, vcc_lo
	s_delay_alu instid0(VALU_DEP_3)
	v_add_co_u32 v33, vcc_lo, s56, v33
	s_wait_alu 0xfffd
	v_add_co_ci_u32_e64 v34, null, s57, v34, vcc_lo
	s_clause 0x1
	global_load_u16 v32, v[31:32], off
	global_load_u16 v31, v[33:34], off
	v_add_co_u32 v8, vcc_lo, v8, -2
	s_wait_alu 0xfffd
	v_add_co_ci_u32_e64 v9, null, -1, v9, vcc_lo
	v_add_co_u32 v6, vcc_lo, v6, 2
	s_wait_alu 0xfffd
	v_add_co_ci_u32_e64 v7, null, 0, v7, vcc_lo
	s_delay_alu instid0(VALU_DEP_3) | instskip(SKIP_4) | instid1(VALU_DEP_3)
	v_cmp_eq_u64_e64 s6, 0, v[8:9]
	v_add_co_u32 v4, vcc_lo, v4, 2
	s_wait_alu 0xfffd
	v_add_co_ci_u32_e64 v5, null, 0, v5, vcc_lo
	s_wait_alu 0xfffe
	s_or_b32 s9, s6, s9
	s_wait_loadcnt 0x1
	v_alignbit_b32 v11, v32, v11, 16
	s_wait_loadcnt 0x0
	v_perm_b32 v32, v31, v32, 0x5040100
	ds_store_b32 v10, v11
	v_dual_mov_b32 v11, v32 :: v_dual_add_nc_u32 v10, 4, v10
	s_wait_alu 0xfffe
	s_and_not1_b32 exec_lo, exec_lo, s9
	s_cbranch_execnz .LBB39_51
; %bb.52:                               ;   in Loop: Header=BB39_32 Depth=1
	s_or_b32 exec_lo, exec_lo, s9
	v_add_co_u32 v4, vcc_lo, v2, v18
	s_wait_alu 0xfffd
	v_add_co_ci_u32_e64 v5, null, 0, v19, vcc_lo
	v_dual_mov_b32 v8, v20 :: v_dual_mov_b32 v9, v21
	s_delay_alu instid0(VALU_DEP_3)
	v_add_co_u32 v6, vcc_lo, v4, -1
	s_or_not1_b32 s6, s5, exec_lo
	s_wait_alu 0xfffd
	v_add_co_ci_u32_e64 v2, null, -1, v5, vcc_lo
.LBB39_53:                              ;   in Loop: Header=BB39_32 Depth=1
	s_wait_alu 0xfffe
	s_or_b32 exec_lo, exec_lo, s8
	s_and_saveexec_b32 s13, s6
	s_cbranch_execz .LBB39_57
; %bb.54:                               ;   in Loop: Header=BB39_32 Depth=1
	v_mad_co_u64_u32 v[10:11], null, s66, v4, s[64:65]
	v_mul_lo_u32 v2, s66, v5
	v_mul_lo_u32 v6, s67, v4
	s_sub_nc_u64 s[8:9], 0, s[52:53]
	s_mul_u64 s[10:11], s[66:67], s[52:53]
	s_mov_b32 s14, 0
	s_delay_alu instid0(VALU_DEP_1)
	v_add3_u32 v11, v6, v11, v2
.LBB39_55:                              ;   Parent Loop BB39_32 Depth=1
                                        ; =>  This Inner Loop Header: Depth=2
	global_load_u16 v2, v[10:11], off
	v_dual_mov_b32 v7, v5 :: v_dual_mov_b32 v6, v4
	v_lshlrev_b32_e32 v8, 1, v8
	s_wait_alu 0xfffe
	v_add_co_u32 v10, vcc_lo, v10, s10
	s_wait_alu 0xfffd
	v_add_co_ci_u32_e64 v11, null, s11, v11, vcc_lo
	v_add_co_u32 v4, s6, v6, s52
	s_wait_alu 0xf1ff
	v_add_co_ci_u32_e64 v5, null, 0, v7, s6
	s_wait_loadcnt 0x1
	ds_store_b16 v8, v31
	v_dual_mov_b32 v9, v7 :: v_dual_mov_b32 v8, v6
	v_cmp_le_i64_e32 vcc_lo, s[36:37], v[4:5]
	v_add_co_u32 v6, s6, s8, v4
	s_wait_alu 0xf1ff
	v_add_co_ci_u32_e64 v7, null, s9, v5, s6
	s_or_b32 s14, vcc_lo, s14
	s_wait_loadcnt 0x0
	v_mov_b32_e32 v31, v2
	s_wait_alu 0xfffe
	s_and_not1_b32 exec_lo, exec_lo, s14
	s_cbranch_execnz .LBB39_55
; %bb.56:                               ;   in Loop: Header=BB39_32 Depth=1
	s_or_b32 exec_lo, exec_lo, s14
	v_mov_b32_e32 v31, v2
.LBB39_57:                              ;   in Loop: Header=BB39_32 Depth=1
	s_wait_alu 0xfffe
	s_or_b32 exec_lo, exec_lo, s13
.LBB39_58:                              ;   in Loop: Header=BB39_32 Depth=1
	s_wait_alu 0xfffe
	s_or_b32 exec_lo, exec_lo, s12
	v_lshlrev_b32_e32 v2, 1, v6
	s_wait_loadcnt 0x0
	ds_store_b16 v2, v31
.LBB39_59:                              ;   in Loop: Header=BB39_32 Depth=1
	s_wait_alu 0xfffe
	s_or_b32 exec_lo, exec_lo, s7
	s_wait_loadcnt_dscnt 0x0
	s_barrier_signal -1
	s_barrier_wait -1
	global_inv scope:SCOPE_SE
	s_and_saveexec_b32 s6, s2
; %bb.60:                               ;   in Loop: Header=BB39_32 Depth=1
	v_dual_mov_b32 v4, s36 :: v_dual_mov_b32 v5, s37
	ds_store_b64 v3, v[4:5] offset:5120
; %bb.61:                               ;   in Loop: Header=BB39_32 Depth=1
	s_wait_alu 0xfffe
	s_or_b32 exec_lo, exec_lo, s6
	s_wait_loadcnt_dscnt 0x0
	s_barrier_signal -1
	s_mov_b32 s6, -1
	s_barrier_wait -1
.LBB39_62:                              ;   in Loop: Header=BB39_32 Depth=1
	s_wait_alu 0xfffe
	s_and_b32 vcc_lo, exec_lo, s6
	s_wait_alu 0xfffe
	s_cbranch_vccz .LBB39_64
; %bb.63:                               ;   in Loop: Header=BB39_32 Depth=1
	s_wait_loadcnt 0x0
	global_inv scope:SCOPE_SE
	ds_load_b64 v[4:5], v3 offset:5120
	s_wait_dscnt 0x0
	v_readfirstlane_b32 s70, v4
.LBB39_64:                              ;   in Loop: Header=BB39_32 Depth=1
	s_delay_alu instid0(VALU_DEP_1)
	s_cmp_lt_i32 s70, 1
	s_mov_b32 s6, -1
                                        ; implicit-def: $vgpr4_vgpr5
                                        ; implicit-def: $vgpr8_vgpr9
	s_cbranch_scc1 .LBB39_74
; %bb.65:                               ;   in Loop: Header=BB39_32 Depth=1
	s_wait_alu 0xfffe
	s_and_b32 vcc_lo, exec_lo, s6
	s_wait_alu 0xfffe
	s_cbranch_vccnz .LBB39_88
.LBB39_66:                              ;   in Loop: Header=BB39_32 Depth=1
	s_lshl_b32 s6, s97, 7
	s_and_saveexec_b32 s7, s1
	s_cbranch_execz .LBB39_68
.LBB39_67:                              ;   in Loop: Header=BB39_32 Depth=1
	s_wait_alu 0xfffe
	v_lshl_add_u32 v2, s6, 3, v45
	ds_store_b128 v2, v[4:7]
	ds_store_b128 v2, v[8:11] offset:16
.LBB39_68:                              ;   in Loop: Header=BB39_32 Depth=1
	s_wait_alu 0xfffe
	s_or_b32 exec_lo, exec_lo, s7
	s_wait_loadcnt_dscnt 0x0
	s_barrier_signal -1
	s_barrier_wait -1
	global_inv scope:SCOPE_SE
	s_and_saveexec_b32 s7, s33
	s_cbranch_execz .LBB39_105
; %bb.69:                               ;   in Loop: Header=BB39_32 Depth=1
	v_mov_b32_e32 v4, 0
	v_mov_b32_e32 v5, 0
	s_and_not1_b32 vcc_lo, exec_lo, s87
	s_wait_alu 0xfffe
	s_cbranch_vccnz .LBB39_104
; %bb.70:                               ;   in Loop: Header=BB39_32 Depth=1
	v_mov_b32_e32 v4, 0
	v_mov_b32_e32 v5, 0
	s_and_not1_b32 vcc_lo, exec_lo, s91
	s_wait_alu 0xfffe
	s_cbranch_vccnz .LBB39_101
; %bb.71:                               ;   in Loop: Header=BB39_32 Depth=1
	v_lshl_add_u32 v2, s97, 10, v50
	s_mov_b32 s8, 0
.LBB39_72:                              ;   Parent Loop BB39_32 Depth=1
                                        ; =>  This Inner Loop Header: Depth=2
	ds_load_2addr_b64 v[6:9], v2 offset1:4
	ds_load_2addr_b64 v[31:34], v2 offset0:8 offset1:12
	ds_load_2addr_b64 v[35:38], v2 offset0:16 offset1:20
	s_wait_alu 0xfffe
	s_add_co_i32 s8, s8, 8
	s_wait_alu 0xfffe
	s_cmp_eq_u32 s92, s8
	s_wait_dscnt 0x2
	v_add_co_u32 v4, vcc_lo, v6, v4
	s_wait_alu 0xfffd
	v_add_co_ci_u32_e64 v5, null, v7, v5, vcc_lo
	s_delay_alu instid0(VALU_DEP_2) | instskip(SKIP_1) | instid1(VALU_DEP_2)
	v_add_co_u32 v8, vcc_lo, v8, v4
	s_wait_alu 0xfffd
	v_add_co_ci_u32_e64 v9, null, v9, v5, vcc_lo
	ds_load_2addr_b64 v[4:7], v2 offset0:24 offset1:28
	s_wait_dscnt 0x2
	v_add_co_u32 v8, vcc_lo, v31, v8
	s_wait_alu 0xfffd
	v_add_co_ci_u32_e64 v9, null, v32, v9, vcc_lo
	v_add_nc_u32_e32 v2, 0x100, v2
	s_delay_alu instid0(VALU_DEP_3) | instskip(SKIP_1) | instid1(VALU_DEP_3)
	v_add_co_u32 v8, vcc_lo, v33, v8
	s_wait_alu 0xfffd
	v_add_co_ci_u32_e64 v9, null, v34, v9, vcc_lo
	s_wait_dscnt 0x1
	s_delay_alu instid0(VALU_DEP_2) | instskip(SKIP_1) | instid1(VALU_DEP_2)
	v_add_co_u32 v8, vcc_lo, v35, v8
	s_wait_alu 0xfffd
	v_add_co_ci_u32_e64 v9, null, v36, v9, vcc_lo
	s_delay_alu instid0(VALU_DEP_2) | instskip(SKIP_1) | instid1(VALU_DEP_2)
	v_add_co_u32 v8, vcc_lo, v37, v8
	s_wait_alu 0xfffd
	v_add_co_ci_u32_e64 v9, null, v38, v9, vcc_lo
	s_wait_dscnt 0x0
	s_delay_alu instid0(VALU_DEP_2) | instskip(SKIP_1) | instid1(VALU_DEP_2)
	v_add_co_u32 v4, vcc_lo, v4, v8
	s_wait_alu 0xfffd
	v_add_co_ci_u32_e64 v5, null, v5, v9, vcc_lo
	s_delay_alu instid0(VALU_DEP_2) | instskip(SKIP_1) | instid1(VALU_DEP_2)
	v_add_co_u32 v4, vcc_lo, v6, v4
	s_wait_alu 0xfffd
	v_add_co_ci_u32_e64 v5, null, v7, v5, vcc_lo
	s_cbranch_scc0 .LBB39_72
; %bb.73:                               ;   in Loop: Header=BB39_32 Depth=1
	s_mov_b32 s8, s92
	s_and_not1_b32 vcc_lo, exec_lo, s93
	s_wait_alu 0xfffe
	s_cbranch_vccz .LBB39_102
	s_branch .LBB39_104
.LBB39_74:                              ;   in Loop: Header=BB39_32 Depth=1
	global_load_u16 v2, v3, s[38:39]
	s_mov_b32 s7, s37
	s_wait_loadcnt 0x0
	v_readfirstlane_b32 s6, v2
	s_wait_alu 0xfffe
	s_and_b32 s8, 0xffff, s6
	s_mov_b32 s6, s53
	s_wait_alu 0xfffe
	s_lshl_b32 s72, s8, 2
	s_cmp_lg_u64 s[6:7], 0
	s_cbranch_scc0 .LBB39_97
; %bb.75:                               ;   in Loop: Header=BB39_32 Depth=1
	s_mov_b32 s73, s53
	s_wait_alu 0xfffe
	s_add_nc_u64 s[6:7], s[72:73], 0
	s_wait_alu 0xfffe
	s_xor_b64 s[6:7], s[6:7], 0
	s_wait_alu 0xfffe
	s_cvt_f32_u32 s8, s6
	s_cvt_f32_u32 s9, s7
	s_sub_nc_u64 s[10:11], 0, s[6:7]
	s_wait_alu 0xfffe
	s_delay_alu instid0(SALU_CYCLE_1) | instskip(SKIP_1) | instid1(SALU_CYCLE_2)
	s_fmamk_f32 s8, s9, 0x4f800000, s8
	s_wait_alu 0xfffe
	v_s_rcp_f32 s8, s8
	s_delay_alu instid0(TRANS32_DEP_1) | instskip(SKIP_1) | instid1(SALU_CYCLE_2)
	s_mul_f32 s8, s8, 0x5f7ffffc
	s_wait_alu 0xfffe
	s_mul_f32 s9, s8, 0x2f800000
	s_wait_alu 0xfffe
	s_delay_alu instid0(SALU_CYCLE_2) | instskip(SKIP_1) | instid1(SALU_CYCLE_2)
	s_trunc_f32 s9, s9
	s_wait_alu 0xfffe
	s_fmamk_f32 s8, s9, 0xcf800000, s8
	s_cvt_u32_f32 s9, s9
	s_wait_alu 0xfffe
	s_delay_alu instid0(SALU_CYCLE_1) | instskip(SKIP_1) | instid1(SALU_CYCLE_2)
	s_cvt_u32_f32 s8, s8
	s_wait_alu 0xfffe
	s_mul_u64 s[12:13], s[10:11], s[8:9]
	s_wait_alu 0xfffe
	s_mul_hi_u32 s15, s8, s13
	s_mul_i32 s14, s8, s13
	s_mul_hi_u32 s52, s8, s12
	s_mul_i32 s17, s9, s12
	s_wait_alu 0xfffe
	s_add_nc_u64 s[14:15], s[52:53], s[14:15]
	s_mul_hi_u32 s16, s9, s12
	s_mul_hi_u32 s18, s9, s13
	s_mul_i32 s12, s9, s13
	s_wait_alu 0xfffe
	s_add_co_u32 s13, s14, s17
	s_add_co_ci_u32 s52, s15, s16
	s_add_co_ci_u32 s13, s18, 0
	s_wait_alu 0xfffe
	s_add_nc_u64 s[12:13], s[52:53], s[12:13]
	s_wait_alu 0xfffe
	s_add_co_u32 s8, s8, s12
	s_cselect_b32 s12, -1, 0
	s_wait_alu 0xfffe
	s_cmp_lg_u32 s12, 0
	s_add_co_ci_u32 s9, s9, s13
	s_wait_alu 0xfffe
	s_mul_u64 s[10:11], s[10:11], s[8:9]
	s_wait_alu 0xfffe
	s_mul_hi_u32 s13, s8, s11
	s_mul_i32 s12, s8, s11
	s_mul_hi_u32 s52, s8, s10
	s_mul_i32 s15, s9, s10
	s_wait_alu 0xfffe
	s_add_nc_u64 s[12:13], s[52:53], s[12:13]
	s_mul_hi_u32 s14, s9, s10
	s_mul_hi_u32 s16, s9, s11
	s_mul_i32 s10, s9, s11
	s_wait_alu 0xfffe
	s_add_co_u32 s11, s12, s15
	s_add_co_ci_u32 s52, s13, s14
	s_add_co_ci_u32 s11, s16, 0
	s_wait_alu 0xfffe
	s_add_nc_u64 s[10:11], s[52:53], s[10:11]
	s_wait_alu 0xfffe
	s_add_co_u32 s14, s8, s10
	s_cselect_b32 s8, -1, 0
	s_wait_alu 0xfffe
	s_cmp_lg_u32 s8, 0
	s_add_co_ci_u32 s15, s9, s11
	s_ashr_i32 s8, s37, 31
	s_wait_alu 0xfffe
	s_mov_b32 s9, s8
	s_wait_alu 0xfffe
	s_add_nc_u64 s[10:11], s[36:37], s[8:9]
	s_wait_alu 0xfffe
	s_xor_b64 s[10:11], s[10:11], s[8:9]
	s_wait_alu 0xfffe
	s_mul_hi_u32 s13, s10, s15
	s_mul_i32 s12, s10, s15
	s_mul_hi_u32 s52, s10, s14
	s_mul_i32 s18, s11, s14
	s_wait_alu 0xfffe
	s_add_nc_u64 s[12:13], s[52:53], s[12:13]
	s_mul_hi_u32 s17, s11, s14
	s_mul_hi_u32 s16, s11, s15
	s_wait_alu 0xfffe
	s_add_co_u32 s12, s12, s18
	s_add_co_ci_u32 s52, s13, s17
	s_mul_i32 s14, s11, s15
	s_add_co_ci_u32 s15, s16, 0
	s_wait_alu 0xfffe
	s_add_nc_u64 s[12:13], s[52:53], s[14:15]
	s_wait_alu 0xfffe
	s_mul_u64 s[12:13], s[6:7], s[12:13]
	s_wait_alu 0xfffe
	s_sub_co_u32 s10, s10, s12
	s_cselect_b32 s12, -1, 0
	s_sub_co_i32 s14, s11, s13
	s_wait_alu 0xfffe
	s_cmp_lg_u32 s12, 0
	s_sub_co_ci_u32 s14, s14, s7
	s_sub_co_u32 s15, s10, s6
	s_cselect_b32 s16, -1, 0
	s_wait_alu 0xfffe
	s_cmp_lg_u32 s16, 0
	s_sub_co_ci_u32 s17, s14, 0
	s_wait_alu 0xfffe
	s_cmp_ge_u32 s17, s7
	s_cselect_b32 s18, -1, 0
	s_cmp_ge_u32 s15, s6
	s_cselect_b32 s19, -1, 0
	s_cmp_eq_u32 s17, s7
	s_cselect_b32 s18, s19, s18
	s_cmp_lg_u32 s16, 0
	s_sub_co_ci_u32 s14, s14, s7
	s_sub_co_u32 s16, s15, s6
	s_cselect_b32 s19, -1, 0
	s_delay_alu instid0(SALU_CYCLE_1)
	s_cmp_lg_u32 s19, 0
	s_wait_alu 0xfffe
	s_sub_co_ci_u32 s14, s14, 0
	s_cmp_lg_u32 s18, 0
	s_cselect_b32 s15, s16, s15
	s_wait_alu 0xfffe
	s_cselect_b32 s14, s14, s17
	s_cmp_lg_u32 s12, 0
	s_sub_co_ci_u32 s11, s11, s13
	s_wait_alu 0xfffe
	s_cmp_ge_u32 s11, s7
	s_cselect_b32 s12, -1, 0
	s_cmp_ge_u32 s10, s6
	s_cselect_b32 s6, -1, 0
	s_cmp_eq_u32 s11, s7
	s_wait_alu 0xfffe
	s_cselect_b32 s6, s6, s12
	s_wait_alu 0xfffe
	s_cmp_lg_u32 s6, 0
	s_cselect_b32 s7, s14, s11
	s_cselect_b32 s6, s15, s10
	s_wait_alu 0xfffe
	s_xor_b64 s[6:7], s[6:7], s[8:9]
	s_wait_alu 0xfffe
	s_sub_nc_u64 s[74:75], s[6:7], s[8:9]
	s_cbranch_execnz .LBB39_77
.LBB39_76:                              ;   in Loop: Header=BB39_32 Depth=1
	s_wait_alu 0xfffe
	v_cvt_f32_u32_e32 v4, s72
	s_sub_co_i32 s7, 0, s72
	s_delay_alu instid0(VALU_DEP_1) | instskip(NEXT) | instid1(TRANS32_DEP_1)
	v_rcp_iflag_f32_e32 v4, v4
	v_mul_f32_e32 v4, 0x4f7ffffe, v4
	s_delay_alu instid0(VALU_DEP_1) | instskip(NEXT) | instid1(VALU_DEP_1)
	v_cvt_u32_f32_e32 v4, v4
	v_readfirstlane_b32 s6, v4
	s_wait_alu 0xfffe
	s_mul_i32 s7, s7, s6
	s_wait_alu 0xfffe
	s_mul_hi_u32 s7, s6, s7
	s_wait_alu 0xfffe
	s_add_co_i32 s6, s6, s7
	s_wait_alu 0xfffe
	s_mul_hi_u32 s6, s36, s6
	s_wait_alu 0xfffe
	s_mul_i32 s6, s6, s72
	s_wait_alu 0xfffe
	s_sub_co_i32 s6, s36, s6
	s_wait_alu 0xfffe
	s_sub_co_i32 s7, s6, s72
	s_cmp_ge_u32 s6, s72
	s_wait_alu 0xfffe
	s_cselect_b32 s6, s7, s6
	s_wait_alu 0xfffe
	s_sub_co_i32 s7, s6, s72
	s_cmp_ge_u32 s6, s72
	s_wait_alu 0xfffe
	s_cselect_b32 s52, s7, s6
	s_wait_alu 0xfffe
	s_mov_b64 s[74:75], s[52:53]
.LBB39_77:                              ;   in Loop: Header=BB39_32 Depth=1
	v_mov_b32_e32 v4, 0
	v_dual_mov_b32 v8, 0 :: v_dual_mov_b32 v5, 0
	v_dual_mov_b32 v6, 0 :: v_dual_mov_b32 v9, 0
	v_dual_mov_b32 v10, 0 :: v_dual_mov_b32 v7, 0
	v_dual_mov_b32 v11, 0 :: v_dual_and_b32 v2, 0xffff, v2
	s_wait_alu 0xfffe
	s_sub_nc_u64 s[76:77], s[36:37], s[74:75]
	s_mov_b32 s71, exec_lo
	s_wait_alu 0xfffe
	v_cmpx_gt_i64_e64 s[76:77], v[16:17]
	s_cbranch_execz .LBB39_81
; %bb.78:                               ;   in Loop: Header=BB39_32 Depth=1
	v_mul_lo_u32 v4, v2, s69
	v_mul_lo_u32 v5, 0, s68
	v_mul_hi_u32 v6, v2, s68
	v_mul_lo_u32 v54, v2, s68
	v_mov_b32_e32 v32, v28
	v_mov_b32_e32 v34, v26
	v_dual_mov_b32 v36, v24 :: v_dual_mov_b32 v33, v25
	v_dual_mov_b32 v31, v27 :: v_dual_add_nc_u32 v4, v4, v5
	v_dual_mov_b32 v38, v22 :: v_dual_mov_b32 v35, v23
	v_dual_mov_b32 v37, v21 :: v_dual_mov_b32 v40, v17
	v_mov_b32_e32 v39, v16
	s_delay_alu instid0(VALU_DEP_4)
	v_add_nc_u32_e32 v55, v4, v6
	s_mov_b64 s[78:79], 0
	s_mov_b32 s73, 0
	s_mov_b64 s[80:81], 0
	s_mov_b64 s[82:83], 0
	;; [unrolled: 1-line block ×3, first 2 shown]
.LBB39_79:                              ;   Parent Loop BB39_32 Depth=1
                                        ; =>  This Inner Loop Header: Depth=2
	v_add_co_u32 v4, vcc_lo, v31, s54
	s_wait_alu 0xfffd
	v_add_co_ci_u32_e64 v5, null, s55, v32, vcc_lo
	v_add_co_u32 v6, vcc_lo, v33, s54
	s_wait_alu 0xfffd
	v_add_co_ci_u32_e64 v7, null, s55, v34, vcc_lo
	;; [unrolled: 3-line block ×4, first 2 shown]
	global_load_i16 v4, v[4:5], off
	global_load_i16 v5, v[6:7], off
	;; [unrolled: 1-line block ×4, first 2 shown]
	v_add_co_u32 v39, vcc_lo, v39, s72
	s_wait_alu 0xfffd
	v_add_co_ci_u32_e64 v40, null, 0, v40, vcc_lo
	v_add_co_u32 v37, vcc_lo, v37, v54
	s_wait_alu 0xfffd
	v_add_co_ci_u32_e64 v38, null, v38, v55, vcc_lo
	;; [unrolled: 3-line block ×5, first 2 shown]
	v_cmp_le_i64_e32 vcc_lo, s[76:77], v[39:40]
	s_wait_loadcnt 0x3
	v_add_nc_u32_e32 v4, 0x8000, v4
	s_wait_loadcnt 0x2
	v_add_nc_u32_e32 v5, 0x8000, v5
	;; [unrolled: 2-line block ×4, first 2 shown]
	v_and_b32_e32 v8, v4, v52
	v_bfe_u32 v4, v4, s95, 2
	v_and_b32_e32 v9, v5, v52
	v_bfe_u32 v5, v5, s95, 2
	;; [unrolled: 2-line block ×3, first 2 shown]
	v_cmp_eq_u32_e64 s6, v8, v48
	v_cmp_eq_u32_e64 s10, 0, v4
	v_and_b32_e32 v11, v7, v52
	v_bfe_u32 v7, v7, s95, 2
	v_cmp_eq_u32_e64 s7, v9, v48
	v_cmp_eq_u32_e64 s11, 0, v5
	;; [unrolled: 1-line block ×4, first 2 shown]
	s_and_b32 s10, s6, s10
	v_cmp_eq_u32_e64 s9, v11, v48
	v_cmp_eq_u32_e64 s13, 0, v7
	;; [unrolled: 1-line block ×5, first 2 shown]
	s_wait_alu 0xfffe
	v_cndmask_b32_e64 v4, 0, 1, s10
	s_and_b32 s10, s7, s11
	v_cmp_eq_u32_e64 s15, 1, v5
	v_cmp_eq_u32_e64 s19, 2, v5
	v_cmp_eq_u32_e64 s23, 3, v5
	s_wait_alu 0xfffe
	v_cndmask_b32_e64 v5, 0, 1, s10
	s_and_b32 s10, s8, s12
	v_cmp_eq_u32_e64 s16, 1, v6
	v_cmp_eq_u32_e64 s20, 2, v6
	v_cmp_eq_u32_e64 s24, 3, v6
	;; [unrolled: 6-line block ×3, first 2 shown]
	s_wait_alu 0xfffe
	v_cndmask_b32_e64 v7, 0, 1, s10
	s_and_b32 s10, s6, s14
	s_wait_alu 0xfffe
	v_cndmask_b32_e64 v8, 0, 1, s10
	s_and_b32 s10, s7, s15
	;; [unrolled: 3-line block ×4, first 2 shown]
	v_cmp_ne_u32_e64 s11, 0, v9
	s_wait_alu 0xfffe
	v_cndmask_b32_e64 v11, 0, 1, s10
	s_and_b32 s10, s6, s18
	s_and_b32 s6, s6, s22
	s_wait_alu 0xfffe
	v_cndmask_b32_e64 v56, 0, 1, s10
	v_cndmask_b32_e64 v60, 0, 1, s6
	s_and_b32 s6, s7, s23
	s_and_b32 s10, s7, s19
	s_wait_alu 0xfffe
	v_cndmask_b32_e64 v61, 0, 1, s6
	s_and_b32 s6, s8, s24
	v_cndmask_b32_e64 v57, 0, 1, s10
	s_and_b32 s10, s8, s20
	s_wait_alu 0xfffe
	v_cndmask_b32_e64 v62, 0, 1, s6
	s_and_b32 s6, s9, s25
	v_cndmask_b32_e64 v58, 0, 1, s10
	s_and_b32 s10, s9, s21
	s_wait_alu 0xfffe
	v_cndmask_b32_e64 v63, 0, 1, s6
	v_cmp_ne_u32_e64 s6, 0, v4
	v_cmp_ne_u32_e64 s7, 0, v5
	v_cndmask_b32_e64 v59, 0, 1, s10
	v_cmp_ne_u32_e64 s8, 0, v6
	v_cmp_ne_u32_e64 s10, 0, v8
	;; [unrolled: 1-line block ×6, first 2 shown]
	s_bcnt1_i32_b32 s6, s6
	s_bcnt1_i32_b32 s7, s7
	v_cmp_ne_u32_e64 s13, 0, v11
	v_cmp_ne_u32_e64 s16, 0, v58
	;; [unrolled: 1-line block ×4, first 2 shown]
	s_bcnt1_i32_b32 s8, s8
	s_bcnt1_i32_b32 s10, s10
	;; [unrolled: 1-line block ×3, first 2 shown]
	s_wait_alu 0xfffe
	s_add_co_i32 s6, s7, s6
	v_cmp_ne_u32_e64 s17, 0, v59
	v_cmp_ne_u32_e64 s20, 0, v62
	s_bcnt1_i32_b32 s9, s9
	s_bcnt1_i32_b32 s12, s12
	;; [unrolled: 1-line block ×4, first 2 shown]
	s_add_co_i32 s7, s11, s10
	s_wait_alu 0xfffe
	s_add_co_i32 s6, s6, s8
	v_cmp_ne_u32_e64 s21, 0, v63
	s_bcnt1_i32_b32 s13, s13
	s_bcnt1_i32_b32 s16, s16
	;; [unrolled: 1-line block ×4, first 2 shown]
	s_add_co_i32 s10, s15, s14
	s_add_co_i32 s7, s7, s12
	s_wait_alu 0xfffe
	s_add_co_i32 s52, s6, s9
	s_bcnt1_i32_b32 s17, s17
	s_bcnt1_i32_b32 s20, s20
	s_add_co_i32 s11, s19, s18
	s_add_co_i32 s8, s10, s16
	s_wait_alu 0xfffe
	s_add_nc_u64 s[84:85], s[84:85], s[52:53]
	s_add_co_i32 s52, s7, s13
	s_bcnt1_i32_b32 s21, s21
	s_add_co_i32 s10, s11, s20
	s_wait_alu 0xfffe
	s_add_nc_u64 s[82:83], s[82:83], s[52:53]
	s_add_co_i32 s52, s8, s17
	v_mov_b32_e32 v4, s84
	s_wait_alu 0xfffe
	s_add_nc_u64 s[80:81], s[80:81], s[52:53]
	s_add_co_i32 s52, s10, s21
	v_mov_b32_e32 v6, s82
	s_wait_alu 0xfffe
	s_add_nc_u64 s[78:79], s[78:79], s[52:53]
	v_mov_b32_e32 v8, s80
	s_wait_alu 0xfffe
	v_dual_mov_b32 v10, s78 :: v_dual_mov_b32 v5, s85
	v_mov_b32_e32 v7, s83
	v_mov_b32_e32 v9, s81
	;; [unrolled: 1-line block ×3, first 2 shown]
	s_or_b32 s73, vcc_lo, s73
	s_wait_alu 0xfffe
	s_and_not1_b32 exec_lo, exec_lo, s73
	s_cbranch_execnz .LBB39_79
; %bb.80:                               ;   in Loop: Header=BB39_32 Depth=1
	s_or_b32 exec_lo, exec_lo, s73
.LBB39_81:                              ;   in Loop: Header=BB39_32 Depth=1
	s_wait_alu 0xfffe
	s_or_b32 exec_lo, exec_lo, s71
	v_add_co_u32 v31, s6, s76, v0
	s_wait_alu 0xf1ff
	v_add_co_ci_u32_e64 v32, null, s77, 0, s6
	s_mov_b32 s10, exec_lo
	v_cmpx_gt_i64_e64 s[36:37], v[31:32]
	s_cbranch_execz .LBB39_87
; %bb.82:                               ;   in Loop: Header=BB39_32 Depth=1
	v_mul_lo_u32 v35, v32, s42
	v_mul_lo_u32 v36, v31, s43
	v_mad_co_u64_u32 v[33:34], null, v31, s42, 0
	v_mul_hi_u32 v39, v2, s66
	s_mov_b32 s11, 0
	s_delay_alu instid0(VALU_DEP_2) | instskip(SKIP_1) | instid1(VALU_DEP_2)
	v_add3_u32 v34, v34, v36, v35
	v_mul_lo_u32 v35, v2, s67
	v_lshlrev_b64_e32 v[33:34], 1, v[33:34]
	s_delay_alu instid0(VALU_DEP_2) | instskip(SKIP_1) | instid1(VALU_DEP_3)
	v_add_nc_u32_e32 v40, v35, v51
	v_mul_lo_u32 v35, v2, s66
	v_add_co_u32 v33, vcc_lo, s56, v33
	s_wait_alu 0xfffd
	s_delay_alu instid0(VALU_DEP_4) | instskip(SKIP_4) | instid1(VALU_DEP_2)
	v_add_co_ci_u32_e64 v34, null, s57, v34, vcc_lo
	global_load_u16 v38, v[33:34], off
	v_add_co_u32 v33, vcc_lo, v47, v2
	s_wait_alu 0xfffd
	v_add_co_ci_u32_e64 v34, null, 0, v49, vcc_lo
	v_sub_co_u32 v33, vcc_lo, v33, s74
	s_wait_alu 0xfffd
	s_delay_alu instid0(VALU_DEP_2) | instskip(NEXT) | instid1(VALU_DEP_2)
	v_subrev_co_ci_u32_e64 v34, null, s75, v34, vcc_lo
	v_mul_lo_u32 v37, s67, v33
	s_delay_alu instid0(VALU_DEP_2) | instskip(SKIP_1) | instid1(VALU_DEP_1)
	v_mul_lo_u32 v36, s66, v34
	v_mad_co_u64_u32 v[33:34], null, s66, v33, s[64:65]
	v_add3_u32 v34, v37, v34, v36
	v_add_nc_u32_e32 v36, v40, v39
	s_branch .LBB39_84
.LBB39_83:                              ;   in Loop: Header=BB39_84 Depth=2
	s_wait_alu 0xfffe
	s_or_b32 exec_lo, exec_lo, s7
	s_wait_loadcnt 0x0
	v_bfe_i32 v38, v38, 0, 16
	s_and_b32 s8, exec_lo, vcc_lo
	s_wait_alu 0xfffe
	s_or_b32 s11, s8, s11
	s_delay_alu instid0(VALU_DEP_1) | instskip(NEXT) | instid1(VALU_DEP_1)
	v_add_nc_u32_e32 v38, 0x8000, v38
	v_and_b32_e32 v39, v38, v52
	v_bfe_u32 v38, v38, s95, 2
	s_delay_alu instid0(VALU_DEP_2) | instskip(NEXT) | instid1(VALU_DEP_2)
	v_cmp_eq_u32_e64 s6, v39, v48
	v_cmp_eq_u32_e64 s7, 0, v38
	v_cmp_eq_u32_e32 vcc_lo, 1, v38
	v_cmp_eq_u32_e64 s8, 2, v38
	s_and_b32 s7, s6, s7
	s_wait_alu 0xfffe
	v_cndmask_b32_e64 v39, 0, 1, s7
	s_and_b32 s7, s6, vcc_lo
	v_cmp_eq_u32_e32 vcc_lo, 3, v38
	s_wait_alu 0xfffe
	v_cndmask_b32_e64 v40, 0, 1, s7
	s_and_b32 s7, s6, s8
	s_wait_alu 0xfffe
	v_cndmask_b32_e64 v54, 0, 1, s7
	v_cmp_ne_u32_e64 s7, 0, v39
	v_cmp_ne_u32_e64 s8, 0, v40
	s_and_b32 s6, s6, vcc_lo
	s_wait_alu 0xfffe
	v_cndmask_b32_e64 v38, 0, 1, s6
	s_bcnt1_i32_b32 s6, s7
	v_cmp_ne_u32_e64 s9, 0, v54
	s_bcnt1_i32_b32 s7, s8
	s_wait_alu 0xfffe
	v_add_co_u32 v4, vcc_lo, v4, s6
	s_wait_alu 0xfffd
	v_add_co_ci_u32_e64 v5, null, 0, v5, vcc_lo
	v_add_co_u32 v6, vcc_lo, v6, s7
	s_wait_alu 0xfffd
	v_add_co_ci_u32_e64 v7, null, 0, v7, vcc_lo
	v_cmp_ne_u32_e32 vcc_lo, 0, v38
	s_bcnt1_i32_b32 s8, s9
	v_mov_b32_e32 v38, v37
	s_wait_alu 0xfffe
	v_add_co_u32 v8, s6, v8, s8
	s_wait_alu 0xf1ff
	v_add_co_ci_u32_e64 v9, null, 0, v9, s6
	s_bcnt1_i32_b32 s6, vcc_lo
	s_wait_alu 0xfffe
	v_add_co_u32 v10, vcc_lo, v10, s6
	s_wait_alu 0xfffd
	v_add_co_ci_u32_e64 v11, null, 0, v11, vcc_lo
	v_add_co_u32 v33, vcc_lo, v33, v35
	s_wait_alu 0xfffd
	v_add_co_ci_u32_e64 v34, null, v34, v36, vcc_lo
	s_and_not1_b32 exec_lo, exec_lo, s11
	s_cbranch_execz .LBB39_86
.LBB39_84:                              ;   Parent Loop BB39_32 Depth=1
                                        ; =>  This Inner Loop Header: Depth=2
	v_add_co_u32 v31, vcc_lo, v31, v2
	s_wait_alu 0xfffd
	v_add_co_ci_u32_e64 v32, null, 0, v32, vcc_lo
	v_mov_b32_e32 v37, 0
	s_mov_b32 s7, exec_lo
	s_delay_alu instid0(VALU_DEP_2)
	v_cmp_le_i64_e32 vcc_lo, s[36:37], v[31:32]
	v_cmpx_gt_i64_e64 s[36:37], v[31:32]
	s_cbranch_execz .LBB39_83
; %bb.85:                               ;   in Loop: Header=BB39_84 Depth=2
	global_load_u16 v37, v[33:34], off
	s_branch .LBB39_83
.LBB39_86:                              ;   in Loop: Header=BB39_32 Depth=1
	s_or_b32 exec_lo, exec_lo, s11
.LBB39_87:                              ;   in Loop: Header=BB39_32 Depth=1
	s_wait_alu 0xfffe
	s_or_b32 exec_lo, exec_lo, s10
	s_branch .LBB39_66
.LBB39_88:                              ;   in Loop: Header=BB39_32 Depth=1
	global_load_u16 v2, v3, s[38:39]
	v_mov_b32_e32 v6, 0
	v_mov_b32_e32 v8, 0
	v_dual_mov_b32 v10, 0 :: v_dual_mov_b32 v9, 0
	v_mov_b32_e32 v11, 0
	s_mov_b32 s82, exec_lo
	v_mov_b32_e32 v7, 0
	s_wait_loadcnt 0x0
	v_readfirstlane_b32 s6, v2
	v_and_b32_e32 v2, 0xffff, v2
	s_and_b32 s71, 0xffff, s6
	s_wait_alu 0xfffe
	s_lshl_b32 s81, s71, 2
	s_wait_alu 0xfffe
	s_cvt_f32_u32 s6, s81
	s_sub_co_i32 s7, 0, s81
	s_wait_alu 0xfffe
	s_delay_alu instid0(SALU_CYCLE_1) | instskip(NEXT) | instid1(TRANS32_DEP_1)
	v_rcp_iflag_f32_e32 v4, s6
	v_readfirstlane_b32 s6, v4
	s_mul_f32 s6, s6, 0x4f7ffffe
	s_wait_alu 0xfffe
	s_delay_alu instid0(SALU_CYCLE_2) | instskip(SKIP_1) | instid1(SALU_CYCLE_2)
	s_cvt_u32_f32 s6, s6
	s_wait_alu 0xfffe
	s_mul_i32 s7, s7, s6
	s_wait_alu 0xfffe
	s_mul_hi_u32 s7, s6, s7
	s_wait_alu 0xfffe
	s_add_co_i32 s6, s6, s7
	s_wait_alu 0xfffe
	s_mul_hi_u32 s6, s70, s6
	s_wait_alu 0xfffe
	s_mul_i32 s7, s6, s81
	s_add_co_i32 s8, s6, 1
	s_wait_alu 0xfffe
	s_sub_co_i32 s7, s70, s7
	s_wait_alu 0xfffe
	s_sub_co_i32 s9, s7, s81
	s_cmp_ge_u32 s7, s81
	s_cselect_b32 s6, s8, s6
	s_wait_alu 0xfffe
	s_cselect_b32 s7, s9, s7
	s_add_co_i32 s8, s6, 1
	s_wait_alu 0xfffe
	s_cmp_ge_u32 s7, s81
	s_cselect_b32 s80, s8, s6
	s_wait_alu 0xfffe
	v_mul_hi_u32 v5, s80, v2
	v_mul_lo_u32 v4, s80, v2
	s_delay_alu instid0(VALU_DEP_1) | instskip(SKIP_2) | instid1(VALU_DEP_3)
	v_lshlrev_b64_e32 v[31:32], 2, v[4:5]
	v_mov_b32_e32 v4, 0
	v_mov_b32_e32 v5, 0
	v_cmpx_gt_u64_e64 v[31:32], v[16:17]
	s_cbranch_execz .LBB39_92
; %bb.89:                               ;   in Loop: Header=BB39_32 Depth=1
	v_dual_mov_b32 v35, v46 :: v_dual_mov_b32 v34, v17
	v_mov_b32_e32 v33, v16
	s_lshl_b32 s83, s71, 3
	s_mov_b64 s[72:73], 0
	s_mov_b32 s84, 0
	s_mov_b64 s[74:75], 0
	s_mov_b64 s[76:77], 0
	;; [unrolled: 1-line block ×3, first 2 shown]
.LBB39_90:                              ;   Parent Loop BB39_32 Depth=1
                                        ; =>  This Inner Loop Header: Depth=2
	ds_load_b64 v[4:5], v35
	v_add_co_u32 v33, vcc_lo, v33, s81
	s_wait_alu 0xfffd
	v_add_co_ci_u32_e64 v34, null, 0, v34, vcc_lo
	s_delay_alu instid0(VALU_DEP_1)
	v_cmp_ge_u64_e32 vcc_lo, v[33:34], v[31:32]
	s_wait_dscnt 0x0
	v_bfe_i32 v6, v4, 0, 16
	v_ashrrev_i32_e32 v4, 16, v4
	v_bfe_i32 v7, v5, 0, 16
	v_ashrrev_i32_e32 v5, 16, v5
	s_delay_alu instid0(VALU_DEP_4) | instskip(NEXT) | instid1(VALU_DEP_4)
	v_add_nc_u32_e32 v6, 0x8000, v6
	v_add_nc_u32_e32 v4, 0x8000, v4
	s_delay_alu instid0(VALU_DEP_4) | instskip(NEXT) | instid1(VALU_DEP_4)
	v_add_nc_u32_e32 v7, 0x8000, v7
	v_add_nc_u32_e32 v5, 0x8000, v5
	s_delay_alu instid0(VALU_DEP_4)
	v_and_b32_e32 v8, v6, v52
	v_bfe_u32 v6, v6, s95, 2
	v_and_b32_e32 v9, v4, v52
	v_bfe_u32 v4, v4, s95, 2
	;; [unrolled: 2-line block ×3, first 2 shown]
	v_cmp_eq_u32_e64 s6, v8, v48
	v_cmp_eq_u32_e64 s10, 0, v6
	v_and_b32_e32 v11, v5, v52
	v_bfe_u32 v5, v5, s95, 2
	v_cmp_eq_u32_e64 s7, v9, v48
	v_cmp_eq_u32_e64 s11, 0, v4
	;; [unrolled: 1-line block ×4, first 2 shown]
	s_and_b32 s10, s6, s10
	v_cmp_eq_u32_e64 s9, v11, v48
	v_cmp_eq_u32_e64 s13, 0, v5
	;; [unrolled: 1-line block ×5, first 2 shown]
	s_wait_alu 0xfffe
	v_cndmask_b32_e64 v4, 0, 1, s10
	s_and_b32 s10, s7, s11
	v_cmp_eq_u32_e64 s14, 1, v6
	v_cmp_eq_u32_e64 s17, 1, v5
	;; [unrolled: 1-line block ×4, first 2 shown]
	s_wait_alu 0xfffe
	v_cndmask_b32_e64 v5, 0, 1, s10
	s_and_b32 s10, s8, s12
	v_cmp_eq_u32_e64 s18, 2, v6
	v_cmp_eq_u32_e64 s22, 3, v6
	s_wait_alu 0xfffe
	v_cndmask_b32_e64 v6, 0, 1, s10
	s_and_b32 s10, s9, s13
	v_cmp_eq_u32_e64 s16, 1, v7
	v_cmp_eq_u32_e64 s20, 2, v7
	;; [unrolled: 1-line block ×3, first 2 shown]
	s_wait_alu 0xfffe
	v_cndmask_b32_e64 v7, 0, 1, s10
	s_and_b32 s10, s6, s14
	s_wait_alu 0xfffe
	v_cndmask_b32_e64 v8, 0, 1, s10
	s_and_b32 s10, s7, s15
	;; [unrolled: 3-line block ×4, first 2 shown]
	v_cmp_ne_u32_e64 s11, 0, v9
	s_wait_alu 0xfffe
	v_cndmask_b32_e64 v11, 0, 1, s10
	s_and_b32 s10, s6, s18
	s_and_b32 s6, s6, s22
	s_wait_alu 0xfffe
	v_cndmask_b32_e64 v36, 0, 1, s10
	v_cndmask_b32_e64 v40, 0, 1, s6
	s_and_b32 s6, s7, s23
	s_and_b32 s10, s7, s19
	s_wait_alu 0xfffe
	v_cndmask_b32_e64 v54, 0, 1, s6
	s_and_b32 s6, s8, s24
	v_cndmask_b32_e64 v37, 0, 1, s10
	s_and_b32 s10, s8, s20
	s_wait_alu 0xfffe
	v_cndmask_b32_e64 v55, 0, 1, s6
	s_and_b32 s6, s9, s25
	v_cndmask_b32_e64 v38, 0, 1, s10
	s_and_b32 s10, s9, s21
	s_wait_alu 0xfffe
	v_cndmask_b32_e64 v56, 0, 1, s6
	v_cmp_ne_u32_e64 s6, 0, v4
	v_cmp_ne_u32_e64 s7, 0, v5
	v_cndmask_b32_e64 v39, 0, 1, s10
	v_cmp_ne_u32_e64 s8, 0, v6
	v_cmp_ne_u32_e64 s10, 0, v8
	;; [unrolled: 1-line block ×6, first 2 shown]
	s_bcnt1_i32_b32 s6, s6
	s_bcnt1_i32_b32 s7, s7
	v_cmp_ne_u32_e64 s13, 0, v11
	v_cmp_ne_u32_e64 s16, 0, v38
	;; [unrolled: 1-line block ×4, first 2 shown]
	s_bcnt1_i32_b32 s8, s8
	s_bcnt1_i32_b32 s10, s10
	;; [unrolled: 1-line block ×3, first 2 shown]
	s_wait_alu 0xfffe
	s_add_co_i32 s6, s7, s6
	v_cmp_ne_u32_e64 s17, 0, v39
	v_cmp_ne_u32_e64 s20, 0, v55
	s_bcnt1_i32_b32 s9, s9
	s_bcnt1_i32_b32 s12, s12
	;; [unrolled: 1-line block ×4, first 2 shown]
	s_add_co_i32 s7, s11, s10
	s_wait_alu 0xfffe
	s_add_co_i32 s6, s6, s8
	v_cmp_ne_u32_e64 s21, 0, v56
	s_bcnt1_i32_b32 s13, s13
	s_bcnt1_i32_b32 s16, s16
	;; [unrolled: 1-line block ×4, first 2 shown]
	s_add_co_i32 s10, s15, s14
	s_add_co_i32 s7, s7, s12
	s_wait_alu 0xfffe
	s_add_co_i32 s52, s6, s9
	s_bcnt1_i32_b32 s17, s17
	s_bcnt1_i32_b32 s20, s20
	s_add_co_i32 s11, s19, s18
	s_add_co_i32 s8, s10, s16
	s_wait_alu 0xfffe
	s_add_nc_u64 s[78:79], s[78:79], s[52:53]
	s_add_co_i32 s52, s7, s13
	s_bcnt1_i32_b32 s21, s21
	s_add_co_i32 s10, s11, s20
	s_wait_alu 0xfffe
	s_add_nc_u64 s[76:77], s[76:77], s[52:53]
	s_add_co_i32 s52, s8, s17
	v_dual_mov_b32 v4, s78 :: v_dual_add_nc_u32 v35, s83, v35
	s_wait_alu 0xfffe
	s_add_nc_u64 s[74:75], s[74:75], s[52:53]
	s_add_co_i32 s52, s10, s21
	v_mov_b32_e32 v6, s76
	s_wait_alu 0xfffe
	s_add_nc_u64 s[72:73], s[72:73], s[52:53]
	v_mov_b32_e32 v8, s74
	s_wait_alu 0xfffe
	v_dual_mov_b32 v10, s72 :: v_dual_mov_b32 v5, s79
	v_mov_b32_e32 v7, s77
	v_mov_b32_e32 v9, s75
	;; [unrolled: 1-line block ×3, first 2 shown]
	s_or_b32 s84, vcc_lo, s84
	s_wait_alu 0xfffe
	s_and_not1_b32 exec_lo, exec_lo, s84
	s_cbranch_execnz .LBB39_90
; %bb.91:                               ;   in Loop: Header=BB39_32 Depth=1
	s_or_b32 exec_lo, exec_lo, s84
.LBB39_92:                              ;   in Loop: Header=BB39_32 Depth=1
	s_delay_alu instid0(SALU_CYCLE_1)
	s_or_b32 exec_lo, exec_lo, s82
	v_add_co_u32 v31, vcc_lo, v31, v0
	s_wait_alu 0xfffd
	v_add_co_ci_u32_e64 v32, null, 0, v32, vcc_lo
	s_and_b32 s52, s70, 0x7fffffff
	s_mov_b32 s11, exec_lo
	s_wait_alu 0xfffe
	v_cmpx_gt_u64_e64 s[52:53], v[31:32]
	s_cbranch_execz .LBB39_96
; %bb.93:                               ;   in Loop: Header=BB39_32 Depth=1
	s_mul_i32 s80, s80, s71
	s_lshl_b32 s13, s71, 1
	s_wait_alu 0xfffe
	v_lshl_add_u32 v33, s80, 3, v42
	s_mov_b32 s12, 0
.LBB39_94:                              ;   Parent Loop BB39_32 Depth=1
                                        ; =>  This Inner Loop Header: Depth=2
	ds_load_i16 v34, v33
	v_add_co_u32 v31, vcc_lo, v31, v2
	s_wait_alu 0xfffd
	v_add_co_ci_u32_e64 v32, null, 0, v32, vcc_lo
	v_add_nc_u32_e32 v33, s13, v33
	s_delay_alu instid0(VALU_DEP_2) | instskip(SKIP_2) | instid1(VALU_DEP_1)
	v_cmp_le_u64_e32 vcc_lo, s[52:53], v[31:32]
	s_wait_dscnt 0x0
	v_add_nc_u32_e32 v34, 0x8000, v34
	v_and_b32_e32 v35, v34, v52
	v_bfe_u32 v34, v34, s95, 2
	s_delay_alu instid0(VALU_DEP_2) | instskip(NEXT) | instid1(VALU_DEP_2)
	v_cmp_eq_u32_e64 s6, v35, v48
	v_cmp_eq_u32_e64 s7, 0, v34
	;; [unrolled: 1-line block ×5, first 2 shown]
	s_and_b32 s7, s6, s7
	s_wait_alu 0xfffe
	v_cndmask_b32_e64 v34, 0, 1, s7
	s_and_b32 s7, s6, s8
	s_wait_alu 0xfffe
	v_cndmask_b32_e64 v35, 0, 1, s7
	s_and_b32 s7, s6, s9
	s_and_b32 s6, s6, s10
	s_wait_alu 0xfffe
	v_cndmask_b32_e64 v36, 0, 1, s7
	v_cndmask_b32_e64 v37, 0, 1, s6
	v_cmp_ne_u32_e64 s6, 0, v34
	v_cmp_ne_u32_e64 s7, 0, v35
	s_delay_alu instid0(VALU_DEP_4) | instskip(NEXT) | instid1(VALU_DEP_4)
	v_cmp_ne_u32_e64 s8, 0, v36
	v_cmp_ne_u32_e64 s9, 0, v37
	s_bcnt1_i32_b32 s6, s6
	s_bcnt1_i32_b32 s7, s7
	s_wait_alu 0xfffe
	v_add_co_u32 v4, s6, v4, s6
	s_bcnt1_i32_b32 s8, s8
	v_add_co_ci_u32_e64 v5, null, 0, v5, s6
	v_add_co_u32 v6, s6, v6, s7
	s_bcnt1_i32_b32 s9, s9
	v_add_co_ci_u32_e64 v7, null, 0, v7, s6
	s_wait_alu 0xfffe
	v_add_co_u32 v8, s6, v8, s8
	s_wait_alu 0xf1ff
	v_add_co_ci_u32_e64 v9, null, 0, v9, s6
	v_add_co_u32 v10, s6, v10, s9
	s_wait_alu 0xf1ff
	v_add_co_ci_u32_e64 v11, null, 0, v11, s6
	s_or_b32 s12, vcc_lo, s12
	s_wait_alu 0xfffe
	s_and_not1_b32 exec_lo, exec_lo, s12
	s_cbranch_execnz .LBB39_94
; %bb.95:                               ;   in Loop: Header=BB39_32 Depth=1
	s_or_b32 exec_lo, exec_lo, s12
.LBB39_96:                              ;   in Loop: Header=BB39_32 Depth=1
	s_delay_alu instid0(SALU_CYCLE_1)
	s_or_b32 exec_lo, exec_lo, s11
	s_lshl_b32 s6, s97, 7
	s_and_saveexec_b32 s7, s1
	s_cbranch_execnz .LBB39_67
	s_branch .LBB39_68
.LBB39_97:                              ;   in Loop: Header=BB39_32 Depth=1
                                        ; implicit-def: $sgpr74_sgpr75
	s_branch .LBB39_76
.LBB39_98:                              ;   in Loop: Header=BB39_32 Depth=1
	s_or_b32 exec_lo, exec_lo, s9
	s_wait_dscnt 0x0
	s_barrier_signal -1
	s_barrier_wait -1
	global_inv scope:SCOPE_SE
	s_and_saveexec_b32 s6, s2
	s_cbranch_execz .LBB39_100
; %bb.99:                               ;   in Loop: Header=BB39_32 Depth=1
	ds_load_b32 v4, v3 offset:5136
	s_wait_dscnt 0x0
	v_ashrrev_i32_e32 v5, 31, v4
	ds_store_b64 v3, v[4:5] offset:5120
.LBB39_100:                             ;   in Loop: Header=BB39_32 Depth=1
	s_wait_alu 0xfffe
	s_or_b32 exec_lo, exec_lo, s6
	s_wait_loadcnt_dscnt 0x0
	s_barrier_signal -1
	s_mov_b32 s6, -1
	s_barrier_wait -1
	s_and_b32 vcc_lo, exec_lo, s8
	s_wait_alu 0xfffe
	s_cbranch_vccnz .LBB39_47
	s_branch .LBB39_62
.LBB39_101:                             ;   in Loop: Header=BB39_32 Depth=1
	s_mov_b32 s8, 0
	s_and_not1_b32 vcc_lo, exec_lo, s93
	s_wait_alu 0xfffe
	s_cbranch_vccnz .LBB39_104
.LBB39_102:                             ;   in Loop: Header=BB39_32 Depth=1
	s_lshl_b32 s9, s97, 10
	s_lshl_b32 s8, s8, 5
	s_wait_alu 0xfffe
	v_add3_u32 v2, s9, s8, v50
	s_mov_b32 s8, s90
.LBB39_103:                             ;   Parent Loop BB39_32 Depth=1
                                        ; =>  This Inner Loop Header: Depth=2
	ds_load_b64 v[6:7], v2
	v_add_nc_u32_e32 v2, 32, v2
	s_wait_alu 0xfffe
	s_add_co_i32 s8, s8, -1
	s_wait_alu 0xfffe
	s_cmp_lg_u32 s8, 0
	s_wait_dscnt 0x0
	v_add_co_u32 v4, vcc_lo, v6, v4
	s_wait_alu 0xfffd
	v_add_co_ci_u32_e64 v5, null, v7, v5, vcc_lo
	s_cbranch_scc1 .LBB39_103
.LBB39_104:                             ;   in Loop: Header=BB39_32 Depth=1
	v_add_lshl_u32 v2, s6, v41, 3
	ds_store_b64 v2, v[4:5] offset:3072
.LBB39_105:                             ;   in Loop: Header=BB39_32 Depth=1
	s_wait_alu 0xfffe
	s_or_b32 exec_lo, exec_lo, s7
	s_lshl_b32 s6, s6, 3
	s_wait_loadcnt_dscnt 0x0
	s_wait_alu 0xfffe
	v_mov_b32_e32 v2, s6
	s_barrier_signal -1
	s_barrier_wait -1
	global_inv scope:SCOPE_SE
	v_cmp_eq_u64_e32 vcc_lo, 1, v[29:30]
	ds_load_b128 v[4:7], v2 offset:3072
	ds_load_b128 v[8:11], v2 offset:3088
	s_lshl_b32 s16, 3, s95
	s_mov_b32 s18, -1
	s_wait_alu 0xfffe
	s_not_b32 s20, s16
                                        ; implicit-def: $sgpr22
                                        ; implicit-def: $sgpr21
	s_wait_dscnt 0x1
	v_cmp_eq_u64_e64 s6, 1, v[4:5]
	s_wait_dscnt 0x0
	v_readfirstlane_b32 s10, v8
	v_readfirstlane_b32 s11, v9
	;; [unrolled: 1-line block ×4, first 2 shown]
	s_and_b32 s19, s6, vcc_lo
	s_mov_b32 s6, -1
	s_and_saveexec_b32 s17, s19
	s_cbranch_execz .LBB39_137
; %bb.106:                              ;   in Loop: Header=BB39_32 Depth=1
	ds_load_b64 v[8:9], v3 offset:5120
	s_wait_loadcnt_dscnt 0x0
	s_barrier_signal -1
	s_barrier_wait -1
	global_inv scope:SCOPE_SE
	v_readfirstlane_b32 s12, v8
	v_readfirstlane_b32 s13, v9
	s_and_saveexec_b32 s6, s3
; %bb.107:                              ;   in Loop: Header=BB39_32 Depth=1
	ds_store_b16 v43, v3
; %bb.108:                              ;   in Loop: Header=BB39_32 Depth=1
	s_wait_alu 0xfffe
	s_or_b32 exec_lo, exec_lo, s6
	v_cmp_lt_i64_e64 s6, s[12:13], 1
	v_and_b32_e32 v48, s20, v48
	v_or_b32_e32 v52, s16, v52
	s_mov_b32 s21, -1
	s_mov_b32 s22, 0
	s_mov_b32 s23, 0
	s_and_b32 vcc_lo, exec_lo, s6
	s_mov_b32 s7, -1
	s_wait_loadcnt_dscnt 0x0
	s_barrier_signal -1
	s_barrier_wait -1
	global_inv scope:SCOPE_SE
                                        ; implicit-def: $vgpr53
	s_wait_alu 0xfffe
	s_cbranch_vccz .LBB39_122
; %bb.109:                              ;   in Loop: Header=BB39_32 Depth=1
	s_mov_b32 s6, s53
	s_mov_b32 s7, s63
	s_wait_alu 0xfffe
	s_cmp_lg_u64 s[6:7], 0
	s_cbranch_scc0 .LBB39_163
; %bb.110:                              ;   in Loop: Header=BB39_32 Depth=1
	s_add_nc_u64 s[6:7], s[50:51], 0
	s_wait_alu 0xfffe
	s_xor_b64 s[6:7], s[6:7], 0
	s_wait_alu 0xfffe
	s_cvt_f32_u32 s14, s6
	s_cvt_f32_u32 s15, s7
	s_sub_nc_u64 s[24:25], 0, s[6:7]
	s_wait_alu 0xfffe
	s_delay_alu instid0(SALU_CYCLE_1) | instskip(SKIP_1) | instid1(SALU_CYCLE_2)
	s_fmamk_f32 s14, s15, 0x4f800000, s14
	s_wait_alu 0xfffe
	v_s_rcp_f32 s14, s14
	s_delay_alu instid0(TRANS32_DEP_1) | instskip(SKIP_1) | instid1(SALU_CYCLE_2)
	s_mul_f32 s14, s14, 0x5f7ffffc
	s_wait_alu 0xfffe
	s_mul_f32 s15, s14, 0x2f800000
	s_wait_alu 0xfffe
	s_delay_alu instid0(SALU_CYCLE_2) | instskip(SKIP_1) | instid1(SALU_CYCLE_2)
	s_trunc_f32 s15, s15
	s_wait_alu 0xfffe
	s_fmamk_f32 s14, s15, 0xcf800000, s14
	s_cvt_u32_f32 s15, s15
	s_wait_alu 0xfffe
	s_delay_alu instid0(SALU_CYCLE_1) | instskip(SKIP_1) | instid1(SALU_CYCLE_2)
	s_cvt_u32_f32 s14, s14
	s_wait_alu 0xfffe
	s_mul_u64 s[70:71], s[24:25], s[14:15]
	s_wait_alu 0xfffe
	s_mul_hi_u32 s73, s14, s71
	s_mul_i32 s72, s14, s71
	s_mul_hi_u32 s52, s14, s70
	s_mul_i32 s74, s15, s70
	s_wait_alu 0xfffe
	s_add_nc_u64 s[72:73], s[52:53], s[72:73]
	s_mul_hi_u32 s23, s15, s70
	s_mul_hi_u32 s75, s15, s71
	s_wait_alu 0xfffe
	s_add_co_u32 s52, s72, s74
	s_add_co_ci_u32 s52, s73, s23
	s_mul_i32 s70, s15, s71
	s_add_co_ci_u32 s71, s75, 0
	s_wait_alu 0xfffe
	s_add_nc_u64 s[70:71], s[52:53], s[70:71]
	s_wait_alu 0xfffe
	s_add_co_u32 s14, s14, s70
	s_cselect_b32 s23, -1, 0
	s_delay_alu instid0(SALU_CYCLE_1)
	s_cmp_lg_u32 s23, 0
	s_add_co_ci_u32 s15, s15, s71
	s_wait_alu 0xfffe
	s_mul_u64 s[24:25], s[24:25], s[14:15]
	s_wait_alu 0xfffe
	s_mul_hi_u32 s71, s14, s25
	s_mul_i32 s70, s14, s25
	s_mul_hi_u32 s52, s14, s24
	s_mul_i32 s72, s15, s24
	s_wait_alu 0xfffe
	s_add_nc_u64 s[70:71], s[52:53], s[70:71]
	s_mul_hi_u32 s23, s15, s24
	s_mul_hi_u32 s73, s15, s25
	s_mul_i32 s24, s15, s25
	s_wait_alu 0xfffe
	s_add_co_u32 s25, s70, s72
	s_add_co_ci_u32 s52, s71, s23
	s_add_co_ci_u32 s25, s73, 0
	s_wait_alu 0xfffe
	s_add_nc_u64 s[24:25], s[52:53], s[24:25]
	s_wait_alu 0xfffe
	s_add_co_u32 s23, s14, s24
	s_cselect_b32 s14, -1, 0
	s_wait_alu 0xfffe
	s_cmp_lg_u32 s14, 0
	s_add_co_ci_u32 s72, s15, s25
	s_ashr_i32 s14, s63, 31
	s_wait_alu 0xfffe
	s_mov_b32 s15, s14
	s_wait_alu 0xfffe
	s_add_nc_u64 s[24:25], s[62:63], s[14:15]
	s_wait_alu 0xfffe
	s_xor_b64 s[24:25], s[24:25], s[14:15]
	s_wait_alu 0xfffe
	s_mul_hi_u32 s71, s24, s72
	s_mul_i32 s70, s24, s72
	s_mul_hi_u32 s52, s24, s23
	s_mul_hi_u32 s74, s25, s23
	s_mul_i32 s23, s25, s23
	s_wait_alu 0xfffe
	s_add_nc_u64 s[70:71], s[52:53], s[70:71]
	s_mul_hi_u32 s73, s25, s72
	s_wait_alu 0xfffe
	s_add_co_u32 s23, s70, s23
	s_add_co_ci_u32 s52, s71, s74
	s_mul_i32 s72, s25, s72
	s_add_co_ci_u32 s73, s73, 0
	s_wait_alu 0xfffe
	s_add_nc_u64 s[70:71], s[52:53], s[72:73]
	s_wait_alu 0xfffe
	s_mul_u64 s[70:71], s[6:7], s[70:71]
	s_wait_alu 0xfffe
	s_sub_co_u32 s23, s24, s70
	s_cselect_b32 s24, -1, 0
	s_sub_co_i32 s52, s25, s71
	s_wait_alu 0xfffe
	s_cmp_lg_u32 s24, 0
	s_sub_co_ci_u32 s52, s52, s7
	s_sub_co_u32 s70, s23, s6
	s_cselect_b32 s72, -1, 0
	s_wait_alu 0xfffe
	s_cmp_lg_u32 s72, 0
	s_sub_co_ci_u32 s73, s52, 0
	s_wait_alu 0xfffe
	s_cmp_ge_u32 s73, s7
	s_cselect_b32 s74, -1, 0
	s_cmp_ge_u32 s70, s6
	s_cselect_b32 s75, -1, 0
	s_cmp_eq_u32 s73, s7
	s_wait_alu 0xfffe
	s_cselect_b32 s74, s75, s74
	s_cmp_lg_u32 s72, 0
	s_sub_co_ci_u32 s52, s52, s7
	s_sub_co_u32 s72, s70, s6
	s_cselect_b32 s75, -1, 0
	s_wait_alu 0xfffe
	s_cmp_lg_u32 s75, 0
	s_sub_co_ci_u32 s52, s52, 0
	s_cmp_lg_u32 s74, 0
	s_cselect_b32 s70, s72, s70
	s_wait_alu 0xfffe
	s_cselect_b32 s52, s52, s73
	s_cmp_lg_u32 s24, 0
	s_sub_co_ci_u32 s24, s25, s71
	s_wait_alu 0xfffe
	s_cmp_ge_u32 s24, s7
	s_cselect_b32 s25, -1, 0
	s_cmp_ge_u32 s23, s6
	s_cselect_b32 s6, -1, 0
	s_cmp_eq_u32 s24, s7
	s_wait_alu 0xfffe
	s_cselect_b32 s6, s6, s25
	s_wait_alu 0xfffe
	s_cmp_lg_u32 s6, 0
	s_cselect_b32 s7, s52, s24
	s_cselect_b32 s6, s70, s23
	s_wait_alu 0xfffe
	s_xor_b64 s[6:7], s[6:7], s[14:15]
	s_wait_alu 0xfffe
	s_sub_nc_u64 s[6:7], s[6:7], s[14:15]
	s_cbranch_execnz .LBB39_112
.LBB39_111:                             ;   in Loop: Header=BB39_32 Depth=1
	v_cvt_f32_u32_e32 v2, s50
	s_sub_co_i32 s7, 0, s50
	s_delay_alu instid0(VALU_DEP_1) | instskip(NEXT) | instid1(TRANS32_DEP_1)
	v_rcp_iflag_f32_e32 v2, v2
	v_mul_f32_e32 v2, 0x4f7ffffe, v2
	s_delay_alu instid0(VALU_DEP_1) | instskip(NEXT) | instid1(VALU_DEP_1)
	v_cvt_u32_f32_e32 v2, v2
	v_readfirstlane_b32 s6, v2
	s_wait_alu 0xfffe
	s_mul_i32 s7, s7, s6
	s_wait_alu 0xfffe
	s_mul_hi_u32 s7, s6, s7
	s_wait_alu 0xfffe
	s_add_co_i32 s6, s6, s7
	s_wait_alu 0xfffe
	s_mul_hi_u32 s6, s62, s6
	s_wait_alu 0xfffe
	s_mul_i32 s6, s6, s50
	s_wait_alu 0xfffe
	s_sub_co_i32 s6, s62, s6
	s_wait_alu 0xfffe
	s_sub_co_i32 s7, s6, s50
	s_cmp_ge_u32 s6, s50
	s_wait_alu 0xfffe
	s_cselect_b32 s6, s7, s6
	s_wait_alu 0xfffe
	s_sub_co_i32 s7, s6, s50
	s_cmp_ge_u32 s6, s50
	s_wait_alu 0xfffe
	s_cselect_b32 s52, s7, s6
	s_wait_alu 0xfffe
	s_mov_b64 s[6:7], s[52:53]
.LBB39_112:                             ;   in Loop: Header=BB39_32 Depth=1
	s_wait_alu 0xfffe
	s_sub_nc_u64 s[14:15], s[62:63], s[6:7]
	s_mov_b32 s7, 0
	s_mov_b32 s23, 0
	s_mov_b32 s24, exec_lo
                                        ; implicit-def: $vgpr53
	s_wait_alu 0xfffe
	v_cmpx_gt_i64_e64 s[14:15], v[0:1]
	s_cbranch_execz .LBB39_121
; %bb.113:                              ;   in Loop: Header=BB39_32 Depth=1
	v_dual_mov_b32 v8, v12 :: v_dual_mov_b32 v9, v13
	v_dual_mov_b32 v11, v1 :: v_dual_mov_b32 v10, v0
                                        ; implicit-def: $sgpr25
	s_branch .LBB39_116
.LBB39_114:                             ;   in Loop: Header=BB39_116 Depth=2
	s_wait_alu 0xfffe
	s_or_b32 exec_lo, exec_lo, s6
	s_wait_loadcnt_dscnt 0x0
	s_barrier_signal -1
	s_barrier_wait -1
	global_inv scope:SCOPE_SE
	ds_load_b32 v2, v3 offset:3072
	s_mov_b32 s6, -1
	s_mov_b32 s52, -1
	s_wait_loadcnt_dscnt 0x0
	s_barrier_signal -1
	s_barrier_wait -1
	global_inv scope:SCOPE_SE
	v_and_b32_e32 v31, 0xffff, v2
	s_delay_alu instid0(VALU_DEP_1)
	v_cmp_ne_u32_e32 vcc_lo, 0, v31
	s_cbranch_vccz .LBB39_119
.LBB39_115:                             ;   in Loop: Header=BB39_116 Depth=2
	s_wait_alu 0xfffe
	s_and_b32 s6, exec_lo, s6
	s_wait_alu 0xfffe
	s_or_b32 s23, s6, s23
	s_and_not1_b32 s6, s25, exec_lo
	s_and_b32 s25, s52, exec_lo
	s_wait_alu 0xfffe
	s_or_b32 s25, s6, s25
	s_and_not1_b32 exec_lo, exec_lo, s23
	s_cbranch_execz .LBB39_120
.LBB39_116:                             ;   Parent Loop BB39_32 Depth=1
                                        ; =>  This Inner Loop Header: Depth=2
	s_mov_b32 s6, exec_lo
	s_delay_alu instid0(VALU_DEP_1)
	v_cmpx_gt_i64_e64 s[36:37], v[10:11]
	s_cbranch_execz .LBB39_114
; %bb.117:                              ;   in Loop: Header=BB39_116 Depth=2
	global_load_u16 v2, v[8:9], off
	s_wait_loadcnt 0x0
	v_bfe_i32 v31, v2, 0, 16
	s_delay_alu instid0(VALU_DEP_1) | instskip(NEXT) | instid1(VALU_DEP_1)
	v_add_nc_u32_e32 v31, 0x8000, v31
	v_and_b32_e32 v31, v31, v52
	s_delay_alu instid0(VALU_DEP_1)
	v_cmp_eq_u32_e32 vcc_lo, v31, v48
	s_and_b32 exec_lo, exec_lo, vcc_lo
	s_cbranch_execz .LBB39_114
; %bb.118:                              ;   in Loop: Header=BB39_116 Depth=2
	v_perm_b32 v2, v2, 1, 0x5040100
	ds_store_b32 v3, v2 offset:3072
	s_branch .LBB39_114
.LBB39_119:                             ;   in Loop: Header=BB39_116 Depth=2
	v_add_co_u32 v10, vcc_lo, v10, s50
	s_wait_alu 0xfffd
	v_add_co_ci_u32_e64 v11, null, 0, v11, vcc_lo
	v_add_co_u32 v8, s6, v8, s58
	s_wait_alu 0xf1fe
	v_add_co_ci_u32_e64 v9, null, s59, v9, s6
	s_delay_alu instid0(VALU_DEP_3)
	v_cmp_le_i64_e32 vcc_lo, s[14:15], v[10:11]
	s_mov_b32 s52, 0
	s_or_not1_b32 s6, vcc_lo, exec_lo
	s_branch .LBB39_115
.LBB39_120:                             ;   in Loop: Header=BB39_32 Depth=1
	s_or_b32 exec_lo, exec_lo, s23
	v_lshrrev_b32_e32 v53, 16, v2
	s_wait_alu 0xfffe
	s_and_b32 s23, s25, exec_lo
.LBB39_121:                             ;   in Loop: Header=BB39_32 Depth=1
	s_or_b32 exec_lo, exec_lo, s24
.LBB39_122:                             ;   in Loop: Header=BB39_32 Depth=1
	s_delay_alu instid0(SALU_CYCLE_1)
	s_and_b32 vcc_lo, exec_lo, s7
	s_wait_alu 0xfffe
	s_cbranch_vccz .LBB39_136
; %bb.123:                              ;   in Loop: Header=BB39_32 Depth=1
	s_add_nc_u64 s[6:7], s[12:13], s[60:61]
	s_mov_b32 s14, s53
	s_wait_alu 0xfffe
	s_mov_b32 s15, s7
	s_wait_alu 0xfffe
	s_cmp_lg_u64 s[14:15], 0
	s_cbranch_scc0 .LBB39_164
; %bb.124:                              ;   in Loop: Header=BB39_32 Depth=1
	s_add_nc_u64 s[14:15], s[50:51], 0
	s_wait_alu 0xfffe
	s_xor_b64 s[14:15], s[14:15], 0
	s_wait_alu 0xfffe
	s_cvt_f32_u32 s21, s14
	s_cvt_f32_u32 s22, s15
	s_sub_nc_u64 s[70:71], 0, s[14:15]
	s_wait_alu 0xfffe
	s_delay_alu instid0(SALU_CYCLE_1) | instskip(SKIP_1) | instid1(SALU_CYCLE_2)
	s_fmamk_f32 s21, s22, 0x4f800000, s21
	s_wait_alu 0xfffe
	v_s_rcp_f32 s21, s21
	s_delay_alu instid0(TRANS32_DEP_1) | instskip(SKIP_1) | instid1(SALU_CYCLE_2)
	s_mul_f32 s21, s21, 0x5f7ffffc
	s_wait_alu 0xfffe
	s_mul_f32 s22, s21, 0x2f800000
	s_delay_alu instid0(SALU_CYCLE_3) | instskip(NEXT) | instid1(SALU_CYCLE_3)
	s_trunc_f32 s22, s22
	s_fmamk_f32 s21, s22, 0xcf800000, s21
	s_cvt_u32_f32 s25, s22
	s_wait_alu 0xfffe
	s_delay_alu instid0(SALU_CYCLE_1) | instskip(SKIP_1) | instid1(SALU_CYCLE_2)
	s_cvt_u32_f32 s24, s21
	s_wait_alu 0xfffe
	s_mul_u64 s[72:73], s[70:71], s[24:25]
	s_wait_alu 0xfffe
	s_mul_hi_u32 s75, s24, s73
	s_mul_i32 s74, s24, s73
	s_mul_hi_u32 s52, s24, s72
	s_mul_i32 s22, s25, s72
	s_wait_alu 0xfffe
	s_add_nc_u64 s[74:75], s[52:53], s[74:75]
	s_mul_hi_u32 s21, s25, s72
	s_mul_hi_u32 s76, s25, s73
	s_wait_alu 0xfffe
	s_add_co_u32 s22, s74, s22
	s_add_co_ci_u32 s52, s75, s21
	s_mul_i32 s72, s25, s73
	s_add_co_ci_u32 s73, s76, 0
	s_wait_alu 0xfffe
	s_add_nc_u64 s[72:73], s[52:53], s[72:73]
	s_wait_alu 0xfffe
	s_add_co_u32 s24, s24, s72
	s_cselect_b32 s21, -1, 0
	s_wait_alu 0xfffe
	s_cmp_lg_u32 s21, 0
	s_add_co_ci_u32 s25, s25, s73
	s_wait_alu 0xfffe
	s_mul_u64 s[70:71], s[70:71], s[24:25]
	s_wait_alu 0xfffe
	s_mul_hi_u32 s73, s24, s71
	s_mul_i32 s72, s24, s71
	s_mul_hi_u32 s52, s24, s70
	s_mul_i32 s22, s25, s70
	s_wait_alu 0xfffe
	s_add_nc_u64 s[72:73], s[52:53], s[72:73]
	s_mul_hi_u32 s21, s25, s70
	s_mul_hi_u32 s74, s25, s71
	s_wait_alu 0xfffe
	s_add_co_u32 s22, s72, s22
	s_add_co_ci_u32 s52, s73, s21
	s_mul_i32 s70, s25, s71
	s_add_co_ci_u32 s71, s74, 0
	s_wait_alu 0xfffe
	s_add_nc_u64 s[70:71], s[52:53], s[70:71]
	s_wait_alu 0xfffe
	s_add_co_u32 s21, s24, s70
	s_cselect_b32 s22, -1, 0
	s_delay_alu instid0(SALU_CYCLE_1)
	s_cmp_lg_u32 s22, 0
	s_add_co_ci_u32 s22, s25, s71
	s_ashr_i32 s24, s7, 31
	s_wait_alu 0xfffe
	s_mov_b32 s25, s24
	s_wait_alu 0xfffe
	s_add_nc_u64 s[70:71], s[6:7], s[24:25]
	s_wait_alu 0xfffe
	s_xor_b64 s[70:71], s[70:71], s[24:25]
	s_wait_alu 0xfffe
	s_mul_hi_u32 s73, s70, s22
	s_mul_i32 s72, s70, s22
	s_mul_hi_u32 s52, s70, s21
	s_mul_hi_u32 s76, s71, s21
	s_mul_i32 s21, s71, s21
	s_wait_alu 0xfffe
	s_add_nc_u64 s[72:73], s[52:53], s[72:73]
	s_mul_hi_u32 s75, s71, s22
	s_wait_alu 0xfffe
	s_add_co_u32 s21, s72, s21
	s_add_co_ci_u32 s52, s73, s76
	s_mul_i32 s74, s71, s22
	s_add_co_ci_u32 s75, s75, 0
	s_wait_alu 0xfffe
	s_add_nc_u64 s[72:73], s[52:53], s[74:75]
	s_wait_alu 0xfffe
	s_mul_u64 s[72:73], s[14:15], s[72:73]
	s_wait_alu 0xfffe
	s_sub_co_u32 s21, s70, s72
	s_cselect_b32 s22, -1, 0
	s_sub_co_i32 s52, s71, s73
	s_cmp_lg_u32 s22, 0
	s_wait_alu 0xfffe
	s_sub_co_ci_u32 s52, s52, s15
	s_sub_co_u32 s70, s21, s14
	s_cselect_b32 s72, -1, 0
	s_wait_alu 0xfffe
	s_cmp_lg_u32 s72, 0
	s_sub_co_ci_u32 s74, s52, 0
	s_wait_alu 0xfffe
	s_cmp_ge_u32 s74, s15
	s_cselect_b32 s75, -1, 0
	s_cmp_ge_u32 s70, s14
	s_cselect_b32 s76, -1, 0
	s_cmp_eq_u32 s74, s15
	s_wait_alu 0xfffe
	s_cselect_b32 s75, s76, s75
	s_cmp_lg_u32 s72, 0
	s_sub_co_ci_u32 s52, s52, s15
	s_sub_co_u32 s72, s70, s14
	s_cselect_b32 s76, -1, 0
	s_wait_alu 0xfffe
	s_cmp_lg_u32 s76, 0
	s_sub_co_ci_u32 s52, s52, 0
	s_cmp_lg_u32 s75, 0
	s_cselect_b32 s70, s72, s70
	s_wait_alu 0xfffe
	s_cselect_b32 s52, s52, s74
	s_cmp_lg_u32 s22, 0
	s_sub_co_ci_u32 s22, s71, s73
	s_delay_alu instid0(SALU_CYCLE_1)
	s_cmp_ge_u32 s22, s15
	s_cselect_b32 s71, -1, 0
	s_cmp_ge_u32 s21, s14
	s_cselect_b32 s14, -1, 0
	s_cmp_eq_u32 s22, s15
	s_wait_alu 0xfffe
	s_cselect_b32 s14, s14, s71
	s_wait_alu 0xfffe
	s_cmp_lg_u32 s14, 0
	s_cselect_b32 s15, s52, s22
	s_cselect_b32 s14, s70, s21
	s_wait_alu 0xfffe
	s_xor_b64 s[14:15], s[14:15], s[24:25]
	s_wait_alu 0xfffe
	s_sub_nc_u64 s[14:15], s[14:15], s[24:25]
	s_cbranch_execnz .LBB39_126
.LBB39_125:                             ;   in Loop: Header=BB39_32 Depth=1
	v_cvt_f32_u32_e32 v2, s50
	s_sub_co_i32 s15, 0, s50
	s_delay_alu instid0(VALU_DEP_1) | instskip(NEXT) | instid1(TRANS32_DEP_1)
	v_rcp_iflag_f32_e32 v2, v2
	v_mul_f32_e32 v2, 0x4f7ffffe, v2
	s_delay_alu instid0(VALU_DEP_1) | instskip(NEXT) | instid1(VALU_DEP_1)
	v_cvt_u32_f32_e32 v2, v2
	v_readfirstlane_b32 s14, v2
	s_wait_alu 0xfffe
	s_mul_i32 s15, s15, s14
	s_wait_alu 0xfffe
	s_mul_hi_u32 s15, s14, s15
	s_wait_alu 0xfffe
	s_add_co_i32 s14, s14, s15
	s_wait_alu 0xfffe
	s_mul_hi_u32 s14, s6, s14
	s_wait_alu 0xfffe
	s_mul_i32 s14, s14, s50
	s_wait_alu 0xfffe
	s_sub_co_i32 s14, s6, s14
	s_wait_alu 0xfffe
	s_sub_co_i32 s15, s14, s50
	s_cmp_ge_u32 s14, s50
	s_wait_alu 0xfffe
	s_cselect_b32 s14, s15, s14
	s_wait_alu 0xfffe
	s_sub_co_i32 s15, s14, s50
	s_cmp_ge_u32 s14, s50
	s_wait_alu 0xfffe
	s_cselect_b32 s52, s15, s14
	s_wait_alu 0xfffe
	s_mov_b64 s[14:15], s[52:53]
.LBB39_126:                             ;   in Loop: Header=BB39_32 Depth=1
	s_wait_alu 0xfffe
	s_sub_nc_u64 s[6:7], s[6:7], s[14:15]
	s_mov_b32 s14, exec_lo
                                        ; implicit-def: $vgpr53
	s_wait_alu 0xfffe
	v_cmpx_gt_i64_e64 s[6:7], v[0:1]
	s_cbranch_execz .LBB39_135
; %bb.127:                              ;   in Loop: Header=BB39_32 Depth=1
	v_dual_mov_b32 v2, v42 :: v_dual_mov_b32 v9, v1
	v_mov_b32_e32 v8, v0
	s_mov_b32 s15, 0
                                        ; implicit-def: $sgpr21
	s_branch .LBB39_130
.LBB39_128:                             ;   in Loop: Header=BB39_130 Depth=2
	s_or_b32 exec_lo, exec_lo, s22
	s_wait_loadcnt_dscnt 0x0
	s_barrier_signal -1
	s_barrier_wait -1
	global_inv scope:SCOPE_SE
	ds_load_b32 v10, v3 offset:3072
	s_mov_b32 s22, -1
	s_mov_b32 s24, -1
	s_wait_loadcnt_dscnt 0x0
	s_barrier_signal -1
	s_barrier_wait -1
	global_inv scope:SCOPE_SE
	v_and_b32_e32 v11, 0xffff, v10
	s_delay_alu instid0(VALU_DEP_1)
	v_cmp_ne_u32_e32 vcc_lo, 0, v11
	s_cbranch_vccz .LBB39_133
.LBB39_129:                             ;   in Loop: Header=BB39_130 Depth=2
	s_and_b32 s22, exec_lo, s22
	s_wait_alu 0xfffe
	s_or_b32 s15, s22, s15
	s_and_not1_b32 s21, s21, exec_lo
	s_and_b32 s22, s24, exec_lo
	s_wait_alu 0xfffe
	s_or_b32 s21, s21, s22
	s_and_not1_b32 exec_lo, exec_lo, s15
	s_cbranch_execz .LBB39_134
.LBB39_130:                             ;   Parent Loop BB39_32 Depth=1
                                        ; =>  This Inner Loop Header: Depth=2
	s_mov_b32 s22, exec_lo
	s_delay_alu instid0(VALU_DEP_1)
	v_cmpx_gt_u64_e64 s[12:13], v[8:9]
	s_cbranch_execz .LBB39_128
; %bb.131:                              ;   in Loop: Header=BB39_130 Depth=2
	ds_load_u16 v10, v2
	s_wait_dscnt 0x0
	v_bfe_i32 v11, v10, 0, 16
	s_delay_alu instid0(VALU_DEP_1) | instskip(NEXT) | instid1(VALU_DEP_1)
	v_add_nc_u32_e32 v11, 0x8000, v11
	v_and_b32_e32 v11, v11, v52
	s_delay_alu instid0(VALU_DEP_1)
	v_cmp_eq_u32_e32 vcc_lo, v11, v48
	s_and_b32 exec_lo, exec_lo, vcc_lo
	s_cbranch_execz .LBB39_128
; %bb.132:                              ;   in Loop: Header=BB39_130 Depth=2
	v_perm_b32 v10, v10, 1, 0x5040100
	ds_store_b32 v3, v10 offset:3072
	s_branch .LBB39_128
.LBB39_133:                             ;   in Loop: Header=BB39_130 Depth=2
	v_add_co_u32 v8, vcc_lo, v8, s50
	s_wait_alu 0xfffd
	v_add_co_ci_u32_e64 v9, null, 0, v9, vcc_lo
	v_add_nc_u32_e32 v2, s94, v2
	s_mov_b32 s24, 0
	s_delay_alu instid0(VALU_DEP_2)
	v_cmp_le_i64_e32 vcc_lo, s[6:7], v[8:9]
	s_or_not1_b32 s22, vcc_lo, exec_lo
	s_branch .LBB39_129
.LBB39_134:                             ;   in Loop: Header=BB39_32 Depth=1
	s_or_b32 exec_lo, exec_lo, s15
	v_lshrrev_b32_e32 v53, 16, v10
	s_and_not1_b32 s6, s23, exec_lo
	s_wait_alu 0xfffe
	s_and_b32 s7, s21, exec_lo
	s_wait_alu 0xfffe
	s_or_b32 s23, s6, s7
.LBB39_135:                             ;   in Loop: Header=BB39_32 Depth=1
	s_or_b32 exec_lo, exec_lo, s14
	s_mov_b32 s21, 0
	s_mov_b32 s22, -1
.LBB39_136:                             ;   in Loop: Header=BB39_32 Depth=1
	s_or_not1_b32 s6, s23, exec_lo
.LBB39_137:                             ;   in Loop: Header=BB39_32 Depth=1
	s_wait_alu 0xfffe
	s_or_b32 exec_lo, exec_lo, s17
	s_delay_alu instid0(SALU_CYCLE_1)
	s_and_not1_b32 s7, s102, exec_lo
	s_and_b32 s12, s22, exec_lo
	s_and_not1_b32 s13, s100, exec_lo
	s_and_b32 s14, s21, exec_lo
	s_and_not1_b32 s99, s99, exec_lo
	s_wait_alu 0xfffe
	s_or_b32 s102, s7, s12
	s_or_b32 s100, s13, s14
                                        ; implicit-def: $vgpr8_vgpr9
	s_and_saveexec_b32 s17, s6
	s_cbranch_execz .LBB39_31
; %bb.138:                              ;   in Loop: Header=BB39_32 Depth=1
	v_mov_b32_e32 v8, 1
	v_dual_mov_b32 v9, 0 :: v_dual_mov_b32 v2, 1
	s_xor_b32 s12, s19, -1
	s_mov_b32 s7, 0
	s_wait_alu 0xfffe
	s_and_saveexec_b32 s6, s12
	s_cbranch_execz .LBB39_147
; %bb.139:                              ;   in Loop: Header=BB39_32 Depth=1
	s_mov_b32 s7, exec_lo
	v_cmpx_le_i64_e64 v[29:30], v[4:5]
	s_wait_alu 0xfffe
	s_xor_b32 s7, exec_lo, s7
	s_cbranch_execz .LBB39_144
; %bb.140:                              ;   in Loop: Header=BB39_32 Depth=1
	ds_load_b64 v[8:9], v3 offset:5120
	v_and_b32_e32 v48, s20, v48
	v_or_b32_e32 v52, s16, v52
	s_wait_dscnt 0x0
	v_cmp_ne_u64_e32 vcc_lo, 0, v[8:9]
	s_cbranch_vccnz .LBB39_144
; %bb.141:                              ;   in Loop: Header=BB39_32 Depth=1
	s_and_saveexec_b32 s12, s2
; %bb.142:                              ;   in Loop: Header=BB39_32 Depth=1
	ds_store_b64 v3, v[4:5] offset:5128
; %bb.143:                              ;   in Loop: Header=BB39_32 Depth=1
	s_wait_alu 0xfffe
	s_or_b32 exec_lo, exec_lo, s12
	s_wait_loadcnt_dscnt 0x0
	s_barrier_signal -1
	s_barrier_wait -1
	global_inv scope:SCOPE_SE
.LBB39_144:                             ;   in Loop: Header=BB39_32 Depth=1
	s_wait_alu 0xfffe
	s_or_saveexec_b32 s7, s7
	v_mov_b32_e32 v2, 8
	s_mov_b32 s12, 0
	s_wait_alu 0xfffe
	s_xor_b32 exec_lo, exec_lo, s7
; %bb.145:                              ;   in Loop: Header=BB39_32 Depth=1
	v_sub_co_u32 v29, vcc_lo, v29, v4
	s_wait_alu 0xfffd
	v_sub_co_ci_u32_e64 v30, null, v30, v5, vcc_lo
	v_mov_b32_e32 v2, 0
	s_mov_b32 s12, exec_lo
; %bb.146:                              ;   in Loop: Header=BB39_32 Depth=1
	s_or_b32 exec_lo, exec_lo, s7
	s_delay_alu instid0(VALU_DEP_2)
	v_dual_mov_b32 v8, v29 :: v_dual_mov_b32 v9, v30
	s_wait_alu 0xfffe
	s_and_b32 s7, s12, exec_lo
.LBB39_147:                             ;   in Loop: Header=BB39_32 Depth=1
	s_wait_alu 0xfffe
	s_or_b32 exec_lo, exec_lo, s6
	s_mov_b32 s18, -1
	s_mov_b32 s6, -1
                                        ; implicit-def: $sgpr21
                                        ; implicit-def: $sgpr22
	s_and_saveexec_b32 s12, s7
	s_wait_alu 0xfffe
	s_xor_b32 s19, exec_lo, s12
	s_cbranch_execz .LBB39_289
; %bb.148:                              ;   in Loop: Header=BB39_32 Depth=1
	v_cmp_eq_u64_e32 vcc_lo, 1, v[6:7]
	v_cmp_eq_u64_e64 s6, 1, v[8:9]
                                        ; implicit-def: $sgpr22
                                        ; implicit-def: $sgpr21
	s_and_b32 s24, vcc_lo, s6
	s_mov_b32 s6, -1
	s_wait_alu 0xfffe
	s_and_saveexec_b32 s23, s24
	s_cbranch_execz .LBB39_182
; %bb.149:                              ;   in Loop: Header=BB39_32 Depth=1
	ds_load_b64 v[4:5], v3 offset:5120
	s_wait_loadcnt_dscnt 0x0
	s_barrier_signal -1
	s_barrier_wait -1
	global_inv scope:SCOPE_SE
	v_readfirstlane_b32 s12, v4
	v_readfirstlane_b32 s13, v5
	s_and_saveexec_b32 s6, s3
; %bb.150:                              ;   in Loop: Header=BB39_32 Depth=1
	ds_store_b16 v43, v3
; %bb.151:                              ;   in Loop: Header=BB39_32 Depth=1
	s_wait_alu 0xfffe
	s_or_b32 exec_lo, exec_lo, s6
	s_lshl_b32 s6, 1, s95
	v_or_b32_e32 v52, s16, v52
	s_wait_alu 0xfffe
	v_and_or_b32 v48, v48, s20, s6
	v_cmp_gt_i64_e64 s6, s[12:13], 0
	s_mov_b32 s21, -1
	s_mov_b32 s22, 0
	s_mov_b32 s25, 0
	s_mov_b32 s7, -1
	s_wait_loadcnt_dscnt 0x0
	s_and_b32 vcc_lo, exec_lo, s6
	s_barrier_signal -1
	s_barrier_wait -1
	global_inv scope:SCOPE_SE
                                        ; implicit-def: $vgpr53
	s_wait_alu 0xfffe
	s_cbranch_vccnz .LBB39_167
; %bb.152:                              ;   in Loop: Header=BB39_32 Depth=1
	s_mov_b32 s6, s53
	s_mov_b32 s7, s63
	s_wait_alu 0xfffe
	s_cmp_lg_u64 s[6:7], 0
	s_cbranch_scc0 .LBB39_209
; %bb.153:                              ;   in Loop: Header=BB39_32 Depth=1
	s_add_nc_u64 s[6:7], s[50:51], 0
	s_wait_alu 0xfffe
	s_xor_b64 s[6:7], s[6:7], 0
	s_wait_alu 0xfffe
	s_cvt_f32_u32 s14, s6
	s_cvt_f32_u32 s15, s7
	s_sub_nc_u64 s[70:71], 0, s[6:7]
	s_wait_alu 0xfffe
	s_delay_alu instid0(SALU_CYCLE_1) | instskip(SKIP_1) | instid1(SALU_CYCLE_2)
	s_fmamk_f32 s14, s15, 0x4f800000, s14
	s_wait_alu 0xfffe
	v_s_rcp_f32 s14, s14
	s_delay_alu instid0(TRANS32_DEP_1) | instskip(SKIP_1) | instid1(SALU_CYCLE_2)
	s_mul_f32 s14, s14, 0x5f7ffffc
	s_wait_alu 0xfffe
	s_mul_f32 s15, s14, 0x2f800000
	s_wait_alu 0xfffe
	s_delay_alu instid0(SALU_CYCLE_2) | instskip(SKIP_1) | instid1(SALU_CYCLE_2)
	s_trunc_f32 s15, s15
	s_wait_alu 0xfffe
	s_fmamk_f32 s14, s15, 0xcf800000, s14
	s_cvt_u32_f32 s15, s15
	s_wait_alu 0xfffe
	s_delay_alu instid0(SALU_CYCLE_1) | instskip(SKIP_1) | instid1(SALU_CYCLE_2)
	s_cvt_u32_f32 s14, s14
	s_wait_alu 0xfffe
	s_mul_u64 s[72:73], s[70:71], s[14:15]
	s_wait_alu 0xfffe
	s_mul_hi_u32 s75, s14, s73
	s_mul_i32 s74, s14, s73
	s_mul_hi_u32 s52, s14, s72
	s_mul_i32 s76, s15, s72
	s_wait_alu 0xfffe
	s_add_nc_u64 s[74:75], s[52:53], s[74:75]
	s_mul_hi_u32 s25, s15, s72
	s_mul_hi_u32 s77, s15, s73
	s_wait_alu 0xfffe
	s_add_co_u32 s52, s74, s76
	s_add_co_ci_u32 s52, s75, s25
	s_mul_i32 s72, s15, s73
	s_add_co_ci_u32 s73, s77, 0
	s_wait_alu 0xfffe
	s_add_nc_u64 s[72:73], s[52:53], s[72:73]
	s_wait_alu 0xfffe
	s_add_co_u32 s14, s14, s72
	s_cselect_b32 s25, -1, 0
	s_wait_alu 0xfffe
	s_cmp_lg_u32 s25, 0
	s_add_co_ci_u32 s15, s15, s73
	s_wait_alu 0xfffe
	s_mul_u64 s[70:71], s[70:71], s[14:15]
	s_wait_alu 0xfffe
	s_mul_hi_u32 s73, s14, s71
	s_mul_i32 s72, s14, s71
	s_mul_hi_u32 s52, s14, s70
	s_mul_i32 s74, s15, s70
	s_wait_alu 0xfffe
	s_add_nc_u64 s[72:73], s[52:53], s[72:73]
	s_mul_hi_u32 s25, s15, s70
	s_mul_hi_u32 s75, s15, s71
	s_wait_alu 0xfffe
	s_add_co_u32 s52, s72, s74
	s_add_co_ci_u32 s52, s73, s25
	s_mul_i32 s70, s15, s71
	s_add_co_ci_u32 s71, s75, 0
	s_wait_alu 0xfffe
	s_add_nc_u64 s[70:71], s[52:53], s[70:71]
	s_wait_alu 0xfffe
	s_add_co_u32 s25, s14, s70
	s_cselect_b32 s14, -1, 0
	s_wait_alu 0xfffe
	s_cmp_lg_u32 s14, 0
	s_add_co_ci_u32 s74, s15, s71
	s_ashr_i32 s14, s63, 31
	s_wait_alu 0xfffe
	s_mov_b32 s15, s14
	s_wait_alu 0xfffe
	s_add_nc_u64 s[70:71], s[62:63], s[14:15]
	s_wait_alu 0xfffe
	s_xor_b64 s[70:71], s[70:71], s[14:15]
	s_wait_alu 0xfffe
	s_mul_hi_u32 s73, s70, s74
	s_mul_i32 s72, s70, s74
	s_mul_hi_u32 s52, s70, s25
	s_mul_hi_u32 s76, s71, s25
	s_mul_i32 s25, s71, s25
	s_wait_alu 0xfffe
	s_add_nc_u64 s[72:73], s[52:53], s[72:73]
	s_mul_hi_u32 s75, s71, s74
	s_wait_alu 0xfffe
	s_add_co_u32 s25, s72, s25
	s_add_co_ci_u32 s52, s73, s76
	s_mul_i32 s74, s71, s74
	s_add_co_ci_u32 s75, s75, 0
	s_wait_alu 0xfffe
	s_add_nc_u64 s[72:73], s[52:53], s[74:75]
	s_wait_alu 0xfffe
	s_mul_u64 s[72:73], s[6:7], s[72:73]
	s_wait_alu 0xfffe
	s_sub_co_u32 s25, s70, s72
	s_cselect_b32 s52, -1, 0
	s_sub_co_i32 s70, s71, s73
	s_wait_alu 0xfffe
	s_cmp_lg_u32 s52, 0
	s_sub_co_ci_u32 s70, s70, s7
	s_sub_co_u32 s72, s25, s6
	s_cselect_b32 s74, -1, 0
	s_wait_alu 0xfffe
	s_cmp_lg_u32 s74, 0
	s_sub_co_ci_u32 s75, s70, 0
	s_wait_alu 0xfffe
	s_cmp_ge_u32 s75, s7
	s_cselect_b32 s76, -1, 0
	s_cmp_ge_u32 s72, s6
	s_cselect_b32 s77, -1, 0
	s_cmp_eq_u32 s75, s7
	s_wait_alu 0xfffe
	s_cselect_b32 s76, s77, s76
	s_cmp_lg_u32 s74, 0
	s_sub_co_ci_u32 s70, s70, s7
	s_sub_co_u32 s74, s72, s6
	s_cselect_b32 s77, -1, 0
	s_wait_alu 0xfffe
	s_cmp_lg_u32 s77, 0
	s_sub_co_ci_u32 s70, s70, 0
	s_cmp_lg_u32 s76, 0
	s_cselect_b32 s72, s74, s72
	s_wait_alu 0xfffe
	s_cselect_b32 s70, s70, s75
	s_cmp_lg_u32 s52, 0
	s_sub_co_ci_u32 s52, s71, s73
	s_wait_alu 0xfffe
	s_cmp_ge_u32 s52, s7
	s_cselect_b32 s71, -1, 0
	s_cmp_ge_u32 s25, s6
	s_cselect_b32 s6, -1, 0
	s_cmp_eq_u32 s52, s7
	s_wait_alu 0xfffe
	s_cselect_b32 s6, s6, s71
	s_wait_alu 0xfffe
	s_cmp_lg_u32 s6, 0
	s_cselect_b32 s7, s70, s52
	s_cselect_b32 s6, s72, s25
	s_wait_alu 0xfffe
	s_xor_b64 s[6:7], s[6:7], s[14:15]
	s_wait_alu 0xfffe
	s_sub_nc_u64 s[6:7], s[6:7], s[14:15]
	s_cbranch_execnz .LBB39_155
.LBB39_154:                             ;   in Loop: Header=BB39_32 Depth=1
	v_cvt_f32_u32_e32 v4, s50
	s_sub_co_i32 s7, 0, s50
	s_delay_alu instid0(VALU_DEP_1) | instskip(NEXT) | instid1(TRANS32_DEP_1)
	v_rcp_iflag_f32_e32 v4, v4
	v_mul_f32_e32 v4, 0x4f7ffffe, v4
	s_delay_alu instid0(VALU_DEP_1) | instskip(NEXT) | instid1(VALU_DEP_1)
	v_cvt_u32_f32_e32 v4, v4
	v_readfirstlane_b32 s6, v4
	s_wait_alu 0xfffe
	s_mul_i32 s7, s7, s6
	s_wait_alu 0xfffe
	s_mul_hi_u32 s7, s6, s7
	s_wait_alu 0xfffe
	s_add_co_i32 s6, s6, s7
	s_wait_alu 0xfffe
	s_mul_hi_u32 s6, s62, s6
	s_wait_alu 0xfffe
	s_mul_i32 s6, s6, s50
	s_wait_alu 0xfffe
	s_sub_co_i32 s6, s62, s6
	s_wait_alu 0xfffe
	s_sub_co_i32 s7, s6, s50
	s_cmp_ge_u32 s6, s50
	s_wait_alu 0xfffe
	s_cselect_b32 s6, s7, s6
	s_wait_alu 0xfffe
	s_sub_co_i32 s7, s6, s50
	s_cmp_ge_u32 s6, s50
	s_wait_alu 0xfffe
	s_cselect_b32 s52, s7, s6
	s_wait_alu 0xfffe
	s_mov_b64 s[6:7], s[52:53]
.LBB39_155:                             ;   in Loop: Header=BB39_32 Depth=1
	s_wait_alu 0xfffe
	s_sub_nc_u64 s[14:15], s[62:63], s[6:7]
	s_mov_b32 s7, 0
	s_mov_b32 s25, 0
	s_mov_b32 s52, exec_lo
                                        ; implicit-def: $vgpr53
	s_wait_alu 0xfffe
	v_cmpx_gt_i64_e64 s[14:15], v[0:1]
	s_cbranch_execz .LBB39_166
; %bb.156:                              ;   in Loop: Header=BB39_32 Depth=1
	v_dual_mov_b32 v4, v12 :: v_dual_mov_b32 v5, v13
	v_dual_mov_b32 v11, v1 :: v_dual_mov_b32 v10, v0
                                        ; implicit-def: $sgpr70
	s_branch .LBB39_159
.LBB39_157:                             ;   in Loop: Header=BB39_159 Depth=2
	s_wait_alu 0xfffe
	s_or_b32 exec_lo, exec_lo, s6
	s_wait_loadcnt_dscnt 0x0
	s_barrier_signal -1
	s_barrier_wait -1
	global_inv scope:SCOPE_SE
	ds_load_b32 v29, v3 offset:3072
	s_mov_b32 s6, -1
	s_mov_b32 s71, -1
	s_wait_loadcnt_dscnt 0x0
	s_barrier_signal -1
	s_barrier_wait -1
	global_inv scope:SCOPE_SE
	v_and_b32_e32 v30, 0xffff, v29
	s_delay_alu instid0(VALU_DEP_1)
	v_cmp_ne_u32_e32 vcc_lo, 0, v30
	s_cbranch_vccz .LBB39_162
.LBB39_158:                             ;   in Loop: Header=BB39_159 Depth=2
	s_wait_alu 0xfffe
	s_and_b32 s6, exec_lo, s6
	s_wait_alu 0xfffe
	s_or_b32 s25, s6, s25
	s_and_not1_b32 s6, s70, exec_lo
	s_and_b32 s70, s71, exec_lo
	s_wait_alu 0xfffe
	s_or_b32 s70, s6, s70
	s_and_not1_b32 exec_lo, exec_lo, s25
	s_cbranch_execz .LBB39_165
.LBB39_159:                             ;   Parent Loop BB39_32 Depth=1
                                        ; =>  This Inner Loop Header: Depth=2
	s_mov_b32 s6, exec_lo
	s_delay_alu instid0(VALU_DEP_1)
	v_cmpx_gt_i64_e64 s[36:37], v[10:11]
	s_cbranch_execz .LBB39_157
; %bb.160:                              ;   in Loop: Header=BB39_159 Depth=2
	global_load_u16 v29, v[4:5], off
	s_wait_loadcnt 0x0
	v_bfe_i32 v30, v29, 0, 16
	s_delay_alu instid0(VALU_DEP_1) | instskip(NEXT) | instid1(VALU_DEP_1)
	v_add_nc_u32_e32 v30, 0x8000, v30
	v_and_b32_e32 v30, v30, v52
	s_delay_alu instid0(VALU_DEP_1)
	v_cmp_eq_u32_e32 vcc_lo, v30, v48
	s_and_b32 exec_lo, exec_lo, vcc_lo
	s_cbranch_execz .LBB39_157
; %bb.161:                              ;   in Loop: Header=BB39_159 Depth=2
	v_perm_b32 v29, v29, 1, 0x5040100
	ds_store_b32 v3, v29 offset:3072
	s_branch .LBB39_157
.LBB39_162:                             ;   in Loop: Header=BB39_159 Depth=2
	v_add_co_u32 v10, vcc_lo, v10, s50
	s_wait_alu 0xfffd
	v_add_co_ci_u32_e64 v11, null, 0, v11, vcc_lo
	v_add_co_u32 v4, s6, v4, s58
	s_wait_alu 0xf1fe
	v_add_co_ci_u32_e64 v5, null, s59, v5, s6
	s_delay_alu instid0(VALU_DEP_3)
	v_cmp_le_i64_e32 vcc_lo, s[14:15], v[10:11]
	s_mov_b32 s71, 0
	s_or_not1_b32 s6, vcc_lo, exec_lo
	s_branch .LBB39_158
.LBB39_163:                             ;   in Loop: Header=BB39_32 Depth=1
                                        ; implicit-def: $sgpr6_sgpr7
	s_branch .LBB39_111
.LBB39_164:                             ;   in Loop: Header=BB39_32 Depth=1
                                        ; implicit-def: $sgpr14_sgpr15
	s_branch .LBB39_125
.LBB39_165:                             ;   in Loop: Header=BB39_32 Depth=1
	s_or_b32 exec_lo, exec_lo, s25
	v_lshrrev_b32_e32 v53, 16, v29
	s_wait_alu 0xfffe
	s_and_b32 s25, s70, exec_lo
.LBB39_166:                             ;   in Loop: Header=BB39_32 Depth=1
	s_or_b32 exec_lo, exec_lo, s52
.LBB39_167:                             ;   in Loop: Header=BB39_32 Depth=1
	s_delay_alu instid0(SALU_CYCLE_1)
	s_and_b32 vcc_lo, exec_lo, s7
	s_wait_alu 0xfffe
	s_cbranch_vccz .LBB39_181
; %bb.168:                              ;   in Loop: Header=BB39_32 Depth=1
	s_add_nc_u64 s[6:7], s[12:13], s[60:61]
	s_mov_b32 s14, s53
	s_wait_alu 0xfffe
	s_mov_b32 s15, s7
	s_wait_alu 0xfffe
	s_cmp_lg_u64 s[14:15], 0
	s_cbranch_scc0 .LBB39_210
; %bb.169:                              ;   in Loop: Header=BB39_32 Depth=1
	s_add_nc_u64 s[14:15], s[50:51], 0
	s_wait_alu 0xfffe
	s_xor_b64 s[14:15], s[14:15], 0
	s_wait_alu 0xfffe
	s_cvt_f32_u32 s21, s14
	s_cvt_f32_u32 s22, s15
	s_sub_nc_u64 s[72:73], 0, s[14:15]
	s_wait_alu 0xfffe
	s_delay_alu instid0(SALU_CYCLE_1) | instskip(SKIP_1) | instid1(SALU_CYCLE_2)
	s_fmamk_f32 s21, s22, 0x4f800000, s21
	s_wait_alu 0xfffe
	v_s_rcp_f32 s21, s21
	s_delay_alu instid0(TRANS32_DEP_1) | instskip(SKIP_1) | instid1(SALU_CYCLE_2)
	s_mul_f32 s21, s21, 0x5f7ffffc
	s_wait_alu 0xfffe
	s_mul_f32 s22, s21, 0x2f800000
	s_delay_alu instid0(SALU_CYCLE_3) | instskip(NEXT) | instid1(SALU_CYCLE_3)
	s_trunc_f32 s22, s22
	s_fmamk_f32 s21, s22, 0xcf800000, s21
	s_cvt_u32_f32 s71, s22
	s_wait_alu 0xfffe
	s_delay_alu instid0(SALU_CYCLE_1) | instskip(SKIP_1) | instid1(SALU_CYCLE_2)
	s_cvt_u32_f32 s70, s21
	s_wait_alu 0xfffe
	s_mul_u64 s[74:75], s[72:73], s[70:71]
	s_wait_alu 0xfffe
	s_mul_hi_u32 s77, s70, s75
	s_mul_i32 s76, s70, s75
	s_mul_hi_u32 s52, s70, s74
	s_mul_i32 s22, s71, s74
	s_wait_alu 0xfffe
	s_add_nc_u64 s[76:77], s[52:53], s[76:77]
	s_mul_hi_u32 s21, s71, s74
	s_mul_hi_u32 s78, s71, s75
	s_wait_alu 0xfffe
	s_add_co_u32 s22, s76, s22
	s_add_co_ci_u32 s52, s77, s21
	s_mul_i32 s74, s71, s75
	s_add_co_ci_u32 s75, s78, 0
	s_wait_alu 0xfffe
	s_add_nc_u64 s[74:75], s[52:53], s[74:75]
	s_wait_alu 0xfffe
	s_add_co_u32 s70, s70, s74
	s_cselect_b32 s21, -1, 0
	s_wait_alu 0xfffe
	s_cmp_lg_u32 s21, 0
	s_add_co_ci_u32 s71, s71, s75
	s_wait_alu 0xfffe
	s_mul_u64 s[72:73], s[72:73], s[70:71]
	s_wait_alu 0xfffe
	s_mul_hi_u32 s75, s70, s73
	s_mul_i32 s74, s70, s73
	s_mul_hi_u32 s52, s70, s72
	s_mul_i32 s22, s71, s72
	s_wait_alu 0xfffe
	s_add_nc_u64 s[74:75], s[52:53], s[74:75]
	s_mul_hi_u32 s21, s71, s72
	s_mul_hi_u32 s76, s71, s73
	s_wait_alu 0xfffe
	s_add_co_u32 s22, s74, s22
	s_add_co_ci_u32 s52, s75, s21
	s_mul_i32 s72, s71, s73
	s_add_co_ci_u32 s73, s76, 0
	s_wait_alu 0xfffe
	s_add_nc_u64 s[72:73], s[52:53], s[72:73]
	s_wait_alu 0xfffe
	s_add_co_u32 s21, s70, s72
	s_cselect_b32 s22, -1, 0
	s_delay_alu instid0(SALU_CYCLE_1)
	s_cmp_lg_u32 s22, 0
	s_add_co_ci_u32 s22, s71, s73
	s_ashr_i32 s70, s7, 31
	s_wait_alu 0xfffe
	s_mov_b32 s71, s70
	s_wait_alu 0xfffe
	s_add_nc_u64 s[72:73], s[6:7], s[70:71]
	s_wait_alu 0xfffe
	s_xor_b64 s[72:73], s[72:73], s[70:71]
	s_wait_alu 0xfffe
	s_mul_hi_u32 s75, s72, s22
	s_mul_i32 s74, s72, s22
	s_mul_hi_u32 s52, s72, s21
	s_mul_hi_u32 s78, s73, s21
	s_mul_i32 s21, s73, s21
	s_wait_alu 0xfffe
	s_add_nc_u64 s[74:75], s[52:53], s[74:75]
	s_mul_hi_u32 s77, s73, s22
	s_wait_alu 0xfffe
	s_add_co_u32 s21, s74, s21
	s_add_co_ci_u32 s52, s75, s78
	s_mul_i32 s76, s73, s22
	s_add_co_ci_u32 s77, s77, 0
	s_wait_alu 0xfffe
	s_add_nc_u64 s[74:75], s[52:53], s[76:77]
	s_wait_alu 0xfffe
	s_mul_u64 s[74:75], s[14:15], s[74:75]
	s_wait_alu 0xfffe
	s_sub_co_u32 s21, s72, s74
	s_cselect_b32 s22, -1, 0
	s_sub_co_i32 s52, s73, s75
	s_cmp_lg_u32 s22, 0
	s_wait_alu 0xfffe
	s_sub_co_ci_u32 s52, s52, s15
	s_sub_co_u32 s72, s21, s14
	s_cselect_b32 s74, -1, 0
	s_wait_alu 0xfffe
	s_cmp_lg_u32 s74, 0
	s_sub_co_ci_u32 s76, s52, 0
	s_wait_alu 0xfffe
	s_cmp_ge_u32 s76, s15
	s_cselect_b32 s77, -1, 0
	s_cmp_ge_u32 s72, s14
	s_cselect_b32 s78, -1, 0
	s_cmp_eq_u32 s76, s15
	s_wait_alu 0xfffe
	s_cselect_b32 s77, s78, s77
	s_cmp_lg_u32 s74, 0
	s_sub_co_ci_u32 s52, s52, s15
	s_sub_co_u32 s74, s72, s14
	s_cselect_b32 s78, -1, 0
	s_wait_alu 0xfffe
	s_cmp_lg_u32 s78, 0
	s_sub_co_ci_u32 s52, s52, 0
	s_cmp_lg_u32 s77, 0
	s_cselect_b32 s72, s74, s72
	s_wait_alu 0xfffe
	s_cselect_b32 s52, s52, s76
	s_cmp_lg_u32 s22, 0
	s_sub_co_ci_u32 s22, s73, s75
	s_delay_alu instid0(SALU_CYCLE_1)
	s_cmp_ge_u32 s22, s15
	s_cselect_b32 s73, -1, 0
	s_cmp_ge_u32 s21, s14
	s_cselect_b32 s14, -1, 0
	s_cmp_eq_u32 s22, s15
	s_wait_alu 0xfffe
	s_cselect_b32 s14, s14, s73
	s_wait_alu 0xfffe
	s_cmp_lg_u32 s14, 0
	s_cselect_b32 s15, s52, s22
	s_cselect_b32 s14, s72, s21
	s_wait_alu 0xfffe
	s_xor_b64 s[14:15], s[14:15], s[70:71]
	s_wait_alu 0xfffe
	s_sub_nc_u64 s[14:15], s[14:15], s[70:71]
	s_cbranch_execnz .LBB39_171
.LBB39_170:                             ;   in Loop: Header=BB39_32 Depth=1
	v_cvt_f32_u32_e32 v4, s50
	s_sub_co_i32 s15, 0, s50
	s_delay_alu instid0(VALU_DEP_1) | instskip(NEXT) | instid1(TRANS32_DEP_1)
	v_rcp_iflag_f32_e32 v4, v4
	v_mul_f32_e32 v4, 0x4f7ffffe, v4
	s_delay_alu instid0(VALU_DEP_1) | instskip(NEXT) | instid1(VALU_DEP_1)
	v_cvt_u32_f32_e32 v4, v4
	v_readfirstlane_b32 s14, v4
	s_wait_alu 0xfffe
	s_mul_i32 s15, s15, s14
	s_wait_alu 0xfffe
	s_mul_hi_u32 s15, s14, s15
	s_wait_alu 0xfffe
	s_add_co_i32 s14, s14, s15
	s_wait_alu 0xfffe
	s_mul_hi_u32 s14, s6, s14
	s_wait_alu 0xfffe
	s_mul_i32 s14, s14, s50
	s_wait_alu 0xfffe
	s_sub_co_i32 s14, s6, s14
	s_wait_alu 0xfffe
	s_sub_co_i32 s15, s14, s50
	s_cmp_ge_u32 s14, s50
	s_wait_alu 0xfffe
	s_cselect_b32 s14, s15, s14
	s_wait_alu 0xfffe
	s_sub_co_i32 s15, s14, s50
	s_cmp_ge_u32 s14, s50
	s_wait_alu 0xfffe
	s_cselect_b32 s52, s15, s14
	s_wait_alu 0xfffe
	s_mov_b64 s[14:15], s[52:53]
.LBB39_171:                             ;   in Loop: Header=BB39_32 Depth=1
	s_wait_alu 0xfffe
	s_sub_nc_u64 s[6:7], s[6:7], s[14:15]
	s_mov_b32 s14, exec_lo
                                        ; implicit-def: $vgpr53
	s_wait_alu 0xfffe
	v_cmpx_gt_i64_e64 s[6:7], v[0:1]
	s_cbranch_execz .LBB39_180
; %bb.172:                              ;   in Loop: Header=BB39_32 Depth=1
	v_dual_mov_b32 v10, v42 :: v_dual_mov_b32 v5, v1
	v_mov_b32_e32 v4, v0
	s_mov_b32 s15, 0
                                        ; implicit-def: $sgpr21
	s_branch .LBB39_175
.LBB39_173:                             ;   in Loop: Header=BB39_175 Depth=2
	s_or_b32 exec_lo, exec_lo, s22
	s_wait_loadcnt_dscnt 0x0
	s_barrier_signal -1
	s_barrier_wait -1
	global_inv scope:SCOPE_SE
	ds_load_b32 v11, v3 offset:3072
	s_mov_b32 s22, -1
	s_mov_b32 s52, -1
	s_wait_loadcnt_dscnt 0x0
	s_barrier_signal -1
	s_barrier_wait -1
	global_inv scope:SCOPE_SE
	v_and_b32_e32 v29, 0xffff, v11
	s_delay_alu instid0(VALU_DEP_1)
	v_cmp_eq_u32_e32 vcc_lo, 0, v29
	s_cbranch_vccnz .LBB39_178
.LBB39_174:                             ;   in Loop: Header=BB39_175 Depth=2
	s_and_b32 s22, exec_lo, s22
	s_wait_alu 0xfffe
	s_or_b32 s15, s22, s15
	s_and_not1_b32 s21, s21, exec_lo
	s_and_b32 s22, s52, exec_lo
	s_wait_alu 0xfffe
	s_or_b32 s21, s21, s22
	s_and_not1_b32 exec_lo, exec_lo, s15
	s_cbranch_execz .LBB39_179
.LBB39_175:                             ;   Parent Loop BB39_32 Depth=1
                                        ; =>  This Inner Loop Header: Depth=2
	s_mov_b32 s22, exec_lo
	s_delay_alu instid0(VALU_DEP_1)
	v_cmpx_gt_u64_e64 s[12:13], v[4:5]
	s_cbranch_execz .LBB39_173
; %bb.176:                              ;   in Loop: Header=BB39_175 Depth=2
	ds_load_u16 v11, v10
	s_wait_dscnt 0x0
	v_bfe_i32 v29, v11, 0, 16
	s_delay_alu instid0(VALU_DEP_1) | instskip(NEXT) | instid1(VALU_DEP_1)
	v_add_nc_u32_e32 v29, 0x8000, v29
	v_and_b32_e32 v29, v29, v52
	s_delay_alu instid0(VALU_DEP_1)
	v_cmp_eq_u32_e32 vcc_lo, v29, v48
	s_and_b32 exec_lo, exec_lo, vcc_lo
	s_cbranch_execz .LBB39_173
; %bb.177:                              ;   in Loop: Header=BB39_175 Depth=2
	v_perm_b32 v11, v11, 1, 0x5040100
	ds_store_b32 v3, v11 offset:3072
	s_branch .LBB39_173
.LBB39_178:                             ;   in Loop: Header=BB39_175 Depth=2
	v_add_co_u32 v4, vcc_lo, v4, s50
	s_wait_alu 0xfffd
	v_add_co_ci_u32_e64 v5, null, 0, v5, vcc_lo
	v_add_nc_u32_e32 v10, s94, v10
	s_mov_b32 s52, 0
	s_delay_alu instid0(VALU_DEP_2)
	v_cmp_le_i64_e32 vcc_lo, s[6:7], v[4:5]
	s_or_not1_b32 s22, vcc_lo, exec_lo
	s_branch .LBB39_174
.LBB39_179:                             ;   in Loop: Header=BB39_32 Depth=1
	s_or_b32 exec_lo, exec_lo, s15
	v_lshrrev_b32_e32 v53, 16, v11
	s_and_not1_b32 s6, s25, exec_lo
	s_wait_alu 0xfffe
	s_and_b32 s7, s21, exec_lo
	s_wait_alu 0xfffe
	s_or_b32 s25, s6, s7
.LBB39_180:                             ;   in Loop: Header=BB39_32 Depth=1
	s_or_b32 exec_lo, exec_lo, s14
	s_mov_b32 s21, 0
	s_mov_b32 s22, -1
.LBB39_181:                             ;   in Loop: Header=BB39_32 Depth=1
	s_wait_alu 0xfffe
	s_or_not1_b32 s6, s25, exec_lo
.LBB39_182:                             ;   in Loop: Header=BB39_32 Depth=1
	s_or_b32 exec_lo, exec_lo, s23
	s_mov_b32 s7, 0
	s_wait_alu 0xfffe
	s_and_saveexec_b32 s23, s6
	s_cbranch_execz .LBB39_288
; %bb.183:                              ;   in Loop: Header=BB39_32 Depth=1
	v_mov_b32_e32 v4, 1
	v_dual_mov_b32 v5, 0 :: v_dual_mov_b32 v2, 1
	s_xor_b32 s12, s24, -1
	s_wait_alu 0xfffe
	s_and_saveexec_b32 s6, s12
	s_cbranch_execz .LBB39_193
; %bb.184:                              ;   in Loop: Header=BB39_32 Depth=1
	s_mov_b32 s7, exec_lo
	v_cmpx_le_i64_e64 v[8:9], v[6:7]
	s_wait_alu 0xfffe
	s_xor_b32 s7, exec_lo, s7
	s_cbranch_execz .LBB39_190
; %bb.185:                              ;   in Loop: Header=BB39_32 Depth=1
	ds_load_b64 v[4:5], v3 offset:5120
	s_lshl_b32 s12, 1, s95
	v_or_b32_e32 v52, s16, v52
	s_wait_alu 0xfffe
	v_and_or_b32 v48, v48, s20, s12
	s_wait_dscnt 0x0
	v_cmp_ne_u64_e32 vcc_lo, 0, v[4:5]
	s_cbranch_vccnz .LBB39_189
; %bb.186:                              ;   in Loop: Header=BB39_32 Depth=1
	s_and_saveexec_b32 s12, s2
; %bb.187:                              ;   in Loop: Header=BB39_32 Depth=1
	ds_store_b64 v3, v[6:7] offset:5128
; %bb.188:                              ;   in Loop: Header=BB39_32 Depth=1
	s_wait_alu 0xfffe
	s_or_b32 exec_lo, exec_lo, s12
	s_wait_loadcnt_dscnt 0x0
	s_barrier_signal -1
	s_barrier_wait -1
	global_inv scope:SCOPE_SE
.LBB39_189:                             ;   in Loop: Header=BB39_32 Depth=1
                                        ; implicit-def: $vgpr4_vgpr5_vgpr6_vgpr7
.LBB39_190:                             ;   in Loop: Header=BB39_32 Depth=1
	s_wait_alu 0xfffe
	s_or_saveexec_b32 s7, s7
	v_mov_b32_e32 v2, 8
	s_mov_b32 s12, 0
	s_wait_alu 0xfffe
	s_xor_b32 exec_lo, exec_lo, s7
; %bb.191:                              ;   in Loop: Header=BB39_32 Depth=1
	v_sub_co_u32 v8, vcc_lo, v8, v6
	s_wait_alu 0xfffd
	v_sub_co_ci_u32_e64 v9, null, v9, v7, vcc_lo
	v_mov_b32_e32 v2, 0
	s_mov_b32 s12, exec_lo
; %bb.192:                              ;   in Loop: Header=BB39_32 Depth=1
	s_or_b32 exec_lo, exec_lo, s7
	s_delay_alu instid0(VALU_DEP_2)
	v_dual_mov_b32 v4, v8 :: v_dual_mov_b32 v5, v9
	s_wait_alu 0xfffe
	s_and_b32 s7, s12, exec_lo
.LBB39_193:                             ;   in Loop: Header=BB39_32 Depth=1
	s_wait_alu 0xfffe
	s_or_b32 exec_lo, exec_lo, s6
	s_mov_b32 s6, -1
                                        ; implicit-def: $sgpr25
                                        ; implicit-def: $sgpr70
	s_and_saveexec_b32 s24, s7
	s_cbranch_execz .LBB39_287
; %bb.194:                              ;   in Loop: Header=BB39_32 Depth=1
	v_cmp_eq_u64_e32 vcc_lo, 1, v[4:5]
	s_cmp_eq_u64 s[10:11], 1
                                        ; implicit-def: $sgpr70
                                        ; implicit-def: $sgpr25
	s_cselect_b32 s6, -1, 0
	s_wait_alu 0xfffe
	s_and_b32 s71, s6, vcc_lo
	s_mov_b32 s6, -1
	s_wait_alu 0xfffe
	s_and_saveexec_b32 s72, s71
	s_cbranch_execz .LBB39_228
; %bb.195:                              ;   in Loop: Header=BB39_32 Depth=1
	ds_load_b64 v[6:7], v3 offset:5120
	s_wait_loadcnt_dscnt 0x0
	s_barrier_signal -1
	s_barrier_wait -1
	global_inv scope:SCOPE_SE
	v_readfirstlane_b32 s12, v6
	v_readfirstlane_b32 s13, v7
	s_and_saveexec_b32 s6, s3
; %bb.196:                              ;   in Loop: Header=BB39_32 Depth=1
	ds_store_b16 v43, v3
; %bb.197:                              ;   in Loop: Header=BB39_32 Depth=1
	s_wait_alu 0xfffe
	s_or_b32 exec_lo, exec_lo, s6
	s_lshl_b32 s6, 2, s95
	v_or_b32_e32 v52, s16, v52
	s_wait_alu 0xfffe
	v_and_or_b32 v48, v48, s20, s6
	v_cmp_gt_i64_e64 s6, s[12:13], 0
	s_mov_b32 s25, -1
	s_mov_b32 s70, 0
	s_mov_b32 s73, 0
	s_mov_b32 s7, -1
	s_wait_loadcnt_dscnt 0x0
	s_and_b32 vcc_lo, exec_lo, s6
	s_barrier_signal -1
	s_barrier_wait -1
	global_inv scope:SCOPE_SE
                                        ; implicit-def: $vgpr53
	s_wait_alu 0xfffe
	s_cbranch_vccnz .LBB39_213
; %bb.198:                              ;   in Loop: Header=BB39_32 Depth=1
	s_mov_b32 s6, s53
	s_mov_b32 s7, s63
	s_wait_alu 0xfffe
	s_cmp_lg_u64 s[6:7], 0
	s_cbranch_scc0 .LBB39_254
; %bb.199:                              ;   in Loop: Header=BB39_32 Depth=1
	s_add_nc_u64 s[6:7], s[50:51], 0
	s_wait_alu 0xfffe
	s_xor_b64 s[6:7], s[6:7], 0
	s_wait_alu 0xfffe
	s_cvt_f32_u32 s14, s6
	s_cvt_f32_u32 s15, s7
	s_sub_nc_u64 s[74:75], 0, s[6:7]
	s_wait_alu 0xfffe
	s_delay_alu instid0(SALU_CYCLE_1) | instskip(SKIP_1) | instid1(SALU_CYCLE_2)
	s_fmamk_f32 s14, s15, 0x4f800000, s14
	s_wait_alu 0xfffe
	v_s_rcp_f32 s14, s14
	s_delay_alu instid0(TRANS32_DEP_1) | instskip(SKIP_1) | instid1(SALU_CYCLE_2)
	s_mul_f32 s14, s14, 0x5f7ffffc
	s_wait_alu 0xfffe
	s_mul_f32 s15, s14, 0x2f800000
	s_wait_alu 0xfffe
	s_delay_alu instid0(SALU_CYCLE_2) | instskip(SKIP_1) | instid1(SALU_CYCLE_2)
	s_trunc_f32 s15, s15
	s_wait_alu 0xfffe
	s_fmamk_f32 s14, s15, 0xcf800000, s14
	s_cvt_u32_f32 s15, s15
	s_wait_alu 0xfffe
	s_delay_alu instid0(SALU_CYCLE_1) | instskip(SKIP_1) | instid1(SALU_CYCLE_2)
	s_cvt_u32_f32 s14, s14
	s_wait_alu 0xfffe
	s_mul_u64 s[76:77], s[74:75], s[14:15]
	s_wait_alu 0xfffe
	s_mul_hi_u32 s79, s14, s77
	s_mul_i32 s78, s14, s77
	s_mul_hi_u32 s52, s14, s76
	s_mul_i32 s80, s15, s76
	s_wait_alu 0xfffe
	s_add_nc_u64 s[78:79], s[52:53], s[78:79]
	s_mul_hi_u32 s73, s15, s76
	s_mul_hi_u32 s81, s15, s77
	s_wait_alu 0xfffe
	s_add_co_u32 s52, s78, s80
	s_add_co_ci_u32 s52, s79, s73
	s_mul_i32 s76, s15, s77
	s_add_co_ci_u32 s77, s81, 0
	s_wait_alu 0xfffe
	s_add_nc_u64 s[76:77], s[52:53], s[76:77]
	s_wait_alu 0xfffe
	s_add_co_u32 s14, s14, s76
	s_cselect_b32 s52, -1, 0
	s_wait_alu 0xfffe
	s_cmp_lg_u32 s52, 0
	s_add_co_ci_u32 s15, s15, s77
	s_wait_alu 0xfffe
	s_mul_u64 s[74:75], s[74:75], s[14:15]
	s_wait_alu 0xfffe
	s_mul_hi_u32 s77, s14, s75
	s_mul_i32 s76, s14, s75
	s_mul_hi_u32 s52, s14, s74
	s_mul_i32 s78, s15, s74
	s_wait_alu 0xfffe
	s_add_nc_u64 s[76:77], s[52:53], s[76:77]
	s_mul_hi_u32 s73, s15, s74
	s_mul_hi_u32 s79, s15, s75
	s_wait_alu 0xfffe
	s_add_co_u32 s52, s76, s78
	s_add_co_ci_u32 s52, s77, s73
	s_mul_i32 s74, s15, s75
	s_add_co_ci_u32 s75, s79, 0
	s_wait_alu 0xfffe
	s_add_nc_u64 s[74:75], s[52:53], s[74:75]
	s_wait_alu 0xfffe
	s_add_co_u32 s73, s14, s74
	s_cselect_b32 s14, -1, 0
	s_wait_alu 0xfffe
	s_cmp_lg_u32 s14, 0
	s_add_co_ci_u32 s78, s15, s75
	s_ashr_i32 s14, s63, 31
	s_wait_alu 0xfffe
	s_mov_b32 s15, s14
	s_wait_alu 0xfffe
	s_add_nc_u64 s[74:75], s[62:63], s[14:15]
	s_wait_alu 0xfffe
	s_xor_b64 s[74:75], s[74:75], s[14:15]
	s_wait_alu 0xfffe
	s_mul_hi_u32 s77, s74, s78
	s_mul_i32 s76, s74, s78
	s_mul_hi_u32 s52, s74, s73
	s_mul_hi_u32 s80, s75, s73
	s_mul_i32 s73, s75, s73
	s_wait_alu 0xfffe
	s_add_nc_u64 s[76:77], s[52:53], s[76:77]
	s_mul_hi_u32 s79, s75, s78
	s_wait_alu 0xfffe
	s_add_co_u32 s52, s76, s73
	s_add_co_ci_u32 s52, s77, s80
	s_mul_i32 s78, s75, s78
	s_add_co_ci_u32 s79, s79, 0
	s_wait_alu 0xfffe
	s_add_nc_u64 s[76:77], s[52:53], s[78:79]
	s_wait_alu 0xfffe
	s_mul_u64 s[76:77], s[6:7], s[76:77]
	s_wait_alu 0xfffe
	s_sub_co_u32 s52, s74, s76
	s_cselect_b32 s73, -1, 0
	s_sub_co_i32 s74, s75, s77
	s_wait_alu 0xfffe
	s_cmp_lg_u32 s73, 0
	s_sub_co_ci_u32 s74, s74, s7
	s_sub_co_u32 s76, s52, s6
	s_cselect_b32 s78, -1, 0
	s_wait_alu 0xfffe
	s_cmp_lg_u32 s78, 0
	s_sub_co_ci_u32 s79, s74, 0
	s_wait_alu 0xfffe
	s_cmp_ge_u32 s79, s7
	s_cselect_b32 s80, -1, 0
	s_cmp_ge_u32 s76, s6
	s_cselect_b32 s81, -1, 0
	s_cmp_eq_u32 s79, s7
	s_wait_alu 0xfffe
	s_cselect_b32 s80, s81, s80
	s_cmp_lg_u32 s78, 0
	s_sub_co_ci_u32 s74, s74, s7
	s_sub_co_u32 s78, s76, s6
	s_cselect_b32 s81, -1, 0
	s_wait_alu 0xfffe
	s_cmp_lg_u32 s81, 0
	s_sub_co_ci_u32 s74, s74, 0
	s_cmp_lg_u32 s80, 0
	s_cselect_b32 s76, s78, s76
	s_wait_alu 0xfffe
	s_cselect_b32 s74, s74, s79
	s_cmp_lg_u32 s73, 0
	s_sub_co_ci_u32 s73, s75, s77
	s_wait_alu 0xfffe
	s_cmp_ge_u32 s73, s7
	s_cselect_b32 s75, -1, 0
	s_cmp_ge_u32 s52, s6
	s_cselect_b32 s6, -1, 0
	s_cmp_eq_u32 s73, s7
	s_wait_alu 0xfffe
	s_cselect_b32 s6, s6, s75
	s_wait_alu 0xfffe
	s_cmp_lg_u32 s6, 0
	s_cselect_b32 s7, s74, s73
	s_cselect_b32 s6, s76, s52
	s_wait_alu 0xfffe
	s_xor_b64 s[6:7], s[6:7], s[14:15]
	s_wait_alu 0xfffe
	s_sub_nc_u64 s[6:7], s[6:7], s[14:15]
	s_cbranch_execnz .LBB39_201
.LBB39_200:                             ;   in Loop: Header=BB39_32 Depth=1
	v_cvt_f32_u32_e32 v6, s50
	s_sub_co_i32 s7, 0, s50
	s_delay_alu instid0(VALU_DEP_1) | instskip(NEXT) | instid1(TRANS32_DEP_1)
	v_rcp_iflag_f32_e32 v6, v6
	v_mul_f32_e32 v6, 0x4f7ffffe, v6
	s_delay_alu instid0(VALU_DEP_1) | instskip(NEXT) | instid1(VALU_DEP_1)
	v_cvt_u32_f32_e32 v6, v6
	v_readfirstlane_b32 s6, v6
	s_wait_alu 0xfffe
	s_mul_i32 s7, s7, s6
	s_wait_alu 0xfffe
	s_mul_hi_u32 s7, s6, s7
	s_wait_alu 0xfffe
	s_add_co_i32 s6, s6, s7
	s_wait_alu 0xfffe
	s_mul_hi_u32 s6, s62, s6
	s_wait_alu 0xfffe
	s_mul_i32 s6, s6, s50
	s_wait_alu 0xfffe
	s_sub_co_i32 s6, s62, s6
	s_wait_alu 0xfffe
	s_sub_co_i32 s7, s6, s50
	s_cmp_ge_u32 s6, s50
	s_wait_alu 0xfffe
	s_cselect_b32 s6, s7, s6
	s_wait_alu 0xfffe
	s_sub_co_i32 s7, s6, s50
	s_cmp_ge_u32 s6, s50
	s_wait_alu 0xfffe
	s_cselect_b32 s52, s7, s6
	s_wait_alu 0xfffe
	s_mov_b64 s[6:7], s[52:53]
.LBB39_201:                             ;   in Loop: Header=BB39_32 Depth=1
	s_wait_alu 0xfffe
	s_sub_nc_u64 s[14:15], s[62:63], s[6:7]
	s_mov_b32 s7, 0
	s_mov_b32 s73, 0
	s_mov_b32 s52, exec_lo
                                        ; implicit-def: $vgpr53
	s_wait_alu 0xfffe
	v_cmpx_gt_i64_e64 s[14:15], v[0:1]
	s_cbranch_execz .LBB39_212
; %bb.202:                              ;   in Loop: Header=BB39_32 Depth=1
	v_dual_mov_b32 v6, v12 :: v_dual_mov_b32 v7, v13
	v_dual_mov_b32 v9, v1 :: v_dual_mov_b32 v8, v0
                                        ; implicit-def: $sgpr74
	s_branch .LBB39_205
.LBB39_203:                             ;   in Loop: Header=BB39_205 Depth=2
	s_wait_alu 0xfffe
	s_or_b32 exec_lo, exec_lo, s6
	s_wait_loadcnt_dscnt 0x0
	s_barrier_signal -1
	s_barrier_wait -1
	global_inv scope:SCOPE_SE
	ds_load_b32 v10, v3 offset:3072
	s_mov_b32 s6, -1
	s_mov_b32 s75, -1
	s_wait_loadcnt_dscnt 0x0
	s_barrier_signal -1
	s_barrier_wait -1
	global_inv scope:SCOPE_SE
	v_and_b32_e32 v11, 0xffff, v10
	s_delay_alu instid0(VALU_DEP_1)
	v_cmp_ne_u32_e32 vcc_lo, 0, v11
	s_cbranch_vccz .LBB39_208
.LBB39_204:                             ;   in Loop: Header=BB39_205 Depth=2
	s_wait_alu 0xfffe
	s_and_b32 s6, exec_lo, s6
	s_wait_alu 0xfffe
	s_or_b32 s73, s6, s73
	s_and_not1_b32 s6, s74, exec_lo
	s_and_b32 s74, s75, exec_lo
	s_wait_alu 0xfffe
	s_or_b32 s74, s6, s74
	s_and_not1_b32 exec_lo, exec_lo, s73
	s_cbranch_execz .LBB39_211
.LBB39_205:                             ;   Parent Loop BB39_32 Depth=1
                                        ; =>  This Inner Loop Header: Depth=2
	s_mov_b32 s6, exec_lo
	s_delay_alu instid0(VALU_DEP_1)
	v_cmpx_gt_i64_e64 s[36:37], v[8:9]
	s_cbranch_execz .LBB39_203
; %bb.206:                              ;   in Loop: Header=BB39_205 Depth=2
	global_load_u16 v10, v[6:7], off
	s_wait_loadcnt 0x0
	v_bfe_i32 v11, v10, 0, 16
	s_delay_alu instid0(VALU_DEP_1) | instskip(NEXT) | instid1(VALU_DEP_1)
	v_add_nc_u32_e32 v11, 0x8000, v11
	v_and_b32_e32 v11, v11, v52
	s_delay_alu instid0(VALU_DEP_1)
	v_cmp_eq_u32_e32 vcc_lo, v11, v48
	s_and_b32 exec_lo, exec_lo, vcc_lo
	s_cbranch_execz .LBB39_203
; %bb.207:                              ;   in Loop: Header=BB39_205 Depth=2
	v_perm_b32 v10, v10, 1, 0x5040100
	ds_store_b32 v3, v10 offset:3072
	s_branch .LBB39_203
.LBB39_208:                             ;   in Loop: Header=BB39_205 Depth=2
	v_add_co_u32 v8, vcc_lo, v8, s50
	s_wait_alu 0xfffd
	v_add_co_ci_u32_e64 v9, null, 0, v9, vcc_lo
	v_add_co_u32 v6, s6, v6, s58
	s_wait_alu 0xf1fe
	v_add_co_ci_u32_e64 v7, null, s59, v7, s6
	s_delay_alu instid0(VALU_DEP_3)
	v_cmp_le_i64_e32 vcc_lo, s[14:15], v[8:9]
	s_mov_b32 s75, 0
	s_or_not1_b32 s6, vcc_lo, exec_lo
	s_branch .LBB39_204
.LBB39_209:                             ;   in Loop: Header=BB39_32 Depth=1
                                        ; implicit-def: $sgpr6_sgpr7
	s_branch .LBB39_154
.LBB39_210:                             ;   in Loop: Header=BB39_32 Depth=1
                                        ; implicit-def: $sgpr14_sgpr15
	s_branch .LBB39_170
.LBB39_211:                             ;   in Loop: Header=BB39_32 Depth=1
	s_or_b32 exec_lo, exec_lo, s73
	v_lshrrev_b32_e32 v53, 16, v10
	s_wait_alu 0xfffe
	s_and_b32 s73, s74, exec_lo
.LBB39_212:                             ;   in Loop: Header=BB39_32 Depth=1
	s_or_b32 exec_lo, exec_lo, s52
.LBB39_213:                             ;   in Loop: Header=BB39_32 Depth=1
	s_delay_alu instid0(SALU_CYCLE_1)
	s_and_b32 vcc_lo, exec_lo, s7
	s_wait_alu 0xfffe
	s_cbranch_vccz .LBB39_227
; %bb.214:                              ;   in Loop: Header=BB39_32 Depth=1
	s_add_nc_u64 s[6:7], s[12:13], s[60:61]
	s_mov_b32 s14, s53
	s_wait_alu 0xfffe
	s_mov_b32 s15, s7
	s_wait_alu 0xfffe
	s_cmp_lg_u64 s[14:15], 0
	s_cbranch_scc0 .LBB39_255
; %bb.215:                              ;   in Loop: Header=BB39_32 Depth=1
	s_add_nc_u64 s[14:15], s[50:51], 0
	s_wait_alu 0xfffe
	s_xor_b64 s[14:15], s[14:15], 0
	s_wait_alu 0xfffe
	s_cvt_f32_u32 s25, s14
	s_cvt_f32_u32 s52, s15
	s_sub_nc_u64 s[76:77], 0, s[14:15]
	s_wait_alu 0xfffe
	s_delay_alu instid0(SALU_CYCLE_1) | instskip(SKIP_1) | instid1(SALU_CYCLE_2)
	s_fmamk_f32 s25, s52, 0x4f800000, s25
	s_wait_alu 0xfffe
	v_s_rcp_f32 s25, s25
	s_delay_alu instid0(TRANS32_DEP_1) | instskip(SKIP_1) | instid1(SALU_CYCLE_2)
	s_mul_f32 s25, s25, 0x5f7ffffc
	s_wait_alu 0xfffe
	s_mul_f32 s52, s25, 0x2f800000
	s_wait_alu 0xfffe
	s_delay_alu instid0(SALU_CYCLE_2) | instskip(SKIP_1) | instid1(SALU_CYCLE_2)
	s_trunc_f32 s52, s52
	s_wait_alu 0xfffe
	s_fmamk_f32 s25, s52, 0xcf800000, s25
	s_cvt_u32_f32 s75, s52
	s_wait_alu 0xfffe
	s_delay_alu instid0(SALU_CYCLE_1) | instskip(SKIP_1) | instid1(SALU_CYCLE_2)
	s_cvt_u32_f32 s74, s25
	s_wait_alu 0xfffe
	s_mul_u64 s[78:79], s[76:77], s[74:75]
	s_wait_alu 0xfffe
	s_mul_hi_u32 s81, s74, s79
	s_mul_i32 s80, s74, s79
	s_mul_hi_u32 s52, s74, s78
	s_mul_i32 s70, s75, s78
	s_wait_alu 0xfffe
	s_add_nc_u64 s[80:81], s[52:53], s[80:81]
	s_mul_hi_u32 s25, s75, s78
	s_mul_hi_u32 s82, s75, s79
	s_wait_alu 0xfffe
	s_add_co_u32 s52, s80, s70
	s_add_co_ci_u32 s52, s81, s25
	s_mul_i32 s78, s75, s79
	s_add_co_ci_u32 s79, s82, 0
	s_wait_alu 0xfffe
	s_add_nc_u64 s[78:79], s[52:53], s[78:79]
	s_wait_alu 0xfffe
	s_add_co_u32 s74, s74, s78
	s_cselect_b32 s25, -1, 0
	s_wait_alu 0xfffe
	s_cmp_lg_u32 s25, 0
	s_add_co_ci_u32 s75, s75, s79
	s_wait_alu 0xfffe
	s_mul_u64 s[76:77], s[76:77], s[74:75]
	s_wait_alu 0xfffe
	s_mul_hi_u32 s79, s74, s77
	s_mul_i32 s78, s74, s77
	s_mul_hi_u32 s52, s74, s76
	s_mul_i32 s70, s75, s76
	s_wait_alu 0xfffe
	s_add_nc_u64 s[78:79], s[52:53], s[78:79]
	s_mul_hi_u32 s25, s75, s76
	s_mul_hi_u32 s80, s75, s77
	s_wait_alu 0xfffe
	s_add_co_u32 s52, s78, s70
	s_add_co_ci_u32 s52, s79, s25
	s_mul_i32 s76, s75, s77
	s_add_co_ci_u32 s77, s80, 0
	s_wait_alu 0xfffe
	s_add_nc_u64 s[76:77], s[52:53], s[76:77]
	s_wait_alu 0xfffe
	s_add_co_u32 s25, s74, s76
	s_cselect_b32 s52, -1, 0
	s_wait_alu 0xfffe
	s_cmp_lg_u32 s52, 0
	s_add_co_ci_u32 s70, s75, s77
	s_ashr_i32 s74, s7, 31
	s_wait_alu 0xfffe
	s_mov_b32 s75, s74
	s_wait_alu 0xfffe
	s_add_nc_u64 s[76:77], s[6:7], s[74:75]
	s_wait_alu 0xfffe
	s_xor_b64 s[76:77], s[76:77], s[74:75]
	s_wait_alu 0xfffe
	s_mul_hi_u32 s79, s76, s70
	s_mul_i32 s78, s76, s70
	s_mul_hi_u32 s52, s76, s25
	s_mul_hi_u32 s82, s77, s25
	s_mul_i32 s25, s77, s25
	s_wait_alu 0xfffe
	s_add_nc_u64 s[78:79], s[52:53], s[78:79]
	s_mul_hi_u32 s81, s77, s70
	s_wait_alu 0xfffe
	s_add_co_u32 s25, s78, s25
	s_add_co_ci_u32 s52, s79, s82
	s_mul_i32 s80, s77, s70
	s_add_co_ci_u32 s81, s81, 0
	s_wait_alu 0xfffe
	s_add_nc_u64 s[78:79], s[52:53], s[80:81]
	s_wait_alu 0xfffe
	s_mul_u64 s[78:79], s[14:15], s[78:79]
	s_wait_alu 0xfffe
	s_sub_co_u32 s25, s76, s78
	s_cselect_b32 s52, -1, 0
	s_sub_co_i32 s70, s77, s79
	s_wait_alu 0xfffe
	s_cmp_lg_u32 s52, 0
	s_sub_co_ci_u32 s70, s70, s15
	s_sub_co_u32 s76, s25, s14
	s_cselect_b32 s78, -1, 0
	s_wait_alu 0xfffe
	s_cmp_lg_u32 s78, 0
	s_sub_co_ci_u32 s80, s70, 0
	s_wait_alu 0xfffe
	s_cmp_ge_u32 s80, s15
	s_cselect_b32 s81, -1, 0
	s_cmp_ge_u32 s76, s14
	s_cselect_b32 s82, -1, 0
	s_cmp_eq_u32 s80, s15
	s_wait_alu 0xfffe
	s_cselect_b32 s81, s82, s81
	s_cmp_lg_u32 s78, 0
	s_sub_co_ci_u32 s70, s70, s15
	s_sub_co_u32 s78, s76, s14
	s_cselect_b32 s82, -1, 0
	s_wait_alu 0xfffe
	s_cmp_lg_u32 s82, 0
	s_sub_co_ci_u32 s70, s70, 0
	s_cmp_lg_u32 s81, 0
	s_cselect_b32 s76, s78, s76
	s_wait_alu 0xfffe
	s_cselect_b32 s70, s70, s80
	s_cmp_lg_u32 s52, 0
	s_sub_co_ci_u32 s52, s77, s79
	s_wait_alu 0xfffe
	s_cmp_ge_u32 s52, s15
	s_cselect_b32 s77, -1, 0
	s_cmp_ge_u32 s25, s14
	s_cselect_b32 s14, -1, 0
	s_cmp_eq_u32 s52, s15
	s_wait_alu 0xfffe
	s_cselect_b32 s14, s14, s77
	s_wait_alu 0xfffe
	s_cmp_lg_u32 s14, 0
	s_cselect_b32 s15, s70, s52
	s_cselect_b32 s14, s76, s25
	s_wait_alu 0xfffe
	s_xor_b64 s[14:15], s[14:15], s[74:75]
	s_wait_alu 0xfffe
	s_sub_nc_u64 s[14:15], s[14:15], s[74:75]
	s_cbranch_execnz .LBB39_217
.LBB39_216:                             ;   in Loop: Header=BB39_32 Depth=1
	v_cvt_f32_u32_e32 v6, s50
	s_sub_co_i32 s15, 0, s50
	s_delay_alu instid0(VALU_DEP_1) | instskip(NEXT) | instid1(TRANS32_DEP_1)
	v_rcp_iflag_f32_e32 v6, v6
	v_mul_f32_e32 v6, 0x4f7ffffe, v6
	s_delay_alu instid0(VALU_DEP_1) | instskip(NEXT) | instid1(VALU_DEP_1)
	v_cvt_u32_f32_e32 v6, v6
	v_readfirstlane_b32 s14, v6
	s_wait_alu 0xfffe
	s_mul_i32 s15, s15, s14
	s_wait_alu 0xfffe
	s_mul_hi_u32 s15, s14, s15
	s_wait_alu 0xfffe
	s_add_co_i32 s14, s14, s15
	s_wait_alu 0xfffe
	s_mul_hi_u32 s14, s6, s14
	s_wait_alu 0xfffe
	s_mul_i32 s14, s14, s50
	s_wait_alu 0xfffe
	s_sub_co_i32 s14, s6, s14
	s_wait_alu 0xfffe
	s_sub_co_i32 s15, s14, s50
	s_cmp_ge_u32 s14, s50
	s_wait_alu 0xfffe
	s_cselect_b32 s14, s15, s14
	s_wait_alu 0xfffe
	s_sub_co_i32 s15, s14, s50
	s_cmp_ge_u32 s14, s50
	s_wait_alu 0xfffe
	s_cselect_b32 s52, s15, s14
	s_wait_alu 0xfffe
	s_mov_b64 s[14:15], s[52:53]
.LBB39_217:                             ;   in Loop: Header=BB39_32 Depth=1
	s_wait_alu 0xfffe
	s_sub_nc_u64 s[6:7], s[6:7], s[14:15]
	s_mov_b32 s14, exec_lo
                                        ; implicit-def: $vgpr53
	s_wait_alu 0xfffe
	v_cmpx_gt_i64_e64 s[6:7], v[0:1]
	s_cbranch_execz .LBB39_226
; %bb.218:                              ;   in Loop: Header=BB39_32 Depth=1
	v_dual_mov_b32 v8, v42 :: v_dual_mov_b32 v7, v1
	v_mov_b32_e32 v6, v0
	s_mov_b32 s15, 0
                                        ; implicit-def: $sgpr25
	s_branch .LBB39_221
.LBB39_219:                             ;   in Loop: Header=BB39_221 Depth=2
	s_wait_alu 0xfffe
	s_or_b32 exec_lo, exec_lo, s52
	s_wait_loadcnt_dscnt 0x0
	s_barrier_signal -1
	s_barrier_wait -1
	global_inv scope:SCOPE_SE
	ds_load_b32 v9, v3 offset:3072
	s_mov_b32 s52, -1
	s_mov_b32 s70, -1
	s_wait_loadcnt_dscnt 0x0
	s_barrier_signal -1
	s_barrier_wait -1
	global_inv scope:SCOPE_SE
	v_and_b32_e32 v10, 0xffff, v9
	s_delay_alu instid0(VALU_DEP_1)
	v_cmp_eq_u32_e32 vcc_lo, 0, v10
	s_cbranch_vccnz .LBB39_224
.LBB39_220:                             ;   in Loop: Header=BB39_221 Depth=2
	s_wait_alu 0xfffe
	s_and_b32 s52, exec_lo, s52
	s_wait_alu 0xfffe
	s_or_b32 s15, s52, s15
	s_and_not1_b32 s25, s25, exec_lo
	s_and_b32 s52, s70, exec_lo
	s_wait_alu 0xfffe
	s_or_b32 s25, s25, s52
	s_and_not1_b32 exec_lo, exec_lo, s15
	s_cbranch_execz .LBB39_225
.LBB39_221:                             ;   Parent Loop BB39_32 Depth=1
                                        ; =>  This Inner Loop Header: Depth=2
	s_mov_b32 s52, exec_lo
	s_delay_alu instid0(VALU_DEP_1)
	v_cmpx_gt_u64_e64 s[12:13], v[6:7]
	s_cbranch_execz .LBB39_219
; %bb.222:                              ;   in Loop: Header=BB39_221 Depth=2
	ds_load_u16 v9, v8
	s_wait_dscnt 0x0
	v_bfe_i32 v10, v9, 0, 16
	s_delay_alu instid0(VALU_DEP_1) | instskip(NEXT) | instid1(VALU_DEP_1)
	v_add_nc_u32_e32 v10, 0x8000, v10
	v_and_b32_e32 v10, v10, v52
	s_delay_alu instid0(VALU_DEP_1)
	v_cmp_eq_u32_e32 vcc_lo, v10, v48
	s_and_b32 exec_lo, exec_lo, vcc_lo
	s_cbranch_execz .LBB39_219
; %bb.223:                              ;   in Loop: Header=BB39_221 Depth=2
	v_perm_b32 v9, v9, 1, 0x5040100
	ds_store_b32 v3, v9 offset:3072
	s_branch .LBB39_219
.LBB39_224:                             ;   in Loop: Header=BB39_221 Depth=2
	v_add_co_u32 v6, vcc_lo, v6, s50
	s_wait_alu 0xfffd
	v_add_co_ci_u32_e64 v7, null, 0, v7, vcc_lo
	v_add_nc_u32_e32 v8, s94, v8
	s_mov_b32 s70, 0
	s_delay_alu instid0(VALU_DEP_2)
	v_cmp_le_i64_e32 vcc_lo, s[6:7], v[6:7]
	s_or_not1_b32 s52, vcc_lo, exec_lo
	s_branch .LBB39_220
.LBB39_225:                             ;   in Loop: Header=BB39_32 Depth=1
	s_or_b32 exec_lo, exec_lo, s15
	v_lshrrev_b32_e32 v53, 16, v9
	s_and_not1_b32 s6, s73, exec_lo
	s_wait_alu 0xfffe
	s_and_b32 s7, s25, exec_lo
	s_wait_alu 0xfffe
	s_or_b32 s73, s6, s7
.LBB39_226:                             ;   in Loop: Header=BB39_32 Depth=1
	s_or_b32 exec_lo, exec_lo, s14
	s_mov_b32 s25, 0
	s_mov_b32 s70, -1
.LBB39_227:                             ;   in Loop: Header=BB39_32 Depth=1
	s_wait_alu 0xfffe
	s_or_not1_b32 s6, s73, exec_lo
.LBB39_228:                             ;   in Loop: Header=BB39_32 Depth=1
	s_wait_alu 0xfffe
	s_or_b32 exec_lo, exec_lo, s72
	s_mov_b32 s7, 0
	s_and_saveexec_b32 s14, s6
	s_cbranch_execz .LBB39_286
; %bb.229:                              ;   in Loop: Header=BB39_32 Depth=1
	v_mov_b32_e32 v6, 1
	v_dual_mov_b32 v7, 0 :: v_dual_mov_b32 v2, 1
	s_xor_b32 s12, s71, -1
	s_wait_alu 0xfffe
	s_and_saveexec_b32 s6, s12
	s_cbranch_execz .LBB39_238
; %bb.230:                              ;   in Loop: Header=BB39_32 Depth=1
	s_mov_b32 s7, exec_lo
	v_cmpx_ge_i64_e64 s[10:11], v[4:5]
	s_wait_alu 0xfffe
	s_xor_b32 s7, exec_lo, s7
	s_cbranch_execz .LBB39_235
; %bb.231:                              ;   in Loop: Header=BB39_32 Depth=1
	ds_load_b64 v[6:7], v3 offset:5120
	s_lshl_b32 s12, 2, s95
	v_or_b32_e32 v52, s16, v52
	s_wait_alu 0xfffe
	v_and_or_b32 v48, v48, s20, s12
	s_wait_dscnt 0x0
	v_cmp_ne_u64_e32 vcc_lo, 0, v[6:7]
	s_cbranch_vccnz .LBB39_235
; %bb.232:                              ;   in Loop: Header=BB39_32 Depth=1
	s_and_saveexec_b32 s12, s2
; %bb.233:                              ;   in Loop: Header=BB39_32 Depth=1
	v_dual_mov_b32 v6, s10 :: v_dual_mov_b32 v7, s11
	ds_store_b64 v3, v[6:7] offset:5128
; %bb.234:                              ;   in Loop: Header=BB39_32 Depth=1
	s_wait_alu 0xfffe
	s_or_b32 exec_lo, exec_lo, s12
	s_wait_loadcnt_dscnt 0x0
	s_barrier_signal -1
	s_barrier_wait -1
	global_inv scope:SCOPE_SE
.LBB39_235:                             ;   in Loop: Header=BB39_32 Depth=1
	s_wait_alu 0xfffe
	s_or_saveexec_b32 s7, s7
	v_mov_b32_e32 v2, 8
	s_mov_b32 s12, 0
	s_wait_alu 0xfffe
	s_xor_b32 exec_lo, exec_lo, s7
; %bb.236:                              ;   in Loop: Header=BB39_32 Depth=1
	v_sub_co_u32 v4, vcc_lo, v4, s10
	s_wait_alu 0xfffd
	v_subrev_co_ci_u32_e64 v5, null, s11, v5, vcc_lo
	v_mov_b32_e32 v2, 0
	s_mov_b32 s12, exec_lo
; %bb.237:                              ;   in Loop: Header=BB39_32 Depth=1
	s_or_b32 exec_lo, exec_lo, s7
	s_delay_alu instid0(VALU_DEP_2)
	v_dual_mov_b32 v7, v5 :: v_dual_mov_b32 v6, v4
	s_wait_alu 0xfffe
	s_and_b32 s7, s12, exec_lo
.LBB39_238:                             ;   in Loop: Header=BB39_32 Depth=1
	s_wait_alu 0xfffe
	s_or_b32 exec_lo, exec_lo, s6
	s_mov_b32 s6, -1
                                        ; implicit-def: $sgpr73
                                        ; implicit-def: $sgpr72
	s_and_saveexec_b32 s15, s7
	s_cbranch_execz .LBB39_285
; %bb.239:                              ;   in Loop: Header=BB39_32 Depth=1
	v_cmp_eq_u64_e32 vcc_lo, 1, v[6:7]
	s_cmp_eq_u64 s[8:9], 1
	s_mov_b32 s7, -1
	s_cselect_b32 s6, -1, 0
                                        ; implicit-def: $sgpr73
                                        ; implicit-def: $sgpr72
	s_wait_alu 0xfffe
	s_and_b32 s20, s6, vcc_lo
	s_wait_alu 0xfffe
	s_and_saveexec_b32 s71, s20
	s_cbranch_execz .LBB39_273
; %bb.240:                              ;   in Loop: Header=BB39_32 Depth=1
	ds_load_b64 v[4:5], v3 offset:5120
	s_wait_loadcnt_dscnt 0x0
	s_barrier_signal -1
	s_barrier_wait -1
	global_inv scope:SCOPE_SE
	v_readfirstlane_b32 s10, v4
	v_readfirstlane_b32 s11, v5
	s_and_saveexec_b32 s6, s3
; %bb.241:                              ;   in Loop: Header=BB39_32 Depth=1
	ds_store_b16 v43, v3
; %bb.242:                              ;   in Loop: Header=BB39_32 Depth=1
	s_wait_alu 0xfffe
	s_or_b32 exec_lo, exec_lo, s6
	v_cmp_gt_i64_e64 s6, s[10:11], 0
	v_or_b32_e32 v48, s16, v48
	v_or_b32_e32 v52, s16, v52
	s_mov_b32 s72, -1
	s_mov_b32 s73, 0
	s_mov_b32 s74, 0
	s_and_b32 vcc_lo, exec_lo, s6
	s_wait_loadcnt_dscnt 0x0
	s_barrier_signal -1
	s_barrier_wait -1
	global_inv scope:SCOPE_SE
                                        ; implicit-def: $vgpr53
	s_wait_alu 0xfffe
	s_cbranch_vccnz .LBB39_258
; %bb.243:                              ;   in Loop: Header=BB39_32 Depth=1
	s_mov_b32 s6, s53
	s_mov_b32 s7, s63
	s_wait_alu 0xfffe
	s_cmp_lg_u64 s[6:7], 0
	s_cbranch_scc0 .LBB39_292
; %bb.244:                              ;   in Loop: Header=BB39_32 Depth=1
	s_add_nc_u64 s[6:7], s[50:51], 0
	s_wait_alu 0xfffe
	s_xor_b64 s[6:7], s[6:7], 0
	s_wait_alu 0xfffe
	s_cvt_f32_u32 s12, s6
	s_cvt_f32_u32 s13, s7
	s_sub_nc_u64 s[74:75], 0, s[6:7]
	s_wait_alu 0xfffe
	s_delay_alu instid0(SALU_CYCLE_1) | instskip(SKIP_1) | instid1(SALU_CYCLE_2)
	s_fmamk_f32 s12, s13, 0x4f800000, s12
	s_wait_alu 0xfffe
	v_s_rcp_f32 s12, s12
	s_delay_alu instid0(TRANS32_DEP_1) | instskip(SKIP_1) | instid1(SALU_CYCLE_2)
	s_mul_f32 s12, s12, 0x5f7ffffc
	s_wait_alu 0xfffe
	s_mul_f32 s13, s12, 0x2f800000
	s_wait_alu 0xfffe
	s_delay_alu instid0(SALU_CYCLE_2) | instskip(SKIP_1) | instid1(SALU_CYCLE_2)
	s_trunc_f32 s13, s13
	s_wait_alu 0xfffe
	s_fmamk_f32 s12, s13, 0xcf800000, s12
	s_cvt_u32_f32 s13, s13
	s_wait_alu 0xfffe
	s_delay_alu instid0(SALU_CYCLE_1) | instskip(SKIP_1) | instid1(SALU_CYCLE_2)
	s_cvt_u32_f32 s12, s12
	s_wait_alu 0xfffe
	s_mul_u64 s[76:77], s[74:75], s[12:13]
	s_wait_alu 0xfffe
	s_mul_hi_u32 s79, s12, s77
	s_mul_i32 s78, s12, s77
	s_mul_hi_u32 s52, s12, s76
	s_mul_i32 s81, s13, s76
	s_wait_alu 0xfffe
	s_add_nc_u64 s[78:79], s[52:53], s[78:79]
	s_mul_hi_u32 s80, s13, s76
	s_mul_hi_u32 s82, s13, s77
	s_wait_alu 0xfffe
	s_add_co_u32 s52, s78, s81
	s_add_co_ci_u32 s52, s79, s80
	s_mul_i32 s76, s13, s77
	s_add_co_ci_u32 s77, s82, 0
	s_wait_alu 0xfffe
	s_add_nc_u64 s[76:77], s[52:53], s[76:77]
	s_wait_alu 0xfffe
	s_add_co_u32 s12, s12, s76
	s_cselect_b32 s52, -1, 0
	s_wait_alu 0xfffe
	s_cmp_lg_u32 s52, 0
	s_add_co_ci_u32 s13, s13, s77
	s_wait_alu 0xfffe
	s_mul_u64 s[74:75], s[74:75], s[12:13]
	s_wait_alu 0xfffe
	s_mul_hi_u32 s77, s12, s75
	s_mul_i32 s76, s12, s75
	s_mul_hi_u32 s52, s12, s74
	s_mul_i32 s79, s13, s74
	s_wait_alu 0xfffe
	s_add_nc_u64 s[76:77], s[52:53], s[76:77]
	s_mul_hi_u32 s78, s13, s74
	s_mul_hi_u32 s80, s13, s75
	s_wait_alu 0xfffe
	s_add_co_u32 s52, s76, s79
	s_add_co_ci_u32 s52, s77, s78
	s_mul_i32 s74, s13, s75
	s_add_co_ci_u32 s75, s80, 0
	s_wait_alu 0xfffe
	s_add_nc_u64 s[74:75], s[52:53], s[74:75]
	s_wait_alu 0xfffe
	s_add_co_u32 s78, s12, s74
	s_cselect_b32 s12, -1, 0
	s_wait_alu 0xfffe
	s_cmp_lg_u32 s12, 0
	s_add_co_ci_u32 s79, s13, s75
	s_ashr_i32 s12, s63, 31
	s_wait_alu 0xfffe
	s_mov_b32 s13, s12
	s_wait_alu 0xfffe
	s_add_nc_u64 s[74:75], s[62:63], s[12:13]
	s_wait_alu 0xfffe
	s_xor_b64 s[74:75], s[74:75], s[12:13]
	s_wait_alu 0xfffe
	s_mul_hi_u32 s77, s74, s79
	s_mul_i32 s76, s74, s79
	s_mul_hi_u32 s52, s74, s78
	s_mul_i32 s82, s75, s78
	s_wait_alu 0xfffe
	s_add_nc_u64 s[76:77], s[52:53], s[76:77]
	s_mul_hi_u32 s81, s75, s78
	s_mul_hi_u32 s80, s75, s79
	s_wait_alu 0xfffe
	s_add_co_u32 s52, s76, s82
	s_add_co_ci_u32 s52, s77, s81
	s_mul_i32 s78, s75, s79
	s_add_co_ci_u32 s79, s80, 0
	s_wait_alu 0xfffe
	s_add_nc_u64 s[76:77], s[52:53], s[78:79]
	s_wait_alu 0xfffe
	s_mul_u64 s[76:77], s[6:7], s[76:77]
	s_wait_alu 0xfffe
	s_sub_co_u32 s52, s74, s76
	s_cselect_b32 s74, -1, 0
	s_sub_co_i32 s76, s75, s77
	s_wait_alu 0xfffe
	s_cmp_lg_u32 s74, 0
	s_sub_co_ci_u32 s76, s76, s7
	s_sub_co_u32 s78, s52, s6
	s_cselect_b32 s79, -1, 0
	s_wait_alu 0xfffe
	s_cmp_lg_u32 s79, 0
	s_sub_co_ci_u32 s80, s76, 0
	s_wait_alu 0xfffe
	s_cmp_ge_u32 s80, s7
	s_cselect_b32 s81, -1, 0
	s_cmp_ge_u32 s78, s6
	s_cselect_b32 s82, -1, 0
	s_cmp_eq_u32 s80, s7
	s_wait_alu 0xfffe
	s_cselect_b32 s81, s82, s81
	s_cmp_lg_u32 s79, 0
	s_sub_co_ci_u32 s76, s76, s7
	s_sub_co_u32 s79, s78, s6
	s_cselect_b32 s82, -1, 0
	s_wait_alu 0xfffe
	s_cmp_lg_u32 s82, 0
	s_sub_co_ci_u32 s76, s76, 0
	s_cmp_lg_u32 s81, 0
	s_cselect_b32 s78, s79, s78
	s_wait_alu 0xfffe
	s_cselect_b32 s76, s76, s80
	s_cmp_lg_u32 s74, 0
	s_sub_co_ci_u32 s74, s75, s77
	s_wait_alu 0xfffe
	s_cmp_ge_u32 s74, s7
	s_cselect_b32 s75, -1, 0
	s_cmp_ge_u32 s52, s6
	s_cselect_b32 s6, -1, 0
	s_cmp_eq_u32 s74, s7
	s_wait_alu 0xfffe
	s_cselect_b32 s6, s6, s75
	s_wait_alu 0xfffe
	s_cmp_lg_u32 s6, 0
	s_cselect_b32 s7, s76, s74
	s_cselect_b32 s6, s78, s52
	s_wait_alu 0xfffe
	s_xor_b64 s[6:7], s[6:7], s[12:13]
	s_wait_alu 0xfffe
	s_sub_nc_u64 s[6:7], s[6:7], s[12:13]
	s_cbranch_execnz .LBB39_246
.LBB39_245:                             ;   in Loop: Header=BB39_32 Depth=1
	v_cvt_f32_u32_e32 v4, s50
	s_sub_co_i32 s7, 0, s50
	s_delay_alu instid0(VALU_DEP_1) | instskip(NEXT) | instid1(TRANS32_DEP_1)
	v_rcp_iflag_f32_e32 v4, v4
	v_mul_f32_e32 v4, 0x4f7ffffe, v4
	s_delay_alu instid0(VALU_DEP_1) | instskip(NEXT) | instid1(VALU_DEP_1)
	v_cvt_u32_f32_e32 v4, v4
	v_readfirstlane_b32 s6, v4
	s_wait_alu 0xfffe
	s_mul_i32 s7, s7, s6
	s_wait_alu 0xfffe
	s_mul_hi_u32 s7, s6, s7
	s_wait_alu 0xfffe
	s_add_co_i32 s6, s6, s7
	s_wait_alu 0xfffe
	s_mul_hi_u32 s6, s62, s6
	s_wait_alu 0xfffe
	s_mul_i32 s6, s6, s50
	s_wait_alu 0xfffe
	s_sub_co_i32 s6, s62, s6
	s_wait_alu 0xfffe
	s_sub_co_i32 s7, s6, s50
	s_cmp_ge_u32 s6, s50
	s_wait_alu 0xfffe
	s_cselect_b32 s6, s7, s6
	s_wait_alu 0xfffe
	s_sub_co_i32 s7, s6, s50
	s_cmp_ge_u32 s6, s50
	s_wait_alu 0xfffe
	s_cselect_b32 s52, s7, s6
	s_wait_alu 0xfffe
	s_mov_b64 s[6:7], s[52:53]
.LBB39_246:                             ;   in Loop: Header=BB39_32 Depth=1
	s_wait_alu 0xfffe
	s_sub_nc_u64 s[12:13], s[62:63], s[6:7]
	s_mov_b32 s7, 0
	s_mov_b32 s74, 0
	s_mov_b32 s52, exec_lo
                                        ; implicit-def: $vgpr53
	s_wait_alu 0xfffe
	v_cmpx_gt_i64_e64 s[12:13], v[0:1]
	s_cbranch_execz .LBB39_257
; %bb.247:                              ;   in Loop: Header=BB39_32 Depth=1
	v_dual_mov_b32 v4, v12 :: v_dual_mov_b32 v5, v13
	v_dual_mov_b32 v9, v1 :: v_dual_mov_b32 v8, v0
                                        ; implicit-def: $sgpr75
	s_branch .LBB39_250
.LBB39_248:                             ;   in Loop: Header=BB39_250 Depth=2
	s_wait_alu 0xfffe
	s_or_b32 exec_lo, exec_lo, s6
	s_wait_loadcnt_dscnt 0x0
	s_barrier_signal -1
	s_barrier_wait -1
	global_inv scope:SCOPE_SE
	ds_load_b32 v10, v3 offset:3072
	s_mov_b32 s6, -1
	s_mov_b32 s76, -1
	s_wait_loadcnt_dscnt 0x0
	s_barrier_signal -1
	s_barrier_wait -1
	global_inv scope:SCOPE_SE
	v_and_b32_e32 v11, 0xffff, v10
	s_delay_alu instid0(VALU_DEP_1)
	v_cmp_ne_u32_e32 vcc_lo, 0, v11
	s_cbranch_vccz .LBB39_253
.LBB39_249:                             ;   in Loop: Header=BB39_250 Depth=2
	s_wait_alu 0xfffe
	s_and_b32 s6, exec_lo, s6
	s_wait_alu 0xfffe
	s_or_b32 s74, s6, s74
	s_and_not1_b32 s6, s75, exec_lo
	s_and_b32 s75, s76, exec_lo
	s_wait_alu 0xfffe
	s_or_b32 s75, s6, s75
	s_and_not1_b32 exec_lo, exec_lo, s74
	s_cbranch_execz .LBB39_256
.LBB39_250:                             ;   Parent Loop BB39_32 Depth=1
                                        ; =>  This Inner Loop Header: Depth=2
	s_mov_b32 s6, exec_lo
	s_delay_alu instid0(VALU_DEP_1)
	v_cmpx_gt_i64_e64 s[36:37], v[8:9]
	s_cbranch_execz .LBB39_248
; %bb.251:                              ;   in Loop: Header=BB39_250 Depth=2
	global_load_u16 v10, v[4:5], off
	s_wait_loadcnt 0x0
	v_bfe_i32 v11, v10, 0, 16
	s_delay_alu instid0(VALU_DEP_1) | instskip(NEXT) | instid1(VALU_DEP_1)
	v_add_nc_u32_e32 v11, 0x8000, v11
	v_and_b32_e32 v11, v11, v52
	s_delay_alu instid0(VALU_DEP_1)
	v_cmp_eq_u32_e32 vcc_lo, v11, v48
	s_and_b32 exec_lo, exec_lo, vcc_lo
	s_cbranch_execz .LBB39_248
; %bb.252:                              ;   in Loop: Header=BB39_250 Depth=2
	v_perm_b32 v10, v10, 1, 0x5040100
	ds_store_b32 v3, v10 offset:3072
	s_branch .LBB39_248
.LBB39_253:                             ;   in Loop: Header=BB39_250 Depth=2
	v_add_co_u32 v8, vcc_lo, v8, s50
	s_wait_alu 0xfffd
	v_add_co_ci_u32_e64 v9, null, 0, v9, vcc_lo
	v_add_co_u32 v4, s6, v4, s58
	s_wait_alu 0xf1fe
	v_add_co_ci_u32_e64 v5, null, s59, v5, s6
	s_delay_alu instid0(VALU_DEP_3)
	v_cmp_le_i64_e32 vcc_lo, s[12:13], v[8:9]
	s_mov_b32 s76, 0
	s_or_not1_b32 s6, vcc_lo, exec_lo
	s_branch .LBB39_249
.LBB39_254:                             ;   in Loop: Header=BB39_32 Depth=1
                                        ; implicit-def: $sgpr6_sgpr7
	s_branch .LBB39_200
.LBB39_255:                             ;   in Loop: Header=BB39_32 Depth=1
                                        ; implicit-def: $sgpr14_sgpr15
	s_branch .LBB39_216
.LBB39_256:                             ;   in Loop: Header=BB39_32 Depth=1
	s_or_b32 exec_lo, exec_lo, s74
	v_lshrrev_b32_e32 v53, 16, v10
	s_wait_alu 0xfffe
	s_and_b32 s74, s75, exec_lo
.LBB39_257:                             ;   in Loop: Header=BB39_32 Depth=1
	s_or_b32 exec_lo, exec_lo, s52
.LBB39_258:                             ;   in Loop: Header=BB39_32 Depth=1
	s_delay_alu instid0(SALU_CYCLE_1)
	s_and_b32 vcc_lo, exec_lo, s7
	s_wait_alu 0xfffe
	s_cbranch_vccz .LBB39_272
; %bb.259:                              ;   in Loop: Header=BB39_32 Depth=1
	s_add_nc_u64 s[6:7], s[10:11], s[60:61]
	s_mov_b32 s12, s53
	s_wait_alu 0xfffe
	s_mov_b32 s13, s7
	s_wait_alu 0xfffe
	s_cmp_lg_u64 s[12:13], 0
	s_cbranch_scc0 .LBB39_293
; %bb.260:                              ;   in Loop: Header=BB39_32 Depth=1
	s_add_nc_u64 s[12:13], s[50:51], 0
	s_wait_alu 0xfffe
	s_xor_b64 s[12:13], s[12:13], 0
	s_wait_alu 0xfffe
	s_cvt_f32_u32 s52, s12
	s_cvt_f32_u32 s72, s13
	s_sub_nc_u64 s[76:77], 0, s[12:13]
	s_wait_alu 0xfffe
	s_delay_alu instid0(SALU_CYCLE_1) | instskip(SKIP_1) | instid1(SALU_CYCLE_2)
	s_fmamk_f32 s52, s72, 0x4f800000, s52
	s_wait_alu 0xfffe
	v_s_rcp_f32 s52, s52
	s_delay_alu instid0(TRANS32_DEP_1) | instskip(SKIP_1) | instid1(SALU_CYCLE_2)
	s_mul_f32 s52, s52, 0x5f7ffffc
	s_wait_alu 0xfffe
	s_mul_f32 s72, s52, 0x2f800000
	s_wait_alu 0xfffe
	s_delay_alu instid0(SALU_CYCLE_2) | instskip(SKIP_1) | instid1(SALU_CYCLE_2)
	s_trunc_f32 s72, s72
	s_wait_alu 0xfffe
	s_fmamk_f32 s52, s72, 0xcf800000, s52
	s_cvt_u32_f32 s73, s72
	s_wait_alu 0xfffe
	s_delay_alu instid0(SALU_CYCLE_1) | instskip(SKIP_1) | instid1(SALU_CYCLE_2)
	s_cvt_u32_f32 s72, s52
	s_wait_alu 0xfffe
	s_mul_u64 s[78:79], s[76:77], s[72:73]
	s_wait_alu 0xfffe
	s_mul_hi_u32 s81, s72, s79
	s_mul_i32 s80, s72, s79
	s_mul_hi_u32 s52, s72, s78
	s_mul_i32 s82, s73, s78
	s_wait_alu 0xfffe
	s_add_nc_u64 s[80:81], s[52:53], s[80:81]
	s_mul_hi_u32 s75, s73, s78
	s_mul_hi_u32 s83, s73, s79
	s_wait_alu 0xfffe
	s_add_co_u32 s52, s80, s82
	s_add_co_ci_u32 s52, s81, s75
	s_mul_i32 s78, s73, s79
	s_add_co_ci_u32 s79, s83, 0
	s_wait_alu 0xfffe
	s_add_nc_u64 s[78:79], s[52:53], s[78:79]
	s_wait_alu 0xfffe
	s_add_co_u32 s72, s72, s78
	s_cselect_b32 s52, -1, 0
	s_wait_alu 0xfffe
	s_cmp_lg_u32 s52, 0
	s_add_co_ci_u32 s73, s73, s79
	s_wait_alu 0xfffe
	s_mul_u64 s[76:77], s[76:77], s[72:73]
	s_wait_alu 0xfffe
	s_mul_hi_u32 s79, s72, s77
	s_mul_i32 s78, s72, s77
	s_mul_hi_u32 s52, s72, s76
	s_mul_i32 s80, s73, s76
	s_wait_alu 0xfffe
	s_add_nc_u64 s[78:79], s[52:53], s[78:79]
	s_mul_hi_u32 s75, s73, s76
	s_mul_hi_u32 s81, s73, s77
	s_wait_alu 0xfffe
	s_add_co_u32 s52, s78, s80
	s_add_co_ci_u32 s52, s79, s75
	s_mul_i32 s76, s73, s77
	s_add_co_ci_u32 s77, s81, 0
	s_wait_alu 0xfffe
	s_add_nc_u64 s[76:77], s[52:53], s[76:77]
	s_wait_alu 0xfffe
	s_add_co_u32 s75, s72, s76
	s_cselect_b32 s52, -1, 0
	s_wait_alu 0xfffe
	s_cmp_lg_u32 s52, 0
	s_add_co_ci_u32 s80, s73, s77
	s_ashr_i32 s72, s7, 31
	s_wait_alu 0xfffe
	s_mov_b32 s73, s72
	s_wait_alu 0xfffe
	s_add_nc_u64 s[76:77], s[6:7], s[72:73]
	s_wait_alu 0xfffe
	s_xor_b64 s[76:77], s[76:77], s[72:73]
	s_wait_alu 0xfffe
	s_mul_hi_u32 s79, s76, s80
	s_mul_i32 s78, s76, s80
	s_mul_hi_u32 s52, s76, s75
	s_mul_hi_u32 s82, s77, s75
	s_mul_i32 s75, s77, s75
	s_wait_alu 0xfffe
	s_add_nc_u64 s[78:79], s[52:53], s[78:79]
	s_mul_hi_u32 s81, s77, s80
	s_wait_alu 0xfffe
	s_add_co_u32 s52, s78, s75
	s_add_co_ci_u32 s52, s79, s82
	s_mul_i32 s80, s77, s80
	s_add_co_ci_u32 s81, s81, 0
	s_wait_alu 0xfffe
	s_add_nc_u64 s[78:79], s[52:53], s[80:81]
	s_wait_alu 0xfffe
	s_mul_u64 s[78:79], s[12:13], s[78:79]
	s_wait_alu 0xfffe
	s_sub_co_u32 s52, s76, s78
	s_cselect_b32 s75, -1, 0
	s_sub_co_i32 s76, s77, s79
	s_wait_alu 0xfffe
	s_cmp_lg_u32 s75, 0
	s_sub_co_ci_u32 s76, s76, s13
	s_sub_co_u32 s78, s52, s12
	s_cselect_b32 s80, -1, 0
	s_wait_alu 0xfffe
	s_cmp_lg_u32 s80, 0
	s_sub_co_ci_u32 s81, s76, 0
	s_wait_alu 0xfffe
	s_cmp_ge_u32 s81, s13
	s_cselect_b32 s82, -1, 0
	s_cmp_ge_u32 s78, s12
	s_cselect_b32 s83, -1, 0
	s_cmp_eq_u32 s81, s13
	s_wait_alu 0xfffe
	s_cselect_b32 s82, s83, s82
	s_cmp_lg_u32 s80, 0
	s_sub_co_ci_u32 s76, s76, s13
	s_sub_co_u32 s80, s78, s12
	s_cselect_b32 s83, -1, 0
	s_wait_alu 0xfffe
	s_cmp_lg_u32 s83, 0
	s_sub_co_ci_u32 s76, s76, 0
	s_cmp_lg_u32 s82, 0
	s_cselect_b32 s78, s80, s78
	s_wait_alu 0xfffe
	s_cselect_b32 s76, s76, s81
	s_cmp_lg_u32 s75, 0
	s_sub_co_ci_u32 s75, s77, s79
	s_wait_alu 0xfffe
	s_cmp_ge_u32 s75, s13
	s_cselect_b32 s77, -1, 0
	s_cmp_ge_u32 s52, s12
	s_cselect_b32 s12, -1, 0
	s_cmp_eq_u32 s75, s13
	s_wait_alu 0xfffe
	s_cselect_b32 s12, s12, s77
	s_wait_alu 0xfffe
	s_cmp_lg_u32 s12, 0
	s_cselect_b32 s13, s76, s75
	s_cselect_b32 s12, s78, s52
	s_wait_alu 0xfffe
	s_xor_b64 s[12:13], s[12:13], s[72:73]
	s_wait_alu 0xfffe
	s_sub_nc_u64 s[12:13], s[12:13], s[72:73]
	s_cbranch_execnz .LBB39_262
.LBB39_261:                             ;   in Loop: Header=BB39_32 Depth=1
	v_cvt_f32_u32_e32 v4, s50
	s_sub_co_i32 s13, 0, s50
	s_delay_alu instid0(VALU_DEP_1) | instskip(NEXT) | instid1(TRANS32_DEP_1)
	v_rcp_iflag_f32_e32 v4, v4
	v_mul_f32_e32 v4, 0x4f7ffffe, v4
	s_delay_alu instid0(VALU_DEP_1) | instskip(NEXT) | instid1(VALU_DEP_1)
	v_cvt_u32_f32_e32 v4, v4
	v_readfirstlane_b32 s12, v4
	s_wait_alu 0xfffe
	s_mul_i32 s13, s13, s12
	s_wait_alu 0xfffe
	s_mul_hi_u32 s13, s12, s13
	s_wait_alu 0xfffe
	s_add_co_i32 s12, s12, s13
	s_wait_alu 0xfffe
	s_mul_hi_u32 s12, s6, s12
	s_wait_alu 0xfffe
	s_mul_i32 s12, s12, s50
	s_wait_alu 0xfffe
	s_sub_co_i32 s12, s6, s12
	s_wait_alu 0xfffe
	s_sub_co_i32 s13, s12, s50
	s_cmp_ge_u32 s12, s50
	s_wait_alu 0xfffe
	s_cselect_b32 s12, s13, s12
	s_wait_alu 0xfffe
	s_sub_co_i32 s13, s12, s50
	s_cmp_ge_u32 s12, s50
	s_wait_alu 0xfffe
	s_cselect_b32 s52, s13, s12
	s_wait_alu 0xfffe
	s_mov_b64 s[12:13], s[52:53]
.LBB39_262:                             ;   in Loop: Header=BB39_32 Depth=1
	s_wait_alu 0xfffe
	s_sub_nc_u64 s[6:7], s[6:7], s[12:13]
	s_mov_b32 s12, exec_lo
                                        ; implicit-def: $vgpr53
	s_wait_alu 0xfffe
	v_cmpx_gt_i64_e64 s[6:7], v[0:1]
	s_cbranch_execz .LBB39_271
; %bb.263:                              ;   in Loop: Header=BB39_32 Depth=1
	v_dual_mov_b32 v8, v42 :: v_dual_mov_b32 v5, v1
	v_mov_b32_e32 v4, v0
	s_mov_b32 s13, 0
                                        ; implicit-def: $sgpr52
	s_branch .LBB39_266
.LBB39_264:                             ;   in Loop: Header=BB39_266 Depth=2
	s_wait_alu 0xfffe
	s_or_b32 exec_lo, exec_lo, s72
	s_wait_loadcnt_dscnt 0x0
	s_barrier_signal -1
	s_barrier_wait -1
	global_inv scope:SCOPE_SE
	ds_load_b32 v9, v3 offset:3072
	s_mov_b32 s72, -1
	s_mov_b32 s73, -1
	s_wait_loadcnt_dscnt 0x0
	s_barrier_signal -1
	s_barrier_wait -1
	global_inv scope:SCOPE_SE
	v_and_b32_e32 v10, 0xffff, v9
	s_delay_alu instid0(VALU_DEP_1)
	v_cmp_eq_u32_e32 vcc_lo, 0, v10
	s_cbranch_vccnz .LBB39_269
.LBB39_265:                             ;   in Loop: Header=BB39_266 Depth=2
	s_wait_alu 0xfffe
	s_and_b32 s72, exec_lo, s72
	s_wait_alu 0xfffe
	s_or_b32 s13, s72, s13
	s_and_not1_b32 s52, s52, exec_lo
	s_and_b32 s72, s73, exec_lo
	s_wait_alu 0xfffe
	s_or_b32 s52, s52, s72
	s_and_not1_b32 exec_lo, exec_lo, s13
	s_cbranch_execz .LBB39_270
.LBB39_266:                             ;   Parent Loop BB39_32 Depth=1
                                        ; =>  This Inner Loop Header: Depth=2
	s_mov_b32 s72, exec_lo
	s_delay_alu instid0(VALU_DEP_1)
	v_cmpx_gt_u64_e64 s[10:11], v[4:5]
	s_cbranch_execz .LBB39_264
; %bb.267:                              ;   in Loop: Header=BB39_266 Depth=2
	ds_load_u16 v9, v8
	s_wait_dscnt 0x0
	v_bfe_i32 v10, v9, 0, 16
	s_delay_alu instid0(VALU_DEP_1) | instskip(NEXT) | instid1(VALU_DEP_1)
	v_add_nc_u32_e32 v10, 0x8000, v10
	v_and_b32_e32 v10, v10, v52
	s_delay_alu instid0(VALU_DEP_1)
	v_cmp_eq_u32_e32 vcc_lo, v10, v48
	s_and_b32 exec_lo, exec_lo, vcc_lo
	s_cbranch_execz .LBB39_264
; %bb.268:                              ;   in Loop: Header=BB39_266 Depth=2
	v_perm_b32 v9, v9, 1, 0x5040100
	ds_store_b32 v3, v9 offset:3072
	s_branch .LBB39_264
.LBB39_269:                             ;   in Loop: Header=BB39_266 Depth=2
	v_add_co_u32 v4, vcc_lo, v4, s50
	s_wait_alu 0xfffd
	v_add_co_ci_u32_e64 v5, null, 0, v5, vcc_lo
	v_add_nc_u32_e32 v8, s94, v8
	s_mov_b32 s73, 0
	s_delay_alu instid0(VALU_DEP_2)
	v_cmp_le_i64_e32 vcc_lo, s[6:7], v[4:5]
	s_or_not1_b32 s72, vcc_lo, exec_lo
	s_branch .LBB39_265
.LBB39_270:                             ;   in Loop: Header=BB39_32 Depth=1
	s_or_b32 exec_lo, exec_lo, s13
	v_lshrrev_b32_e32 v53, 16, v9
	s_and_not1_b32 s6, s74, exec_lo
	s_wait_alu 0xfffe
	s_and_b32 s7, s52, exec_lo
	s_wait_alu 0xfffe
	s_or_b32 s74, s6, s7
.LBB39_271:                             ;   in Loop: Header=BB39_32 Depth=1
	s_or_b32 exec_lo, exec_lo, s12
	s_mov_b32 s72, 0
	s_mov_b32 s73, -1
.LBB39_272:                             ;   in Loop: Header=BB39_32 Depth=1
	s_wait_alu 0xfffe
	s_or_not1_b32 s7, s74, exec_lo
.LBB39_273:                             ;   in Loop: Header=BB39_32 Depth=1
	s_wait_alu 0xfffe
	s_or_b32 exec_lo, exec_lo, s71
	s_mov_b32 s10, 0
	s_and_saveexec_b32 s6, s7
	s_cbranch_execz .LBB39_284
; %bb.274:                              ;   in Loop: Header=BB39_32 Depth=1
	v_mov_b32_e32 v4, 1
	v_dual_mov_b32 v5, 0 :: v_dual_mov_b32 v2, 1
	s_xor_b32 s10, s20, -1
	s_wait_alu 0xfffe
	s_and_saveexec_b32 s7, s10
	s_cbranch_execz .LBB39_283
; %bb.275:                              ;   in Loop: Header=BB39_32 Depth=1
	s_mov_b32 s10, exec_lo
	v_cmpx_ge_i64_e64 s[8:9], v[6:7]
	s_wait_alu 0xfffe
	s_xor_b32 s10, exec_lo, s10
	s_cbranch_execz .LBB39_280
; %bb.276:                              ;   in Loop: Header=BB39_32 Depth=1
	ds_load_b64 v[4:5], v3 offset:5120
	v_or_b32_e32 v48, s16, v48
	v_or_b32_e32 v52, s16, v52
	s_wait_dscnt 0x0
	v_cmp_ne_u64_e32 vcc_lo, 0, v[4:5]
	s_cbranch_vccnz .LBB39_280
; %bb.277:                              ;   in Loop: Header=BB39_32 Depth=1
	s_and_saveexec_b32 s11, s2
; %bb.278:                              ;   in Loop: Header=BB39_32 Depth=1
	v_dual_mov_b32 v4, s8 :: v_dual_mov_b32 v5, s9
	ds_store_b64 v3, v[4:5] offset:5128
; %bb.279:                              ;   in Loop: Header=BB39_32 Depth=1
	s_wait_alu 0xfffe
	s_or_b32 exec_lo, exec_lo, s11
	s_wait_loadcnt_dscnt 0x0
	s_barrier_signal -1
	s_barrier_wait -1
	global_inv scope:SCOPE_SE
.LBB39_280:                             ;   in Loop: Header=BB39_32 Depth=1
	s_wait_alu 0xfffe
	s_and_not1_saveexec_b32 s10, s10
; %bb.281:                              ;   in Loop: Header=BB39_32 Depth=1
	v_sub_co_u32 v6, vcc_lo, v6, s8
	s_wait_alu 0xfffd
	v_subrev_co_ci_u32_e64 v7, null, s9, v7, vcc_lo
; %bb.282:                              ;   in Loop: Header=BB39_32 Depth=1
	s_wait_alu 0xfffe
	s_or_b32 exec_lo, exec_lo, s10
	v_mov_b32_e32 v4, v6
	s_delay_alu instid0(VALU_DEP_2)
	v_dual_mov_b32 v2, 8 :: v_dual_mov_b32 v5, v7
.LBB39_283:                             ;   in Loop: Header=BB39_32 Depth=1
	s_wait_alu 0xfffe
	s_or_b32 exec_lo, exec_lo, s7
	s_delay_alu instid0(VALU_DEP_1)
	v_dual_mov_b32 v7, v5 :: v_dual_mov_b32 v6, v4
	s_mov_b32 s10, exec_lo
.LBB39_284:                             ;   in Loop: Header=BB39_32 Depth=1
	s_wait_alu 0xfffe
	s_or_b32 exec_lo, exec_lo, s6
	s_delay_alu instid0(SALU_CYCLE_1)
	s_or_not1_b32 s6, s10, exec_lo
.LBB39_285:                             ;   in Loop: Header=BB39_32 Depth=1
	s_wait_alu 0xfffe
	s_or_b32 exec_lo, exec_lo, s15
	v_dual_mov_b32 v4, v6 :: v_dual_mov_b32 v5, v7
	s_and_not1_b32 s7, s70, exec_lo
	s_and_b32 s8, s73, exec_lo
	s_and_not1_b32 s9, s25, exec_lo
	s_and_b32 s10, s72, exec_lo
	s_wait_alu 0xfffe
	s_or_b32 s70, s7, s8
	s_or_b32 s25, s9, s10
	s_and_b32 s7, s6, exec_lo
.LBB39_286:                             ;   in Loop: Header=BB39_32 Depth=1
	s_wait_alu 0xfffe
	s_or_b32 exec_lo, exec_lo, s14
	s_delay_alu instid0(SALU_CYCLE_1)
	s_or_not1_b32 s6, s7, exec_lo
.LBB39_287:                             ;   in Loop: Header=BB39_32 Depth=1
	s_wait_alu 0xfffe
	s_or_b32 exec_lo, exec_lo, s24
	v_dual_mov_b32 v9, v5 :: v_dual_mov_b32 v8, v4
	s_and_not1_b32 s7, s22, exec_lo
	s_and_b32 s8, s70, exec_lo
	s_and_not1_b32 s9, s21, exec_lo
	s_and_b32 s10, s25, exec_lo
	s_wait_alu 0xfffe
	s_or_b32 s22, s7, s8
	s_or_b32 s21, s9, s10
	s_and_b32 s7, s6, exec_lo
.LBB39_288:                             ;   in Loop: Header=BB39_32 Depth=1
	s_or_b32 exec_lo, exec_lo, s23
	s_wait_alu 0xfffe
	s_or_not1_b32 s6, s7, exec_lo
.LBB39_289:                             ;   in Loop: Header=BB39_32 Depth=1
	s_or_b32 exec_lo, exec_lo, s19
	s_mov_b32 s7, 0
	s_wait_alu 0xfffe
	s_and_saveexec_b32 s8, s6
	s_wait_alu 0xfffe
	s_xor_b32 s6, exec_lo, s8
	s_cbranch_execz .LBB39_30
; %bb.290:                              ;   in Loop: Header=BB39_32 Depth=1
	v_and_b32_e32 v2, 7, v2
	s_mov_b32 s8, -1
	s_mov_b32 s7, -1
	s_mov_b32 s9, exec_lo
	s_delay_alu instid0(VALU_DEP_1)
	v_cmpx_eq_u32_e32 0, v2
	s_cbranch_execz .LBB39_29
; %bb.291:                              ;   in Loop: Header=BB39_32 Depth=1
	s_xor_b32 s97, s97, 1
	s_add_co_i32 s10, s95, -2
	s_cmp_eq_u32 s95, 0
	s_wait_alu 0xfffe
	s_mov_b32 s95, s10
	s_cselect_b32 s8, -1, 0
	s_xor_b32 s7, exec_lo, -1
	s_wait_alu 0xfffe
	s_or_not1_b32 s8, s8, exec_lo
	s_branch .LBB39_29
.LBB39_292:                             ;   in Loop: Header=BB39_32 Depth=1
                                        ; implicit-def: $sgpr6_sgpr7
	s_branch .LBB39_245
.LBB39_293:                             ;   in Loop: Header=BB39_32 Depth=1
                                        ; implicit-def: $sgpr12_sgpr13
	s_branch .LBB39_261
.LBB39_294:
	s_or_b32 exec_lo, exec_lo, s96
	s_xor_b32 s5, s103, -1
	s_xor_b32 s1, s101, -1
	s_xor_b32 s4, s98, -1
	s_mov_b32 s3, 0
	s_and_saveexec_b32 s6, s1
	s_wait_alu 0xfffe
	s_xor_b32 s1, exec_lo, s6
	s_cbranch_execnz .LBB39_299
; %bb.295:
	s_and_not1_saveexec_b32 s0, s1
	s_cbranch_execnz .LBB39_321
.LBB39_296:
	s_wait_alu 0xfffe
	s_or_b32 exec_lo, exec_lo, s0
	s_and_saveexec_b32 s0, s3
.LBB39_297:
	; divergent unreachable
.LBB39_298:
	s_endpgm
.LBB39_299:
	s_and_saveexec_b32 s3, s5
	s_wait_alu 0xfffe
	s_xor_b32 s3, exec_lo, s3
	s_cbranch_execz .LBB39_319
; %bb.300:
	s_and_saveexec_b32 s5, s4
	s_wait_alu 0xfffe
	s_xor_b32 s4, exec_lo, s5
; %bb.301:
	v_xor_b32_e32 v53, 0xffff8000, v48
; %bb.302:
	s_wait_alu 0xfffe
	s_or_b32 exec_lo, exec_lo, s4
	s_and_saveexec_b32 s4, s2
; %bb.303:
	v_dual_mov_b32 v2, 0 :: v_dual_mov_b32 v3, s36
	ds_store_b32 v2, v3 offset:5140
; %bb.304:
	s_wait_alu 0xfffe
	s_or_b32 exec_lo, exec_lo, s4
	s_wait_loadcnt_dscnt 0x0
	s_barrier_signal -1
	s_barrier_wait -1
	global_inv scope:SCOPE_SE
	s_and_saveexec_b32 s4, s0
	s_cbranch_execz .LBB39_316
; %bb.305:
	v_mov_b32_e32 v2, 0
	s_mov_b32 s5, 0
                                        ; implicit-def: $sgpr6
                                        ; implicit-def: $sgpr7
                                        ; implicit-def: $sgpr8
	ds_load_b32 v4, v2 offset:5140
	s_wait_dscnt 0x0
	v_ashrrev_i32_e32 v5, 31, v4
	s_branch .LBB39_308
.LBB39_306:                             ;   in Loop: Header=BB39_308 Depth=1
	s_wait_alu 0xfffe
	s_or_b32 exec_lo, exec_lo, s11
	s_delay_alu instid0(SALU_CYCLE_1)
	s_and_not1_b32 s8, s8, exec_lo
	s_and_b32 s10, s10, exec_lo
	s_and_not1_b32 s7, s7, exec_lo
	s_and_b32 s0, s0, exec_lo
	s_wait_alu 0xfffe
	s_or_b32 s8, s8, s10
	s_or_b32 s7, s7, s0
.LBB39_307:                             ;   in Loop: Header=BB39_308 Depth=1
	s_wait_alu 0xfffe
	s_or_b32 exec_lo, exec_lo, s9
	s_delay_alu instid0(SALU_CYCLE_1)
	s_and_b32 s0, exec_lo, s7
	s_wait_alu 0xfffe
	s_or_b32 s5, s0, s5
	s_and_not1_b32 s0, s6, exec_lo
	s_and_b32 s6, s8, exec_lo
	s_wait_alu 0xfffe
	s_or_b32 s6, s0, s6
	s_and_not1_b32 exec_lo, exec_lo, s5
	s_cbranch_execz .LBB39_311
.LBB39_308:                             ; =>This Inner Loop Header: Depth=1
	v_dual_mov_b32 v3, v1 :: v_dual_mov_b32 v2, v0
	s_or_b32 s8, s8, exec_lo
	s_or_b32 s7, s7, exec_lo
	s_mov_b32 s9, exec_lo
                                        ; implicit-def: $vgpr0_vgpr1
	s_delay_alu instid0(VALU_DEP_1)
	v_cmpx_lt_i64_e64 v[2:3], v[4:5]
	s_cbranch_execz .LBB39_307
; %bb.309:                              ;   in Loop: Header=BB39_308 Depth=1
	global_load_u16 v0, v[12:13], off
	s_mov_b32 s0, -1
	s_mov_b32 s10, 0
	s_wait_loadcnt 0x0
	v_cmp_ne_u16_e32 vcc_lo, v0, v53
                                        ; implicit-def: $vgpr0_vgpr1
	s_and_saveexec_b32 s11, vcc_lo
	s_cbranch_execz .LBB39_306
; %bb.310:                              ;   in Loop: Header=BB39_308 Depth=1
	v_add_co_u32 v0, vcc_lo, v2, s50
	s_wait_alu 0xfffd
	v_add_co_ci_u32_e64 v1, null, 0, v3, vcc_lo
	v_add_co_u32 v12, s0, v12, s58
	s_wait_alu 0xf1fe
	v_add_co_ci_u32_e64 v13, null, s59, v13, s0
	s_delay_alu instid0(VALU_DEP_3)
	v_cmp_le_i64_e32 vcc_lo, s[36:37], v[0:1]
	s_mov_b32 s10, exec_lo
	s_or_not1_b32 s0, vcc_lo, exec_lo
	s_branch .LBB39_306
.LBB39_311:
	s_or_b32 exec_lo, exec_lo, s5
	s_wait_alu 0xfffe
	s_xor_b32 s0, s6, -1
	s_wait_alu 0xfffe
	s_and_saveexec_b32 s5, s0
	s_wait_alu 0xfffe
	s_xor_b32 s5, exec_lo, s5
	s_cbranch_execz .LBB39_316
; %bb.312:
	s_mov_b32 s5, exec_lo
	s_brev_b32 s0, -2
.LBB39_313:                             ; =>This Inner Loop Header: Depth=1
	s_wait_alu 0xfffe
	s_ctz_i32_b32 s6, s5
	s_wait_alu 0xfffe
	v_readlane_b32 s7, v2, s6
	s_lshl_b32 s6, 1, s6
	s_wait_alu 0xfffe
	s_and_not1_b32 s5, s5, s6
	s_min_i32 s0, s0, s7
	s_wait_alu 0xfffe
	s_cmp_lg_u32 s5, 0
	s_cbranch_scc1 .LBB39_313
; %bb.314:
	v_mbcnt_lo_u32_b32 v0, exec_lo, 0
	s_mov_b32 s5, exec_lo
	s_delay_alu instid0(VALU_DEP_1)
	v_cmpx_eq_u32_e32 0, v0
	s_wait_alu 0xfffe
	s_xor_b32 s5, exec_lo, s5
; %bb.315:
	v_dual_mov_b32 v0, 0 :: v_dual_mov_b32 v1, s0
	ds_min_i32 v0, v1 offset:5140
.LBB39_316:
	s_wait_alu 0xfffe
	s_or_b32 exec_lo, exec_lo, s4
	s_wait_loadcnt_dscnt 0x0
	s_barrier_signal -1
	s_barrier_wait -1
	global_inv scope:SCOPE_SE
	s_and_saveexec_b32 s0, s2
	s_cbranch_execz .LBB39_318
; %bb.317:
	v_mov_b32_e32 v2, 0
	s_mul_u64 s[6:7], s[48:49], s[34:35]
	s_mul_u64 s[4:5], s[40:41], s[28:29]
	s_wait_alu 0xfffe
	s_lshl_b64 s[6:7], s[6:7], 3
	s_lshl_b64 s[4:5], s[4:5], 1
	ds_load_b32 v0, v2 offset:5140
	s_lshl_b64 s[10:11], s[30:31], 3
	s_wait_alu 0xfffe
	s_add_nc_u64 s[6:7], s[46:47], s[6:7]
	s_lshl_b64 s[8:9], s[26:27], 1
	s_add_nc_u64 s[4:5], s[44:45], s[4:5]
	s_wait_alu 0xfffe
	s_add_nc_u64 s[6:7], s[6:7], s[10:11]
	s_add_nc_u64 s[4:5], s[4:5], s[8:9]
	s_wait_dscnt 0x0
	v_ashrrev_i32_e32 v1, 31, v0
	s_clause 0x1
	global_store_b64 v2, v[0:1], s[6:7]
	global_store_b16 v2, v53, s[4:5]
.LBB39_318:
	s_wait_alu 0xfffe
	s_or_b32 exec_lo, exec_lo, s0
.LBB39_319:
	s_wait_alu 0xfffe
	s_or_saveexec_b32 s0, s3
	s_mov_b32 s2, 0
	s_wait_alu 0xfffe
	s_xor_b32 exec_lo, exec_lo, s0
	s_cbranch_execnz .LBB39_322
.LBB39_320:
	s_or_b32 exec_lo, exec_lo, s0
	s_wait_alu 0xfffe
	s_and_b32 s3, s2, exec_lo
	s_and_not1_saveexec_b32 s0, s1
	s_cbranch_execz .LBB39_296
.LBB39_321:
	s_wait_alu 0xfffe
	s_or_b32 s3, s3, exec_lo
	s_trap 2
	s_or_b32 exec_lo, exec_lo, s0
	s_wait_alu 0xfffe
	s_and_saveexec_b32 s0, s3
	s_cbranch_execnz .LBB39_297
	s_branch .LBB39_298
.LBB39_322:
	s_mov_b32 s2, exec_lo
	s_trap 2
	s_branch .LBB39_320
	.section	.rodata,"a",@progbits
	.p2align	6, 0x0
	.amdhsa_kernel _ZN2at6native12_GLOBAL__N_114gatherKthValueIslLin1EEEvNS_4cuda6detail10TensorInfoIKT_T0_EES8_S8_S8_S8_NS5_IS6_S8_EENS5_IlS8_EE
		.amdhsa_group_segment_fixed_size 5144
		.amdhsa_private_segment_fixed_size 0
		.amdhsa_kernarg_size 1536
		.amdhsa_user_sgpr_count 2
		.amdhsa_user_sgpr_dispatch_ptr 0
		.amdhsa_user_sgpr_queue_ptr 0
		.amdhsa_user_sgpr_kernarg_segment_ptr 1
		.amdhsa_user_sgpr_dispatch_id 0
		.amdhsa_user_sgpr_private_segment_size 0
		.amdhsa_wavefront_size32 1
		.amdhsa_uses_dynamic_stack 0
		.amdhsa_enable_private_segment 0
		.amdhsa_system_sgpr_workgroup_id_x 1
		.amdhsa_system_sgpr_workgroup_id_y 1
		.amdhsa_system_sgpr_workgroup_id_z 1
		.amdhsa_system_sgpr_workgroup_info 0
		.amdhsa_system_vgpr_workitem_id 0
		.amdhsa_next_free_vgpr 64
		.amdhsa_next_free_sgpr 104
		.amdhsa_reserve_vcc 1
		.amdhsa_float_round_mode_32 0
		.amdhsa_float_round_mode_16_64 0
		.amdhsa_float_denorm_mode_32 3
		.amdhsa_float_denorm_mode_16_64 3
		.amdhsa_fp16_overflow 0
		.amdhsa_workgroup_processor_mode 1
		.amdhsa_memory_ordered 1
		.amdhsa_forward_progress 1
		.amdhsa_inst_pref_size 174
		.amdhsa_round_robin_scheduling 0
		.amdhsa_exception_fp_ieee_invalid_op 0
		.amdhsa_exception_fp_denorm_src 0
		.amdhsa_exception_fp_ieee_div_zero 0
		.amdhsa_exception_fp_ieee_overflow 0
		.amdhsa_exception_fp_ieee_underflow 0
		.amdhsa_exception_fp_ieee_inexact 0
		.amdhsa_exception_int_div_zero 0
	.end_amdhsa_kernel
	.section	.text._ZN2at6native12_GLOBAL__N_114gatherKthValueIslLin1EEEvNS_4cuda6detail10TensorInfoIKT_T0_EES8_S8_S8_S8_NS5_IS6_S8_EENS5_IlS8_EE,"axG",@progbits,_ZN2at6native12_GLOBAL__N_114gatherKthValueIslLin1EEEvNS_4cuda6detail10TensorInfoIKT_T0_EES8_S8_S8_S8_NS5_IS6_S8_EENS5_IlS8_EE,comdat
.Lfunc_end39:
	.size	_ZN2at6native12_GLOBAL__N_114gatherKthValueIslLin1EEEvNS_4cuda6detail10TensorInfoIKT_T0_EES8_S8_S8_S8_NS5_IS6_S8_EENS5_IlS8_EE, .Lfunc_end39-_ZN2at6native12_GLOBAL__N_114gatherKthValueIslLin1EEEvNS_4cuda6detail10TensorInfoIKT_T0_EES8_S8_S8_S8_NS5_IS6_S8_EENS5_IlS8_EE
                                        ; -- End function
	.set _ZN2at6native12_GLOBAL__N_114gatherKthValueIslLin1EEEvNS_4cuda6detail10TensorInfoIKT_T0_EES8_S8_S8_S8_NS5_IS6_S8_EENS5_IlS8_EE.num_vgpr, 64
	.set _ZN2at6native12_GLOBAL__N_114gatherKthValueIslLin1EEEvNS_4cuda6detail10TensorInfoIKT_T0_EES8_S8_S8_S8_NS5_IS6_S8_EENS5_IlS8_EE.num_agpr, 0
	.set _ZN2at6native12_GLOBAL__N_114gatherKthValueIslLin1EEEvNS_4cuda6detail10TensorInfoIKT_T0_EES8_S8_S8_S8_NS5_IS6_S8_EENS5_IlS8_EE.numbered_sgpr, 104
	.set _ZN2at6native12_GLOBAL__N_114gatherKthValueIslLin1EEEvNS_4cuda6detail10TensorInfoIKT_T0_EES8_S8_S8_S8_NS5_IS6_S8_EENS5_IlS8_EE.num_named_barrier, 0
	.set _ZN2at6native12_GLOBAL__N_114gatherKthValueIslLin1EEEvNS_4cuda6detail10TensorInfoIKT_T0_EES8_S8_S8_S8_NS5_IS6_S8_EENS5_IlS8_EE.private_seg_size, 0
	.set _ZN2at6native12_GLOBAL__N_114gatherKthValueIslLin1EEEvNS_4cuda6detail10TensorInfoIKT_T0_EES8_S8_S8_S8_NS5_IS6_S8_EENS5_IlS8_EE.uses_vcc, 1
	.set _ZN2at6native12_GLOBAL__N_114gatherKthValueIslLin1EEEvNS_4cuda6detail10TensorInfoIKT_T0_EES8_S8_S8_S8_NS5_IS6_S8_EENS5_IlS8_EE.uses_flat_scratch, 0
	.set _ZN2at6native12_GLOBAL__N_114gatherKthValueIslLin1EEEvNS_4cuda6detail10TensorInfoIKT_T0_EES8_S8_S8_S8_NS5_IS6_S8_EENS5_IlS8_EE.has_dyn_sized_stack, 0
	.set _ZN2at6native12_GLOBAL__N_114gatherKthValueIslLin1EEEvNS_4cuda6detail10TensorInfoIKT_T0_EES8_S8_S8_S8_NS5_IS6_S8_EENS5_IlS8_EE.has_recursion, 0
	.set _ZN2at6native12_GLOBAL__N_114gatherKthValueIslLin1EEEvNS_4cuda6detail10TensorInfoIKT_T0_EES8_S8_S8_S8_NS5_IS6_S8_EENS5_IlS8_EE.has_indirect_call, 0
	.section	.AMDGPU.csdata,"",@progbits
; Kernel info:
; codeLenInByte = 22148
; TotalNumSgprs: 106
; NumVgprs: 64
; ScratchSize: 0
; MemoryBound: 0
; FloatMode: 240
; IeeeMode: 1
; LDSByteSize: 5144 bytes/workgroup (compile time only)
; SGPRBlocks: 0
; VGPRBlocks: 7
; NumSGPRsForWavesPerEU: 106
; NumVGPRsForWavesPerEU: 64
; Occupancy: 16
; WaveLimiterHint : 1
; COMPUTE_PGM_RSRC2:SCRATCH_EN: 0
; COMPUTE_PGM_RSRC2:USER_SGPR: 2
; COMPUTE_PGM_RSRC2:TRAP_HANDLER: 0
; COMPUTE_PGM_RSRC2:TGID_X_EN: 1
; COMPUTE_PGM_RSRC2:TGID_Y_EN: 1
; COMPUTE_PGM_RSRC2:TGID_Z_EN: 1
; COMPUTE_PGM_RSRC2:TIDIG_COMP_CNT: 0
	.section	.text._ZN2at6native12_GLOBAL__N_114gatherKthValueIdiLi1EEEvNS_4cuda6detail10TensorInfoIKT_T0_EES8_S8_S8_S8_NS5_IS6_S8_EENS5_IlS8_EE,"axG",@progbits,_ZN2at6native12_GLOBAL__N_114gatherKthValueIdiLi1EEEvNS_4cuda6detail10TensorInfoIKT_T0_EES8_S8_S8_S8_NS5_IS6_S8_EENS5_IlS8_EE,comdat
	.globl	_ZN2at6native12_GLOBAL__N_114gatherKthValueIdiLi1EEEvNS_4cuda6detail10TensorInfoIKT_T0_EES8_S8_S8_S8_NS5_IS6_S8_EENS5_IlS8_EE ; -- Begin function _ZN2at6native12_GLOBAL__N_114gatherKthValueIdiLi1EEEvNS_4cuda6detail10TensorInfoIKT_T0_EES8_S8_S8_S8_NS5_IS6_S8_EENS5_IlS8_EE
	.p2align	8
	.type	_ZN2at6native12_GLOBAL__N_114gatherKthValueIdiLi1EEEvNS_4cuda6detail10TensorInfoIKT_T0_EES8_S8_S8_S8_NS5_IS6_S8_EENS5_IlS8_EE,@function
_ZN2at6native12_GLOBAL__N_114gatherKthValueIdiLi1EEEvNS_4cuda6detail10TensorInfoIKT_T0_EES8_S8_S8_S8_NS5_IS6_S8_EENS5_IlS8_EE: ; @_ZN2at6native12_GLOBAL__N_114gatherKthValueIdiLi1EEEvNS_4cuda6detail10TensorInfoIKT_T0_EES8_S8_S8_S8_NS5_IS6_S8_EENS5_IlS8_EE
; %bb.0:
	s_clause 0x1
	s_load_b64 s[4:5], s[0:1], 0x298
	s_load_b128 s[36:39], s[0:1], 0xd8
	s_lshr_b32 s2, ttmp7, 16
	s_and_b32 s3, ttmp7, 0xffff
	s_wait_kmcnt 0x0
	s_mul_i32 s2, s5, s2
	s_delay_alu instid0(SALU_CYCLE_1) | instskip(NEXT) | instid1(SALU_CYCLE_1)
	s_add_co_i32 s2, s2, s3
	s_mul_i32 s29, s2, s4
	s_delay_alu instid0(SALU_CYCLE_1) | instskip(NEXT) | instid1(SALU_CYCLE_1)
	s_add_co_i32 s29, s29, ttmp9
	s_cmp_ge_i32 s29, s38
	s_cbranch_scc1 .LBB40_242
; %bb.1:
	s_clause 0x1
	s_load_b32 s3, s[0:1], 0x6c
	s_load_b64 s[6:7], s[0:1], 0x0
	v_cmp_eq_u32_e64 s2, 0, v0
	s_add_nc_u64 s[10:11], s[0:1], 0x298
	s_mov_b32 s41, 0
	s_and_saveexec_b32 s5, s2
; %bb.2:
	v_dual_mov_b32 v1, 0 :: v_dual_mov_b32 v2, s36
	s_delay_alu instid0(VALU_DEP_1)
	v_mov_b32_e32 v3, v1
	ds_store_b96 v1, v[1:3] offset:4096
; %bb.3:
	s_or_b32 exec_lo, exec_lo, s5
	s_wait_dscnt 0x0
	s_barrier_signal -1
	s_barrier_wait -1
	global_inv scope:SCOPE_SE
	s_load_b32 s5, s[10:11], 0xc
	v_mbcnt_lo_u32_b32 v27, -1, 0
	s_clause 0x3
	s_load_b32 s33, s[0:1], 0x22c
	s_load_b64 s[30:31], s[0:1], 0x1c0
	s_load_b32 s38, s[0:1], 0x154
	s_load_b64 s[34:35], s[0:1], 0xe8
	v_cmp_gt_u32_e32 vcc_lo, 32, v0
	s_wait_kmcnt 0x0
	s_mul_i32 s8, s3, s29
	v_dual_mov_b32 v13, 0 :: v_dual_lshlrev_b32 v28, 2, v0
	v_cmp_gt_i32_e64 s1, 4, v27
	s_ashr_i32 s9, s8, 31
	v_mul_lo_u32 v11, s39, v0
	s_lshl_b64 s[8:9], s[8:9], 3
	v_dual_mov_b32 v12, v13 :: v_dual_lshlrev_b32 v29, 3, v0
	s_and_b32 s51, vcc_lo, s1
	s_add_nc_u64 s[42:43], s[6:7], s[8:9]
	v_mov_b32_e32 v5, 0
	v_mov_b32_e32 v6, 0
	s_delay_alu instid0(VALU_DEP_4)
	v_lshlrev_b32_e32 v36, 2, v11
	v_cmp_gt_u32_e64 s0, 2, v0
	v_add_nc_u32_e32 v30, 0xc00, v29
	s_and_b32 s50, s5, 0xffff
	s_bfe_u32 s3, s5, 0xb0005
	s_lshl_b32 s52, s50, 2
	s_add_co_i32 s53, s50, -1
	s_cvt_f32_u32 s1, s52
	s_add_co_i32 s62, s53, s36
	s_cmp_gt_i32 s36, 0x180
	s_cvt_f32_u32 s12, s50
	v_rcp_iflag_f32_e32 v1, s1
	s_cselect_b32 s55, -1, 0
	s_cmp_gt_u32 s50, 31
	v_rcp_iflag_f32_e32 v4, s12
	s_cselect_b32 s56, -1, 0
	s_cmp_lt_u32 ttmp9, s4
	v_cmp_gt_u32_e64 s1, s36, v0
	s_cselect_b32 s40, 12, 18
	s_add_co_i32 s4, s3, -1
	s_bfe_u32 s57, s50, 0x30005
	v_readfirstlane_b32 s5, v1
	s_and_b32 s4, s4, 0xffff
	v_lshlrev_b64_e64 v[1:2], v27, -1
	s_cmp_gt_u32 s4, 6
	v_lshlrev_b64_e32 v[2:3], 3, v[11:12]
	s_mul_f32 s4, s5, 0x4f7ffffe
	s_cselect_b32 s58, -1, 0
	s_and_b32 s59, s3, 0x7f8
	s_cmp_lg_u32 s57, 0
	s_cvt_u32_f32 s5, s4
	s_cselect_b32 s60, -1, 0
	s_sub_co_i32 s4, 0, s52
	v_not_b32_e32 v32, v1
	s_mul_i32 s4, s4, s5
	v_add_co_u32 v14, vcc_lo, s42, v2
	s_mul_hi_u32 s13, s5, s4
	v_lshrrev_b32_e32 v2, 1, v0
	s_wait_alu 0xfffe
	s_add_co_i32 s44, s5, s13
	v_add_co_ci_u32_e64 v15, null, s43, v3, vcc_lo
	s_mul_hi_u32 s5, s36, s44
	v_or_b32_e32 v3, 3, v28
	s_mul_i32 s5, s5, s52
	v_cmp_gt_i32_e64 s3, s36, v0
	s_sub_co_i32 s5, s36, s5
	v_cmp_eq_u32_e64 s4, 0, v27
	s_sub_co_i32 s12, s5, s52
	s_cmp_ge_u32 s5, s52
	v_mul_lo_u32 v35, s39, v3
	s_wait_alu 0xfffe
	s_cselect_b32 s5, s12, s5
	v_readfirstlane_b32 s12, v4
	s_sub_co_i32 s13, s5, s52
	s_cmp_ge_u32 s5, s52
	v_mov_b32_e32 v18, 0
	s_wait_alu 0xfffe
	s_cselect_b32 s9, s13, s5
	s_mul_f32 s5, s12, 0x4f7ffffe
	s_sub_co_i32 s61, s36, s9
	s_sub_co_i32 s6, 0, s50
	v_add_nc_u32_e32 v31, s61, v0
	s_cvt_u32_f32 s5, s5
	s_abs_i32 s7, s62
	s_mov_b32 s12, s39
	v_dual_mov_b32 v41, s37 :: v_dual_lshlrev_b32 v38, 5, v0
	v_mul_lo_u32 v1, v31, s39
	s_mul_i32 s6, s6, s5
	s_wait_alu 0xfffe
	v_mad_co_u64_u32 v[20:21], null, s39, v28, s[12:13]
	s_mul_hi_u32 s6, s5, s6
	v_mov_b32_e32 v21, 0
	s_add_co_i32 s46, s5, s6
	s_movk_i32 s5, 0x1f0
	s_mul_hi_u32 s6, s7, s46
	v_and_or_b32 v33, v2, s5, 0xc00
	v_ashrrev_i32_e32 v2, 31, v1
	s_mul_i32 s6, s6, s50
	v_lshl_or_b32 v39, v27, 2, 0xc00
	s_sub_co_i32 s5, s7, s6
	s_ashr_i32 s7, s62, 31
	v_lshlrev_b64_e32 v[1:2], 3, v[1:2]
	s_wait_alu 0xfffe
	s_sub_co_i32 s6, s5, s50
	s_cmp_ge_u32 s5, s50
	v_mov_b32_e32 v19, 0
	s_cselect_b32 s6, s6, s5
	v_cmp_gt_i32_e64 s5, s61, v28
	v_add_co_u32 v16, vcc_lo, s42, v1
	v_add3_u32 v1, s50, s36, v0
	s_sub_co_i32 s8, s6, s50
	s_cmp_ge_u32 s6, s50
	s_wait_alu 0xfffd
	v_add_co_ci_u32_e64 v17, null, s43, v2, vcc_lo
	s_cselect_b32 s8, s8, s6
	v_or_b32_e32 v2, 2, v28
	v_subrev_nc_u32_e32 v1, s9, v1
	s_xor_b32 s8, s8, s7
	v_cmp_gt_u32_e64 s6, s36, v31
	s_wait_alu 0xfffe
	s_sub_co_i32 s8, s7, s8
	v_mul_lo_u32 v34, s39, v2
	v_mul_lo_u32 v37, s39, v1
	s_wait_alu 0xfffe
	s_add_co_i32 s62, s62, s8
	v_cmp_gt_i32_e64 s7, s36, v31
	v_cmp_gt_i32_e64 s8, s62, v0
	v_mov_b32_e32 v2, 0x3ff00000
	v_mov_b32_e32 v22, 0
	;; [unrolled: 1-line block ×3, first 2 shown]
	s_mul_i32 s54, s39, s50
	s_mov_b32 s45, s41
	s_mov_b32 s47, s41
	s_lshl_b32 s63, s54, 2
	s_lshl_b32 s64, s50, 5
	;; [unrolled: 1-line block ×3, first 2 shown]
	s_mov_b32 s72, 62
	s_add_nc_u64 s[48:49], s[10:11], s[40:41]
	s_mov_b32 s37, 0
                                        ; implicit-def: $sgpr69
                                        ; implicit-def: $sgpr71
                                        ; implicit-def: $sgpr66
                                        ; implicit-def: $sgpr68
                                        ; implicit-def: $sgpr70
                                        ; implicit-def: $sgpr67
	s_branch .LBB40_7
.LBB40_4:                               ;   in Loop: Header=BB40_7 Depth=1
	s_wait_alu 0xfffe
	s_or_b32 exec_lo, exec_lo, s12
	s_delay_alu instid0(SALU_CYCLE_1)
	s_and_b32 s10, s10, exec_lo
	s_and_not1_b32 s18, s18, exec_lo
	s_and_not1_b32 s17, s17, exec_lo
	s_or_not1_b32 s15, s11, exec_lo
.LBB40_5:                               ;   in Loop: Header=BB40_7 Depth=1
	s_wait_alu 0xfffe
	s_or_b32 exec_lo, exec_lo, s9
	s_delay_alu instid0(SALU_CYCLE_1)
	s_and_not1_b32 s9, s67, exec_lo
	s_and_b32 s10, s10, exec_lo
	s_and_not1_b32 s11, s68, exec_lo
	s_wait_alu 0xfffe
	s_or_b32 s67, s9, s10
	s_and_not1_b32 s9, s70, exec_lo
	s_and_b32 s10, s18, exec_lo
	s_and_b32 s12, s17, exec_lo
	s_wait_alu 0xfffe
	s_or_b32 s70, s9, s10
	s_or_b32 s68, s11, s12
	s_or_not1_b32 s16, s15, exec_lo
.LBB40_6:                               ;   in Loop: Header=BB40_7 Depth=1
	s_wait_alu 0xfffe
	s_or_b32 exec_lo, exec_lo, s14
	s_delay_alu instid0(SALU_CYCLE_1)
	s_and_b32 s9, exec_lo, s16
	v_mov_b32_e32 v41, v10
	s_wait_alu 0xfffe
	s_or_b32 s37, s9, s37
	s_and_not1_b32 s9, s66, exec_lo
	s_and_b32 s10, s67, exec_lo
	s_and_not1_b32 s11, s71, exec_lo
	s_wait_alu 0xfffe
	s_or_b32 s66, s9, s10
	s_and_b32 s9, s70, exec_lo
	s_and_not1_b32 s10, s69, exec_lo
	s_and_b32 s12, s68, exec_lo
	s_wait_alu 0xfffe
	s_or_b32 s71, s11, s9
	s_or_b32 s69, s10, s12
	s_mov_b32 s72, s23
	s_and_not1_b32 exec_lo, exec_lo, s37
	s_cbranch_execz .LBB40_238
.LBB40_7:                               ; =>This Loop Header: Depth=1
                                        ;     Child Loop BB40_13 Depth 2
                                        ;     Child Loop BB40_28 Depth 2
                                        ;     Child Loop BB40_60 Depth 2
                                        ;     Child Loop BB40_64 Depth 2
                                        ;     Child Loop BB40_47 Depth 2
                                        ;     Child Loop BB40_54 Depth 2
                                        ;     Child Loop BB40_43 Depth 2
                                        ;     Child Loop BB40_72 Depth 2
                                        ;     Child Loop BB40_83 Depth 2
                                        ;     Child Loop BB40_95 Depth 2
                                        ;     Child Loop BB40_122 Depth 2
                                        ;     Child Loop BB40_134 Depth 2
                                        ;     Child Loop BB40_161 Depth 2
                                        ;     Child Loop BB40_173 Depth 2
                                        ;     Child Loop BB40_200 Depth 2
                                        ;     Child Loop BB40_212 Depth 2
	ds_load_b64 v[3:4], v13 offset:4096
	s_wait_dscnt 0x0
	v_readfirstlane_b32 s40, v3
	s_cmp_gt_i32 s40, 0
	s_cbranch_scc1 .LBB40_35
; %bb.8:                                ;   in Loop: Header=BB40_7 Depth=1
	s_and_b32 vcc_lo, exec_lo, s55
	s_wait_alu 0xfffe
	s_cbranch_vccz .LBB40_21
; %bb.9:                                ;   in Loop: Header=BB40_7 Depth=1
	v_cmp_gt_i32_e32 vcc_lo, 0x181, v4
	s_mov_b32 s10, 0
	s_mov_b32 s9, 0
	s_cbranch_vccz .LBB40_22
; %bb.10:                               ;   in Loop: Header=BB40_7 Depth=1
	s_and_saveexec_b32 s11, s1
	s_cbranch_execz .LBB40_67
; %bb.11:                               ;   in Loop: Header=BB40_7 Depth=1
	global_load_b64 v[3:4], v[14:15], off
	s_load_u16 s12, s[48:49], 0x0
	s_mov_b32 s14, 0
	s_wait_kmcnt 0x0
	v_add_nc_u32_e32 v1, s12, v0
	s_mul_i32 s13, s39, s12
	s_delay_alu instid0(VALU_DEP_1)
	v_mul_lo_u32 v12, s39, v1
	v_mov_b32_e32 v1, v0
	s_branch .LBB40_13
.LBB40_12:                              ;   in Loop: Header=BB40_13 Depth=2
	s_wait_alu 0xfffe
	s_or_b32 exec_lo, exec_lo, s9
	v_cmp_le_i32_e32 vcc_lo, s36, v1
	v_dual_mov_b32 v3, v7 :: v_dual_add_nc_u32 v12, s13, v12
	v_mov_b32_e32 v4, v8
	s_or_b32 s14, vcc_lo, s14
	s_wait_alu 0xfffe
	s_and_not1_b32 exec_lo, exec_lo, s14
	s_cbranch_execz .LBB40_67
.LBB40_13:                              ;   Parent Loop BB40_7 Depth=1
                                        ; =>  This Inner Loop Header: Depth=2
	v_mov_b32_e32 v7, 0
	s_delay_alu instid0(VALU_DEP_2) | instskip(SKIP_1) | instid1(VALU_DEP_1)
	v_dual_mov_b32 v8, 0 :: v_dual_add_nc_u32 v1, s12, v1
	s_mov_b32 s9, exec_lo
	v_cmpx_gt_u32_e64 s36, v1
	s_cbranch_execz .LBB40_15
; %bb.14:                               ;   in Loop: Header=BB40_13 Depth=2
	v_lshlrev_b64_e32 v[7:8], 3, v[12:13]
	s_delay_alu instid0(VALU_DEP_1) | instskip(SKIP_1) | instid1(VALU_DEP_2)
	v_add_co_u32 v7, vcc_lo, s42, v7
	s_wait_alu 0xfffd
	v_add_co_ci_u32_e64 v8, null, s43, v8, vcc_lo
	global_load_b64 v[7:8], v[7:8], off
.LBB40_15:                              ;   in Loop: Header=BB40_13 Depth=2
	s_wait_alu 0xfffe
	s_or_b32 exec_lo, exec_lo, s9
	s_wait_loadcnt 0x0
	v_cmp_o_f64_e32 vcc_lo, v[3:4], v[3:4]
	s_wait_dscnt 0x0
	v_ashrrev_i32_e32 v9, 31, v4
	s_delay_alu instid0(VALU_DEP_1) | instskip(SKIP_1) | instid1(VALU_DEP_2)
	v_or_b32_e32 v10, 0x80000000, v9
	v_xor_b32_e32 v9, v9, v3
	v_xor_b32_e32 v10, v10, v4
	s_wait_alu 0xfffd
	s_delay_alu instid0(VALU_DEP_1) | instskip(NEXT) | instid1(VALU_DEP_1)
	v_dual_cndmask_b32 v10, -1, v10 :: v_dual_cndmask_b32 v9, -1, v9
	v_and_b32_e32 v10, v10, v22
	s_delay_alu instid0(VALU_DEP_2) | instskip(NEXT) | instid1(VALU_DEP_1)
	v_and_b32_e32 v9, v9, v21
	v_cmp_eq_u64_e32 vcc_lo, v[9:10], v[18:19]
	v_mov_b32_e32 v9, 0
	s_cmp_lg_u32 vcc_lo, 0
	s_cselect_b32 s9, -1, 0
	s_wait_alu 0xfffe
	s_and_b32 s9, s4, s9
	s_wait_alu 0xfffe
	s_and_saveexec_b32 s15, s9
	s_cbranch_execz .LBB40_19
; %bb.16:                               ;   in Loop: Header=BB40_13 Depth=2
	s_mov_b32 s18, exec_lo
	s_bcnt1_i32_b32 s16, vcc_lo
	s_wait_alu 0xfffe
	v_mbcnt_lo_u32_b32 v9, s18, 0
	s_mov_b32 s17, exec_lo
                                        ; implicit-def: $vgpr10
	s_delay_alu instid0(VALU_DEP_1)
	v_cmpx_eq_u32_e32 0, v9
; %bb.17:                               ;   in Loop: Header=BB40_13 Depth=2
	s_bcnt1_i32_b32 s9, s18
	s_wait_alu 0xfffe
	s_mul_i32 s9, s16, s9
	s_wait_alu 0xfffe
	v_mov_b32_e32 v10, s9
	ds_add_rtn_u32 v10, v13, v10 offset:4104
; %bb.18:                               ;   in Loop: Header=BB40_13 Depth=2
	s_or_b32 exec_lo, exec_lo, s17
	s_wait_dscnt 0x0
	v_readfirstlane_b32 s9, v10
	s_wait_alu 0xf1ff
	s_delay_alu instid0(VALU_DEP_1)
	v_mad_u32_u24 v9, s16, v9, s9
.LBB40_19:                              ;   in Loop: Header=BB40_13 Depth=2
	s_wait_alu 0xfffe
	s_or_b32 exec_lo, exec_lo, s15
	ds_bpermute_b32 v9, v13, v9
	s_and_saveexec_b32 s9, vcc_lo
	s_cbranch_execz .LBB40_12
; %bb.20:                               ;   in Loop: Header=BB40_13 Depth=2
	v_and_b32_e32 v10, vcc_lo, v32
	s_delay_alu instid0(VALU_DEP_1) | instskip(NEXT) | instid1(VALU_DEP_1)
	v_bcnt_u32_b32 v10, v10, 0
	v_lshlrev_b32_e32 v10, 3, v10
	s_wait_dscnt 0x0
	s_delay_alu instid0(VALU_DEP_1)
	v_lshl_add_u32 v9, v9, 3, v10
	ds_store_b64 v9, v[3:4]
	s_branch .LBB40_12
.LBB40_21:                              ;   in Loop: Header=BB40_7 Depth=1
	s_mov_b32 s10, -1
	s_mov_b32 s9, 0
.LBB40_22:                              ;   in Loop: Header=BB40_7 Depth=1
	s_wait_alu 0xfffe
	s_and_b32 vcc_lo, exec_lo, s10
	s_wait_alu 0xfffe
	s_cbranch_vccz .LBB40_33
.LBB40_23:                              ;   in Loop: Header=BB40_7 Depth=1
	v_mov_b32_e32 v3, 0
	v_mov_b32_e32 v4, 0
	s_and_saveexec_b32 s9, s1
	s_cbranch_execz .LBB40_25
; %bb.24:                               ;   in Loop: Header=BB40_7 Depth=1
	global_load_b64 v[3:4], v[14:15], off
.LBB40_25:                              ;   in Loop: Header=BB40_7 Depth=1
	s_wait_alu 0xfffe
	s_or_b32 exec_lo, exec_lo, s9
	s_and_saveexec_b32 s9, s3
	s_cbranch_execz .LBB40_30
; %bb.26:                               ;   in Loop: Header=BB40_7 Depth=1
	s_load_u16 s10, s[48:49], 0x0
	v_mov_b32_e32 v9, v0
	s_mov_b32 s13, 0
	s_wait_kmcnt 0x0
	v_add_nc_u32_e32 v1, s10, v0
	s_lshl_b32 s11, s10, 3
	s_mul_i32 s12, s39, s10
	s_delay_alu instid0(VALU_DEP_1)
	v_mul_lo_u32 v12, s39, v1
	v_mov_b32_e32 v1, v29
	s_branch .LBB40_28
.LBB40_27:                              ;   in Loop: Header=BB40_28 Depth=2
	s_wait_alu 0xfffe
	s_or_b32 exec_lo, exec_lo, s14
	v_cmp_le_i32_e32 vcc_lo, s36, v9
	s_wait_loadcnt 0x0
	ds_store_b64 v1, v[3:4]
	v_dual_mov_b32 v3, v7 :: v_dual_add_nc_u32 v12, s12, v12
	v_dual_mov_b32 v4, v8 :: v_dual_add_nc_u32 v1, s11, v1
	s_or_b32 s13, vcc_lo, s13
	s_wait_alu 0xfffe
	s_and_not1_b32 exec_lo, exec_lo, s13
	s_cbranch_execz .LBB40_30
.LBB40_28:                              ;   Parent Loop BB40_7 Depth=1
                                        ; =>  This Inner Loop Header: Depth=2
	v_mov_b32_e32 v7, 0
	v_dual_mov_b32 v8, 0 :: v_dual_add_nc_u32 v9, s10, v9
	s_mov_b32 s14, exec_lo
	s_delay_alu instid0(VALU_DEP_1)
	v_cmpx_gt_u32_e64 s36, v9
	s_cbranch_execz .LBB40_27
; %bb.29:                               ;   in Loop: Header=BB40_28 Depth=2
	v_lshlrev_b64_e32 v[7:8], 3, v[12:13]
	s_delay_alu instid0(VALU_DEP_1) | instskip(SKIP_1) | instid1(VALU_DEP_2)
	v_add_co_u32 v7, vcc_lo, s42, v7
	s_wait_alu 0xfffd
	v_add_co_ci_u32_e64 v8, null, s43, v8, vcc_lo
	global_load_b64 v[7:8], v[7:8], off
	s_branch .LBB40_27
.LBB40_30:                              ;   in Loop: Header=BB40_7 Depth=1
	s_wait_alu 0xfffe
	s_or_b32 exec_lo, exec_lo, s9
	s_wait_loadcnt_dscnt 0x0
	s_barrier_signal -1
	s_barrier_wait -1
	global_inv scope:SCOPE_SE
	s_and_saveexec_b32 s9, s2
; %bb.31:                               ;   in Loop: Header=BB40_7 Depth=1
	v_mov_b32_e32 v1, s36
	ds_store_b32 v13, v1 offset:4096
; %bb.32:                               ;   in Loop: Header=BB40_7 Depth=1
	s_wait_alu 0xfffe
	s_or_b32 exec_lo, exec_lo, s9
	s_mov_b32 s9, -1
	s_wait_loadcnt_dscnt 0x0
	s_barrier_signal -1
	s_barrier_wait -1
.LBB40_33:                              ;   in Loop: Header=BB40_7 Depth=1
	s_wait_alu 0xfffe
	s_and_b32 vcc_lo, exec_lo, s9
	s_wait_alu 0xfffe
	s_cbranch_vccz .LBB40_35
; %bb.34:                               ;   in Loop: Header=BB40_7 Depth=1
	s_wait_loadcnt 0x0
	global_inv scope:SCOPE_SE
	ds_load_b32 v1, v13 offset:4096
	s_wait_dscnt 0x0
	v_readfirstlane_b32 s40, v1
.LBB40_35:                              ;   in Loop: Header=BB40_7 Depth=1
	s_delay_alu instid0(VALU_DEP_1)
	s_cmp_lt_i32 s40, 1
	s_mov_b32 s9, -1
                                        ; implicit-def: $vgpr7
	s_cbranch_scc1 .LBB40_45
; %bb.36:                               ;   in Loop: Header=BB40_7 Depth=1
	s_wait_alu 0xfffe
	s_and_b32 vcc_lo, exec_lo, s9
	s_wait_alu 0xfffe
	s_cbranch_vccnz .LBB40_58
.LBB40_37:                              ;   in Loop: Header=BB40_7 Depth=1
	v_lshlrev_b32_e32 v1, 7, v40
	s_and_saveexec_b32 s9, s4
.LBB40_38:                              ;   in Loop: Header=BB40_7 Depth=1
	s_delay_alu instid0(VALU_DEP_1)
	v_lshl_add_u32 v3, v1, 2, v33
	ds_store_b128 v3, v[7:10]
.LBB40_39:                              ;   in Loop: Header=BB40_7 Depth=1
	s_wait_alu 0xfffe
	s_or_b32 exec_lo, exec_lo, s9
	s_wait_loadcnt_dscnt 0x0
	s_barrier_signal -1
	s_barrier_wait -1
	global_inv scope:SCOPE_SE
	s_and_saveexec_b32 s9, s51
	s_cbranch_execz .LBB40_74
; %bb.40:                               ;   in Loop: Header=BB40_7 Depth=1
	v_mov_b32_e32 v3, 0
	s_and_not1_b32 vcc_lo, exec_lo, s56
	s_wait_alu 0xfffe
	s_cbranch_vccnz .LBB40_73
; %bb.41:                               ;   in Loop: Header=BB40_7 Depth=1
	s_and_not1_b32 vcc_lo, exec_lo, s58
	s_wait_alu 0xfffe
	s_cbranch_vccnz .LBB40_70
; %bb.42:                               ;   in Loop: Header=BB40_7 Depth=1
	v_lshl_add_u32 v4, v40, 9, v39
	v_mov_b32_e32 v3, 0
	s_mov_b32 s10, 0
.LBB40_43:                              ;   Parent Loop BB40_7 Depth=1
                                        ; =>  This Inner Loop Header: Depth=2
	ds_load_2addr_b32 v[7:8], v4 offset1:4
	ds_load_2addr_b32 v[9:10], v4 offset0:8 offset1:12
	ds_load_2addr_b32 v[23:24], v4 offset0:16 offset1:20
	;; [unrolled: 1-line block ×3, first 2 shown]
	v_add_nc_u32_e32 v4, 0x80, v4
	s_wait_alu 0xfffe
	s_add_co_i32 s10, s10, 8
	s_wait_alu 0xfffe
	s_cmp_eq_u32 s59, s10
	s_wait_dscnt 0x3
	v_add3_u32 v3, v7, v3, v8
	s_wait_dscnt 0x2
	s_delay_alu instid0(VALU_DEP_1) | instskip(SKIP_1) | instid1(VALU_DEP_1)
	v_add3_u32 v3, v9, v3, v10
	s_wait_dscnt 0x1
	v_add3_u32 v3, v23, v3, v24
	s_wait_dscnt 0x0
	s_delay_alu instid0(VALU_DEP_1)
	v_add3_u32 v3, v25, v3, v26
	s_cbranch_scc0 .LBB40_43
; %bb.44:                               ;   in Loop: Header=BB40_7 Depth=1
	s_mov_b32 s10, s59
	s_and_not1_b32 vcc_lo, exec_lo, s60
	s_wait_alu 0xfffe
	s_cbranch_vccz .LBB40_71
	s_branch .LBB40_73
.LBB40_45:                              ;   in Loop: Header=BB40_7 Depth=1
	v_dual_mov_b32 v7, 0 :: v_dual_mov_b32 v8, 0
	v_dual_mov_b32 v9, 0 :: v_dual_mov_b32 v10, 0
	s_and_saveexec_b32 s73, s5
	s_cbranch_execz .LBB40_49
; %bb.46:                               ;   in Loop: Header=BB40_7 Depth=1
	v_mov_b32_e32 v1, v28
	s_mov_b32 s74, 0
	s_mov_b32 s75, 0
	;; [unrolled: 1-line block ×6, first 2 shown]
.LBB40_47:                              ;   Parent Loop BB40_7 Depth=1
                                        ; =>  This Inner Loop Header: Depth=2
	s_wait_alu 0xfffe
	v_add_nc_u32_e32 v3, s75, v36
	v_add_nc_u32_e32 v7, s75, v20
	v_add_nc_u32_e32 v9, s75, v34
	v_add_nc_u32_e32 v23, s75, v35
	v_add_nc_u32_e32 v1, s52, v1
	v_ashrrev_i32_e32 v4, 31, v3
	v_ashrrev_i32_e32 v8, 31, v7
	;; [unrolled: 1-line block ×4, first 2 shown]
	s_add_co_i32 s75, s75, s63
	v_lshlrev_b64_e32 v[3:4], 3, v[3:4]
	v_lshlrev_b64_e32 v[7:8], 3, v[7:8]
	;; [unrolled: 1-line block ×4, first 2 shown]
	s_delay_alu instid0(VALU_DEP_4)
	v_add_co_u32 v3, vcc_lo, s42, v3
	s_wait_alu 0xfffd
	v_add_co_ci_u32_e64 v4, null, s43, v4, vcc_lo
	v_add_co_u32 v7, vcc_lo, s42, v7
	s_wait_alu 0xfffd
	v_add_co_ci_u32_e64 v8, null, s43, v8, vcc_lo
	;; [unrolled: 3-line block ×4, first 2 shown]
	s_clause 0x3
	global_load_b64 v[3:4], v[3:4], off
	global_load_b64 v[7:8], v[7:8], off
	;; [unrolled: 1-line block ×4, first 2 shown]
	v_cmp_le_i32_e32 vcc_lo, s61, v1
	s_wait_loadcnt 0x3
	v_cmp_o_f64_e64 s9, v[3:4], v[3:4]
	s_wait_loadcnt 0x2
	v_cmp_o_f64_e64 s10, v[7:8], v[7:8]
	;; [unrolled: 2-line block ×4, first 2 shown]
	v_ashrrev_i32_e32 v12, 31, v4
	v_ashrrev_i32_e32 v26, 31, v8
	;; [unrolled: 1-line block ×4, first 2 shown]
	s_delay_alu instid0(VALU_DEP_4) | instskip(NEXT) | instid1(VALU_DEP_4)
	v_or_b32_e32 v46, 0x80000000, v12
	v_or_b32_e32 v47, 0x80000000, v26
	s_delay_alu instid0(VALU_DEP_4) | instskip(NEXT) | instid1(VALU_DEP_4)
	v_or_b32_e32 v48, 0x80000000, v42
	v_or_b32_e32 v49, 0x80000000, v44
	v_xor_b32_e32 v12, v12, v3
	v_xor_b32_e32 v46, v46, v4
	;; [unrolled: 1-line block ×8, first 2 shown]
	s_wait_alu 0xf1ff
	v_cndmask_b32_e64 v4, -1, v46, s9
	v_cndmask_b32_e64 v8, -1, v3, s10
	;; [unrolled: 1-line block ×7, first 2 shown]
	v_dual_mov_b32 v25, v13 :: v_dual_and_b32 v46, v3, v21
	v_and_b32_e32 v47, v4, v22
	v_lshrrev_b64 v[3:4], s72, v[3:4]
	v_cndmask_b32_e64 v23, -1, v44, s12
	v_dual_mov_b32 v43, v13 :: v_dual_and_b32 v48, v7, v21
	v_and_b32_e32 v49, v8, v22
	v_lshrrev_b64 v[7:8], s72, v[7:8]
	v_and_b32_e32 v50, v9, v21
	v_lshrrev_b64 v[8:9], s72, v[9:10]
	v_and_b32_e32 v51, v10, v22
	v_lshrrev_b64 v[9:10], s72, v[23:24]
	v_and_b32_e32 v12, 3, v3
	v_and_b32_e32 v53, v24, v22
	;; [unrolled: 1-line block ×4, first 2 shown]
	v_cmp_eq_u64_e64 s9, v[46:47], v[18:19]
	v_cmp_eq_u64_e64 s13, 0, v[12:13]
	v_dual_mov_b32 v45, v13 :: v_dual_and_b32 v52, v23, v21
	v_and_b32_e32 v44, 3, v9
	v_cmp_eq_u64_e64 s10, v[48:49], v[18:19]
	v_cmp_eq_u64_e64 s14, 0, v[24:25]
	;; [unrolled: 1-line block ×6, first 2 shown]
	s_and_b32 s13, s9, s13
	v_cmp_eq_u64_e64 s17, 1, v[12:13]
	s_wait_alu 0xfffe
	v_cndmask_b32_e64 v3, 0, 1, s13
	s_and_b32 s13, s10, s14
	v_cmp_eq_u64_e64 s18, 1, v[24:25]
	s_wait_alu 0xfffe
	v_cndmask_b32_e64 v4, 0, 1, s13
	s_and_b32 s13, s11, s15
	v_cmp_eq_u64_e64 s19, 1, v[42:43]
	s_wait_alu 0xfffe
	v_cndmask_b32_e64 v7, 0, 1, s13
	s_and_b32 s13, s12, s16
	v_cmp_eq_u64_e64 s20, 1, v[44:45]
	s_wait_alu 0xfffe
	v_cndmask_b32_e64 v8, 0, 1, s13
	s_and_b32 s13, s9, s17
	v_cmp_eq_u64_e64 s21, 2, v[12:13]
	v_cmp_eq_u64_e64 s25, 3, v[12:13]
	s_wait_alu 0xfffe
	v_cndmask_b32_e64 v9, 0, 1, s13
	s_and_b32 s13, s10, s18
	v_cmp_eq_u64_e64 s22, 2, v[24:25]
	v_cmp_eq_u64_e64 s26, 3, v[24:25]
	s_wait_alu 0xfffe
	v_cndmask_b32_e64 v10, 0, 1, s13
	;; [unrolled: 5-line block ×4, first 2 shown]
	s_and_b32 s13, s9, s21
	s_and_b32 s9, s9, s25
	s_wait_alu 0xfffe
	v_cndmask_b32_e64 v24, 0, 1, s13
	s_and_b32 s13, s10, s22
	v_cndmask_b32_e64 v43, 0, 1, s9
	s_and_b32 s9, s10, s26
	s_wait_alu 0xfffe
	v_cndmask_b32_e64 v25, 0, 1, s13
	s_and_b32 s13, s11, s23
	v_cndmask_b32_e64 v44, 0, 1, s9
	;; [unrolled: 5-line block ×3, first 2 shown]
	s_and_b32 s9, s12, s28
	s_wait_alu 0xfffe
	v_cndmask_b32_e64 v42, 0, 1, s13
	v_cndmask_b32_e64 v46, 0, 1, s9
	v_cmp_ne_u32_e64 s9, 0, v3
	v_cmp_ne_u32_e64 s13, 0, v9
	;; [unrolled: 1-line block ×12, first 2 shown]
	s_bcnt1_i32_b32 s9, s9
	s_bcnt1_i32_b32 s13, s13
	;; [unrolled: 1-line block ×4, first 2 shown]
	v_cmp_ne_u32_e64 s12, 0, v8
	v_cmp_ne_u32_e64 s16, 0, v23
	;; [unrolled: 1-line block ×4, first 2 shown]
	s_bcnt1_i32_b32 s10, s10
	s_bcnt1_i32_b32 s14, s14
	s_bcnt1_i32_b32 s18, s18
	s_bcnt1_i32_b32 s22, s22
	s_wait_alu 0xfffe
	s_add_co_i32 s9, s9, s79
	s_add_co_i32 s13, s13, s78
	s_add_co_i32 s17, s17, s77
	s_add_co_i32 s21, s21, s76
	s_bcnt1_i32_b32 s11, s11
	s_bcnt1_i32_b32 s15, s15
	s_bcnt1_i32_b32 s19, s19
	s_bcnt1_i32_b32 s23, s23
	s_wait_alu 0xfffe
	s_add_co_i32 s9, s9, s10
	s_add_co_i32 s10, s13, s14
	s_add_co_i32 s13, s17, s18
	s_add_co_i32 s14, s21, s22
	;; [unrolled: 9-line block ×3, first 2 shown]
	s_wait_alu 0xfffe
	s_add_co_i32 s79, s9, s12
	s_add_co_i32 s78, s10, s16
	;; [unrolled: 1-line block ×4, first 2 shown]
	s_wait_alu 0xfffe
	v_dual_mov_b32 v7, s79 :: v_dual_mov_b32 v8, s78
	v_dual_mov_b32 v9, s77 :: v_dual_mov_b32 v10, s76
	s_or_b32 s74, vcc_lo, s74
	s_wait_alu 0xfffe
	s_and_not1_b32 exec_lo, exec_lo, s74
	s_cbranch_execnz .LBB40_47
; %bb.48:                               ;   in Loop: Header=BB40_7 Depth=1
	s_or_b32 exec_lo, exec_lo, s74
.LBB40_49:                              ;   in Loop: Header=BB40_7 Depth=1
	s_wait_alu 0xfffe
	s_or_b32 exec_lo, exec_lo, s73
	v_mov_b32_e32 v25, 0
	v_mov_b32_e32 v26, 0
	s_and_saveexec_b32 s9, s6
	s_cbranch_execz .LBB40_51
; %bb.50:                               ;   in Loop: Header=BB40_7 Depth=1
	global_load_b64 v[25:26], v[16:17], off
.LBB40_51:                              ;   in Loop: Header=BB40_7 Depth=1
	s_wait_alu 0xfffe
	s_or_b32 exec_lo, exec_lo, s9
	s_and_saveexec_b32 s13, s7
	s_cbranch_execz .LBB40_57
; %bb.52:                               ;   in Loop: Header=BB40_7 Depth=1
	v_mov_b32_e32 v3, v37
	v_mov_b32_e32 v1, v31
	s_mov_b32 s14, 0
	s_branch .LBB40_54
.LBB40_53:                              ;   in Loop: Header=BB40_54 Depth=2
	s_wait_alu 0xfffe
	s_or_b32 exec_lo, exec_lo, s9
	s_wait_loadcnt 0x0
	v_cmp_o_f64_e32 vcc_lo, v[25:26], v[25:26]
	v_ashrrev_i32_e32 v4, 31, v26
	v_add_nc_u32_e32 v3, s54, v3
	s_delay_alu instid0(VALU_DEP_2) | instskip(SKIP_1) | instid1(VALU_DEP_2)
	v_or_b32_e32 v12, 0x80000000, v4
	v_xor_b32_e32 v4, v4, v25
	v_xor_b32_e32 v12, v12, v26
	s_wait_alu 0xfffd
	s_delay_alu instid0(VALU_DEP_2) | instskip(NEXT) | instid1(VALU_DEP_2)
	v_cndmask_b32_e32 v25, -1, v4, vcc_lo
	v_cndmask_b32_e32 v26, -1, v12, vcc_lo
	s_delay_alu instid0(VALU_DEP_1) | instskip(SKIP_2) | instid1(VALU_DEP_3)
	v_lshrrev_b64 v[42:43], s72, v[25:26]
	v_and_b32_e32 v25, v25, v21
	v_and_b32_e32 v26, v26, v22
	;; [unrolled: 1-line block ×3, first 2 shown]
	s_delay_alu instid0(VALU_DEP_2) | instskip(NEXT) | instid1(VALU_DEP_2)
	v_cmp_eq_u64_e32 vcc_lo, v[25:26], v[18:19]
	v_cmp_eq_u64_e64 s9, 0, v[12:13]
	v_cmp_eq_u64_e64 s10, 1, v[12:13]
	v_cmp_eq_u64_e64 s11, 2, v[12:13]
	v_cmp_eq_u64_e64 s12, 3, v[12:13]
	s_and_b32 s9, vcc_lo, s9
	s_wait_alu 0xfffe
	v_cndmask_b32_e64 v4, 0, 1, s9
	s_and_b32 s9, vcc_lo, s10
	s_wait_alu 0xfffe
	v_cndmask_b32_e64 v12, 0, 1, s9
	;; [unrolled: 3-line block ×3, first 2 shown]
	s_and_b32 s9, vcc_lo, s12
	v_cmp_ne_u32_e32 vcc_lo, 0, v4
	s_wait_alu 0xfffe
	v_cndmask_b32_e64 v26, 0, 1, s9
	v_cmp_ne_u32_e64 s9, 0, v12
	v_cmp_ne_u32_e64 s10, 0, v25
	v_cmp_le_i32_e64 s12, s36, v1
	s_bcnt1_i32_b32 s15, vcc_lo
	v_cmp_ne_u32_e64 s11, 0, v26
	s_bcnt1_i32_b32 s9, s9
	s_bcnt1_i32_b32 s10, s10
	s_wait_alu 0xfffe
	v_dual_mov_b32 v26, v24 :: v_dual_add_nc_u32 v7, s15, v7
	s_bcnt1_i32_b32 s11, s11
	v_add_nc_u32_e32 v8, s9, v8
	v_add_nc_u32_e32 v9, s10, v9
	s_wait_alu 0xfffe
	v_dual_mov_b32 v25, v23 :: v_dual_add_nc_u32 v10, s11, v10
	s_or_b32 s14, s12, s14
	s_wait_alu 0xfffe
	s_and_not1_b32 exec_lo, exec_lo, s14
	s_cbranch_execz .LBB40_56
.LBB40_54:                              ;   Parent Loop BB40_7 Depth=1
                                        ; =>  This Inner Loop Header: Depth=2
	v_mov_b32_e32 v23, 0
	s_delay_alu instid0(VALU_DEP_2) | instskip(SKIP_1) | instid1(VALU_DEP_1)
	v_dual_mov_b32 v24, 0 :: v_dual_add_nc_u32 v1, s50, v1
	s_mov_b32 s9, exec_lo
	v_cmpx_gt_u32_e64 s36, v1
	s_cbranch_execz .LBB40_53
; %bb.55:                               ;   in Loop: Header=BB40_54 Depth=2
	v_ashrrev_i32_e32 v4, 31, v3
	s_delay_alu instid0(VALU_DEP_1) | instskip(NEXT) | instid1(VALU_DEP_1)
	v_lshlrev_b64_e32 v[23:24], 3, v[3:4]
	v_add_co_u32 v23, vcc_lo, s42, v23
	s_wait_alu 0xfffd
	s_delay_alu instid0(VALU_DEP_2)
	v_add_co_ci_u32_e64 v24, null, s43, v24, vcc_lo
	global_load_b64 v[23:24], v[23:24], off
	s_branch .LBB40_53
.LBB40_56:                              ;   in Loop: Header=BB40_7 Depth=1
	s_or_b32 exec_lo, exec_lo, s14
.LBB40_57:                              ;   in Loop: Header=BB40_7 Depth=1
	s_wait_alu 0xfffe
	s_or_b32 exec_lo, exec_lo, s13
	s_branch .LBB40_37
.LBB40_58:                              ;   in Loop: Header=BB40_7 Depth=1
	s_mul_u64 s[10:11], s[40:41], s[44:45]
	v_dual_mov_b32 v7, 0 :: v_dual_mov_b32 v8, 0
	s_wait_alu 0xfffe
	s_mul_i32 s9, s11, s52
	v_dual_mov_b32 v9, 0 :: v_dual_mov_b32 v10, 0
	s_wait_alu 0xfffe
	s_sub_co_i32 s9, s40, s9
	s_mov_b32 s74, exec_lo
	s_wait_alu 0xfffe
	s_sub_co_i32 s10, s9, s52
	s_cmp_ge_u32 s9, s52
	s_wait_alu 0xfffe
	s_cselect_b32 s9, s10, s9
	s_wait_alu 0xfffe
	s_sub_co_i32 s10, s9, s52
	s_cmp_ge_u32 s9, s52
	s_wait_alu 0xfffe
	s_cselect_b32 s9, s10, s9
	s_wait_alu 0xfffe
	s_sub_co_i32 s73, s40, s9
	s_wait_alu 0xfffe
	v_cmpx_gt_u32_e64 s73, v28
	s_cbranch_execz .LBB40_62
; %bb.59:                               ;   in Loop: Header=BB40_7 Depth=1
	v_mov_b32_e32 v1, v38
	v_mov_b32_e32 v3, v28
	s_mov_b32 s75, 0
	s_mov_b32 s76, 0
	;; [unrolled: 1-line block ×5, first 2 shown]
.LBB40_60:                              ;   Parent Loop BB40_7 Depth=1
                                        ; =>  This Inner Loop Header: Depth=2
	ds_load_b128 v[7:10], v1
	s_wait_loadcnt 0x0
	ds_load_b128 v[23:26], v1 offset:16
	s_wait_dscnt 0x1
	v_cmp_o_f64_e64 s9, v[7:8], v[7:8]
	v_cmp_o_f64_e64 s10, v[9:10], v[9:10]
	s_wait_dscnt 0x0
	v_cmp_o_f64_e64 s11, v[23:24], v[23:24]
	v_cmp_o_f64_e64 s12, v[25:26], v[25:26]
	v_ashrrev_i32_e32 v4, 31, v8
	v_ashrrev_i32_e32 v12, 31, v10
	;; [unrolled: 1-line block ×4, first 2 shown]
	s_delay_alu instid0(VALU_DEP_4) | instskip(NEXT) | instid1(VALU_DEP_4)
	v_or_b32_e32 v46, 0x80000000, v4
	v_or_b32_e32 v48, 0x80000000, v12
	s_delay_alu instid0(VALU_DEP_4) | instskip(NEXT) | instid1(VALU_DEP_4)
	v_or_b32_e32 v49, 0x80000000, v42
	v_or_b32_e32 v50, 0x80000000, v44
	v_xor_b32_e32 v4, v4, v7
	v_xor_b32_e32 v46, v46, v8
	;; [unrolled: 1-line block ×8, first 2 shown]
	s_wait_alu 0xf1ff
	v_cndmask_b32_e64 v8, -1, v46, s9
	v_cndmask_b32_e64 v10, -1, v7, s10
	;; [unrolled: 1-line block ×7, first 2 shown]
	v_dual_mov_b32 v43, v13 :: v_dual_and_b32 v48, v7, v21
	v_and_b32_e32 v49, v8, v22
	v_lshrrev_b64 v[7:8], s72, v[7:8]
	v_cndmask_b32_e64 v25, -1, v44, s12
	v_and_b32_e32 v50, v9, v21
	v_lshrrev_b64 v[8:9], s72, v[9:10]
	v_and_b32_e32 v51, v10, v22
	v_lshrrev_b64 v[9:10], s72, v[23:24]
	v_dual_mov_b32 v45, v13 :: v_dual_and_b32 v52, v23, v21
	v_dual_mov_b32 v47, v13 :: v_dual_and_b32 v12, 3, v7
	v_and_b32_e32 v53, v24, v22
	v_lshrrev_b64 v[23:24], s72, v[25:26]
	v_and_b32_e32 v42, 3, v8
	v_and_b32_e32 v44, 3, v9
	v_cmp_eq_u64_e64 s9, v[48:49], v[18:19]
	v_cmp_eq_u64_e64 s13, 0, v[12:13]
	v_and_b32_e32 v55, v26, v22
	v_and_b32_e32 v54, v25, v21
	;; [unrolled: 1-line block ×3, first 2 shown]
	v_cmp_eq_u64_e64 s10, v[50:51], v[18:19]
	v_cmp_eq_u64_e64 s14, 0, v[42:43]
	;; [unrolled: 1-line block ×6, first 2 shown]
	s_and_b32 s13, s9, s13
	v_cmp_eq_u64_e64 s17, 1, v[12:13]
	s_wait_alu 0xfffe
	v_cndmask_b32_e64 v4, 0, 1, s13
	s_and_b32 s13, s10, s14
	v_cmp_eq_u64_e64 s18, 1, v[42:43]
	s_wait_alu 0xfffe
	v_cndmask_b32_e64 v7, 0, 1, s13
	;; [unrolled: 4-line block ×4, first 2 shown]
	s_and_b32 s13, s9, s17
	v_cmp_eq_u64_e64 s21, 2, v[12:13]
	v_cmp_eq_u64_e64 s25, 3, v[12:13]
	s_wait_alu 0xfffe
	v_cndmask_b32_e64 v10, 0, 1, s13
	s_and_b32 s13, s10, s18
	v_cmp_eq_u64_e64 s22, 2, v[42:43]
	v_cmp_eq_u64_e64 s26, 3, v[42:43]
	s_wait_alu 0xfffe
	v_cndmask_b32_e64 v12, 0, 1, s13
	;; [unrolled: 5-line block ×4, first 2 shown]
	s_and_b32 s13, s9, s21
	s_and_b32 s9, s9, s25
	s_wait_alu 0xfffe
	v_cndmask_b32_e64 v25, 0, 1, s13
	s_and_b32 s13, s10, s22
	v_cndmask_b32_e64 v44, 0, 1, s9
	s_and_b32 s9, s10, s26
	s_wait_alu 0xfffe
	v_cndmask_b32_e64 v26, 0, 1, s13
	s_and_b32 s13, s11, s23
	v_cndmask_b32_e64 v45, 0, 1, s9
	;; [unrolled: 5-line block ×3, first 2 shown]
	s_and_b32 s9, s12, s28
	s_wait_alu 0xfffe
	v_cndmask_b32_e64 v43, 0, 1, s13
	v_cndmask_b32_e64 v47, 0, 1, s9
	v_cmp_ne_u32_e64 s9, 0, v4
	v_cmp_ne_u32_e64 s13, 0, v10
	;; [unrolled: 1-line block ×7, first 2 shown]
	s_bcnt1_i32_b32 s9, s9
	s_bcnt1_i32_b32 s13, s13
	v_cmp_ne_u32_e64 s16, 0, v24
	v_cmp_ne_u32_e64 s18, 0, v26
	;; [unrolled: 1-line block ×3, first 2 shown]
	s_bcnt1_i32_b32 s10, s10
	s_bcnt1_i32_b32 s14, s14
	s_wait_alu 0xfffe
	s_add_co_i32 s9, s9, s79
	s_add_co_i32 s13, s13, s78
	v_cmp_ne_u32_e64 s11, 0, v8
	v_cmp_ne_u32_e64 s19, 0, v42
	v_cmp_ne_u32_e64 s23, 0, v46
	s_bcnt1_i32_b32 s15, s15
	s_wait_alu 0xfffe
	s_add_co_i32 s9, s9, s10
	s_add_co_i32 s10, s13, s14
	s_bcnt1_i32_b32 s17, s17
	s_bcnt1_i32_b32 s21, s21
	v_cmp_ne_u32_e64 s12, 0, v9
	v_cmp_ne_u32_e64 s20, 0, v43
	;; [unrolled: 1-line block ×3, first 2 shown]
	s_bcnt1_i32_b32 s16, s16
	s_wait_alu 0xfffe
	s_add_co_i32 s10, s10, s15
	s_bcnt1_i32_b32 s18, s18
	s_bcnt1_i32_b32 s22, s22
	s_add_co_i32 s17, s17, s77
	s_add_co_i32 s21, s21, s76
	s_wait_alu 0xfffe
	s_add_co_i32 s78, s10, s16
	s_wait_alu 0xfffe
	v_dual_mov_b32 v8, s78 :: v_dual_add_nc_u32 v3, s52, v3
	s_bcnt1_i32_b32 s11, s11
	s_bcnt1_i32_b32 s19, s19
	;; [unrolled: 1-line block ×3, first 2 shown]
	s_add_co_i32 s13, s17, s18
	s_add_co_i32 s14, s21, s22
	s_bcnt1_i32_b32 s12, s12
	s_bcnt1_i32_b32 s20, s20
	;; [unrolled: 1-line block ×3, first 2 shown]
	s_wait_alu 0xfffe
	s_add_co_i32 s9, s9, s11
	s_add_co_i32 s11, s13, s19
	;; [unrolled: 1-line block ×3, first 2 shown]
	v_cmp_le_i32_e32 vcc_lo, s73, v3
	s_wait_alu 0xfffe
	s_add_co_i32 s79, s9, s12
	s_add_co_i32 s77, s11, s20
	;; [unrolled: 1-line block ×3, first 2 shown]
	s_wait_alu 0xfffe
	v_dual_mov_b32 v10, s76 :: v_dual_add_nc_u32 v1, s64, v1
	v_mov_b32_e32 v7, s79
	v_mov_b32_e32 v9, s77
	s_or_b32 s75, vcc_lo, s75
	s_wait_alu 0xfffe
	s_and_not1_b32 exec_lo, exec_lo, s75
	s_cbranch_execnz .LBB40_60
; %bb.61:                               ;   in Loop: Header=BB40_7 Depth=1
	s_or_b32 exec_lo, exec_lo, s75
.LBB40_62:                              ;   in Loop: Header=BB40_7 Depth=1
	s_delay_alu instid0(SALU_CYCLE_1) | instskip(SKIP_2) | instid1(VALU_DEP_1)
	s_or_b32 exec_lo, exec_lo, s74
	v_add_nc_u32_e32 v1, s73, v0
	s_mov_b32 s14, exec_lo
	v_cmpx_gt_i32_e64 s40, v1
	s_cbranch_execz .LBB40_66
; %bb.63:                               ;   in Loop: Header=BB40_7 Depth=1
	v_lshlrev_b32_e32 v3, 3, v1
	s_mov_b32 s15, 0
.LBB40_64:                              ;   Parent Loop BB40_7 Depth=1
                                        ; =>  This Inner Loop Header: Depth=2
	ds_load_b64 v[23:24], v3
	v_add_nc_u32_e32 v3, s65, v3
	s_wait_dscnt 0x0
	v_cmp_o_f64_e32 vcc_lo, v[23:24], v[23:24]
	v_ashrrev_i32_e32 v4, 31, v24
	s_delay_alu instid0(VALU_DEP_1) | instskip(SKIP_1) | instid1(VALU_DEP_2)
	v_or_b32_e32 v12, 0x80000000, v4
	v_xor_b32_e32 v4, v4, v23
	v_xor_b32_e32 v12, v12, v24
	s_wait_alu 0xfffd
	s_delay_alu instid0(VALU_DEP_1) | instskip(NEXT) | instid1(VALU_DEP_1)
	v_dual_cndmask_b32 v24, -1, v12 :: v_dual_add_nc_u32 v1, s50, v1
	v_cmp_le_i32_e64 s9, s40, v1
	s_wait_loadcnt 0x0
	s_delay_alu instid0(VALU_DEP_2) | instskip(NEXT) | instid1(VALU_DEP_1)
	v_dual_cndmask_b32 v23, -1, v4 :: v_dual_and_b32 v26, v24, v22
	v_and_b32_e32 v25, v23, v21
	v_lshrrev_b64 v[23:24], s72, v[23:24]
	s_delay_alu instid0(VALU_DEP_2) | instskip(NEXT) | instid1(VALU_DEP_2)
	v_cmp_eq_u64_e32 vcc_lo, v[25:26], v[18:19]
	v_and_b32_e32 v12, 3, v23
	s_delay_alu instid0(VALU_DEP_1)
	v_cmp_eq_u64_e64 s10, 0, v[12:13]
	v_cmp_eq_u64_e64 s11, 1, v[12:13]
	;; [unrolled: 1-line block ×4, first 2 shown]
	s_and_b32 s10, vcc_lo, s10
	s_wait_alu 0xfffe
	v_cndmask_b32_e64 v4, 0, 1, s10
	s_and_b32 s10, vcc_lo, s11
	s_wait_alu 0xfffe
	v_cndmask_b32_e64 v12, 0, 1, s10
	;; [unrolled: 3-line block ×3, first 2 shown]
	s_and_b32 s10, vcc_lo, s13
	v_cmp_ne_u32_e32 vcc_lo, 0, v4
	s_wait_alu 0xfffe
	v_cndmask_b32_e64 v24, 0, 1, s10
	v_cmp_ne_u32_e64 s10, 0, v12
	v_cmp_ne_u32_e64 s11, 0, v23
	s_bcnt1_i32_b32 s13, vcc_lo
	v_cmp_ne_u32_e64 s12, 0, v24
	s_bcnt1_i32_b32 s10, s10
	s_bcnt1_i32_b32 s11, s11
	s_wait_alu 0xfffe
	v_add_nc_u32_e32 v7, s13, v7
	v_add_nc_u32_e32 v8, s10, v8
	s_bcnt1_i32_b32 s12, s12
	v_add_nc_u32_e32 v9, s11, v9
	s_wait_alu 0xfffe
	v_add_nc_u32_e32 v10, s12, v10
	s_or_b32 s15, s9, s15
	s_wait_alu 0xfffe
	s_and_not1_b32 exec_lo, exec_lo, s15
	s_cbranch_execnz .LBB40_64
; %bb.65:                               ;   in Loop: Header=BB40_7 Depth=1
	s_or_b32 exec_lo, exec_lo, s15
.LBB40_66:                              ;   in Loop: Header=BB40_7 Depth=1
	s_wait_alu 0xfffe
	s_or_b32 exec_lo, exec_lo, s14
	v_lshlrev_b32_e32 v1, 7, v40
	s_and_saveexec_b32 s9, s4
	s_cbranch_execnz .LBB40_38
	s_branch .LBB40_39
.LBB40_67:                              ;   in Loop: Header=BB40_7 Depth=1
	s_wait_alu 0xfffe
	s_or_b32 exec_lo, exec_lo, s11
	s_wait_loadcnt_dscnt 0x0
	s_barrier_signal -1
	s_barrier_wait -1
	global_inv scope:SCOPE_SE
	s_and_saveexec_b32 s9, s2
	s_cbranch_execz .LBB40_69
; %bb.68:                               ;   in Loop: Header=BB40_7 Depth=1
	ds_load_b32 v1, v13 offset:4104
	s_wait_dscnt 0x0
	ds_store_b32 v13, v1 offset:4096
.LBB40_69:                              ;   in Loop: Header=BB40_7 Depth=1
	s_wait_alu 0xfffe
	s_or_b32 exec_lo, exec_lo, s9
	s_wait_loadcnt_dscnt 0x0
	s_barrier_signal -1
	s_mov_b32 s9, -1
	s_barrier_wait -1
	s_and_b32 vcc_lo, exec_lo, s10
	s_wait_alu 0xfffe
	s_cbranch_vccnz .LBB40_23
	s_branch .LBB40_33
.LBB40_70:                              ;   in Loop: Header=BB40_7 Depth=1
	v_mov_b32_e32 v3, 0
	s_mov_b32 s10, 0
	s_and_not1_b32 vcc_lo, exec_lo, s60
	s_wait_alu 0xfffe
	s_cbranch_vccnz .LBB40_73
.LBB40_71:                              ;   in Loop: Header=BB40_7 Depth=1
	v_lshlrev_b32_e32 v4, 9, v40
	s_lshl_b32 s10, s10, 4
	s_wait_alu 0xfffe
	s_delay_alu instid0(VALU_DEP_1)
	v_add3_u32 v4, v4, s10, v39
	s_mov_b32 s10, s57
.LBB40_72:                              ;   Parent Loop BB40_7 Depth=1
                                        ; =>  This Inner Loop Header: Depth=2
	ds_load_b32 v7, v4
	v_add_nc_u32_e32 v4, 16, v4
	s_wait_alu 0xfffe
	s_add_co_i32 s10, s10, -1
	s_wait_alu 0xfffe
	s_cmp_lg_u32 s10, 0
	s_wait_dscnt 0x0
	v_add_nc_u32_e32 v3, v7, v3
	s_cbranch_scc1 .LBB40_72
.LBB40_73:                              ;   in Loop: Header=BB40_7 Depth=1
	v_add_lshl_u32 v4, v1, v27, 2
	ds_store_b32 v4, v3 offset:3072
.LBB40_74:                              ;   in Loop: Header=BB40_7 Depth=1
	s_wait_alu 0xfffe
	s_or_b32 exec_lo, exec_lo, s9
	v_lshlrev_b32_e32 v1, 2, v1
	s_wait_loadcnt_dscnt 0x0
	s_barrier_signal -1
	s_barrier_wait -1
	global_inv scope:SCOPE_SE
	ds_load_b128 v[7:10], v1 offset:3072
	s_lshl_b64 s[10:11], 3, s72
	v_cmp_eq_u32_e32 vcc_lo, 1, v41
	s_wait_alu 0xfffe
	s_not_b64 s[12:13], s[10:11]
	s_mov_b32 s16, -1
	s_mov_b32 s18, -1
                                        ; implicit-def: $sgpr22
                                        ; implicit-def: $sgpr20
	s_wait_dscnt 0x0
	v_readfirstlane_b32 s15, v7
	v_readfirstlane_b32 s21, v8
	;; [unrolled: 1-line block ×4, first 2 shown]
	s_cmp_eq_u32 s15, 1
	s_cselect_b32 s14, -1, 0
	s_wait_alu 0xfffe
	s_and_b32 s17, s14, vcc_lo
	s_wait_alu 0xfffe
	s_and_saveexec_b32 s14, s17
	s_cbranch_execz .LBB40_102
; %bb.75:                               ;   in Loop: Header=BB40_7 Depth=1
	ds_load_b32 v1, v13 offset:4096
	s_wait_loadcnt_dscnt 0x0
	s_barrier_signal -1
	s_barrier_wait -1
	global_inv scope:SCOPE_SE
	v_readfirstlane_b32 s18, v1
	s_and_saveexec_b32 s20, s0
; %bb.76:                               ;   in Loop: Header=BB40_7 Depth=1
	v_mov_b32_e32 v12, v13
	ds_store_b64 v30, v[12:13]
; %bb.77:                               ;   in Loop: Header=BB40_7 Depth=1
	s_wait_alu 0xfffe
	s_or_b32 exec_lo, exec_lo, s20
	v_and_b32_e32 v19, s13, v19
	v_and_b32_e32 v18, s12, v18
	v_or_b32_e32 v22, s11, v22
	v_or_b32_e32 v21, s10, v21
	s_mov_b32 s20, -1
	s_mov_b32 s22, 0
	s_cmp_lt_i32 s18, 1
	s_mov_b32 s23, 0
	s_mov_b32 s24, -1
	s_wait_loadcnt_dscnt 0x0
	s_barrier_signal -1
	s_barrier_wait -1
	global_inv scope:SCOPE_SE
                                        ; implicit-def: $vgpr5_vgpr6
	s_cbranch_scc0 .LBB40_89
; %bb.78:                               ;   in Loop: Header=BB40_7 Depth=1
	s_mov_b32 s24, 0
                                        ; implicit-def: $vgpr5_vgpr6
	s_and_saveexec_b32 s25, s8
	s_cbranch_execz .LBB40_88
; %bb.79:                               ;   in Loop: Header=BB40_7 Depth=1
	v_mov_b32_e32 v7, v11
	v_mov_b32_e32 v9, v0
                                        ; implicit-def: $sgpr26
	s_branch .LBB40_83
.LBB40_80:                              ;   in Loop: Header=BB40_83 Depth=2
	s_wait_alu 0xfffe
	s_or_b32 exec_lo, exec_lo, s27
	s_wait_loadcnt_dscnt 0x0
	s_barrier_signal -1
	s_barrier_wait -1
	global_inv scope:SCOPE_SE
	ds_load_b128 v[3:6], v13 offset:3072
	s_wait_loadcnt_dscnt 0x0
	s_barrier_signal -1
	s_barrier_wait -1
	global_inv scope:SCOPE_SE
	v_cmp_neq_f64_e32 vcc_lo, 0, v[3:4]
	s_cbranch_vccnz .LBB40_86
; %bb.81:                               ;   in Loop: Header=BB40_83 Depth=2
	v_add_nc_u32_e32 v9, s50, v9
	v_add_nc_u32_e32 v7, s54, v7
	s_mov_b32 s27, 0
	s_delay_alu instid0(VALU_DEP_2)
	v_cmp_le_i32_e32 vcc_lo, s62, v9
	s_or_not1_b32 s28, vcc_lo, exec_lo
.LBB40_82:                              ;   in Loop: Header=BB40_83 Depth=2
	s_delay_alu instid0(SALU_CYCLE_1)
	s_and_b32 s28, exec_lo, s28
	s_wait_alu 0xfffe
	s_or_b32 s23, s28, s23
	s_and_not1_b32 s26, s26, exec_lo
	s_and_b32 s27, s27, exec_lo
	s_wait_alu 0xfffe
	s_or_b32 s26, s26, s27
	s_and_not1_b32 exec_lo, exec_lo, s23
	s_cbranch_execz .LBB40_87
.LBB40_83:                              ;   Parent Loop BB40_7 Depth=1
                                        ; =>  This Inner Loop Header: Depth=2
	s_mov_b32 s27, exec_lo
	s_delay_alu instid0(VALU_DEP_1)
	v_cmpx_gt_i32_e64 s36, v9
	s_cbranch_execz .LBB40_80
; %bb.84:                               ;   in Loop: Header=BB40_83 Depth=2
	v_ashrrev_i32_e32 v8, 31, v7
	s_delay_alu instid0(VALU_DEP_1) | instskip(NEXT) | instid1(VALU_DEP_1)
	v_lshlrev_b64_e32 v[3:4], 3, v[7:8]
	v_add_co_u32 v3, vcc_lo, s42, v3
	s_wait_alu 0xfffd
	s_delay_alu instid0(VALU_DEP_2) | instskip(SKIP_4) | instid1(VALU_DEP_1)
	v_add_co_ci_u32_e64 v4, null, s43, v4, vcc_lo
	global_load_b64 v[3:4], v[3:4], off
	s_wait_loadcnt 0x0
	v_cmp_o_f64_e32 vcc_lo, v[3:4], v[3:4]
	v_ashrrev_i32_e32 v1, 31, v4
	v_or_b32_e32 v5, 0x80000000, v1
	v_xor_b32_e32 v1, v1, v3
	s_delay_alu instid0(VALU_DEP_2) | instskip(SKIP_1) | instid1(VALU_DEP_1)
	v_xor_b32_e32 v5, v5, v4
	s_wait_alu 0xfffd
	v_cndmask_b32_e32 v5, -1, v5, vcc_lo
	s_delay_alu instid0(VALU_DEP_1) | instskip(NEXT) | instid1(VALU_DEP_1)
	v_dual_cndmask_b32 v1, -1, v1 :: v_dual_and_b32 v6, v5, v22
	v_and_b32_e32 v5, v1, v21
	s_delay_alu instid0(VALU_DEP_1)
	v_cmp_eq_u64_e32 vcc_lo, v[5:6], v[18:19]
	s_and_b32 exec_lo, exec_lo, vcc_lo
	s_cbranch_execz .LBB40_80
; %bb.85:                               ;   in Loop: Header=BB40_83 Depth=2
	v_mov_b32_e32 v1, v13
	ds_store_b128 v13, v[1:4] offset:3072
	s_branch .LBB40_80
.LBB40_86:                              ;   in Loop: Header=BB40_83 Depth=2
	s_mov_b32 s28, -1
	s_mov_b32 s27, -1
                                        ; implicit-def: $vgpr9
                                        ; implicit-def: $vgpr7
	s_branch .LBB40_82
.LBB40_87:                              ;   in Loop: Header=BB40_7 Depth=1
	s_or_b32 exec_lo, exec_lo, s23
	s_wait_alu 0xfffe
	s_and_b32 s23, s26, exec_lo
.LBB40_88:                              ;   in Loop: Header=BB40_7 Depth=1
	s_wait_alu 0xfffe
	s_or_b32 exec_lo, exec_lo, s25
.LBB40_89:                              ;   in Loop: Header=BB40_7 Depth=1
	s_wait_alu 0xfffe
	s_and_b32 vcc_lo, exec_lo, s24
	s_wait_alu 0xfffe
	s_cbranch_vccz .LBB40_101
; %bb.90:                               ;   in Loop: Header=BB40_7 Depth=1
	s_add_co_i32 s22, s18, s53
                                        ; implicit-def: $vgpr5_vgpr6
	s_wait_alu 0xfffe
	s_abs_i32 s40, s22
	s_wait_alu 0xfffe
	s_mul_u64 s[24:25], s[40:41], s[46:47]
	s_ashr_i32 s24, s22, 31
	s_wait_alu 0xfffe
	s_mul_i32 s20, s25, s50
	s_wait_alu 0xfffe
	s_sub_co_i32 s20, s40, s20
	s_wait_alu 0xfffe
	s_sub_co_i32 s25, s20, s50
	s_cmp_ge_u32 s20, s50
	s_wait_alu 0xfffe
	s_cselect_b32 s20, s25, s20
	s_wait_alu 0xfffe
	s_sub_co_i32 s25, s20, s50
	s_cmp_ge_u32 s20, s50
	s_wait_alu 0xfffe
	s_cselect_b32 s20, s25, s20
	s_wait_alu 0xfffe
	s_xor_b32 s20, s20, s24
	s_wait_alu 0xfffe
	s_sub_co_i32 s20, s24, s20
	s_wait_alu 0xfffe
	s_add_co_i32 s22, s22, s20
	s_mov_b32 s20, exec_lo
	s_wait_alu 0xfffe
	v_cmpx_gt_i32_e64 s22, v0
	s_cbranch_execz .LBB40_100
; %bb.91:                               ;   in Loop: Header=BB40_7 Depth=1
	v_dual_mov_b32 v7, v29 :: v_dual_mov_b32 v8, v0
	s_mov_b32 s25, 0
                                        ; implicit-def: $sgpr24
	s_branch .LBB40_95
.LBB40_92:                              ;   in Loop: Header=BB40_95 Depth=2
	s_wait_alu 0xfffe
	s_or_b32 exec_lo, exec_lo, s26
	s_wait_loadcnt_dscnt 0x0
	s_barrier_signal -1
	s_barrier_wait -1
	global_inv scope:SCOPE_SE
	ds_load_b128 v[3:6], v13 offset:3072
	s_wait_loadcnt_dscnt 0x0
	s_barrier_signal -1
	s_barrier_wait -1
	global_inv scope:SCOPE_SE
	v_cmp_neq_f64_e32 vcc_lo, 0, v[3:4]
	s_cbranch_vccnz .LBB40_98
; %bb.93:                               ;   in Loop: Header=BB40_95 Depth=2
	v_add_nc_u32_e32 v8, s50, v8
	v_add_nc_u32_e32 v7, s65, v7
	s_mov_b32 s26, 0
	s_delay_alu instid0(VALU_DEP_2)
	v_cmp_le_i32_e32 vcc_lo, s22, v8
	s_or_not1_b32 s27, vcc_lo, exec_lo
.LBB40_94:                              ;   in Loop: Header=BB40_95 Depth=2
	s_wait_alu 0xfffe
	s_and_b32 s27, exec_lo, s27
	s_wait_alu 0xfffe
	s_or_b32 s25, s27, s25
	s_and_not1_b32 s24, s24, exec_lo
	s_and_b32 s26, s26, exec_lo
	s_wait_alu 0xfffe
	s_or_b32 s24, s24, s26
	s_and_not1_b32 exec_lo, exec_lo, s25
	s_cbranch_execz .LBB40_99
.LBB40_95:                              ;   Parent Loop BB40_7 Depth=1
                                        ; =>  This Inner Loop Header: Depth=2
	s_mov_b32 s26, exec_lo
	s_delay_alu instid0(VALU_DEP_1)
	v_cmpx_gt_i32_e64 s18, v8
	s_cbranch_execz .LBB40_92
; %bb.96:                               ;   in Loop: Header=BB40_95 Depth=2
	ds_load_b64 v[3:4], v7
	s_wait_dscnt 0x0
	v_cmp_o_f64_e32 vcc_lo, v[3:4], v[3:4]
	v_ashrrev_i32_e32 v1, 31, v4
	s_delay_alu instid0(VALU_DEP_1) | instskip(SKIP_1) | instid1(VALU_DEP_2)
	v_or_b32_e32 v5, 0x80000000, v1
	v_xor_b32_e32 v1, v1, v3
	v_xor_b32_e32 v5, v5, v4
	s_wait_alu 0xfffd
	s_delay_alu instid0(VALU_DEP_1) | instskip(NEXT) | instid1(VALU_DEP_1)
	v_cndmask_b32_e32 v5, -1, v5, vcc_lo
	v_dual_cndmask_b32 v1, -1, v1 :: v_dual_and_b32 v6, v5, v22
	s_delay_alu instid0(VALU_DEP_1) | instskip(NEXT) | instid1(VALU_DEP_1)
	v_and_b32_e32 v5, v1, v21
	v_cmp_eq_u64_e32 vcc_lo, v[5:6], v[18:19]
	s_and_b32 exec_lo, exec_lo, vcc_lo
	s_cbranch_execz .LBB40_92
; %bb.97:                               ;   in Loop: Header=BB40_95 Depth=2
	v_mov_b32_e32 v1, v13
	ds_store_b128 v13, v[1:4] offset:3072
	s_branch .LBB40_92
.LBB40_98:                              ;   in Loop: Header=BB40_95 Depth=2
	s_mov_b32 s27, -1
	s_mov_b32 s26, -1
                                        ; implicit-def: $vgpr8
                                        ; implicit-def: $vgpr7
	s_branch .LBB40_94
.LBB40_99:                              ;   in Loop: Header=BB40_7 Depth=1
	s_or_b32 exec_lo, exec_lo, s25
	s_delay_alu instid0(SALU_CYCLE_1)
	s_and_not1_b32 s18, s23, exec_lo
	s_wait_alu 0xfffe
	s_and_b32 s22, s24, exec_lo
	s_wait_alu 0xfffe
	s_or_b32 s23, s18, s22
.LBB40_100:                             ;   in Loop: Header=BB40_7 Depth=1
	s_or_b32 exec_lo, exec_lo, s20
	s_mov_b32 s20, 0
	s_mov_b32 s22, -1
.LBB40_101:                             ;   in Loop: Header=BB40_7 Depth=1
	s_wait_alu 0xfffe
	s_or_not1_b32 s18, s23, exec_lo
.LBB40_102:                             ;   in Loop: Header=BB40_7 Depth=1
	s_wait_alu 0xfffe
	s_or_b32 exec_lo, exec_lo, s14
	v_readfirstlane_b32 s23, v0
	s_and_not1_b32 s14, s70, exec_lo
	s_and_b32 s22, s22, exec_lo
	s_and_not1_b32 s24, s68, exec_lo
	s_and_b32 s20, s20, exec_lo
	s_and_not1_b32 s67, s67, exec_lo
	s_wait_alu 0xfffe
	s_or_b32 s70, s14, s22
	s_or_b32 s68, s24, s20
                                        ; implicit-def: $vgpr10
	s_and_saveexec_b32 s14, s18
	s_cbranch_execz .LBB40_6
; %bb.103:                              ;   in Loop: Header=BB40_7 Depth=1
	v_dual_mov_b32 v10, 1 :: v_dual_mov_b32 v9, 1
	s_xor_b32 s17, s17, -1
	s_mov_b32 s22, 0
	s_wait_alu 0xfffe
	s_and_saveexec_b32 s16, s17
	s_cbranch_execz .LBB40_112
; %bb.104:                              ;   in Loop: Header=BB40_7 Depth=1
	s_mov_b32 s17, exec_lo
	v_cmpx_ge_i32_e64 s15, v41
	s_wait_alu 0xfffe
	s_xor_b32 s17, exec_lo, s17
	s_cbranch_execz .LBB40_109
; %bb.105:                              ;   in Loop: Header=BB40_7 Depth=1
	ds_load_b32 v1, v13 offset:4096
	v_and_b32_e32 v19, s13, v19
	v_and_b32_e32 v18, s12, v18
	v_or_b32_e32 v22, s11, v22
	v_or_b32_e32 v21, s10, v21
	s_wait_dscnt 0x0
	v_cmp_ne_u32_e32 vcc_lo, 0, v1
	s_cbranch_vccnz .LBB40_109
; %bb.106:                              ;   in Loop: Header=BB40_7 Depth=1
	s_and_saveexec_b32 s18, s2
; %bb.107:                              ;   in Loop: Header=BB40_7 Depth=1
	v_mov_b32_e32 v1, s15
	ds_store_b32 v13, v1 offset:4100
; %bb.108:                              ;   in Loop: Header=BB40_7 Depth=1
	s_wait_alu 0xfffe
	s_or_b32 exec_lo, exec_lo, s18
	s_wait_loadcnt_dscnt 0x0
	s_barrier_signal -1
	s_barrier_wait -1
	global_inv scope:SCOPE_SE
.LBB40_109:                             ;   in Loop: Header=BB40_7 Depth=1
	s_wait_alu 0xfffe
	s_or_saveexec_b32 s17, s17
	v_mov_b32_e32 v9, 8
	s_mov_b32 s18, 0
	s_wait_alu 0xfffe
	s_xor_b32 exec_lo, exec_lo, s17
; %bb.110:                              ;   in Loop: Header=BB40_7 Depth=1
	v_subrev_nc_u32_e32 v41, s15, v41
	v_mov_b32_e32 v9, 0
	s_mov_b32 s18, exec_lo
; %bb.111:                              ;   in Loop: Header=BB40_7 Depth=1
	s_or_b32 exec_lo, exec_lo, s17
	s_delay_alu instid0(VALU_DEP_2)
	v_mov_b32_e32 v10, v41
	s_wait_alu 0xfffe
	s_and_b32 s22, s18, exec_lo
.LBB40_112:                             ;   in Loop: Header=BB40_7 Depth=1
	s_wait_alu 0xfffe
	s_or_b32 exec_lo, exec_lo, s16
	s_mov_b32 s15, -1
	s_mov_b32 s20, -1
                                        ; implicit-def: $sgpr17
                                        ; implicit-def: $sgpr18
	s_and_saveexec_b32 s16, s22
	s_wait_alu 0xfffe
	s_xor_b32 s16, exec_lo, s16
	s_cbranch_execz .LBB40_235
; %bb.113:                              ;   in Loop: Header=BB40_7 Depth=1
	v_cmp_eq_u32_e32 vcc_lo, 1, v10
	s_cmp_eq_u32 s21, 1
	s_mov_b32 s23, -1
	s_cselect_b32 s17, -1, 0
                                        ; implicit-def: $sgpr18
	s_wait_alu 0xfffe
	s_and_b32 s22, s17, vcc_lo
                                        ; implicit-def: $sgpr17
	s_wait_alu 0xfffe
	s_and_saveexec_b32 s20, s22
	s_cbranch_execz .LBB40_141
; %bb.114:                              ;   in Loop: Header=BB40_7 Depth=1
	ds_load_b32 v1, v13 offset:4096
	s_wait_loadcnt_dscnt 0x0
	s_barrier_signal -1
	s_barrier_wait -1
	global_inv scope:SCOPE_SE
	v_readfirstlane_b32 s23, v1
	s_and_saveexec_b32 s17, s0
; %bb.115:                              ;   in Loop: Header=BB40_7 Depth=1
	v_mov_b32_e32 v12, v13
	ds_store_b64 v30, v[12:13]
; %bb.116:                              ;   in Loop: Header=BB40_7 Depth=1
	s_wait_alu 0xfffe
	s_or_b32 exec_lo, exec_lo, s17
	v_and_b32_e32 v1, s13, v19
	v_and_b32_e32 v3, s12, v18
	s_lshl_b64 s[24:25], 1, s72
	v_or_b32_e32 v22, s11, v22
	v_or_b32_e32 v21, s10, v21
	s_wait_alu 0xfffe
	v_or_b32_e32 v19, s25, v1
	v_or_b32_e32 v18, s24, v3
	s_mov_b32 s17, -1
	s_mov_b32 s18, 0
	s_cmp_gt_i32 s23, 0
	s_mov_b32 s24, 0
	s_mov_b32 s25, -1
	s_wait_loadcnt_dscnt 0x0
	s_barrier_signal -1
	s_barrier_wait -1
	global_inv scope:SCOPE_SE
                                        ; implicit-def: $vgpr5_vgpr6
	s_cbranch_scc1 .LBB40_128
; %bb.117:                              ;   in Loop: Header=BB40_7 Depth=1
	s_mov_b32 s25, 0
                                        ; implicit-def: $vgpr5_vgpr6
	s_and_saveexec_b32 s26, s8
	s_cbranch_execz .LBB40_127
; %bb.118:                              ;   in Loop: Header=BB40_7 Depth=1
	v_dual_mov_b32 v7, v11 :: v_dual_mov_b32 v12, v0
                                        ; implicit-def: $sgpr27
	s_branch .LBB40_122
.LBB40_119:                             ;   in Loop: Header=BB40_122 Depth=2
	s_or_b32 exec_lo, exec_lo, s28
	s_wait_loadcnt_dscnt 0x0
	s_barrier_signal -1
	s_barrier_wait -1
	global_inv scope:SCOPE_SE
	ds_load_b128 v[3:6], v13 offset:3072
	s_wait_loadcnt_dscnt 0x0
	s_barrier_signal -1
	s_barrier_wait -1
	global_inv scope:SCOPE_SE
	v_cmp_neq_f64_e32 vcc_lo, 0, v[3:4]
	s_cbranch_vccnz .LBB40_125
; %bb.120:                              ;   in Loop: Header=BB40_122 Depth=2
	v_add_nc_u32_e32 v12, s50, v12
	v_add_nc_u32_e32 v7, s54, v7
	s_mov_b32 s28, 0
	s_delay_alu instid0(VALU_DEP_2)
	v_cmp_le_i32_e32 vcc_lo, s62, v12
	s_or_not1_b32 s40, vcc_lo, exec_lo
.LBB40_121:                             ;   in Loop: Header=BB40_122 Depth=2
	s_wait_alu 0xfffe
	s_and_b32 s40, exec_lo, s40
	s_wait_alu 0xfffe
	s_or_b32 s24, s40, s24
	s_and_not1_b32 s27, s27, exec_lo
	s_and_b32 s28, s28, exec_lo
	s_wait_alu 0xfffe
	s_or_b32 s27, s27, s28
	s_and_not1_b32 exec_lo, exec_lo, s24
	s_cbranch_execz .LBB40_126
.LBB40_122:                             ;   Parent Loop BB40_7 Depth=1
                                        ; =>  This Inner Loop Header: Depth=2
	s_mov_b32 s28, exec_lo
	s_delay_alu instid0(VALU_DEP_1)
	v_cmpx_gt_i32_e64 s36, v12
	s_cbranch_execz .LBB40_119
; %bb.123:                              ;   in Loop: Header=BB40_122 Depth=2
	v_ashrrev_i32_e32 v8, 31, v7
	s_delay_alu instid0(VALU_DEP_1) | instskip(NEXT) | instid1(VALU_DEP_1)
	v_lshlrev_b64_e32 v[3:4], 3, v[7:8]
	v_add_co_u32 v3, vcc_lo, s42, v3
	s_wait_alu 0xfffd
	s_delay_alu instid0(VALU_DEP_2) | instskip(SKIP_4) | instid1(VALU_DEP_1)
	v_add_co_ci_u32_e64 v4, null, s43, v4, vcc_lo
	global_load_b64 v[3:4], v[3:4], off
	s_wait_loadcnt 0x0
	v_cmp_o_f64_e32 vcc_lo, v[3:4], v[3:4]
	v_ashrrev_i32_e32 v1, 31, v4
	v_or_b32_e32 v5, 0x80000000, v1
	v_xor_b32_e32 v1, v1, v3
	s_delay_alu instid0(VALU_DEP_2) | instskip(SKIP_1) | instid1(VALU_DEP_1)
	v_xor_b32_e32 v5, v5, v4
	s_wait_alu 0xfffd
	v_cndmask_b32_e32 v5, -1, v5, vcc_lo
	s_delay_alu instid0(VALU_DEP_1) | instskip(NEXT) | instid1(VALU_DEP_1)
	v_dual_cndmask_b32 v1, -1, v1 :: v_dual_and_b32 v6, v5, v22
	v_and_b32_e32 v5, v1, v21
	s_delay_alu instid0(VALU_DEP_1)
	v_cmp_eq_u64_e32 vcc_lo, v[5:6], v[18:19]
	s_and_b32 exec_lo, exec_lo, vcc_lo
	s_cbranch_execz .LBB40_119
; %bb.124:                              ;   in Loop: Header=BB40_122 Depth=2
	v_mov_b32_e32 v1, v13
	ds_store_b128 v13, v[1:4] offset:3072
	s_branch .LBB40_119
.LBB40_125:                             ;   in Loop: Header=BB40_122 Depth=2
	s_mov_b32 s40, -1
	s_mov_b32 s28, -1
                                        ; implicit-def: $vgpr12
                                        ; implicit-def: $vgpr7
	s_branch .LBB40_121
.LBB40_126:                             ;   in Loop: Header=BB40_7 Depth=1
	s_or_b32 exec_lo, exec_lo, s24
	s_wait_alu 0xfffe
	s_and_b32 s24, s27, exec_lo
.LBB40_127:                             ;   in Loop: Header=BB40_7 Depth=1
	s_wait_alu 0xfffe
	s_or_b32 exec_lo, exec_lo, s26
.LBB40_128:                             ;   in Loop: Header=BB40_7 Depth=1
	s_wait_alu 0xfffe
	s_and_b32 vcc_lo, exec_lo, s25
	s_wait_alu 0xfffe
	s_cbranch_vccz .LBB40_140
; %bb.129:                              ;   in Loop: Header=BB40_7 Depth=1
	s_add_co_i32 s18, s23, s53
                                        ; implicit-def: $vgpr5_vgpr6
	s_wait_alu 0xfffe
	s_abs_i32 s40, s18
	s_ashr_i32 s25, s18, 31
	s_wait_alu 0xfffe
	s_mul_u64 s[26:27], s[40:41], s[46:47]
	s_wait_alu 0xfffe
	s_mul_i32 s17, s27, s50
	s_wait_alu 0xfffe
	s_sub_co_i32 s17, s40, s17
	s_wait_alu 0xfffe
	s_sub_co_i32 s26, s17, s50
	s_cmp_ge_u32 s17, s50
	s_wait_alu 0xfffe
	s_cselect_b32 s17, s26, s17
	s_wait_alu 0xfffe
	s_sub_co_i32 s26, s17, s50
	s_cmp_ge_u32 s17, s50
	s_wait_alu 0xfffe
	s_cselect_b32 s17, s26, s17
	s_wait_alu 0xfffe
	s_xor_b32 s17, s17, s25
	s_wait_alu 0xfffe
	s_sub_co_i32 s17, s25, s17
	s_wait_alu 0xfffe
	s_add_co_i32 s18, s18, s17
	s_mov_b32 s17, exec_lo
	s_wait_alu 0xfffe
	v_cmpx_gt_i32_e64 s18, v0
	s_cbranch_execz .LBB40_139
; %bb.130:                              ;   in Loop: Header=BB40_7 Depth=1
	v_dual_mov_b32 v7, v29 :: v_dual_mov_b32 v8, v0
	s_mov_b32 s25, 0
                                        ; implicit-def: $sgpr26
	s_branch .LBB40_134
.LBB40_131:                             ;   in Loop: Header=BB40_134 Depth=2
	s_wait_alu 0xfffe
	s_or_b32 exec_lo, exec_lo, s27
	s_wait_loadcnt_dscnt 0x0
	s_barrier_signal -1
	s_barrier_wait -1
	global_inv scope:SCOPE_SE
	ds_load_b128 v[3:6], v13 offset:3072
	s_wait_loadcnt_dscnt 0x0
	s_barrier_signal -1
	s_barrier_wait -1
	global_inv scope:SCOPE_SE
	v_cmp_eq_f64_e32 vcc_lo, 0, v[3:4]
	s_cbranch_vccz .LBB40_137
; %bb.132:                              ;   in Loop: Header=BB40_134 Depth=2
	v_add_nc_u32_e32 v8, s50, v8
	v_add_nc_u32_e32 v7, s65, v7
	s_mov_b32 s27, 0
	s_delay_alu instid0(VALU_DEP_2)
	v_cmp_le_i32_e32 vcc_lo, s18, v8
	s_or_not1_b32 s28, vcc_lo, exec_lo
.LBB40_133:                             ;   in Loop: Header=BB40_134 Depth=2
	s_delay_alu instid0(SALU_CYCLE_1)
	s_and_b32 s28, exec_lo, s28
	s_wait_alu 0xfffe
	s_or_b32 s25, s28, s25
	s_and_not1_b32 s26, s26, exec_lo
	s_and_b32 s27, s27, exec_lo
	s_wait_alu 0xfffe
	s_or_b32 s26, s26, s27
	s_and_not1_b32 exec_lo, exec_lo, s25
	s_cbranch_execz .LBB40_138
.LBB40_134:                             ;   Parent Loop BB40_7 Depth=1
                                        ; =>  This Inner Loop Header: Depth=2
	s_mov_b32 s27, exec_lo
	s_delay_alu instid0(VALU_DEP_1)
	v_cmpx_gt_i32_e64 s23, v8
	s_cbranch_execz .LBB40_131
; %bb.135:                              ;   in Loop: Header=BB40_134 Depth=2
	ds_load_b64 v[3:4], v7
	s_wait_dscnt 0x0
	v_cmp_o_f64_e32 vcc_lo, v[3:4], v[3:4]
	v_ashrrev_i32_e32 v1, 31, v4
	s_delay_alu instid0(VALU_DEP_1) | instskip(SKIP_1) | instid1(VALU_DEP_2)
	v_or_b32_e32 v5, 0x80000000, v1
	v_xor_b32_e32 v1, v1, v3
	v_xor_b32_e32 v5, v5, v4
	s_wait_alu 0xfffd
	s_delay_alu instid0(VALU_DEP_1) | instskip(NEXT) | instid1(VALU_DEP_1)
	v_cndmask_b32_e32 v5, -1, v5, vcc_lo
	v_dual_cndmask_b32 v1, -1, v1 :: v_dual_and_b32 v6, v5, v22
	s_delay_alu instid0(VALU_DEP_1) | instskip(NEXT) | instid1(VALU_DEP_1)
	v_and_b32_e32 v5, v1, v21
	v_cmp_eq_u64_e32 vcc_lo, v[5:6], v[18:19]
	s_and_b32 exec_lo, exec_lo, vcc_lo
	s_cbranch_execz .LBB40_131
; %bb.136:                              ;   in Loop: Header=BB40_134 Depth=2
	v_mov_b32_e32 v1, v13
	ds_store_b128 v13, v[1:4] offset:3072
	s_branch .LBB40_131
.LBB40_137:                             ;   in Loop: Header=BB40_134 Depth=2
	s_mov_b32 s28, -1
	s_mov_b32 s27, -1
                                        ; implicit-def: $vgpr8
                                        ; implicit-def: $vgpr7
	s_branch .LBB40_133
.LBB40_138:                             ;   in Loop: Header=BB40_7 Depth=1
	s_or_b32 exec_lo, exec_lo, s25
	s_delay_alu instid0(SALU_CYCLE_1)
	s_and_not1_b32 s18, s24, exec_lo
	s_wait_alu 0xfffe
	s_and_b32 s23, s26, exec_lo
	s_wait_alu 0xfffe
	s_or_b32 s24, s18, s23
.LBB40_139:                             ;   in Loop: Header=BB40_7 Depth=1
	s_or_b32 exec_lo, exec_lo, s17
	s_mov_b32 s17, 0
	s_mov_b32 s18, -1
.LBB40_140:                             ;   in Loop: Header=BB40_7 Depth=1
	s_wait_alu 0xfffe
	s_or_not1_b32 s23, s24, exec_lo
.LBB40_141:                             ;   in Loop: Header=BB40_7 Depth=1
	s_wait_alu 0xfffe
	s_or_b32 exec_lo, exec_lo, s20
	s_mov_b32 s24, 0
	s_and_saveexec_b32 s20, s23
	s_cbranch_execz .LBB40_234
; %bb.142:                              ;   in Loop: Header=BB40_7 Depth=1
	v_mov_b32_e32 v23, 1
	v_mov_b32_e32 v9, 1
	s_xor_b32 s23, s22, -1
	s_mov_b32 s25, 0
	s_wait_alu 0xfffe
	s_and_saveexec_b32 s22, s23
	s_cbranch_execz .LBB40_151
; %bb.143:                              ;   in Loop: Header=BB40_7 Depth=1
	s_mov_b32 s23, exec_lo
	v_cmpx_ge_i32_e64 s21, v10
	s_wait_alu 0xfffe
	s_xor_b32 s23, exec_lo, s23
	s_cbranch_execz .LBB40_148
; %bb.144:                              ;   in Loop: Header=BB40_7 Depth=1
	ds_load_b32 v1, v13 offset:4096
	v_and_b32_e32 v3, s13, v19
	v_and_b32_e32 v4, s12, v18
	s_lshl_b64 s[24:25], 1, s72
	v_or_b32_e32 v22, s11, v22
	v_or_b32_e32 v21, s10, v21
	s_wait_alu 0xfffe
	v_or_b32_e32 v19, s25, v3
	v_or_b32_e32 v18, s24, v4
	s_wait_dscnt 0x0
	v_cmp_ne_u32_e32 vcc_lo, 0, v1
	s_cbranch_vccnz .LBB40_148
; %bb.145:                              ;   in Loop: Header=BB40_7 Depth=1
	s_and_saveexec_b32 s24, s2
; %bb.146:                              ;   in Loop: Header=BB40_7 Depth=1
	v_mov_b32_e32 v1, s21
	ds_store_b32 v13, v1 offset:4100
; %bb.147:                              ;   in Loop: Header=BB40_7 Depth=1
	s_wait_alu 0xfffe
	s_or_b32 exec_lo, exec_lo, s24
	s_wait_loadcnt_dscnt 0x0
	s_barrier_signal -1
	s_barrier_wait -1
	global_inv scope:SCOPE_SE
.LBB40_148:                             ;   in Loop: Header=BB40_7 Depth=1
	s_wait_alu 0xfffe
	s_or_saveexec_b32 s23, s23
	v_mov_b32_e32 v9, 8
	s_mov_b32 s24, 0
	s_wait_alu 0xfffe
	s_xor_b32 exec_lo, exec_lo, s23
; %bb.149:                              ;   in Loop: Header=BB40_7 Depth=1
	v_subrev_nc_u32_e32 v10, s21, v10
	v_mov_b32_e32 v9, 0
	s_mov_b32 s24, exec_lo
; %bb.150:                              ;   in Loop: Header=BB40_7 Depth=1
	s_or_b32 exec_lo, exec_lo, s23
	s_delay_alu instid0(VALU_DEP_2)
	v_mov_b32_e32 v23, v10
	s_wait_alu 0xfffe
	s_and_b32 s25, s24, exec_lo
.LBB40_151:                             ;   in Loop: Header=BB40_7 Depth=1
	s_wait_alu 0xfffe
	s_or_b32 exec_lo, exec_lo, s22
	s_mov_b32 s24, -1
                                        ; implicit-def: $sgpr22
                                        ; implicit-def: $sgpr23
	s_and_saveexec_b32 s21, s25
	s_cbranch_execz .LBB40_233
; %bb.152:                              ;   in Loop: Header=BB40_7 Depth=1
	v_cmp_eq_u32_e32 vcc_lo, 1, v23
	s_cmp_eq_u32 s19, 1
	s_mov_b32 s26, -1
	s_cselect_b32 s22, -1, 0
                                        ; implicit-def: $sgpr23
	s_wait_alu 0xfffe
	s_and_b32 s25, s22, vcc_lo
                                        ; implicit-def: $sgpr22
	s_wait_alu 0xfffe
	s_and_saveexec_b32 s24, s25
	s_cbranch_execz .LBB40_180
; %bb.153:                              ;   in Loop: Header=BB40_7 Depth=1
	ds_load_b32 v1, v13 offset:4096
	s_wait_loadcnt_dscnt 0x0
	s_barrier_signal -1
	s_barrier_wait -1
	global_inv scope:SCOPE_SE
	v_readfirstlane_b32 s26, v1
	s_and_saveexec_b32 s22, s0
; %bb.154:                              ;   in Loop: Header=BB40_7 Depth=1
	v_mov_b32_e32 v12, v13
	ds_store_b64 v30, v[12:13]
; %bb.155:                              ;   in Loop: Header=BB40_7 Depth=1
	s_wait_alu 0xfffe
	s_or_b32 exec_lo, exec_lo, s22
	v_and_b32_e32 v1, s13, v19
	v_and_b32_e32 v3, s12, v18
	s_lshl_b64 s[22:23], 2, s72
	v_or_b32_e32 v22, s11, v22
	v_or_b32_e32 v21, s10, v21
	s_wait_alu 0xfffe
	v_or_b32_e32 v19, s23, v1
	v_or_b32_e32 v18, s22, v3
	s_mov_b32 s22, -1
	s_mov_b32 s23, 0
	s_cmp_gt_i32 s26, 0
	s_mov_b32 s27, 0
	s_mov_b32 s28, -1
	s_wait_loadcnt_dscnt 0x0
	s_barrier_signal -1
	s_barrier_wait -1
	global_inv scope:SCOPE_SE
                                        ; implicit-def: $vgpr5_vgpr6
	s_cbranch_scc1 .LBB40_167
; %bb.156:                              ;   in Loop: Header=BB40_7 Depth=1
	s_mov_b32 s28, 0
                                        ; implicit-def: $vgpr5_vgpr6
	s_and_saveexec_b32 s40, s8
	s_cbranch_execz .LBB40_166
; %bb.157:                              ;   in Loop: Header=BB40_7 Depth=1
	v_dual_mov_b32 v7, v11 :: v_dual_mov_b32 v10, v0
                                        ; implicit-def: $sgpr73
	s_branch .LBB40_161
.LBB40_158:                             ;   in Loop: Header=BB40_161 Depth=2
	s_wait_alu 0xfffe
	s_or_b32 exec_lo, exec_lo, s74
	s_wait_loadcnt_dscnt 0x0
	s_barrier_signal -1
	s_barrier_wait -1
	global_inv scope:SCOPE_SE
	ds_load_b128 v[3:6], v13 offset:3072
	s_wait_loadcnt_dscnt 0x0
	s_barrier_signal -1
	s_barrier_wait -1
	global_inv scope:SCOPE_SE
	v_cmp_neq_f64_e32 vcc_lo, 0, v[3:4]
	s_cbranch_vccnz .LBB40_164
; %bb.159:                              ;   in Loop: Header=BB40_161 Depth=2
	v_add_nc_u32_e32 v10, s50, v10
	v_add_nc_u32_e32 v7, s54, v7
	s_mov_b32 s74, 0
	s_delay_alu instid0(VALU_DEP_2)
	v_cmp_le_i32_e32 vcc_lo, s62, v10
	s_or_not1_b32 s75, vcc_lo, exec_lo
.LBB40_160:                             ;   in Loop: Header=BB40_161 Depth=2
	s_wait_alu 0xfffe
	s_and_b32 s75, exec_lo, s75
	s_wait_alu 0xfffe
	s_or_b32 s27, s75, s27
	s_and_not1_b32 s73, s73, exec_lo
	s_and_b32 s74, s74, exec_lo
	s_wait_alu 0xfffe
	s_or_b32 s73, s73, s74
	s_and_not1_b32 exec_lo, exec_lo, s27
	s_cbranch_execz .LBB40_165
.LBB40_161:                             ;   Parent Loop BB40_7 Depth=1
                                        ; =>  This Inner Loop Header: Depth=2
	s_mov_b32 s74, exec_lo
	s_delay_alu instid0(VALU_DEP_1)
	v_cmpx_gt_i32_e64 s36, v10
	s_cbranch_execz .LBB40_158
; %bb.162:                              ;   in Loop: Header=BB40_161 Depth=2
	v_ashrrev_i32_e32 v8, 31, v7
	s_delay_alu instid0(VALU_DEP_1) | instskip(NEXT) | instid1(VALU_DEP_1)
	v_lshlrev_b64_e32 v[3:4], 3, v[7:8]
	v_add_co_u32 v3, vcc_lo, s42, v3
	s_wait_alu 0xfffd
	s_delay_alu instid0(VALU_DEP_2) | instskip(SKIP_4) | instid1(VALU_DEP_1)
	v_add_co_ci_u32_e64 v4, null, s43, v4, vcc_lo
	global_load_b64 v[3:4], v[3:4], off
	s_wait_loadcnt 0x0
	v_cmp_o_f64_e32 vcc_lo, v[3:4], v[3:4]
	v_ashrrev_i32_e32 v1, 31, v4
	v_or_b32_e32 v5, 0x80000000, v1
	v_xor_b32_e32 v1, v1, v3
	s_delay_alu instid0(VALU_DEP_2) | instskip(SKIP_1) | instid1(VALU_DEP_1)
	v_xor_b32_e32 v5, v5, v4
	s_wait_alu 0xfffd
	v_cndmask_b32_e32 v5, -1, v5, vcc_lo
	s_delay_alu instid0(VALU_DEP_1) | instskip(NEXT) | instid1(VALU_DEP_1)
	v_dual_cndmask_b32 v1, -1, v1 :: v_dual_and_b32 v6, v5, v22
	v_and_b32_e32 v5, v1, v21
	s_delay_alu instid0(VALU_DEP_1)
	v_cmp_eq_u64_e32 vcc_lo, v[5:6], v[18:19]
	s_and_b32 exec_lo, exec_lo, vcc_lo
	s_cbranch_execz .LBB40_158
; %bb.163:                              ;   in Loop: Header=BB40_161 Depth=2
	v_mov_b32_e32 v1, v13
	ds_store_b128 v13, v[1:4] offset:3072
	s_branch .LBB40_158
.LBB40_164:                             ;   in Loop: Header=BB40_161 Depth=2
	s_mov_b32 s75, -1
	s_mov_b32 s74, -1
                                        ; implicit-def: $vgpr10
                                        ; implicit-def: $vgpr7
	s_branch .LBB40_160
.LBB40_165:                             ;   in Loop: Header=BB40_7 Depth=1
	s_or_b32 exec_lo, exec_lo, s27
	s_wait_alu 0xfffe
	s_and_b32 s27, s73, exec_lo
.LBB40_166:                             ;   in Loop: Header=BB40_7 Depth=1
	s_wait_alu 0xfffe
	s_or_b32 exec_lo, exec_lo, s40
.LBB40_167:                             ;   in Loop: Header=BB40_7 Depth=1
	s_delay_alu instid0(SALU_CYCLE_1)
	s_and_b32 vcc_lo, exec_lo, s28
	s_wait_alu 0xfffe
	s_cbranch_vccz .LBB40_179
; %bb.168:                              ;   in Loop: Header=BB40_7 Depth=1
	s_add_co_i32 s28, s26, s53
                                        ; implicit-def: $vgpr5_vgpr6
	s_delay_alu instid0(SALU_CYCLE_1)
	s_abs_i32 s40, s28
	s_wait_alu 0xfffe
	s_mul_u64 s[22:23], s[40:41], s[46:47]
	s_wait_alu 0xfffe
	s_mul_i32 s22, s23, s50
	s_ashr_i32 s23, s28, 31
	s_wait_alu 0xfffe
	s_sub_co_i32 s22, s40, s22
	s_wait_alu 0xfffe
	s_sub_co_i32 s40, s22, s50
	s_cmp_ge_u32 s22, s50
	s_wait_alu 0xfffe
	s_cselect_b32 s22, s40, s22
	s_wait_alu 0xfffe
	s_sub_co_i32 s40, s22, s50
	s_cmp_ge_u32 s22, s50
	s_wait_alu 0xfffe
	s_cselect_b32 s22, s40, s22
	s_wait_alu 0xfffe
	s_xor_b32 s22, s22, s23
	s_wait_alu 0xfffe
	s_sub_co_i32 s22, s23, s22
	s_wait_alu 0xfffe
	s_add_co_i32 s23, s28, s22
	s_mov_b32 s22, exec_lo
	s_wait_alu 0xfffe
	v_cmpx_gt_i32_e64 s23, v0
	s_cbranch_execz .LBB40_178
; %bb.169:                              ;   in Loop: Header=BB40_7 Depth=1
	v_dual_mov_b32 v7, v29 :: v_dual_mov_b32 v8, v0
	s_mov_b32 s28, 0
                                        ; implicit-def: $sgpr40
	s_branch .LBB40_173
.LBB40_170:                             ;   in Loop: Header=BB40_173 Depth=2
	s_wait_alu 0xfffe
	s_or_b32 exec_lo, exec_lo, s73
	s_wait_loadcnt_dscnt 0x0
	s_barrier_signal -1
	s_barrier_wait -1
	global_inv scope:SCOPE_SE
	ds_load_b128 v[3:6], v13 offset:3072
	s_wait_loadcnt_dscnt 0x0
	s_barrier_signal -1
	s_barrier_wait -1
	global_inv scope:SCOPE_SE
	v_cmp_eq_f64_e32 vcc_lo, 0, v[3:4]
	s_cbranch_vccz .LBB40_176
; %bb.171:                              ;   in Loop: Header=BB40_173 Depth=2
	v_add_nc_u32_e32 v8, s50, v8
	v_add_nc_u32_e32 v7, s65, v7
	s_mov_b32 s73, 0
	s_delay_alu instid0(VALU_DEP_2)
	v_cmp_le_i32_e32 vcc_lo, s23, v8
	s_or_not1_b32 s74, vcc_lo, exec_lo
.LBB40_172:                             ;   in Loop: Header=BB40_173 Depth=2
	s_wait_alu 0xfffe
	s_and_b32 s74, exec_lo, s74
	s_wait_alu 0xfffe
	s_or_b32 s28, s74, s28
	s_and_not1_b32 s40, s40, exec_lo
	s_and_b32 s73, s73, exec_lo
	s_wait_alu 0xfffe
	s_or_b32 s40, s40, s73
	s_and_not1_b32 exec_lo, exec_lo, s28
	s_cbranch_execz .LBB40_177
.LBB40_173:                             ;   Parent Loop BB40_7 Depth=1
                                        ; =>  This Inner Loop Header: Depth=2
	s_mov_b32 s73, exec_lo
	s_delay_alu instid0(VALU_DEP_1)
	v_cmpx_gt_i32_e64 s26, v8
	s_cbranch_execz .LBB40_170
; %bb.174:                              ;   in Loop: Header=BB40_173 Depth=2
	ds_load_b64 v[3:4], v7
	s_wait_dscnt 0x0
	v_cmp_o_f64_e32 vcc_lo, v[3:4], v[3:4]
	v_ashrrev_i32_e32 v1, 31, v4
	s_delay_alu instid0(VALU_DEP_1) | instskip(SKIP_1) | instid1(VALU_DEP_2)
	v_or_b32_e32 v5, 0x80000000, v1
	v_xor_b32_e32 v1, v1, v3
	v_xor_b32_e32 v5, v5, v4
	s_wait_alu 0xfffd
	s_delay_alu instid0(VALU_DEP_1) | instskip(NEXT) | instid1(VALU_DEP_1)
	v_cndmask_b32_e32 v5, -1, v5, vcc_lo
	v_dual_cndmask_b32 v1, -1, v1 :: v_dual_and_b32 v6, v5, v22
	s_delay_alu instid0(VALU_DEP_1) | instskip(NEXT) | instid1(VALU_DEP_1)
	v_and_b32_e32 v5, v1, v21
	v_cmp_eq_u64_e32 vcc_lo, v[5:6], v[18:19]
	s_and_b32 exec_lo, exec_lo, vcc_lo
	s_cbranch_execz .LBB40_170
; %bb.175:                              ;   in Loop: Header=BB40_173 Depth=2
	v_mov_b32_e32 v1, v13
	ds_store_b128 v13, v[1:4] offset:3072
	s_branch .LBB40_170
.LBB40_176:                             ;   in Loop: Header=BB40_173 Depth=2
	s_mov_b32 s74, -1
	s_mov_b32 s73, -1
                                        ; implicit-def: $vgpr8
                                        ; implicit-def: $vgpr7
	s_branch .LBB40_172
.LBB40_177:                             ;   in Loop: Header=BB40_7 Depth=1
	s_or_b32 exec_lo, exec_lo, s28
	s_delay_alu instid0(SALU_CYCLE_1)
	s_and_not1_b32 s23, s27, exec_lo
	s_wait_alu 0xfffe
	s_and_b32 s26, s40, exec_lo
	s_wait_alu 0xfffe
	s_or_b32 s27, s23, s26
.LBB40_178:                             ;   in Loop: Header=BB40_7 Depth=1
	s_or_b32 exec_lo, exec_lo, s22
	s_mov_b32 s22, 0
	s_mov_b32 s23, -1
.LBB40_179:                             ;   in Loop: Header=BB40_7 Depth=1
	s_wait_alu 0xfffe
	s_or_not1_b32 s26, s27, exec_lo
.LBB40_180:                             ;   in Loop: Header=BB40_7 Depth=1
	s_wait_alu 0xfffe
	s_or_b32 exec_lo, exec_lo, s24
	s_mov_b32 s27, 0
	s_and_saveexec_b32 s24, s26
	s_cbranch_execz .LBB40_232
; %bb.181:                              ;   in Loop: Header=BB40_7 Depth=1
	v_dual_mov_b32 v10, 1 :: v_dual_mov_b32 v9, 1
	s_xor_b32 s26, s25, -1
	s_wait_alu 0xfffe
	s_and_saveexec_b32 s25, s26
	s_cbranch_execz .LBB40_190
; %bb.182:                              ;   in Loop: Header=BB40_7 Depth=1
	s_mov_b32 s26, exec_lo
	v_cmpx_ge_i32_e64 s19, v23
	s_wait_alu 0xfffe
	s_xor_b32 s26, exec_lo, s26
	s_cbranch_execz .LBB40_187
; %bb.183:                              ;   in Loop: Header=BB40_7 Depth=1
	ds_load_b32 v1, v13 offset:4096
	v_and_b32_e32 v3, s13, v19
	v_and_b32_e32 v4, s12, v18
	s_lshl_b64 s[12:13], 2, s72
	v_or_b32_e32 v22, s11, v22
	v_or_b32_e32 v21, s10, v21
	s_wait_alu 0xfffe
	v_or_b32_e32 v19, s13, v3
	v_or_b32_e32 v18, s12, v4
	s_wait_dscnt 0x0
	v_cmp_ne_u32_e32 vcc_lo, 0, v1
	s_cbranch_vccnz .LBB40_187
; %bb.184:                              ;   in Loop: Header=BB40_7 Depth=1
	s_and_saveexec_b32 s12, s2
; %bb.185:                              ;   in Loop: Header=BB40_7 Depth=1
	v_mov_b32_e32 v1, s19
	ds_store_b32 v13, v1 offset:4100
; %bb.186:                              ;   in Loop: Header=BB40_7 Depth=1
	s_wait_alu 0xfffe
	s_or_b32 exec_lo, exec_lo, s12
	s_wait_loadcnt_dscnt 0x0
	s_barrier_signal -1
	s_barrier_wait -1
	global_inv scope:SCOPE_SE
.LBB40_187:                             ;   in Loop: Header=BB40_7 Depth=1
	s_wait_alu 0xfffe
	s_or_saveexec_b32 s12, s26
	v_mov_b32_e32 v9, 8
	s_mov_b32 s13, 0
	s_wait_alu 0xfffe
	s_xor_b32 exec_lo, exec_lo, s12
; %bb.188:                              ;   in Loop: Header=BB40_7 Depth=1
	v_subrev_nc_u32_e32 v23, s19, v23
	v_mov_b32_e32 v9, 0
	s_mov_b32 s13, exec_lo
; %bb.189:                              ;   in Loop: Header=BB40_7 Depth=1
	s_or_b32 exec_lo, exec_lo, s12
	s_delay_alu instid0(VALU_DEP_2)
	v_mov_b32_e32 v10, v23
	s_wait_alu 0xfffe
	s_and_b32 s27, s13, exec_lo
.LBB40_190:                             ;   in Loop: Header=BB40_7 Depth=1
	s_wait_alu 0xfffe
	s_or_b32 exec_lo, exec_lo, s25
	s_mov_b32 s13, -1
                                        ; implicit-def: $sgpr26
                                        ; implicit-def: $sgpr25
	s_and_saveexec_b32 s12, s27
	s_cbranch_execz .LBB40_231
; %bb.191:                              ;   in Loop: Header=BB40_7 Depth=1
	v_cmp_eq_u32_e32 vcc_lo, 1, v10
	s_cmp_eq_u32 s9, 1
	s_mov_b32 s27, -1
	s_cselect_b32 s13, -1, 0
                                        ; implicit-def: $sgpr26
                                        ; implicit-def: $sgpr25
	s_wait_alu 0xfffe
	s_and_b32 s13, s13, vcc_lo
	s_wait_alu 0xfffe
	s_and_saveexec_b32 s19, s13
	s_cbranch_execz .LBB40_219
; %bb.192:                              ;   in Loop: Header=BB40_7 Depth=1
	ds_load_b32 v1, v13 offset:4096
	s_wait_loadcnt_dscnt 0x0
	s_barrier_signal -1
	s_barrier_wait -1
	global_inv scope:SCOPE_SE
	v_readfirstlane_b32 s27, v1
	s_and_saveexec_b32 s25, s0
; %bb.193:                              ;   in Loop: Header=BB40_7 Depth=1
	v_mov_b32_e32 v12, v13
	ds_store_b64 v30, v[12:13]
; %bb.194:                              ;   in Loop: Header=BB40_7 Depth=1
	s_wait_alu 0xfffe
	s_or_b32 exec_lo, exec_lo, s25
	v_or_b32_e32 v19, s11, v19
	v_or_b32_e32 v18, s10, v18
	;; [unrolled: 1-line block ×4, first 2 shown]
	s_mov_b32 s25, -1
	s_mov_b32 s26, 0
	s_cmp_gt_i32 s27, 0
	s_mov_b32 s28, 0
	s_mov_b32 s40, -1
	s_wait_loadcnt_dscnt 0x0
	s_barrier_signal -1
	s_barrier_wait -1
	global_inv scope:SCOPE_SE
                                        ; implicit-def: $vgpr5_vgpr6
	s_cbranch_scc1 .LBB40_206
; %bb.195:                              ;   in Loop: Header=BB40_7 Depth=1
	s_mov_b32 s40, 0
                                        ; implicit-def: $vgpr5_vgpr6
	s_and_saveexec_b32 s73, s8
	s_cbranch_execz .LBB40_205
; %bb.196:                              ;   in Loop: Header=BB40_7 Depth=1
	v_dual_mov_b32 v7, v11 :: v_dual_mov_b32 v12, v0
                                        ; implicit-def: $sgpr74
	s_branch .LBB40_200
.LBB40_197:                             ;   in Loop: Header=BB40_200 Depth=2
	s_wait_alu 0xfffe
	s_or_b32 exec_lo, exec_lo, s75
	s_wait_loadcnt_dscnt 0x0
	s_barrier_signal -1
	s_barrier_wait -1
	global_inv scope:SCOPE_SE
	ds_load_b128 v[3:6], v13 offset:3072
	s_wait_loadcnt_dscnt 0x0
	s_barrier_signal -1
	s_barrier_wait -1
	global_inv scope:SCOPE_SE
	v_cmp_neq_f64_e32 vcc_lo, 0, v[3:4]
	s_cbranch_vccnz .LBB40_203
; %bb.198:                              ;   in Loop: Header=BB40_200 Depth=2
	v_add_nc_u32_e32 v12, s50, v12
	v_add_nc_u32_e32 v7, s54, v7
	s_mov_b32 s75, 0
	s_delay_alu instid0(VALU_DEP_2)
	v_cmp_le_i32_e32 vcc_lo, s62, v12
	s_or_not1_b32 s76, vcc_lo, exec_lo
.LBB40_199:                             ;   in Loop: Header=BB40_200 Depth=2
	s_wait_alu 0xfffe
	s_and_b32 s76, exec_lo, s76
	s_wait_alu 0xfffe
	s_or_b32 s28, s76, s28
	s_and_not1_b32 s74, s74, exec_lo
	s_and_b32 s75, s75, exec_lo
	s_wait_alu 0xfffe
	s_or_b32 s74, s74, s75
	s_and_not1_b32 exec_lo, exec_lo, s28
	s_cbranch_execz .LBB40_204
.LBB40_200:                             ;   Parent Loop BB40_7 Depth=1
                                        ; =>  This Inner Loop Header: Depth=2
	s_mov_b32 s75, exec_lo
	s_delay_alu instid0(VALU_DEP_1)
	v_cmpx_gt_i32_e64 s36, v12
	s_cbranch_execz .LBB40_197
; %bb.201:                              ;   in Loop: Header=BB40_200 Depth=2
	v_ashrrev_i32_e32 v8, 31, v7
	s_delay_alu instid0(VALU_DEP_1) | instskip(NEXT) | instid1(VALU_DEP_1)
	v_lshlrev_b64_e32 v[3:4], 3, v[7:8]
	v_add_co_u32 v3, vcc_lo, s42, v3
	s_wait_alu 0xfffd
	s_delay_alu instid0(VALU_DEP_2) | instskip(SKIP_4) | instid1(VALU_DEP_1)
	v_add_co_ci_u32_e64 v4, null, s43, v4, vcc_lo
	global_load_b64 v[3:4], v[3:4], off
	s_wait_loadcnt 0x0
	v_cmp_o_f64_e32 vcc_lo, v[3:4], v[3:4]
	v_ashrrev_i32_e32 v1, 31, v4
	v_or_b32_e32 v5, 0x80000000, v1
	v_xor_b32_e32 v1, v1, v3
	s_delay_alu instid0(VALU_DEP_2) | instskip(SKIP_1) | instid1(VALU_DEP_1)
	v_xor_b32_e32 v5, v5, v4
	s_wait_alu 0xfffd
	v_cndmask_b32_e32 v5, -1, v5, vcc_lo
	s_delay_alu instid0(VALU_DEP_1) | instskip(NEXT) | instid1(VALU_DEP_1)
	v_dual_cndmask_b32 v1, -1, v1 :: v_dual_and_b32 v6, v5, v22
	v_and_b32_e32 v5, v1, v21
	s_delay_alu instid0(VALU_DEP_1)
	v_cmp_eq_u64_e32 vcc_lo, v[5:6], v[18:19]
	s_and_b32 exec_lo, exec_lo, vcc_lo
	s_cbranch_execz .LBB40_197
; %bb.202:                              ;   in Loop: Header=BB40_200 Depth=2
	v_mov_b32_e32 v1, v13
	ds_store_b128 v13, v[1:4] offset:3072
	s_branch .LBB40_197
.LBB40_203:                             ;   in Loop: Header=BB40_200 Depth=2
	s_mov_b32 s76, -1
	s_mov_b32 s75, -1
                                        ; implicit-def: $vgpr12
                                        ; implicit-def: $vgpr7
	s_branch .LBB40_199
.LBB40_204:                             ;   in Loop: Header=BB40_7 Depth=1
	s_or_b32 exec_lo, exec_lo, s28
	s_wait_alu 0xfffe
	s_and_b32 s28, s74, exec_lo
.LBB40_205:                             ;   in Loop: Header=BB40_7 Depth=1
	s_wait_alu 0xfffe
	s_or_b32 exec_lo, exec_lo, s73
.LBB40_206:                             ;   in Loop: Header=BB40_7 Depth=1
	s_wait_alu 0xfffe
	s_and_b32 vcc_lo, exec_lo, s40
	s_wait_alu 0xfffe
	s_cbranch_vccz .LBB40_218
; %bb.207:                              ;   in Loop: Header=BB40_7 Depth=1
	s_add_co_i32 s26, s27, s53
                                        ; implicit-def: $vgpr5_vgpr6
	s_wait_alu 0xfffe
	s_abs_i32 s40, s26
	s_wait_alu 0xfffe
	s_mul_u64 s[74:75], s[40:41], s[46:47]
	s_wait_alu 0xfffe
	s_mul_i32 s25, s75, s50
	s_wait_alu 0xfffe
	s_sub_co_i32 s25, s40, s25
	s_ashr_i32 s40, s26, 31
	s_wait_alu 0xfffe
	s_sub_co_i32 s73, s25, s50
	s_cmp_ge_u32 s25, s50
	s_wait_alu 0xfffe
	s_cselect_b32 s25, s73, s25
	s_wait_alu 0xfffe
	s_sub_co_i32 s73, s25, s50
	s_cmp_ge_u32 s25, s50
	s_wait_alu 0xfffe
	s_cselect_b32 s25, s73, s25
	s_wait_alu 0xfffe
	s_xor_b32 s25, s25, s40
	s_wait_alu 0xfffe
	s_sub_co_i32 s25, s40, s25
	s_wait_alu 0xfffe
	s_add_co_i32 s26, s26, s25
	s_mov_b32 s25, exec_lo
	s_wait_alu 0xfffe
	v_cmpx_gt_i32_e64 s26, v0
	s_cbranch_execz .LBB40_217
; %bb.208:                              ;   in Loop: Header=BB40_7 Depth=1
	v_dual_mov_b32 v7, v29 :: v_dual_mov_b32 v8, v0
	s_mov_b32 s40, 0
                                        ; implicit-def: $sgpr73
	s_branch .LBB40_212
.LBB40_209:                             ;   in Loop: Header=BB40_212 Depth=2
	s_wait_alu 0xfffe
	s_or_b32 exec_lo, exec_lo, s74
	s_wait_loadcnt_dscnt 0x0
	s_barrier_signal -1
	s_barrier_wait -1
	global_inv scope:SCOPE_SE
	ds_load_b128 v[3:6], v13 offset:3072
	s_wait_loadcnt_dscnt 0x0
	s_barrier_signal -1
	s_barrier_wait -1
	global_inv scope:SCOPE_SE
	v_cmp_eq_f64_e32 vcc_lo, 0, v[3:4]
	s_cbranch_vccz .LBB40_215
; %bb.210:                              ;   in Loop: Header=BB40_212 Depth=2
	v_add_nc_u32_e32 v8, s50, v8
	v_add_nc_u32_e32 v7, s65, v7
	s_mov_b32 s74, 0
	s_delay_alu instid0(VALU_DEP_2)
	v_cmp_le_i32_e32 vcc_lo, s26, v8
	s_or_not1_b32 s75, vcc_lo, exec_lo
.LBB40_211:                             ;   in Loop: Header=BB40_212 Depth=2
	s_wait_alu 0xfffe
	s_and_b32 s75, exec_lo, s75
	s_wait_alu 0xfffe
	s_or_b32 s40, s75, s40
	s_and_not1_b32 s73, s73, exec_lo
	s_and_b32 s74, s74, exec_lo
	s_wait_alu 0xfffe
	s_or_b32 s73, s73, s74
	s_and_not1_b32 exec_lo, exec_lo, s40
	s_cbranch_execz .LBB40_216
.LBB40_212:                             ;   Parent Loop BB40_7 Depth=1
                                        ; =>  This Inner Loop Header: Depth=2
	s_mov_b32 s74, exec_lo
	s_delay_alu instid0(VALU_DEP_1)
	v_cmpx_gt_i32_e64 s27, v8
	s_cbranch_execz .LBB40_209
; %bb.213:                              ;   in Loop: Header=BB40_212 Depth=2
	ds_load_b64 v[3:4], v7
	s_wait_dscnt 0x0
	v_cmp_o_f64_e32 vcc_lo, v[3:4], v[3:4]
	v_ashrrev_i32_e32 v1, 31, v4
	s_delay_alu instid0(VALU_DEP_1) | instskip(SKIP_1) | instid1(VALU_DEP_2)
	v_or_b32_e32 v5, 0x80000000, v1
	v_xor_b32_e32 v1, v1, v3
	v_xor_b32_e32 v5, v5, v4
	s_wait_alu 0xfffd
	s_delay_alu instid0(VALU_DEP_1) | instskip(NEXT) | instid1(VALU_DEP_1)
	v_cndmask_b32_e32 v5, -1, v5, vcc_lo
	v_dual_cndmask_b32 v1, -1, v1 :: v_dual_and_b32 v6, v5, v22
	s_delay_alu instid0(VALU_DEP_1) | instskip(NEXT) | instid1(VALU_DEP_1)
	v_and_b32_e32 v5, v1, v21
	v_cmp_eq_u64_e32 vcc_lo, v[5:6], v[18:19]
	s_and_b32 exec_lo, exec_lo, vcc_lo
	s_cbranch_execz .LBB40_209
; %bb.214:                              ;   in Loop: Header=BB40_212 Depth=2
	v_mov_b32_e32 v1, v13
	ds_store_b128 v13, v[1:4] offset:3072
	s_branch .LBB40_209
.LBB40_215:                             ;   in Loop: Header=BB40_212 Depth=2
	s_mov_b32 s75, -1
	s_mov_b32 s74, -1
                                        ; implicit-def: $vgpr8
                                        ; implicit-def: $vgpr7
	s_branch .LBB40_211
.LBB40_216:                             ;   in Loop: Header=BB40_7 Depth=1
	s_or_b32 exec_lo, exec_lo, s40
	s_delay_alu instid0(SALU_CYCLE_1)
	s_and_not1_b32 s26, s28, exec_lo
	s_wait_alu 0xfffe
	s_and_b32 s27, s73, exec_lo
	s_wait_alu 0xfffe
	s_or_b32 s28, s26, s27
.LBB40_217:                             ;   in Loop: Header=BB40_7 Depth=1
	s_or_b32 exec_lo, exec_lo, s25
	s_mov_b32 s25, 0
	s_mov_b32 s26, -1
.LBB40_218:                             ;   in Loop: Header=BB40_7 Depth=1
	s_or_not1_b32 s27, s28, exec_lo
.LBB40_219:                             ;   in Loop: Header=BB40_7 Depth=1
	s_wait_alu 0xfffe
	s_or_b32 exec_lo, exec_lo, s19
	s_mov_b32 s28, 0
	s_and_saveexec_b32 s19, s27
	s_cbranch_execz .LBB40_230
; %bb.220:                              ;   in Loop: Header=BB40_7 Depth=1
	v_mov_b32_e32 v9, 1
	v_mov_b32_e32 v1, 1
	s_xor_b32 s27, s13, -1
	s_wait_alu 0xfffe
	s_and_saveexec_b32 s13, s27
	s_cbranch_execz .LBB40_229
; %bb.221:                              ;   in Loop: Header=BB40_7 Depth=1
	s_mov_b32 s27, exec_lo
	v_cmpx_ge_i32_e64 s9, v10
	s_wait_alu 0xfffe
	s_xor_b32 s27, exec_lo, s27
	s_cbranch_execz .LBB40_226
; %bb.222:                              ;   in Loop: Header=BB40_7 Depth=1
	ds_load_b32 v1, v13 offset:4096
	v_or_b32_e32 v19, s11, v19
	v_or_b32_e32 v18, s10, v18
	;; [unrolled: 1-line block ×4, first 2 shown]
	s_wait_dscnt 0x0
	v_cmp_ne_u32_e32 vcc_lo, 0, v1
	s_cbranch_vccnz .LBB40_226
; %bb.223:                              ;   in Loop: Header=BB40_7 Depth=1
	s_and_saveexec_b32 s10, s2
; %bb.224:                              ;   in Loop: Header=BB40_7 Depth=1
	v_mov_b32_e32 v1, s9
	ds_store_b32 v13, v1 offset:4100
; %bb.225:                              ;   in Loop: Header=BB40_7 Depth=1
	s_wait_alu 0xfffe
	s_or_b32 exec_lo, exec_lo, s10
	s_wait_loadcnt_dscnt 0x0
	s_barrier_signal -1
	s_barrier_wait -1
	global_inv scope:SCOPE_SE
.LBB40_226:                             ;   in Loop: Header=BB40_7 Depth=1
	s_wait_alu 0xfffe
	s_and_not1_saveexec_b32 s10, s27
; %bb.227:                              ;   in Loop: Header=BB40_7 Depth=1
	v_subrev_nc_u32_e32 v10, s9, v10
; %bb.228:                              ;   in Loop: Header=BB40_7 Depth=1
	s_wait_alu 0xfffe
	s_or_b32 exec_lo, exec_lo, s10
	v_mov_b32_e32 v9, 8
	s_delay_alu instid0(VALU_DEP_2)
	v_mov_b32_e32 v1, v10
.LBB40_229:                             ;   in Loop: Header=BB40_7 Depth=1
	s_wait_alu 0xfffe
	s_or_b32 exec_lo, exec_lo, s13
	s_delay_alu instid0(VALU_DEP_1)
	v_mov_b32_e32 v10, v1
	s_mov_b32 s28, exec_lo
.LBB40_230:                             ;   in Loop: Header=BB40_7 Depth=1
	s_wait_alu 0xfffe
	s_or_b32 exec_lo, exec_lo, s19
	s_delay_alu instid0(SALU_CYCLE_1)
	s_or_not1_b32 s13, s28, exec_lo
.LBB40_231:                             ;   in Loop: Header=BB40_7 Depth=1
	s_wait_alu 0xfffe
	s_or_b32 exec_lo, exec_lo, s12
	v_mov_b32_e32 v23, v10
	s_and_not1_b32 s9, s23, exec_lo
	s_and_b32 s10, s26, exec_lo
	s_and_not1_b32 s11, s22, exec_lo
	s_and_b32 s12, s25, exec_lo
	s_wait_alu 0xfffe
	s_or_b32 s23, s9, s10
	s_or_b32 s22, s11, s12
	s_and_b32 s27, s13, exec_lo
.LBB40_232:                             ;   in Loop: Header=BB40_7 Depth=1
	s_wait_alu 0xfffe
	s_or_b32 exec_lo, exec_lo, s24
	s_delay_alu instid0(SALU_CYCLE_1)
	s_or_not1_b32 s24, s27, exec_lo
.LBB40_233:                             ;   in Loop: Header=BB40_7 Depth=1
	s_wait_alu 0xfffe
	s_or_b32 exec_lo, exec_lo, s21
	v_mov_b32_e32 v10, v23
	s_and_not1_b32 s9, s18, exec_lo
	s_and_b32 s10, s23, exec_lo
	s_and_not1_b32 s11, s17, exec_lo
	s_and_b32 s12, s22, exec_lo
	s_wait_alu 0xfffe
	s_or_b32 s18, s9, s10
	s_or_b32 s17, s11, s12
	s_and_b32 s24, s24, exec_lo
.LBB40_234:                             ;   in Loop: Header=BB40_7 Depth=1
	s_wait_alu 0xfffe
	s_or_b32 exec_lo, exec_lo, s20
	s_delay_alu instid0(SALU_CYCLE_1)
	s_or_not1_b32 s20, s24, exec_lo
.LBB40_235:                             ;   in Loop: Header=BB40_7 Depth=1
	s_wait_alu 0xfffe
	s_or_b32 exec_lo, exec_lo, s16
	s_mov_b32 s10, 0
                                        ; implicit-def: $sgpr23
	s_and_saveexec_b32 s9, s20
	s_wait_alu 0xfffe
	s_xor_b32 s9, exec_lo, s9
	s_cbranch_execz .LBB40_5
; %bb.236:                              ;   in Loop: Header=BB40_7 Depth=1
	v_and_b32_e32 v1, 7, v9
	s_mov_b32 s11, -1
	s_mov_b32 s10, -1
	s_mov_b32 s12, exec_lo
                                        ; implicit-def: $sgpr23
	s_delay_alu instid0(VALU_DEP_1)
	v_cmpx_eq_u32_e32 0, v1
	s_cbranch_execz .LBB40_4
; %bb.237:                              ;   in Loop: Header=BB40_7 Depth=1
	s_add_co_i32 s23, s72, -2
	s_cmp_eq_u32 s72, 0
	v_xor_b32_e32 v40, 1, v40
	s_cselect_b32 s11, -1, 0
	s_xor_b32 s10, exec_lo, -1
	s_wait_alu 0xfffe
	s_or_not1_b32 s11, s11, exec_lo
	s_branch .LBB40_4
.LBB40_238:
	s_or_b32 exec_lo, exec_lo, s37
	s_xor_b32 s3, s71, -1
	s_xor_b32 s1, s69, -1
	;; [unrolled: 1-line block ×3, first 2 shown]
	s_mov_b32 s0, 0
	s_wait_alu 0xfffe
	s_and_saveexec_b32 s5, s1
	s_wait_alu 0xfffe
	s_xor_b32 s1, exec_lo, s5
	s_cbranch_execnz .LBB40_243
; %bb.239:
	s_wait_alu 0xfffe
	s_and_not1_saveexec_b32 s1, s1
	s_cbranch_execnz .LBB40_263
.LBB40_240:
	s_wait_alu 0xfffe
	s_or_b32 exec_lo, exec_lo, s1
	s_and_saveexec_b32 s1, s0
.LBB40_241:
	; divergent unreachable
.LBB40_242:
	s_endpgm
.LBB40_243:
	s_and_saveexec_b32 s0, s3
	s_wait_alu 0xfffe
	s_xor_b32 s3, exec_lo, s0
	s_cbranch_execz .LBB40_261
; %bb.244:
	s_and_saveexec_b32 s0, s4
	s_wait_alu 0xfffe
	s_xor_b32 s0, exec_lo, s0
; %bb.245:
	v_lshrrev_b32_e32 v1, 31, v19
	s_delay_alu instid0(VALU_DEP_1) | instskip(SKIP_2) | instid1(VALU_DEP_2)
	v_add_co_u32 v1, s4, v1, -1
	s_wait_alu 0xf1ff
	v_add_co_ci_u32_e64 v2, null, 0, -1, s4
	v_xor_b32_e32 v5, v1, v18
	s_delay_alu instid0(VALU_DEP_2) | instskip(NEXT) | instid1(VALU_DEP_1)
	v_or_b32_e32 v2, 0x80000000, v2
	v_xor_b32_e32 v6, v2, v19
; %bb.246:
	s_wait_alu 0xfffe
	s_or_b32 exec_lo, exec_lo, s0
	s_and_saveexec_b32 s0, s2
; %bb.247:
	v_dual_mov_b32 v1, 0 :: v_dual_mov_b32 v2, s36
	ds_store_b32 v1, v2 offset:4108
; %bb.248:
	s_wait_alu 0xfffe
	s_or_b32 exec_lo, exec_lo, s0
	v_mov_b32_e32 v1, 0
	s_wait_loadcnt_dscnt 0x0
	s_barrier_signal -1
	s_barrier_wait -1
	global_inv scope:SCOPE_SE
	ds_load_b32 v1, v1 offset:4108
	s_mov_b32 s4, exec_lo
	s_wait_dscnt 0x0
	v_min_i32_e32 v1, s36, v1
	s_delay_alu instid0(VALU_DEP_1)
	v_cmpx_lt_i32_e64 v0, v1
	s_cbranch_execz .LBB40_258
; %bb.249:
	v_cmp_u_f64_e32 vcc_lo, v[5:6], v[5:6]
	s_mov_b32 s5, 0
                                        ; implicit-def: $sgpr6
                                        ; implicit-def: $sgpr9
                                        ; implicit-def: $sgpr8
	s_xor_b32 s7, vcc_lo, -1
	s_branch .LBB40_251
.LBB40_250:                             ;   in Loop: Header=BB40_251 Depth=1
	s_wait_alu 0xfffe
	s_or_b32 exec_lo, exec_lo, s0
	s_delay_alu instid0(SALU_CYCLE_1)
	s_and_b32 s0, exec_lo, s9
	s_wait_alu 0xfffe
	s_or_b32 s5, s0, s5
	s_and_not1_b32 s0, s6, exec_lo
	s_and_b32 s6, s8, exec_lo
	s_wait_alu 0xfffe
	s_or_b32 s6, s0, s6
	s_and_not1_b32 exec_lo, exec_lo, s5
	s_cbranch_execz .LBB40_253
.LBB40_251:                             ; =>This Inner Loop Header: Depth=1
	v_ashrrev_i32_e32 v12, 31, v11
	s_or_b32 s8, s8, exec_lo
	s_or_b32 s9, s9, exec_lo
	s_delay_alu instid0(VALU_DEP_1) | instskip(NEXT) | instid1(VALU_DEP_1)
	v_lshlrev_b64_e32 v[2:3], 3, v[11:12]
	v_add_co_u32 v2, vcc_lo, s42, v2
	s_wait_alu 0xfffd
	s_delay_alu instid0(VALU_DEP_2)
	v_add_co_ci_u32_e64 v3, null, s43, v3, vcc_lo
	global_load_b64 v[2:3], v[2:3], off
	s_wait_loadcnt 0x0
	v_cmp_o_f64_e32 vcc_lo, v[2:3], v[2:3]
	v_cmp_neq_f64_e64 s0, v[2:3], v[5:6]
	v_mov_b32_e32 v2, v0
                                        ; implicit-def: $vgpr0
	s_or_b32 s10, vcc_lo, s7
	s_wait_alu 0xfffe
	s_and_b32 s10, s0, s10
	s_wait_alu 0xfffe
	s_and_saveexec_b32 s0, s10
	s_cbranch_execz .LBB40_250
; %bb.252:                              ;   in Loop: Header=BB40_251 Depth=1
	v_add_nc_u32_e32 v0, s50, v2
	v_add_nc_u32_e32 v11, s54, v11
	s_and_not1_b32 s9, s9, exec_lo
	s_and_not1_b32 s8, s8, exec_lo
	s_delay_alu instid0(VALU_DEP_2)
	v_cmp_ge_i32_e32 vcc_lo, v0, v1
	s_and_b32 s10, vcc_lo, exec_lo
	s_wait_alu 0xfffe
	s_or_b32 s9, s9, s10
	s_branch .LBB40_250
.LBB40_253:
	s_or_b32 exec_lo, exec_lo, s5
	s_and_saveexec_b32 s0, s6
	s_wait_alu 0xfffe
	s_xor_b32 s0, exec_lo, s0
	s_cbranch_execz .LBB40_258
; %bb.254:
	s_mov_b32 s5, exec_lo
	s_brev_b32 s0, -2
.LBB40_255:                             ; =>This Inner Loop Header: Depth=1
	s_wait_alu 0xfffe
	s_ctz_i32_b32 s6, s5
	s_wait_alu 0xfffe
	v_readlane_b32 s7, v2, s6
	s_lshl_b32 s6, 1, s6
	s_wait_alu 0xfffe
	s_and_not1_b32 s5, s5, s6
	s_min_i32 s0, s0, s7
	s_wait_alu 0xfffe
	s_cmp_lg_u32 s5, 0
	s_cbranch_scc1 .LBB40_255
; %bb.256:
	v_mbcnt_lo_u32_b32 v0, exec_lo, 0
	s_mov_b32 s5, exec_lo
	s_delay_alu instid0(VALU_DEP_1)
	v_cmpx_eq_u32_e32 0, v0
	s_wait_alu 0xfffe
	s_xor_b32 s5, exec_lo, s5
; %bb.257:
	v_dual_mov_b32 v0, 0 :: v_dual_mov_b32 v1, s0
	ds_min_i32 v0, v1 offset:4108
.LBB40_258:
	s_wait_alu 0xfffe
	s_or_b32 exec_lo, exec_lo, s4
	s_wait_loadcnt_dscnt 0x0
	s_barrier_signal -1
	s_barrier_wait -1
	global_inv scope:SCOPE_SE
	s_and_saveexec_b32 s0, s2
	s_cbranch_execz .LBB40_260
; %bb.259:
	v_mov_b32_e32 v2, 0
	s_mul_i32 s6, s33, s29
	s_mul_i32 s4, s38, s29
	s_wait_alu 0xfffe
	s_ashr_i32 s7, s6, 31
	s_ashr_i32 s5, s4, 31
	ds_load_b32 v0, v2 offset:4108
	s_wait_alu 0xfffe
	s_lshl_b64 s[6:7], s[6:7], 3
	s_lshl_b64 s[4:5], s[4:5], 3
	s_wait_alu 0xfffe
	s_add_nc_u64 s[6:7], s[30:31], s[6:7]
	s_add_nc_u64 s[4:5], s[34:35], s[4:5]
	s_wait_dscnt 0x0
	v_ashrrev_i32_e32 v1, 31, v0
	s_clause 0x1
	global_store_b64 v2, v[0:1], s[6:7]
	global_store_b64 v2, v[5:6], s[4:5]
.LBB40_260:
	s_wait_alu 0xfffe
	s_or_b32 exec_lo, exec_lo, s0
.LBB40_261:
	s_or_saveexec_b32 s0, s3
	s_mov_b32 s2, 0
	s_wait_alu 0xfffe
	s_xor_b32 exec_lo, exec_lo, s0
	s_cbranch_execnz .LBB40_264
.LBB40_262:
	s_or_b32 exec_lo, exec_lo, s0
	s_delay_alu instid0(SALU_CYCLE_1)
	s_and_b32 s0, s2, exec_lo
	s_and_not1_saveexec_b32 s1, s1
	s_cbranch_execz .LBB40_240
.LBB40_263:
	s_wait_alu 0xfffe
	s_or_b32 s0, s0, exec_lo
	s_trap 2
	s_or_b32 exec_lo, exec_lo, s1
	s_wait_alu 0xfffe
	s_and_saveexec_b32 s1, s0
	s_cbranch_execnz .LBB40_241
	s_branch .LBB40_242
.LBB40_264:
	s_mov_b32 s2, exec_lo
	s_trap 2
	s_branch .LBB40_262
	.section	.rodata,"a",@progbits
	.p2align	6, 0x0
	.amdhsa_kernel _ZN2at6native12_GLOBAL__N_114gatherKthValueIdiLi1EEEvNS_4cuda6detail10TensorInfoIKT_T0_EES8_S8_S8_S8_NS5_IS6_S8_EENS5_IlS8_EE
		.amdhsa_group_segment_fixed_size 4112
		.amdhsa_private_segment_fixed_size 0
		.amdhsa_kernarg_size 920
		.amdhsa_user_sgpr_count 2
		.amdhsa_user_sgpr_dispatch_ptr 0
		.amdhsa_user_sgpr_queue_ptr 0
		.amdhsa_user_sgpr_kernarg_segment_ptr 1
		.amdhsa_user_sgpr_dispatch_id 0
		.amdhsa_user_sgpr_private_segment_size 0
		.amdhsa_wavefront_size32 1
		.amdhsa_uses_dynamic_stack 0
		.amdhsa_enable_private_segment 0
		.amdhsa_system_sgpr_workgroup_id_x 1
		.amdhsa_system_sgpr_workgroup_id_y 1
		.amdhsa_system_sgpr_workgroup_id_z 1
		.amdhsa_system_sgpr_workgroup_info 0
		.amdhsa_system_vgpr_workitem_id 0
		.amdhsa_next_free_vgpr 56
		.amdhsa_next_free_sgpr 80
		.amdhsa_reserve_vcc 1
		.amdhsa_float_round_mode_32 0
		.amdhsa_float_round_mode_16_64 0
		.amdhsa_float_denorm_mode_32 3
		.amdhsa_float_denorm_mode_16_64 3
		.amdhsa_fp16_overflow 0
		.amdhsa_workgroup_processor_mode 1
		.amdhsa_memory_ordered 1
		.amdhsa_forward_progress 1
		.amdhsa_inst_pref_size 92
		.amdhsa_round_robin_scheduling 0
		.amdhsa_exception_fp_ieee_invalid_op 0
		.amdhsa_exception_fp_denorm_src 0
		.amdhsa_exception_fp_ieee_div_zero 0
		.amdhsa_exception_fp_ieee_overflow 0
		.amdhsa_exception_fp_ieee_underflow 0
		.amdhsa_exception_fp_ieee_inexact 0
		.amdhsa_exception_int_div_zero 0
	.end_amdhsa_kernel
	.section	.text._ZN2at6native12_GLOBAL__N_114gatherKthValueIdiLi1EEEvNS_4cuda6detail10TensorInfoIKT_T0_EES8_S8_S8_S8_NS5_IS6_S8_EENS5_IlS8_EE,"axG",@progbits,_ZN2at6native12_GLOBAL__N_114gatherKthValueIdiLi1EEEvNS_4cuda6detail10TensorInfoIKT_T0_EES8_S8_S8_S8_NS5_IS6_S8_EENS5_IlS8_EE,comdat
.Lfunc_end40:
	.size	_ZN2at6native12_GLOBAL__N_114gatherKthValueIdiLi1EEEvNS_4cuda6detail10TensorInfoIKT_T0_EES8_S8_S8_S8_NS5_IS6_S8_EENS5_IlS8_EE, .Lfunc_end40-_ZN2at6native12_GLOBAL__N_114gatherKthValueIdiLi1EEEvNS_4cuda6detail10TensorInfoIKT_T0_EES8_S8_S8_S8_NS5_IS6_S8_EENS5_IlS8_EE
                                        ; -- End function
	.set _ZN2at6native12_GLOBAL__N_114gatherKthValueIdiLi1EEEvNS_4cuda6detail10TensorInfoIKT_T0_EES8_S8_S8_S8_NS5_IS6_S8_EENS5_IlS8_EE.num_vgpr, 56
	.set _ZN2at6native12_GLOBAL__N_114gatherKthValueIdiLi1EEEvNS_4cuda6detail10TensorInfoIKT_T0_EES8_S8_S8_S8_NS5_IS6_S8_EENS5_IlS8_EE.num_agpr, 0
	.set _ZN2at6native12_GLOBAL__N_114gatherKthValueIdiLi1EEEvNS_4cuda6detail10TensorInfoIKT_T0_EES8_S8_S8_S8_NS5_IS6_S8_EENS5_IlS8_EE.numbered_sgpr, 80
	.set _ZN2at6native12_GLOBAL__N_114gatherKthValueIdiLi1EEEvNS_4cuda6detail10TensorInfoIKT_T0_EES8_S8_S8_S8_NS5_IS6_S8_EENS5_IlS8_EE.num_named_barrier, 0
	.set _ZN2at6native12_GLOBAL__N_114gatherKthValueIdiLi1EEEvNS_4cuda6detail10TensorInfoIKT_T0_EES8_S8_S8_S8_NS5_IS6_S8_EENS5_IlS8_EE.private_seg_size, 0
	.set _ZN2at6native12_GLOBAL__N_114gatherKthValueIdiLi1EEEvNS_4cuda6detail10TensorInfoIKT_T0_EES8_S8_S8_S8_NS5_IS6_S8_EENS5_IlS8_EE.uses_vcc, 1
	.set _ZN2at6native12_GLOBAL__N_114gatherKthValueIdiLi1EEEvNS_4cuda6detail10TensorInfoIKT_T0_EES8_S8_S8_S8_NS5_IS6_S8_EENS5_IlS8_EE.uses_flat_scratch, 0
	.set _ZN2at6native12_GLOBAL__N_114gatherKthValueIdiLi1EEEvNS_4cuda6detail10TensorInfoIKT_T0_EES8_S8_S8_S8_NS5_IS6_S8_EENS5_IlS8_EE.has_dyn_sized_stack, 0
	.set _ZN2at6native12_GLOBAL__N_114gatherKthValueIdiLi1EEEvNS_4cuda6detail10TensorInfoIKT_T0_EES8_S8_S8_S8_NS5_IS6_S8_EENS5_IlS8_EE.has_recursion, 0
	.set _ZN2at6native12_GLOBAL__N_114gatherKthValueIdiLi1EEEvNS_4cuda6detail10TensorInfoIKT_T0_EES8_S8_S8_S8_NS5_IS6_S8_EENS5_IlS8_EE.has_indirect_call, 0
	.section	.AMDGPU.csdata,"",@progbits
; Kernel info:
; codeLenInByte = 11676
; TotalNumSgprs: 82
; NumVgprs: 56
; ScratchSize: 0
; MemoryBound: 0
; FloatMode: 240
; IeeeMode: 1
; LDSByteSize: 4112 bytes/workgroup (compile time only)
; SGPRBlocks: 0
; VGPRBlocks: 6
; NumSGPRsForWavesPerEU: 82
; NumVGPRsForWavesPerEU: 56
; Occupancy: 16
; WaveLimiterHint : 1
; COMPUTE_PGM_RSRC2:SCRATCH_EN: 0
; COMPUTE_PGM_RSRC2:USER_SGPR: 2
; COMPUTE_PGM_RSRC2:TRAP_HANDLER: 0
; COMPUTE_PGM_RSRC2:TGID_X_EN: 1
; COMPUTE_PGM_RSRC2:TGID_Y_EN: 1
; COMPUTE_PGM_RSRC2:TGID_Z_EN: 1
; COMPUTE_PGM_RSRC2:TIDIG_COMP_CNT: 0
	.section	.text._ZN2at6native12_GLOBAL__N_114gatherKthValueIdiLi2EEEvNS_4cuda6detail10TensorInfoIKT_T0_EES8_S8_S8_S8_NS5_IS6_S8_EENS5_IlS8_EE,"axG",@progbits,_ZN2at6native12_GLOBAL__N_114gatherKthValueIdiLi2EEEvNS_4cuda6detail10TensorInfoIKT_T0_EES8_S8_S8_S8_NS5_IS6_S8_EENS5_IlS8_EE,comdat
	.globl	_ZN2at6native12_GLOBAL__N_114gatherKthValueIdiLi2EEEvNS_4cuda6detail10TensorInfoIKT_T0_EES8_S8_S8_S8_NS5_IS6_S8_EENS5_IlS8_EE ; -- Begin function _ZN2at6native12_GLOBAL__N_114gatherKthValueIdiLi2EEEvNS_4cuda6detail10TensorInfoIKT_T0_EES8_S8_S8_S8_NS5_IS6_S8_EENS5_IlS8_EE
	.p2align	8
	.type	_ZN2at6native12_GLOBAL__N_114gatherKthValueIdiLi2EEEvNS_4cuda6detail10TensorInfoIKT_T0_EES8_S8_S8_S8_NS5_IS6_S8_EENS5_IlS8_EE,@function
_ZN2at6native12_GLOBAL__N_114gatherKthValueIdiLi2EEEvNS_4cuda6detail10TensorInfoIKT_T0_EES8_S8_S8_S8_NS5_IS6_S8_EENS5_IlS8_EE: ; @_ZN2at6native12_GLOBAL__N_114gatherKthValueIdiLi2EEEvNS_4cuda6detail10TensorInfoIKT_T0_EES8_S8_S8_S8_NS5_IS6_S8_EENS5_IlS8_EE
; %bb.0:
	s_clause 0x1
	s_load_b64 s[4:5], s[0:1], 0x298
	s_load_b128 s[36:39], s[0:1], 0xd8
	s_lshr_b32 s2, ttmp7, 16
	s_and_b32 s3, ttmp7, 0xffff
	s_wait_kmcnt 0x0
	s_mul_i32 s2, s5, s2
	s_delay_alu instid0(SALU_CYCLE_1) | instskip(NEXT) | instid1(SALU_CYCLE_1)
	s_add_co_i32 s2, s2, s3
	s_mul_i32 s33, s2, s4
	s_delay_alu instid0(SALU_CYCLE_1) | instskip(NEXT) | instid1(SALU_CYCLE_1)
	s_add_co_i32 s33, s33, ttmp9
	s_cmp_ge_i32 s33, s38
	s_cbranch_scc1 .LBB41_242
; %bb.1:
	s_clause 0x4
	s_load_b32 s5, s[0:1], 0xc
	s_load_b32 s58, s[0:1], 0xf4
	;; [unrolled: 1-line block ×3, first 2 shown]
	s_load_b64 s[6:7], s[0:1], 0x6c
	s_load_b64 s[30:31], s[0:1], 0x154
	s_mov_b32 s51, 0
	s_abs_i32 s40, s33
	s_mov_b32 s41, s51
	s_add_nc_u64 s[10:11], s[0:1], 0x298
	s_ashr_i32 s61, s33, 31
	s_wait_kmcnt 0x0
	s_abs_i32 s14, s5
	s_abs_i32 s60, s58
	s_cvt_f32_u32 s2, s14
	s_abs_i32 s59, s38
	s_cvt_f32_u32 s3, s60
	s_cvt_f32_u32 s8, s59
	v_rcp_iflag_f32_e32 v1, s2
	s_sub_co_i32 s13, 0, s14
	v_rcp_iflag_f32_e32 v2, s3
	v_rcp_iflag_f32_e32 v3, s8
	s_clause 0x1
	s_load_b64 s[8:9], s[0:1], 0x0
	s_load_b64 s[34:35], s[0:1], 0x22c
	s_sub_co_i32 s16, 0, s60
	s_ashr_i32 s15, s5, 31
	s_delay_alu instid0(TRANS32_DEP_3) | instskip(NEXT) | instid1(TRANS32_DEP_2)
	v_readfirstlane_b32 s2, v1
	v_readfirstlane_b32 s3, v2
	s_delay_alu instid0(TRANS32_DEP_1)
	v_readfirstlane_b32 s12, v3
	s_mul_f32 s2, s2, 0x4f7ffffe
	s_mul_f32 s3, s3, 0x4f7ffffe
	;; [unrolled: 1-line block ×3, first 2 shown]
	s_wait_alu 0xfffe
	s_cvt_u32_f32 s2, s2
	s_cvt_u32_f32 s17, s3
	;; [unrolled: 1-line block ×3, first 2 shown]
	s_wait_alu 0xfffe
	s_mul_i32 s13, s13, s2
	s_sub_co_i32 s3, 0, s59
	s_mul_hi_u32 s13, s2, s13
	s_wait_alu 0xfffe
	s_mul_i32 s3, s3, s12
	s_add_co_i32 s50, s2, s13
	s_mul_i32 s16, s16, s17
	s_wait_alu 0xfffe
	s_mul_hi_u32 s13, s12, s3
	s_mul_u64 s[2:3], s[40:41], s[50:51]
	v_cmp_eq_u32_e64 s2, 0, v0
	s_mul_hi_u32 s16, s17, s16
	s_add_co_i32 s12, s12, s13
	s_add_co_i32 s50, s17, s16
	s_mov_b32 s13, s51
	s_wait_alu 0xfffe
	s_and_saveexec_b32 s16, s2
; %bb.2:
	v_dual_mov_b32 v1, 0 :: v_dual_mov_b32 v2, s36
	s_delay_alu instid0(VALU_DEP_1)
	v_mov_b32_e32 v3, v1
	ds_store_b96 v1, v[1:3] offset:4096
; %bb.3:
	s_or_b32 exec_lo, exec_lo, s16
	s_mul_i32 s16, s3, s14
	s_ashr_i32 s63, s58, 31
	s_sub_co_i32 s16, s40, s16
	s_ashr_i32 s62, s38, 31
	s_xor_b32 s15, s61, s15
	s_add_co_i32 s17, s3, 1
	s_sub_co_i32 s18, s16, s14
	s_cmp_ge_u32 s16, s14
	s_wait_dscnt 0x0
	s_cselect_b32 s3, s17, s3
	s_cselect_b32 s16, s18, s16
	s_wait_alu 0xfffe
	s_add_co_i32 s17, s3, 1
	s_cmp_ge_u32 s16, s14
	s_barrier_signal -1
	s_barrier_wait -1
	global_inv scope:SCOPE_SE
	s_load_b32 s14, s[10:11], 0xc
	s_cselect_b32 s3, s17, s3
	s_clause 0x1
	s_load_b64 s[42:43], s[0:1], 0x1c0
	s_load_b64 s[44:45], s[0:1], 0xe8
	s_xor_b32 s3, s3, s15
	s_mul_u64 s[46:47], s[40:41], s[50:51]
	s_wait_alu 0xfffe
	s_sub_co_i32 s3, s3, s15
	s_mul_u64 s[28:29], s[40:41], s[12:13]
	s_wait_alu 0xfffe
	s_mul_i32 s5, s3, s5
	s_mul_i32 s3, s3, s6
	s_sub_co_i32 s5, s33, s5
	v_mbcnt_lo_u32_b32 v27, -1, 0
	s_mul_i32 s5, s5, s7
	v_cmp_gt_u32_e32 vcc_lo, 32, v0
	s_wait_alu 0xfffe
	s_add_co_i32 s0, s3, s5
	v_dual_mov_b32 v13, 0 :: v_dual_lshlrev_b32 v28, 2, v0
	s_ashr_i32 s1, s0, 31
	v_mul_lo_u32 v11, s39, v0
	s_lshl_b64 s[0:1], s[0:1], 3
	s_delay_alu instid0(VALU_DEP_2)
	v_dual_mov_b32 v12, v13 :: v_dual_lshlrev_b32 v29, 3, v0
	s_wait_kmcnt 0x0
	s_and_b32 s41, s14, 0xffff
	s_add_nc_u64 s[48:49], s[8:9], s[0:1]
	s_lshl_b32 s46, s41, 2
	v_cmp_gt_i32_e64 s0, 4, v27
	s_cvt_f32_u32 s1, s46
	s_add_co_i32 s64, s41, -1
	s_bfe_u32 s3, s14, 0xb0005
	s_add_co_i32 s74, s64, s36
	v_rcp_iflag_f32_e32 v1, s1
	s_and_b32 s66, vcc_lo, s0
	s_cmp_gt_i32 s36, 0x180
	s_mov_b32 s12, s39
	s_cselect_b32 s67, -1, 0
	s_cmp_gt_u32 s41, 31
	v_mad_co_u64_u32 v[20:21], null, s39, v28, s[12:13]
	s_cselect_b32 s68, -1, 0
	s_cmp_lt_u32 ttmp9, s4
	s_delay_alu instid0(TRANS32_DEP_1)
	v_readfirstlane_b32 s5, v1
	s_cselect_b32 s50, 12, 18
	s_wait_alu 0xfffe
	s_add_co_i32 s4, s3, -1
	s_bfe_u32 s69, s41, 0x30005
	s_and_b32 s4, s4, 0xffff
	v_lshlrev_b64_e32 v[1:2], 3, v[11:12]
	s_cmp_gt_u32 s4, 6
	s_mul_f32 s4, s5, 0x4f7ffffe
	s_cselect_b32 s70, -1, 0
	s_and_b32 s71, s3, 0x7f8
	s_cmp_lg_u32 s69, 0
	s_cvt_u32_f32 s3, s4
	s_cselect_b32 s72, -1, 0
	s_sub_co_i32 s4, 0, s46
	v_add_co_u32 v14, vcc_lo, s48, v1
	s_wait_alu 0xfffe
	s_mul_i32 s4, s4, s3
	v_add_co_ci_u32_e64 v15, null, s49, v2, vcc_lo
	s_mul_hi_u32 s4, s3, s4
	v_lshlrev_b64_e64 v[1:2], v27, -1
	s_add_co_i32 s52, s3, s4
	s_cvt_f32_u32 s3, s41
	s_mul_hi_u32 s4, s36, s52
	v_lshrrev_b32_e32 v2, 1, v0
	s_mul_i32 s4, s4, s46
	s_wait_alu 0xfffe
	v_rcp_iflag_f32_e32 v3, s3
	s_sub_co_i32 s4, s36, s4
	v_not_b32_e32 v32, v1
	s_sub_co_i32 s5, s4, s46
	s_cmp_ge_u32 s4, s46
	v_mov_b32_e32 v18, 0
	s_cselect_b32 s4, s5, s4
	v_dual_mov_b32 v5, 0 :: v_dual_lshlrev_b32 v36, 2, v11
	s_sub_co_i32 s6, s4, s46
	s_delay_alu instid0(TRANS32_DEP_1)
	v_readfirstlane_b32 s5, v3
	s_cmp_ge_u32 s4, s46
	v_or_b32_e32 v3, 3, v28
	s_cselect_b32 s9, s6, s4
	s_sub_co_i32 s6, 0, s41
	s_wait_alu 0xfffe
	s_sub_co_i32 s73, s36, s9
	s_mul_f32 s5, s5, 0x4f7ffffe
	v_add_nc_u32_e32 v31, s73, v0
	s_abs_i32 s7, s74
	v_mul_lo_u32 v35, s39, v3
	s_cvt_u32_f32 s5, s5
	v_dual_mov_b32 v6, 0 :: v_dual_mov_b32 v21, 0
	v_mul_lo_u32 v1, v31, s39
	s_delay_alu instid0(SALU_CYCLE_1)
	s_mul_i32 s6, s6, s5
	v_cmp_eq_u32_e64 s0, 0, v27
	s_mul_hi_u32 s6, s5, s6
	v_cmp_gt_u32_e64 s1, 2, v0
	s_add_co_i32 s54, s5, s6
	s_movk_i32 s5, 0x1f0
	s_mul_hi_u32 s6, s7, s54
	v_and_or_b32 v33, v2, s5, 0xc00
	v_ashrrev_i32_e32 v2, 31, v1
	s_mul_i32 s6, s6, s41
	v_dual_mov_b32 v19, 0 :: v_dual_add_nc_u32 v30, 0xc00, v29
	s_sub_co_i32 s5, s7, s6
	s_delay_alu instid0(VALU_DEP_2)
	v_lshlrev_b64_e32 v[1:2], 3, v[1:2]
	s_ashr_i32 s7, s74, 31
	s_wait_alu 0xfffe
	s_sub_co_i32 s6, s5, s41
	s_cmp_ge_u32 s5, s41
	v_cmp_gt_u32_e64 s3, s36, v0
	s_cselect_b32 s6, s6, s5
	v_add_co_u32 v16, vcc_lo, s48, v1
	v_add3_u32 v1, s41, s36, v0
	s_sub_co_i32 s8, s6, s41
	s_cmp_ge_u32 s6, s41
	s_wait_alu 0xfffd
	v_add_co_ci_u32_e64 v17, null, s49, v2, vcc_lo
	s_wait_alu 0xfffe
	s_cselect_b32 s8, s8, s6
	v_or_b32_e32 v2, 2, v28
	v_subrev_nc_u32_e32 v1, s9, v1
	s_wait_alu 0xfffe
	s_xor_b32 s8, s8, s7
	v_cmp_gt_i32_e64 s4, s36, v0
	s_wait_alu 0xfffe
	s_sub_co_i32 s8, s7, s8
	v_mul_lo_u32 v34, s39, v2
	v_mul_lo_u32 v37, s39, v1
	s_wait_alu 0xfffe
	s_add_co_i32 s74, s74, s8
	v_cmp_gt_i32_e64 s5, s73, v28
	v_cmp_gt_u32_e64 s6, s36, v31
	v_cmp_gt_i32_e64 s7, s36, v31
	v_cmp_gt_i32_e64 s8, s74, v0
	v_dual_mov_b32 v41, s37 :: v_dual_lshlrev_b32 v38, 5, v0
	v_lshl_or_b32 v39, v27, 2, 0xc00
	v_mov_b32_e32 v2, 0x3ff00000
	v_mov_b32_e32 v22, 0
	v_mov_b32_e32 v40, 0
	s_mul_i32 s65, s39, s41
	s_mov_b32 s53, s51
	s_mov_b32 s55, s51
	s_lshl_b32 s75, s65, 2
	s_lshl_b32 s76, s41, 5
	;; [unrolled: 1-line block ×3, first 2 shown]
	s_mov_b32 s84, 62
	s_add_nc_u64 s[56:57], s[10:11], s[50:51]
	s_mov_b32 s37, s51
                                        ; implicit-def: $sgpr81
                                        ; implicit-def: $sgpr83
                                        ; implicit-def: $sgpr78
                                        ; implicit-def: $sgpr80
                                        ; implicit-def: $sgpr82
                                        ; implicit-def: $sgpr79
	s_branch .LBB41_7
.LBB41_4:                               ;   in Loop: Header=BB41_7 Depth=1
	s_wait_alu 0xfffe
	s_or_b32 exec_lo, exec_lo, s12
	s_delay_alu instid0(SALU_CYCLE_1)
	s_and_b32 s10, s10, exec_lo
	s_and_not1_b32 s18, s18, exec_lo
	s_and_not1_b32 s17, s17, exec_lo
	s_or_not1_b32 s15, s11, exec_lo
.LBB41_5:                               ;   in Loop: Header=BB41_7 Depth=1
	s_wait_alu 0xfffe
	s_or_b32 exec_lo, exec_lo, s9
	s_delay_alu instid0(SALU_CYCLE_1)
	s_and_not1_b32 s9, s79, exec_lo
	s_and_b32 s10, s10, exec_lo
	s_and_not1_b32 s11, s80, exec_lo
	s_wait_alu 0xfffe
	s_or_b32 s79, s9, s10
	s_and_not1_b32 s9, s82, exec_lo
	s_and_b32 s10, s18, exec_lo
	s_and_b32 s12, s17, exec_lo
	s_wait_alu 0xfffe
	s_or_b32 s82, s9, s10
	s_or_b32 s80, s11, s12
	s_or_not1_b32 s16, s15, exec_lo
.LBB41_6:                               ;   in Loop: Header=BB41_7 Depth=1
	s_wait_alu 0xfffe
	s_or_b32 exec_lo, exec_lo, s14
	s_delay_alu instid0(SALU_CYCLE_1)
	s_and_b32 s9, exec_lo, s16
	v_mov_b32_e32 v41, v10
	s_wait_alu 0xfffe
	s_or_b32 s37, s9, s37
	s_and_not1_b32 s9, s78, exec_lo
	s_and_b32 s10, s79, exec_lo
	s_and_not1_b32 s11, s83, exec_lo
	s_wait_alu 0xfffe
	s_or_b32 s78, s9, s10
	s_and_b32 s9, s82, exec_lo
	s_and_not1_b32 s10, s81, exec_lo
	s_and_b32 s12, s80, exec_lo
	s_wait_alu 0xfffe
	s_or_b32 s83, s11, s9
	s_or_b32 s81, s10, s12
	s_mov_b32 s84, s23
	s_and_not1_b32 exec_lo, exec_lo, s37
	s_cbranch_execz .LBB41_238
.LBB41_7:                               ; =>This Loop Header: Depth=1
                                        ;     Child Loop BB41_13 Depth 2
                                        ;     Child Loop BB41_28 Depth 2
	;; [unrolled: 1-line block ×16, first 2 shown]
	ds_load_b64 v[3:4], v13 offset:4096
	s_wait_dscnt 0x0
	v_readfirstlane_b32 s50, v3
	s_cmp_gt_i32 s50, 0
	s_cbranch_scc1 .LBB41_35
; %bb.8:                                ;   in Loop: Header=BB41_7 Depth=1
	s_and_b32 vcc_lo, exec_lo, s67
	s_wait_alu 0xfffe
	s_cbranch_vccz .LBB41_21
; %bb.9:                                ;   in Loop: Header=BB41_7 Depth=1
	v_cmp_gt_i32_e32 vcc_lo, 0x181, v4
	s_mov_b32 s10, 0
	s_mov_b32 s9, 0
	s_cbranch_vccz .LBB41_22
; %bb.10:                               ;   in Loop: Header=BB41_7 Depth=1
	s_and_saveexec_b32 s11, s3
	s_cbranch_execz .LBB41_67
; %bb.11:                               ;   in Loop: Header=BB41_7 Depth=1
	global_load_b64 v[3:4], v[14:15], off
	s_load_u16 s12, s[56:57], 0x0
	s_mov_b32 s14, 0
	s_wait_kmcnt 0x0
	v_add_nc_u32_e32 v1, s12, v0
	s_mul_i32 s13, s39, s12
	s_delay_alu instid0(VALU_DEP_1)
	v_mul_lo_u32 v12, s39, v1
	v_mov_b32_e32 v1, v0
	s_branch .LBB41_13
.LBB41_12:                              ;   in Loop: Header=BB41_13 Depth=2
	s_wait_alu 0xfffe
	s_or_b32 exec_lo, exec_lo, s9
	v_cmp_le_i32_e32 vcc_lo, s36, v1
	v_dual_mov_b32 v3, v7 :: v_dual_add_nc_u32 v12, s13, v12
	v_mov_b32_e32 v4, v8
	s_or_b32 s14, vcc_lo, s14
	s_wait_alu 0xfffe
	s_and_not1_b32 exec_lo, exec_lo, s14
	s_cbranch_execz .LBB41_67
.LBB41_13:                              ;   Parent Loop BB41_7 Depth=1
                                        ; =>  This Inner Loop Header: Depth=2
	v_mov_b32_e32 v7, 0
	s_delay_alu instid0(VALU_DEP_2) | instskip(SKIP_1) | instid1(VALU_DEP_1)
	v_dual_mov_b32 v8, 0 :: v_dual_add_nc_u32 v1, s12, v1
	s_mov_b32 s9, exec_lo
	v_cmpx_gt_u32_e64 s36, v1
	s_cbranch_execz .LBB41_15
; %bb.14:                               ;   in Loop: Header=BB41_13 Depth=2
	v_lshlrev_b64_e32 v[7:8], 3, v[12:13]
	s_delay_alu instid0(VALU_DEP_1) | instskip(SKIP_1) | instid1(VALU_DEP_2)
	v_add_co_u32 v7, vcc_lo, s48, v7
	s_wait_alu 0xfffd
	v_add_co_ci_u32_e64 v8, null, s49, v8, vcc_lo
	global_load_b64 v[7:8], v[7:8], off
.LBB41_15:                              ;   in Loop: Header=BB41_13 Depth=2
	s_wait_alu 0xfffe
	s_or_b32 exec_lo, exec_lo, s9
	s_wait_loadcnt 0x0
	v_cmp_o_f64_e32 vcc_lo, v[3:4], v[3:4]
	s_wait_dscnt 0x0
	v_ashrrev_i32_e32 v9, 31, v4
	s_delay_alu instid0(VALU_DEP_1) | instskip(SKIP_1) | instid1(VALU_DEP_2)
	v_or_b32_e32 v10, 0x80000000, v9
	v_xor_b32_e32 v9, v9, v3
	v_xor_b32_e32 v10, v10, v4
	s_wait_alu 0xfffd
	s_delay_alu instid0(VALU_DEP_1) | instskip(NEXT) | instid1(VALU_DEP_1)
	v_dual_cndmask_b32 v10, -1, v10 :: v_dual_cndmask_b32 v9, -1, v9
	v_and_b32_e32 v10, v10, v22
	s_delay_alu instid0(VALU_DEP_2) | instskip(NEXT) | instid1(VALU_DEP_1)
	v_and_b32_e32 v9, v9, v21
	v_cmp_eq_u64_e32 vcc_lo, v[9:10], v[18:19]
	v_mov_b32_e32 v9, 0
	s_cmp_lg_u32 vcc_lo, 0
	s_cselect_b32 s9, -1, 0
	s_wait_alu 0xfffe
	s_and_b32 s9, s0, s9
	s_wait_alu 0xfffe
	s_and_saveexec_b32 s15, s9
	s_cbranch_execz .LBB41_19
; %bb.16:                               ;   in Loop: Header=BB41_13 Depth=2
	s_mov_b32 s18, exec_lo
	s_bcnt1_i32_b32 s16, vcc_lo
	s_wait_alu 0xfffe
	v_mbcnt_lo_u32_b32 v9, s18, 0
	s_mov_b32 s17, exec_lo
                                        ; implicit-def: $vgpr10
	s_delay_alu instid0(VALU_DEP_1)
	v_cmpx_eq_u32_e32 0, v9
; %bb.17:                               ;   in Loop: Header=BB41_13 Depth=2
	s_bcnt1_i32_b32 s9, s18
	s_wait_alu 0xfffe
	s_mul_i32 s9, s16, s9
	s_wait_alu 0xfffe
	v_mov_b32_e32 v10, s9
	ds_add_rtn_u32 v10, v13, v10 offset:4104
; %bb.18:                               ;   in Loop: Header=BB41_13 Depth=2
	s_or_b32 exec_lo, exec_lo, s17
	s_wait_dscnt 0x0
	v_readfirstlane_b32 s9, v10
	s_wait_alu 0xf1ff
	s_delay_alu instid0(VALU_DEP_1)
	v_mad_u32_u24 v9, s16, v9, s9
.LBB41_19:                              ;   in Loop: Header=BB41_13 Depth=2
	s_wait_alu 0xfffe
	s_or_b32 exec_lo, exec_lo, s15
	ds_bpermute_b32 v9, v13, v9
	s_and_saveexec_b32 s9, vcc_lo
	s_cbranch_execz .LBB41_12
; %bb.20:                               ;   in Loop: Header=BB41_13 Depth=2
	v_and_b32_e32 v10, vcc_lo, v32
	s_delay_alu instid0(VALU_DEP_1) | instskip(NEXT) | instid1(VALU_DEP_1)
	v_bcnt_u32_b32 v10, v10, 0
	v_lshlrev_b32_e32 v10, 3, v10
	s_wait_dscnt 0x0
	s_delay_alu instid0(VALU_DEP_1)
	v_lshl_add_u32 v9, v9, 3, v10
	ds_store_b64 v9, v[3:4]
	s_branch .LBB41_12
.LBB41_21:                              ;   in Loop: Header=BB41_7 Depth=1
	s_mov_b32 s10, -1
	s_mov_b32 s9, 0
.LBB41_22:                              ;   in Loop: Header=BB41_7 Depth=1
	s_wait_alu 0xfffe
	s_and_b32 vcc_lo, exec_lo, s10
	s_wait_alu 0xfffe
	s_cbranch_vccz .LBB41_33
.LBB41_23:                              ;   in Loop: Header=BB41_7 Depth=1
	v_mov_b32_e32 v3, 0
	v_mov_b32_e32 v4, 0
	s_and_saveexec_b32 s9, s3
	s_cbranch_execz .LBB41_25
; %bb.24:                               ;   in Loop: Header=BB41_7 Depth=1
	global_load_b64 v[3:4], v[14:15], off
.LBB41_25:                              ;   in Loop: Header=BB41_7 Depth=1
	s_wait_alu 0xfffe
	s_or_b32 exec_lo, exec_lo, s9
	s_and_saveexec_b32 s9, s4
	s_cbranch_execz .LBB41_30
; %bb.26:                               ;   in Loop: Header=BB41_7 Depth=1
	s_load_u16 s10, s[56:57], 0x0
	v_mov_b32_e32 v9, v0
	s_mov_b32 s13, 0
	s_wait_kmcnt 0x0
	v_add_nc_u32_e32 v1, s10, v0
	s_lshl_b32 s11, s10, 3
	s_mul_i32 s12, s39, s10
	s_delay_alu instid0(VALU_DEP_1)
	v_mul_lo_u32 v12, s39, v1
	v_mov_b32_e32 v1, v29
	s_branch .LBB41_28
.LBB41_27:                              ;   in Loop: Header=BB41_28 Depth=2
	s_wait_alu 0xfffe
	s_or_b32 exec_lo, exec_lo, s14
	v_cmp_le_i32_e32 vcc_lo, s36, v9
	s_wait_loadcnt 0x0
	ds_store_b64 v1, v[3:4]
	v_dual_mov_b32 v3, v7 :: v_dual_add_nc_u32 v12, s12, v12
	v_dual_mov_b32 v4, v8 :: v_dual_add_nc_u32 v1, s11, v1
	s_or_b32 s13, vcc_lo, s13
	s_wait_alu 0xfffe
	s_and_not1_b32 exec_lo, exec_lo, s13
	s_cbranch_execz .LBB41_30
.LBB41_28:                              ;   Parent Loop BB41_7 Depth=1
                                        ; =>  This Inner Loop Header: Depth=2
	v_mov_b32_e32 v7, 0
	v_dual_mov_b32 v8, 0 :: v_dual_add_nc_u32 v9, s10, v9
	s_mov_b32 s14, exec_lo
	s_delay_alu instid0(VALU_DEP_1)
	v_cmpx_gt_u32_e64 s36, v9
	s_cbranch_execz .LBB41_27
; %bb.29:                               ;   in Loop: Header=BB41_28 Depth=2
	v_lshlrev_b64_e32 v[7:8], 3, v[12:13]
	s_delay_alu instid0(VALU_DEP_1) | instskip(SKIP_1) | instid1(VALU_DEP_2)
	v_add_co_u32 v7, vcc_lo, s48, v7
	s_wait_alu 0xfffd
	v_add_co_ci_u32_e64 v8, null, s49, v8, vcc_lo
	global_load_b64 v[7:8], v[7:8], off
	s_branch .LBB41_27
.LBB41_30:                              ;   in Loop: Header=BB41_7 Depth=1
	s_wait_alu 0xfffe
	s_or_b32 exec_lo, exec_lo, s9
	s_wait_loadcnt_dscnt 0x0
	s_barrier_signal -1
	s_barrier_wait -1
	global_inv scope:SCOPE_SE
	s_and_saveexec_b32 s9, s2
; %bb.31:                               ;   in Loop: Header=BB41_7 Depth=1
	v_mov_b32_e32 v1, s36
	ds_store_b32 v13, v1 offset:4096
; %bb.32:                               ;   in Loop: Header=BB41_7 Depth=1
	s_wait_alu 0xfffe
	s_or_b32 exec_lo, exec_lo, s9
	s_mov_b32 s9, -1
	s_wait_loadcnt_dscnt 0x0
	s_barrier_signal -1
	s_barrier_wait -1
.LBB41_33:                              ;   in Loop: Header=BB41_7 Depth=1
	s_wait_alu 0xfffe
	s_and_b32 vcc_lo, exec_lo, s9
	s_wait_alu 0xfffe
	s_cbranch_vccz .LBB41_35
; %bb.34:                               ;   in Loop: Header=BB41_7 Depth=1
	s_wait_loadcnt 0x0
	global_inv scope:SCOPE_SE
	ds_load_b32 v1, v13 offset:4096
	s_wait_dscnt 0x0
	v_readfirstlane_b32 s50, v1
.LBB41_35:                              ;   in Loop: Header=BB41_7 Depth=1
	s_delay_alu instid0(VALU_DEP_1)
	s_cmp_lt_i32 s50, 1
	s_mov_b32 s9, -1
                                        ; implicit-def: $vgpr7
	s_cbranch_scc1 .LBB41_45
; %bb.36:                               ;   in Loop: Header=BB41_7 Depth=1
	s_wait_alu 0xfffe
	s_and_b32 vcc_lo, exec_lo, s9
	s_wait_alu 0xfffe
	s_cbranch_vccnz .LBB41_58
.LBB41_37:                              ;   in Loop: Header=BB41_7 Depth=1
	v_lshlrev_b32_e32 v1, 7, v40
	s_and_saveexec_b32 s9, s0
.LBB41_38:                              ;   in Loop: Header=BB41_7 Depth=1
	s_delay_alu instid0(VALU_DEP_1)
	v_lshl_add_u32 v3, v1, 2, v33
	ds_store_b128 v3, v[7:10]
.LBB41_39:                              ;   in Loop: Header=BB41_7 Depth=1
	s_wait_alu 0xfffe
	s_or_b32 exec_lo, exec_lo, s9
	s_wait_loadcnt_dscnt 0x0
	s_barrier_signal -1
	s_barrier_wait -1
	global_inv scope:SCOPE_SE
	s_and_saveexec_b32 s9, s66
	s_cbranch_execz .LBB41_74
; %bb.40:                               ;   in Loop: Header=BB41_7 Depth=1
	v_mov_b32_e32 v3, 0
	s_and_not1_b32 vcc_lo, exec_lo, s68
	s_wait_alu 0xfffe
	s_cbranch_vccnz .LBB41_73
; %bb.41:                               ;   in Loop: Header=BB41_7 Depth=1
	s_and_not1_b32 vcc_lo, exec_lo, s70
	s_wait_alu 0xfffe
	s_cbranch_vccnz .LBB41_70
; %bb.42:                               ;   in Loop: Header=BB41_7 Depth=1
	v_lshl_add_u32 v4, v40, 9, v39
	v_mov_b32_e32 v3, 0
	s_mov_b32 s10, 0
.LBB41_43:                              ;   Parent Loop BB41_7 Depth=1
                                        ; =>  This Inner Loop Header: Depth=2
	ds_load_2addr_b32 v[7:8], v4 offset1:4
	ds_load_2addr_b32 v[9:10], v4 offset0:8 offset1:12
	ds_load_2addr_b32 v[23:24], v4 offset0:16 offset1:20
	;; [unrolled: 1-line block ×3, first 2 shown]
	v_add_nc_u32_e32 v4, 0x80, v4
	s_wait_alu 0xfffe
	s_add_co_i32 s10, s10, 8
	s_wait_alu 0xfffe
	s_cmp_eq_u32 s71, s10
	s_wait_dscnt 0x3
	v_add3_u32 v3, v7, v3, v8
	s_wait_dscnt 0x2
	s_delay_alu instid0(VALU_DEP_1) | instskip(SKIP_1) | instid1(VALU_DEP_1)
	v_add3_u32 v3, v9, v3, v10
	s_wait_dscnt 0x1
	v_add3_u32 v3, v23, v3, v24
	s_wait_dscnt 0x0
	s_delay_alu instid0(VALU_DEP_1)
	v_add3_u32 v3, v25, v3, v26
	s_cbranch_scc0 .LBB41_43
; %bb.44:                               ;   in Loop: Header=BB41_7 Depth=1
	s_mov_b32 s10, s71
	s_and_not1_b32 vcc_lo, exec_lo, s72
	s_wait_alu 0xfffe
	s_cbranch_vccz .LBB41_71
	s_branch .LBB41_73
.LBB41_45:                              ;   in Loop: Header=BB41_7 Depth=1
	v_dual_mov_b32 v7, 0 :: v_dual_mov_b32 v8, 0
	v_dual_mov_b32 v9, 0 :: v_dual_mov_b32 v10, 0
	s_and_saveexec_b32 s85, s5
	s_cbranch_execz .LBB41_49
; %bb.46:                               ;   in Loop: Header=BB41_7 Depth=1
	v_mov_b32_e32 v1, v28
	s_mov_b32 s86, 0
	s_mov_b32 s87, 0
	;; [unrolled: 1-line block ×6, first 2 shown]
.LBB41_47:                              ;   Parent Loop BB41_7 Depth=1
                                        ; =>  This Inner Loop Header: Depth=2
	s_wait_alu 0xfffe
	v_add_nc_u32_e32 v3, s87, v36
	v_add_nc_u32_e32 v7, s87, v20
	;; [unrolled: 1-line block ×5, first 2 shown]
	v_ashrrev_i32_e32 v4, 31, v3
	v_ashrrev_i32_e32 v8, 31, v7
	;; [unrolled: 1-line block ×4, first 2 shown]
	s_add_co_i32 s87, s87, s75
	v_lshlrev_b64_e32 v[3:4], 3, v[3:4]
	v_lshlrev_b64_e32 v[7:8], 3, v[7:8]
	;; [unrolled: 1-line block ×4, first 2 shown]
	s_delay_alu instid0(VALU_DEP_4)
	v_add_co_u32 v3, vcc_lo, s48, v3
	s_wait_alu 0xfffd
	v_add_co_ci_u32_e64 v4, null, s49, v4, vcc_lo
	v_add_co_u32 v7, vcc_lo, s48, v7
	s_wait_alu 0xfffd
	v_add_co_ci_u32_e64 v8, null, s49, v8, vcc_lo
	;; [unrolled: 3-line block ×4, first 2 shown]
	s_clause 0x3
	global_load_b64 v[3:4], v[3:4], off
	global_load_b64 v[7:8], v[7:8], off
	;; [unrolled: 1-line block ×4, first 2 shown]
	v_cmp_le_i32_e32 vcc_lo, s73, v1
	s_wait_loadcnt 0x3
	v_cmp_o_f64_e64 s9, v[3:4], v[3:4]
	s_wait_loadcnt 0x2
	v_cmp_o_f64_e64 s10, v[7:8], v[7:8]
	;; [unrolled: 2-line block ×4, first 2 shown]
	v_ashrrev_i32_e32 v12, 31, v4
	v_ashrrev_i32_e32 v26, 31, v8
	;; [unrolled: 1-line block ×4, first 2 shown]
	s_delay_alu instid0(VALU_DEP_4) | instskip(NEXT) | instid1(VALU_DEP_4)
	v_or_b32_e32 v46, 0x80000000, v12
	v_or_b32_e32 v47, 0x80000000, v26
	s_delay_alu instid0(VALU_DEP_4) | instskip(NEXT) | instid1(VALU_DEP_4)
	v_or_b32_e32 v48, 0x80000000, v42
	v_or_b32_e32 v49, 0x80000000, v44
	v_xor_b32_e32 v12, v12, v3
	v_xor_b32_e32 v46, v46, v4
	v_xor_b32_e32 v3, v47, v8
	v_xor_b32_e32 v26, v26, v7
	v_xor_b32_e32 v7, v48, v10
	v_xor_b32_e32 v42, v42, v9
	v_xor_b32_e32 v9, v49, v24
	v_xor_b32_e32 v44, v44, v23
	s_wait_alu 0xf1ff
	v_cndmask_b32_e64 v4, -1, v46, s9
	v_cndmask_b32_e64 v8, -1, v3, s10
	;; [unrolled: 1-line block ×7, first 2 shown]
	v_dual_mov_b32 v25, v13 :: v_dual_and_b32 v46, v3, v21
	v_and_b32_e32 v47, v4, v22
	v_lshrrev_b64 v[3:4], s84, v[3:4]
	v_cndmask_b32_e64 v23, -1, v44, s12
	v_dual_mov_b32 v43, v13 :: v_dual_and_b32 v48, v7, v21
	v_and_b32_e32 v49, v8, v22
	v_lshrrev_b64 v[7:8], s84, v[7:8]
	v_and_b32_e32 v50, v9, v21
	v_lshrrev_b64 v[8:9], s84, v[9:10]
	;; [unrolled: 2-line block ×3, first 2 shown]
	v_and_b32_e32 v12, 3, v3
	v_and_b32_e32 v53, v24, v22
	;; [unrolled: 1-line block ×4, first 2 shown]
	v_cmp_eq_u64_e64 s9, v[46:47], v[18:19]
	v_cmp_eq_u64_e64 s13, 0, v[12:13]
	v_dual_mov_b32 v45, v13 :: v_dual_and_b32 v52, v23, v21
	v_and_b32_e32 v44, 3, v9
	v_cmp_eq_u64_e64 s10, v[48:49], v[18:19]
	v_cmp_eq_u64_e64 s14, 0, v[24:25]
	;; [unrolled: 1-line block ×6, first 2 shown]
	s_and_b32 s13, s9, s13
	v_cmp_eq_u64_e64 s17, 1, v[12:13]
	s_wait_alu 0xfffe
	v_cndmask_b32_e64 v3, 0, 1, s13
	s_and_b32 s13, s10, s14
	v_cmp_eq_u64_e64 s18, 1, v[24:25]
	s_wait_alu 0xfffe
	v_cndmask_b32_e64 v4, 0, 1, s13
	;; [unrolled: 4-line block ×4, first 2 shown]
	s_and_b32 s13, s9, s17
	v_cmp_eq_u64_e64 s21, 2, v[12:13]
	v_cmp_eq_u64_e64 s25, 3, v[12:13]
	s_wait_alu 0xfffe
	v_cndmask_b32_e64 v9, 0, 1, s13
	s_and_b32 s13, s10, s18
	v_cmp_eq_u64_e64 s22, 2, v[24:25]
	v_cmp_eq_u64_e64 s26, 3, v[24:25]
	s_wait_alu 0xfffe
	v_cndmask_b32_e64 v10, 0, 1, s13
	;; [unrolled: 5-line block ×4, first 2 shown]
	s_and_b32 s13, s9, s21
	s_and_b32 s9, s9, s25
	s_wait_alu 0xfffe
	v_cndmask_b32_e64 v24, 0, 1, s13
	s_and_b32 s13, s10, s22
	v_cndmask_b32_e64 v43, 0, 1, s9
	s_and_b32 s9, s10, s26
	s_wait_alu 0xfffe
	v_cndmask_b32_e64 v25, 0, 1, s13
	s_and_b32 s13, s11, s23
	v_cndmask_b32_e64 v44, 0, 1, s9
	;; [unrolled: 5-line block ×3, first 2 shown]
	s_and_b32 s9, s12, s28
	s_wait_alu 0xfffe
	v_cndmask_b32_e64 v42, 0, 1, s13
	v_cndmask_b32_e64 v46, 0, 1, s9
	v_cmp_ne_u32_e64 s9, 0, v3
	v_cmp_ne_u32_e64 s13, 0, v9
	;; [unrolled: 1-line block ×12, first 2 shown]
	s_bcnt1_i32_b32 s9, s9
	s_bcnt1_i32_b32 s13, s13
	;; [unrolled: 1-line block ×4, first 2 shown]
	v_cmp_ne_u32_e64 s12, 0, v8
	v_cmp_ne_u32_e64 s16, 0, v23
	;; [unrolled: 1-line block ×4, first 2 shown]
	s_bcnt1_i32_b32 s10, s10
	s_bcnt1_i32_b32 s14, s14
	s_bcnt1_i32_b32 s18, s18
	s_bcnt1_i32_b32 s22, s22
	s_wait_alu 0xfffe
	s_add_co_i32 s9, s9, s91
	s_add_co_i32 s13, s13, s90
	s_add_co_i32 s17, s17, s89
	s_add_co_i32 s21, s21, s88
	s_bcnt1_i32_b32 s11, s11
	s_bcnt1_i32_b32 s15, s15
	s_bcnt1_i32_b32 s19, s19
	s_bcnt1_i32_b32 s23, s23
	s_wait_alu 0xfffe
	s_add_co_i32 s9, s9, s10
	s_add_co_i32 s10, s13, s14
	s_add_co_i32 s13, s17, s18
	s_add_co_i32 s14, s21, s22
	;; [unrolled: 9-line block ×3, first 2 shown]
	s_wait_alu 0xfffe
	s_add_co_i32 s91, s9, s12
	s_add_co_i32 s90, s10, s16
	;; [unrolled: 1-line block ×4, first 2 shown]
	s_wait_alu 0xfffe
	v_dual_mov_b32 v7, s91 :: v_dual_mov_b32 v8, s90
	v_dual_mov_b32 v9, s89 :: v_dual_mov_b32 v10, s88
	s_or_b32 s86, vcc_lo, s86
	s_wait_alu 0xfffe
	s_and_not1_b32 exec_lo, exec_lo, s86
	s_cbranch_execnz .LBB41_47
; %bb.48:                               ;   in Loop: Header=BB41_7 Depth=1
	s_or_b32 exec_lo, exec_lo, s86
.LBB41_49:                              ;   in Loop: Header=BB41_7 Depth=1
	s_wait_alu 0xfffe
	s_or_b32 exec_lo, exec_lo, s85
	v_mov_b32_e32 v25, 0
	v_mov_b32_e32 v26, 0
	s_and_saveexec_b32 s9, s6
	s_cbranch_execz .LBB41_51
; %bb.50:                               ;   in Loop: Header=BB41_7 Depth=1
	global_load_b64 v[25:26], v[16:17], off
.LBB41_51:                              ;   in Loop: Header=BB41_7 Depth=1
	s_wait_alu 0xfffe
	s_or_b32 exec_lo, exec_lo, s9
	s_and_saveexec_b32 s13, s7
	s_cbranch_execz .LBB41_57
; %bb.52:                               ;   in Loop: Header=BB41_7 Depth=1
	v_mov_b32_e32 v3, v37
	v_mov_b32_e32 v1, v31
	s_mov_b32 s14, 0
	s_branch .LBB41_54
.LBB41_53:                              ;   in Loop: Header=BB41_54 Depth=2
	s_wait_alu 0xfffe
	s_or_b32 exec_lo, exec_lo, s9
	s_wait_loadcnt 0x0
	v_cmp_o_f64_e32 vcc_lo, v[25:26], v[25:26]
	v_ashrrev_i32_e32 v4, 31, v26
	v_add_nc_u32_e32 v3, s65, v3
	s_delay_alu instid0(VALU_DEP_2) | instskip(SKIP_1) | instid1(VALU_DEP_2)
	v_or_b32_e32 v12, 0x80000000, v4
	v_xor_b32_e32 v4, v4, v25
	v_xor_b32_e32 v12, v12, v26
	s_wait_alu 0xfffd
	s_delay_alu instid0(VALU_DEP_2) | instskip(NEXT) | instid1(VALU_DEP_2)
	v_cndmask_b32_e32 v25, -1, v4, vcc_lo
	v_cndmask_b32_e32 v26, -1, v12, vcc_lo
	s_delay_alu instid0(VALU_DEP_1) | instskip(SKIP_2) | instid1(VALU_DEP_3)
	v_lshrrev_b64 v[42:43], s84, v[25:26]
	v_and_b32_e32 v25, v25, v21
	v_and_b32_e32 v26, v26, v22
	;; [unrolled: 1-line block ×3, first 2 shown]
	s_delay_alu instid0(VALU_DEP_2) | instskip(NEXT) | instid1(VALU_DEP_2)
	v_cmp_eq_u64_e32 vcc_lo, v[25:26], v[18:19]
	v_cmp_eq_u64_e64 s9, 0, v[12:13]
	v_cmp_eq_u64_e64 s10, 1, v[12:13]
	;; [unrolled: 1-line block ×4, first 2 shown]
	s_and_b32 s9, vcc_lo, s9
	s_wait_alu 0xfffe
	v_cndmask_b32_e64 v4, 0, 1, s9
	s_and_b32 s9, vcc_lo, s10
	s_wait_alu 0xfffe
	v_cndmask_b32_e64 v12, 0, 1, s9
	;; [unrolled: 3-line block ×3, first 2 shown]
	s_and_b32 s9, vcc_lo, s12
	v_cmp_ne_u32_e32 vcc_lo, 0, v4
	s_wait_alu 0xfffe
	v_cndmask_b32_e64 v26, 0, 1, s9
	v_cmp_ne_u32_e64 s9, 0, v12
	v_cmp_ne_u32_e64 s10, 0, v25
	v_cmp_le_i32_e64 s12, s36, v1
	s_bcnt1_i32_b32 s15, vcc_lo
	v_cmp_ne_u32_e64 s11, 0, v26
	s_bcnt1_i32_b32 s9, s9
	s_bcnt1_i32_b32 s10, s10
	s_wait_alu 0xfffe
	v_dual_mov_b32 v26, v24 :: v_dual_add_nc_u32 v7, s15, v7
	s_bcnt1_i32_b32 s11, s11
	v_add_nc_u32_e32 v8, s9, v8
	v_add_nc_u32_e32 v9, s10, v9
	s_wait_alu 0xfffe
	v_dual_mov_b32 v25, v23 :: v_dual_add_nc_u32 v10, s11, v10
	s_or_b32 s14, s12, s14
	s_wait_alu 0xfffe
	s_and_not1_b32 exec_lo, exec_lo, s14
	s_cbranch_execz .LBB41_56
.LBB41_54:                              ;   Parent Loop BB41_7 Depth=1
                                        ; =>  This Inner Loop Header: Depth=2
	v_mov_b32_e32 v23, 0
	s_delay_alu instid0(VALU_DEP_2) | instskip(SKIP_1) | instid1(VALU_DEP_1)
	v_dual_mov_b32 v24, 0 :: v_dual_add_nc_u32 v1, s41, v1
	s_mov_b32 s9, exec_lo
	v_cmpx_gt_u32_e64 s36, v1
	s_cbranch_execz .LBB41_53
; %bb.55:                               ;   in Loop: Header=BB41_54 Depth=2
	v_ashrrev_i32_e32 v4, 31, v3
	s_delay_alu instid0(VALU_DEP_1) | instskip(NEXT) | instid1(VALU_DEP_1)
	v_lshlrev_b64_e32 v[23:24], 3, v[3:4]
	v_add_co_u32 v23, vcc_lo, s48, v23
	s_wait_alu 0xfffd
	s_delay_alu instid0(VALU_DEP_2)
	v_add_co_ci_u32_e64 v24, null, s49, v24, vcc_lo
	global_load_b64 v[23:24], v[23:24], off
	s_branch .LBB41_53
.LBB41_56:                              ;   in Loop: Header=BB41_7 Depth=1
	s_or_b32 exec_lo, exec_lo, s14
.LBB41_57:                              ;   in Loop: Header=BB41_7 Depth=1
	s_wait_alu 0xfffe
	s_or_b32 exec_lo, exec_lo, s13
	s_branch .LBB41_37
.LBB41_58:                              ;   in Loop: Header=BB41_7 Depth=1
	s_mul_u64 s[10:11], s[50:51], s[52:53]
	v_dual_mov_b32 v7, 0 :: v_dual_mov_b32 v8, 0
	s_wait_alu 0xfffe
	s_mul_i32 s9, s11, s46
	v_dual_mov_b32 v9, 0 :: v_dual_mov_b32 v10, 0
	s_wait_alu 0xfffe
	s_sub_co_i32 s9, s50, s9
	s_mov_b32 s86, exec_lo
	s_wait_alu 0xfffe
	s_sub_co_i32 s10, s9, s46
	s_cmp_ge_u32 s9, s46
	s_wait_alu 0xfffe
	s_cselect_b32 s9, s10, s9
	s_wait_alu 0xfffe
	s_sub_co_i32 s10, s9, s46
	s_cmp_ge_u32 s9, s46
	s_wait_alu 0xfffe
	s_cselect_b32 s9, s10, s9
	s_wait_alu 0xfffe
	s_sub_co_i32 s85, s50, s9
	s_wait_alu 0xfffe
	v_cmpx_gt_u32_e64 s85, v28
	s_cbranch_execz .LBB41_62
; %bb.59:                               ;   in Loop: Header=BB41_7 Depth=1
	v_mov_b32_e32 v1, v38
	v_mov_b32_e32 v3, v28
	s_mov_b32 s87, 0
	s_mov_b32 s88, 0
	;; [unrolled: 1-line block ×5, first 2 shown]
.LBB41_60:                              ;   Parent Loop BB41_7 Depth=1
                                        ; =>  This Inner Loop Header: Depth=2
	ds_load_b128 v[7:10], v1
	s_wait_loadcnt 0x0
	ds_load_b128 v[23:26], v1 offset:16
	s_wait_dscnt 0x1
	v_cmp_o_f64_e64 s9, v[7:8], v[7:8]
	v_cmp_o_f64_e64 s10, v[9:10], v[9:10]
	s_wait_dscnt 0x0
	v_cmp_o_f64_e64 s11, v[23:24], v[23:24]
	v_cmp_o_f64_e64 s12, v[25:26], v[25:26]
	v_ashrrev_i32_e32 v4, 31, v8
	v_ashrrev_i32_e32 v12, 31, v10
	;; [unrolled: 1-line block ×4, first 2 shown]
	s_delay_alu instid0(VALU_DEP_4) | instskip(NEXT) | instid1(VALU_DEP_4)
	v_or_b32_e32 v46, 0x80000000, v4
	v_or_b32_e32 v48, 0x80000000, v12
	s_delay_alu instid0(VALU_DEP_4) | instskip(NEXT) | instid1(VALU_DEP_4)
	v_or_b32_e32 v49, 0x80000000, v42
	v_or_b32_e32 v50, 0x80000000, v44
	v_xor_b32_e32 v4, v4, v7
	v_xor_b32_e32 v46, v46, v8
	v_xor_b32_e32 v7, v48, v10
	v_xor_b32_e32 v12, v12, v9
	v_xor_b32_e32 v9, v49, v24
	v_xor_b32_e32 v42, v42, v23
	v_xor_b32_e32 v23, v50, v26
	v_xor_b32_e32 v44, v44, v25
	s_wait_alu 0xf1ff
	v_cndmask_b32_e64 v8, -1, v46, s9
	v_cndmask_b32_e64 v10, -1, v7, s10
	;; [unrolled: 1-line block ×7, first 2 shown]
	v_dual_mov_b32 v43, v13 :: v_dual_and_b32 v48, v7, v21
	v_and_b32_e32 v49, v8, v22
	v_lshrrev_b64 v[7:8], s84, v[7:8]
	v_cndmask_b32_e64 v25, -1, v44, s12
	v_and_b32_e32 v50, v9, v21
	v_lshrrev_b64 v[8:9], s84, v[9:10]
	v_and_b32_e32 v51, v10, v22
	v_lshrrev_b64 v[9:10], s84, v[23:24]
	v_dual_mov_b32 v45, v13 :: v_dual_and_b32 v52, v23, v21
	v_dual_mov_b32 v47, v13 :: v_dual_and_b32 v12, 3, v7
	v_and_b32_e32 v53, v24, v22
	v_lshrrev_b64 v[23:24], s84, v[25:26]
	v_and_b32_e32 v42, 3, v8
	v_and_b32_e32 v44, 3, v9
	v_cmp_eq_u64_e64 s9, v[48:49], v[18:19]
	v_cmp_eq_u64_e64 s13, 0, v[12:13]
	v_and_b32_e32 v55, v26, v22
	v_and_b32_e32 v54, v25, v21
	;; [unrolled: 1-line block ×3, first 2 shown]
	v_cmp_eq_u64_e64 s10, v[50:51], v[18:19]
	v_cmp_eq_u64_e64 s14, 0, v[42:43]
	;; [unrolled: 1-line block ×6, first 2 shown]
	s_and_b32 s13, s9, s13
	v_cmp_eq_u64_e64 s17, 1, v[12:13]
	s_wait_alu 0xfffe
	v_cndmask_b32_e64 v4, 0, 1, s13
	s_and_b32 s13, s10, s14
	v_cmp_eq_u64_e64 s18, 1, v[42:43]
	s_wait_alu 0xfffe
	v_cndmask_b32_e64 v7, 0, 1, s13
	;; [unrolled: 4-line block ×4, first 2 shown]
	s_and_b32 s13, s9, s17
	v_cmp_eq_u64_e64 s21, 2, v[12:13]
	v_cmp_eq_u64_e64 s25, 3, v[12:13]
	s_wait_alu 0xfffe
	v_cndmask_b32_e64 v10, 0, 1, s13
	s_and_b32 s13, s10, s18
	v_cmp_eq_u64_e64 s22, 2, v[42:43]
	v_cmp_eq_u64_e64 s26, 3, v[42:43]
	s_wait_alu 0xfffe
	v_cndmask_b32_e64 v12, 0, 1, s13
	s_and_b32 s13, s11, s19
	v_cmp_eq_u64_e64 s23, 2, v[44:45]
	v_cmp_eq_u64_e64 s27, 3, v[44:45]
	s_wait_alu 0xfffe
	v_cndmask_b32_e64 v23, 0, 1, s13
	s_and_b32 s13, s12, s20
	v_cmp_eq_u64_e64 s24, 2, v[46:47]
	v_cmp_eq_u64_e64 s28, 3, v[46:47]
	s_wait_alu 0xfffe
	v_cndmask_b32_e64 v24, 0, 1, s13
	s_and_b32 s13, s9, s21
	s_and_b32 s9, s9, s25
	s_wait_alu 0xfffe
	v_cndmask_b32_e64 v25, 0, 1, s13
	s_and_b32 s13, s10, s22
	v_cndmask_b32_e64 v44, 0, 1, s9
	s_and_b32 s9, s10, s26
	s_wait_alu 0xfffe
	v_cndmask_b32_e64 v26, 0, 1, s13
	s_and_b32 s13, s11, s23
	v_cndmask_b32_e64 v45, 0, 1, s9
	;; [unrolled: 5-line block ×3, first 2 shown]
	s_and_b32 s9, s12, s28
	s_wait_alu 0xfffe
	v_cndmask_b32_e64 v43, 0, 1, s13
	v_cndmask_b32_e64 v47, 0, 1, s9
	v_cmp_ne_u32_e64 s9, 0, v4
	v_cmp_ne_u32_e64 s13, 0, v10
	;; [unrolled: 1-line block ×7, first 2 shown]
	s_bcnt1_i32_b32 s9, s9
	s_bcnt1_i32_b32 s13, s13
	v_cmp_ne_u32_e64 s16, 0, v24
	v_cmp_ne_u32_e64 s18, 0, v26
	v_cmp_ne_u32_e64 s22, 0, v45
	s_bcnt1_i32_b32 s10, s10
	s_bcnt1_i32_b32 s14, s14
	s_wait_alu 0xfffe
	s_add_co_i32 s9, s9, s91
	s_add_co_i32 s13, s13, s90
	v_cmp_ne_u32_e64 s11, 0, v8
	v_cmp_ne_u32_e64 s19, 0, v42
	;; [unrolled: 1-line block ×3, first 2 shown]
	s_bcnt1_i32_b32 s15, s15
	s_wait_alu 0xfffe
	s_add_co_i32 s9, s9, s10
	s_add_co_i32 s10, s13, s14
	s_bcnt1_i32_b32 s17, s17
	s_bcnt1_i32_b32 s21, s21
	v_cmp_ne_u32_e64 s12, 0, v9
	v_cmp_ne_u32_e64 s20, 0, v43
	;; [unrolled: 1-line block ×3, first 2 shown]
	s_bcnt1_i32_b32 s16, s16
	s_wait_alu 0xfffe
	s_add_co_i32 s10, s10, s15
	s_bcnt1_i32_b32 s18, s18
	s_bcnt1_i32_b32 s22, s22
	s_add_co_i32 s17, s17, s89
	s_add_co_i32 s21, s21, s88
	s_wait_alu 0xfffe
	s_add_co_i32 s90, s10, s16
	s_wait_alu 0xfffe
	v_dual_mov_b32 v8, s90 :: v_dual_add_nc_u32 v3, s46, v3
	s_bcnt1_i32_b32 s11, s11
	s_bcnt1_i32_b32 s19, s19
	;; [unrolled: 1-line block ×3, first 2 shown]
	s_add_co_i32 s13, s17, s18
	s_add_co_i32 s14, s21, s22
	s_bcnt1_i32_b32 s12, s12
	s_bcnt1_i32_b32 s20, s20
	;; [unrolled: 1-line block ×3, first 2 shown]
	s_wait_alu 0xfffe
	s_add_co_i32 s9, s9, s11
	s_add_co_i32 s11, s13, s19
	;; [unrolled: 1-line block ×3, first 2 shown]
	v_cmp_le_i32_e32 vcc_lo, s85, v3
	s_wait_alu 0xfffe
	s_add_co_i32 s91, s9, s12
	s_add_co_i32 s89, s11, s20
	;; [unrolled: 1-line block ×3, first 2 shown]
	s_wait_alu 0xfffe
	v_dual_mov_b32 v10, s88 :: v_dual_add_nc_u32 v1, s76, v1
	v_mov_b32_e32 v7, s91
	v_mov_b32_e32 v9, s89
	s_or_b32 s87, vcc_lo, s87
	s_wait_alu 0xfffe
	s_and_not1_b32 exec_lo, exec_lo, s87
	s_cbranch_execnz .LBB41_60
; %bb.61:                               ;   in Loop: Header=BB41_7 Depth=1
	s_or_b32 exec_lo, exec_lo, s87
.LBB41_62:                              ;   in Loop: Header=BB41_7 Depth=1
	s_delay_alu instid0(SALU_CYCLE_1) | instskip(SKIP_2) | instid1(VALU_DEP_1)
	s_or_b32 exec_lo, exec_lo, s86
	v_add_nc_u32_e32 v1, s85, v0
	s_mov_b32 s14, exec_lo
	v_cmpx_gt_i32_e64 s50, v1
	s_cbranch_execz .LBB41_66
; %bb.63:                               ;   in Loop: Header=BB41_7 Depth=1
	v_lshlrev_b32_e32 v3, 3, v1
	s_mov_b32 s15, 0
.LBB41_64:                              ;   Parent Loop BB41_7 Depth=1
                                        ; =>  This Inner Loop Header: Depth=2
	ds_load_b64 v[23:24], v3
	v_add_nc_u32_e32 v3, s77, v3
	s_wait_dscnt 0x0
	v_cmp_o_f64_e32 vcc_lo, v[23:24], v[23:24]
	v_ashrrev_i32_e32 v4, 31, v24
	s_delay_alu instid0(VALU_DEP_1) | instskip(SKIP_1) | instid1(VALU_DEP_2)
	v_or_b32_e32 v12, 0x80000000, v4
	v_xor_b32_e32 v4, v4, v23
	v_xor_b32_e32 v12, v12, v24
	s_wait_alu 0xfffd
	s_delay_alu instid0(VALU_DEP_1) | instskip(NEXT) | instid1(VALU_DEP_1)
	v_dual_cndmask_b32 v24, -1, v12 :: v_dual_add_nc_u32 v1, s41, v1
	v_cmp_le_i32_e64 s9, s50, v1
	s_wait_loadcnt 0x0
	s_delay_alu instid0(VALU_DEP_2) | instskip(NEXT) | instid1(VALU_DEP_1)
	v_dual_cndmask_b32 v23, -1, v4 :: v_dual_and_b32 v26, v24, v22
	v_and_b32_e32 v25, v23, v21
	v_lshrrev_b64 v[23:24], s84, v[23:24]
	s_delay_alu instid0(VALU_DEP_2) | instskip(NEXT) | instid1(VALU_DEP_2)
	v_cmp_eq_u64_e32 vcc_lo, v[25:26], v[18:19]
	v_and_b32_e32 v12, 3, v23
	s_delay_alu instid0(VALU_DEP_1)
	v_cmp_eq_u64_e64 s10, 0, v[12:13]
	v_cmp_eq_u64_e64 s11, 1, v[12:13]
	;; [unrolled: 1-line block ×4, first 2 shown]
	s_and_b32 s10, vcc_lo, s10
	s_wait_alu 0xfffe
	v_cndmask_b32_e64 v4, 0, 1, s10
	s_and_b32 s10, vcc_lo, s11
	s_wait_alu 0xfffe
	v_cndmask_b32_e64 v12, 0, 1, s10
	;; [unrolled: 3-line block ×3, first 2 shown]
	s_and_b32 s10, vcc_lo, s13
	v_cmp_ne_u32_e32 vcc_lo, 0, v4
	s_wait_alu 0xfffe
	v_cndmask_b32_e64 v24, 0, 1, s10
	v_cmp_ne_u32_e64 s10, 0, v12
	v_cmp_ne_u32_e64 s11, 0, v23
	s_bcnt1_i32_b32 s13, vcc_lo
	v_cmp_ne_u32_e64 s12, 0, v24
	s_bcnt1_i32_b32 s10, s10
	s_bcnt1_i32_b32 s11, s11
	s_wait_alu 0xfffe
	v_add_nc_u32_e32 v7, s13, v7
	v_add_nc_u32_e32 v8, s10, v8
	s_bcnt1_i32_b32 s12, s12
	v_add_nc_u32_e32 v9, s11, v9
	s_wait_alu 0xfffe
	v_add_nc_u32_e32 v10, s12, v10
	s_or_b32 s15, s9, s15
	s_wait_alu 0xfffe
	s_and_not1_b32 exec_lo, exec_lo, s15
	s_cbranch_execnz .LBB41_64
; %bb.65:                               ;   in Loop: Header=BB41_7 Depth=1
	s_or_b32 exec_lo, exec_lo, s15
.LBB41_66:                              ;   in Loop: Header=BB41_7 Depth=1
	s_wait_alu 0xfffe
	s_or_b32 exec_lo, exec_lo, s14
	v_lshlrev_b32_e32 v1, 7, v40
	s_and_saveexec_b32 s9, s0
	s_cbranch_execnz .LBB41_38
	s_branch .LBB41_39
.LBB41_67:                              ;   in Loop: Header=BB41_7 Depth=1
	s_wait_alu 0xfffe
	s_or_b32 exec_lo, exec_lo, s11
	s_wait_loadcnt_dscnt 0x0
	s_barrier_signal -1
	s_barrier_wait -1
	global_inv scope:SCOPE_SE
	s_and_saveexec_b32 s9, s2
	s_cbranch_execz .LBB41_69
; %bb.68:                               ;   in Loop: Header=BB41_7 Depth=1
	ds_load_b32 v1, v13 offset:4104
	s_wait_dscnt 0x0
	ds_store_b32 v13, v1 offset:4096
.LBB41_69:                              ;   in Loop: Header=BB41_7 Depth=1
	s_wait_alu 0xfffe
	s_or_b32 exec_lo, exec_lo, s9
	s_wait_loadcnt_dscnt 0x0
	s_barrier_signal -1
	s_mov_b32 s9, -1
	s_barrier_wait -1
	s_and_b32 vcc_lo, exec_lo, s10
	s_wait_alu 0xfffe
	s_cbranch_vccnz .LBB41_23
	s_branch .LBB41_33
.LBB41_70:                              ;   in Loop: Header=BB41_7 Depth=1
	v_mov_b32_e32 v3, 0
	s_mov_b32 s10, 0
	s_and_not1_b32 vcc_lo, exec_lo, s72
	s_wait_alu 0xfffe
	s_cbranch_vccnz .LBB41_73
.LBB41_71:                              ;   in Loop: Header=BB41_7 Depth=1
	v_lshlrev_b32_e32 v4, 9, v40
	s_lshl_b32 s10, s10, 4
	s_wait_alu 0xfffe
	s_delay_alu instid0(VALU_DEP_1)
	v_add3_u32 v4, v4, s10, v39
	s_mov_b32 s10, s69
.LBB41_72:                              ;   Parent Loop BB41_7 Depth=1
                                        ; =>  This Inner Loop Header: Depth=2
	ds_load_b32 v7, v4
	v_add_nc_u32_e32 v4, 16, v4
	s_wait_alu 0xfffe
	s_add_co_i32 s10, s10, -1
	s_wait_alu 0xfffe
	s_cmp_lg_u32 s10, 0
	s_wait_dscnt 0x0
	v_add_nc_u32_e32 v3, v7, v3
	s_cbranch_scc1 .LBB41_72
.LBB41_73:                              ;   in Loop: Header=BB41_7 Depth=1
	v_add_lshl_u32 v4, v1, v27, 2
	ds_store_b32 v4, v3 offset:3072
.LBB41_74:                              ;   in Loop: Header=BB41_7 Depth=1
	s_wait_alu 0xfffe
	s_or_b32 exec_lo, exec_lo, s9
	v_lshlrev_b32_e32 v1, 2, v1
	s_wait_loadcnt_dscnt 0x0
	s_barrier_signal -1
	s_barrier_wait -1
	global_inv scope:SCOPE_SE
	ds_load_b128 v[7:10], v1 offset:3072
	s_lshl_b64 s[10:11], 3, s84
	v_cmp_eq_u32_e32 vcc_lo, 1, v41
	s_wait_alu 0xfffe
	s_not_b64 s[12:13], s[10:11]
	s_mov_b32 s16, -1
	s_mov_b32 s18, -1
                                        ; implicit-def: $sgpr22
                                        ; implicit-def: $sgpr20
	s_wait_dscnt 0x0
	v_readfirstlane_b32 s15, v7
	v_readfirstlane_b32 s21, v8
	;; [unrolled: 1-line block ×4, first 2 shown]
	s_cmp_eq_u32 s15, 1
	s_cselect_b32 s14, -1, 0
	s_wait_alu 0xfffe
	s_and_b32 s17, s14, vcc_lo
	s_wait_alu 0xfffe
	s_and_saveexec_b32 s14, s17
	s_cbranch_execz .LBB41_102
; %bb.75:                               ;   in Loop: Header=BB41_7 Depth=1
	ds_load_b32 v1, v13 offset:4096
	s_wait_loadcnt_dscnt 0x0
	s_barrier_signal -1
	s_barrier_wait -1
	global_inv scope:SCOPE_SE
	v_readfirstlane_b32 s18, v1
	s_and_saveexec_b32 s20, s1
; %bb.76:                               ;   in Loop: Header=BB41_7 Depth=1
	v_mov_b32_e32 v12, v13
	ds_store_b64 v30, v[12:13]
; %bb.77:                               ;   in Loop: Header=BB41_7 Depth=1
	s_wait_alu 0xfffe
	s_or_b32 exec_lo, exec_lo, s20
	v_and_b32_e32 v19, s13, v19
	v_and_b32_e32 v18, s12, v18
	v_or_b32_e32 v22, s11, v22
	v_or_b32_e32 v21, s10, v21
	s_mov_b32 s20, -1
	s_mov_b32 s22, 0
	s_cmp_lt_i32 s18, 1
	s_mov_b32 s23, 0
	s_mov_b32 s24, -1
	s_wait_loadcnt_dscnt 0x0
	s_barrier_signal -1
	s_barrier_wait -1
	global_inv scope:SCOPE_SE
                                        ; implicit-def: $vgpr5_vgpr6
	s_cbranch_scc0 .LBB41_89
; %bb.78:                               ;   in Loop: Header=BB41_7 Depth=1
	s_mov_b32 s24, 0
                                        ; implicit-def: $vgpr5_vgpr6
	s_and_saveexec_b32 s25, s8
	s_cbranch_execz .LBB41_88
; %bb.79:                               ;   in Loop: Header=BB41_7 Depth=1
	v_mov_b32_e32 v7, v11
	v_mov_b32_e32 v9, v0
                                        ; implicit-def: $sgpr26
	s_branch .LBB41_83
.LBB41_80:                              ;   in Loop: Header=BB41_83 Depth=2
	s_wait_alu 0xfffe
	s_or_b32 exec_lo, exec_lo, s27
	s_wait_loadcnt_dscnt 0x0
	s_barrier_signal -1
	s_barrier_wait -1
	global_inv scope:SCOPE_SE
	ds_load_b128 v[3:6], v13 offset:3072
	s_wait_loadcnt_dscnt 0x0
	s_barrier_signal -1
	s_barrier_wait -1
	global_inv scope:SCOPE_SE
	v_cmp_neq_f64_e32 vcc_lo, 0, v[3:4]
	s_cbranch_vccnz .LBB41_86
; %bb.81:                               ;   in Loop: Header=BB41_83 Depth=2
	v_add_nc_u32_e32 v9, s41, v9
	v_add_nc_u32_e32 v7, s65, v7
	s_mov_b32 s27, 0
	s_delay_alu instid0(VALU_DEP_2)
	v_cmp_le_i32_e32 vcc_lo, s74, v9
	s_or_not1_b32 s28, vcc_lo, exec_lo
.LBB41_82:                              ;   in Loop: Header=BB41_83 Depth=2
	s_delay_alu instid0(SALU_CYCLE_1)
	s_and_b32 s28, exec_lo, s28
	s_wait_alu 0xfffe
	s_or_b32 s23, s28, s23
	s_and_not1_b32 s26, s26, exec_lo
	s_and_b32 s27, s27, exec_lo
	s_wait_alu 0xfffe
	s_or_b32 s26, s26, s27
	s_and_not1_b32 exec_lo, exec_lo, s23
	s_cbranch_execz .LBB41_87
.LBB41_83:                              ;   Parent Loop BB41_7 Depth=1
                                        ; =>  This Inner Loop Header: Depth=2
	s_mov_b32 s27, exec_lo
	s_delay_alu instid0(VALU_DEP_1)
	v_cmpx_gt_i32_e64 s36, v9
	s_cbranch_execz .LBB41_80
; %bb.84:                               ;   in Loop: Header=BB41_83 Depth=2
	v_ashrrev_i32_e32 v8, 31, v7
	s_delay_alu instid0(VALU_DEP_1) | instskip(NEXT) | instid1(VALU_DEP_1)
	v_lshlrev_b64_e32 v[3:4], 3, v[7:8]
	v_add_co_u32 v3, vcc_lo, s48, v3
	s_wait_alu 0xfffd
	s_delay_alu instid0(VALU_DEP_2) | instskip(SKIP_4) | instid1(VALU_DEP_1)
	v_add_co_ci_u32_e64 v4, null, s49, v4, vcc_lo
	global_load_b64 v[3:4], v[3:4], off
	s_wait_loadcnt 0x0
	v_cmp_o_f64_e32 vcc_lo, v[3:4], v[3:4]
	v_ashrrev_i32_e32 v1, 31, v4
	v_or_b32_e32 v5, 0x80000000, v1
	v_xor_b32_e32 v1, v1, v3
	s_delay_alu instid0(VALU_DEP_2) | instskip(SKIP_1) | instid1(VALU_DEP_1)
	v_xor_b32_e32 v5, v5, v4
	s_wait_alu 0xfffd
	v_cndmask_b32_e32 v5, -1, v5, vcc_lo
	s_delay_alu instid0(VALU_DEP_1) | instskip(NEXT) | instid1(VALU_DEP_1)
	v_dual_cndmask_b32 v1, -1, v1 :: v_dual_and_b32 v6, v5, v22
	v_and_b32_e32 v5, v1, v21
	s_delay_alu instid0(VALU_DEP_1)
	v_cmp_eq_u64_e32 vcc_lo, v[5:6], v[18:19]
	s_and_b32 exec_lo, exec_lo, vcc_lo
	s_cbranch_execz .LBB41_80
; %bb.85:                               ;   in Loop: Header=BB41_83 Depth=2
	v_mov_b32_e32 v1, v13
	ds_store_b128 v13, v[1:4] offset:3072
	s_branch .LBB41_80
.LBB41_86:                              ;   in Loop: Header=BB41_83 Depth=2
	s_mov_b32 s28, -1
	s_mov_b32 s27, -1
                                        ; implicit-def: $vgpr9
                                        ; implicit-def: $vgpr7
	s_branch .LBB41_82
.LBB41_87:                              ;   in Loop: Header=BB41_7 Depth=1
	s_or_b32 exec_lo, exec_lo, s23
	s_wait_alu 0xfffe
	s_and_b32 s23, s26, exec_lo
.LBB41_88:                              ;   in Loop: Header=BB41_7 Depth=1
	s_wait_alu 0xfffe
	s_or_b32 exec_lo, exec_lo, s25
.LBB41_89:                              ;   in Loop: Header=BB41_7 Depth=1
	s_wait_alu 0xfffe
	s_and_b32 vcc_lo, exec_lo, s24
	s_wait_alu 0xfffe
	s_cbranch_vccz .LBB41_101
; %bb.90:                               ;   in Loop: Header=BB41_7 Depth=1
	s_add_co_i32 s22, s18, s64
                                        ; implicit-def: $vgpr5_vgpr6
	s_wait_alu 0xfffe
	s_abs_i32 s50, s22
	s_wait_alu 0xfffe
	s_mul_u64 s[24:25], s[50:51], s[54:55]
	s_ashr_i32 s24, s22, 31
	s_wait_alu 0xfffe
	s_mul_i32 s20, s25, s41
	s_wait_alu 0xfffe
	s_sub_co_i32 s20, s50, s20
	s_wait_alu 0xfffe
	s_sub_co_i32 s25, s20, s41
	s_cmp_ge_u32 s20, s41
	s_wait_alu 0xfffe
	s_cselect_b32 s20, s25, s20
	s_wait_alu 0xfffe
	s_sub_co_i32 s25, s20, s41
	s_cmp_ge_u32 s20, s41
	s_wait_alu 0xfffe
	s_cselect_b32 s20, s25, s20
	s_wait_alu 0xfffe
	s_xor_b32 s20, s20, s24
	s_wait_alu 0xfffe
	s_sub_co_i32 s20, s24, s20
	s_wait_alu 0xfffe
	s_add_co_i32 s22, s22, s20
	s_mov_b32 s20, exec_lo
	s_wait_alu 0xfffe
	v_cmpx_gt_i32_e64 s22, v0
	s_cbranch_execz .LBB41_100
; %bb.91:                               ;   in Loop: Header=BB41_7 Depth=1
	v_dual_mov_b32 v7, v29 :: v_dual_mov_b32 v8, v0
	s_mov_b32 s25, 0
                                        ; implicit-def: $sgpr24
	s_branch .LBB41_95
.LBB41_92:                              ;   in Loop: Header=BB41_95 Depth=2
	s_wait_alu 0xfffe
	s_or_b32 exec_lo, exec_lo, s26
	s_wait_loadcnt_dscnt 0x0
	s_barrier_signal -1
	s_barrier_wait -1
	global_inv scope:SCOPE_SE
	ds_load_b128 v[3:6], v13 offset:3072
	s_wait_loadcnt_dscnt 0x0
	s_barrier_signal -1
	s_barrier_wait -1
	global_inv scope:SCOPE_SE
	v_cmp_neq_f64_e32 vcc_lo, 0, v[3:4]
	s_cbranch_vccnz .LBB41_98
; %bb.93:                               ;   in Loop: Header=BB41_95 Depth=2
	v_add_nc_u32_e32 v8, s41, v8
	v_add_nc_u32_e32 v7, s77, v7
	s_mov_b32 s26, 0
	s_delay_alu instid0(VALU_DEP_2)
	v_cmp_le_i32_e32 vcc_lo, s22, v8
	s_or_not1_b32 s27, vcc_lo, exec_lo
.LBB41_94:                              ;   in Loop: Header=BB41_95 Depth=2
	s_wait_alu 0xfffe
	s_and_b32 s27, exec_lo, s27
	s_wait_alu 0xfffe
	s_or_b32 s25, s27, s25
	s_and_not1_b32 s24, s24, exec_lo
	s_and_b32 s26, s26, exec_lo
	s_wait_alu 0xfffe
	s_or_b32 s24, s24, s26
	s_and_not1_b32 exec_lo, exec_lo, s25
	s_cbranch_execz .LBB41_99
.LBB41_95:                              ;   Parent Loop BB41_7 Depth=1
                                        ; =>  This Inner Loop Header: Depth=2
	s_mov_b32 s26, exec_lo
	s_delay_alu instid0(VALU_DEP_1)
	v_cmpx_gt_i32_e64 s18, v8
	s_cbranch_execz .LBB41_92
; %bb.96:                               ;   in Loop: Header=BB41_95 Depth=2
	ds_load_b64 v[3:4], v7
	s_wait_dscnt 0x0
	v_cmp_o_f64_e32 vcc_lo, v[3:4], v[3:4]
	v_ashrrev_i32_e32 v1, 31, v4
	s_delay_alu instid0(VALU_DEP_1) | instskip(SKIP_1) | instid1(VALU_DEP_2)
	v_or_b32_e32 v5, 0x80000000, v1
	v_xor_b32_e32 v1, v1, v3
	v_xor_b32_e32 v5, v5, v4
	s_wait_alu 0xfffd
	s_delay_alu instid0(VALU_DEP_1) | instskip(NEXT) | instid1(VALU_DEP_1)
	v_cndmask_b32_e32 v5, -1, v5, vcc_lo
	v_dual_cndmask_b32 v1, -1, v1 :: v_dual_and_b32 v6, v5, v22
	s_delay_alu instid0(VALU_DEP_1) | instskip(NEXT) | instid1(VALU_DEP_1)
	v_and_b32_e32 v5, v1, v21
	v_cmp_eq_u64_e32 vcc_lo, v[5:6], v[18:19]
	s_and_b32 exec_lo, exec_lo, vcc_lo
	s_cbranch_execz .LBB41_92
; %bb.97:                               ;   in Loop: Header=BB41_95 Depth=2
	v_mov_b32_e32 v1, v13
	ds_store_b128 v13, v[1:4] offset:3072
	s_branch .LBB41_92
.LBB41_98:                              ;   in Loop: Header=BB41_95 Depth=2
	s_mov_b32 s27, -1
	s_mov_b32 s26, -1
                                        ; implicit-def: $vgpr8
                                        ; implicit-def: $vgpr7
	s_branch .LBB41_94
.LBB41_99:                              ;   in Loop: Header=BB41_7 Depth=1
	s_or_b32 exec_lo, exec_lo, s25
	s_delay_alu instid0(SALU_CYCLE_1)
	s_and_not1_b32 s18, s23, exec_lo
	s_wait_alu 0xfffe
	s_and_b32 s22, s24, exec_lo
	s_wait_alu 0xfffe
	s_or_b32 s23, s18, s22
.LBB41_100:                             ;   in Loop: Header=BB41_7 Depth=1
	s_or_b32 exec_lo, exec_lo, s20
	s_mov_b32 s20, 0
	s_mov_b32 s22, -1
.LBB41_101:                             ;   in Loop: Header=BB41_7 Depth=1
	s_wait_alu 0xfffe
	s_or_not1_b32 s18, s23, exec_lo
.LBB41_102:                             ;   in Loop: Header=BB41_7 Depth=1
	s_wait_alu 0xfffe
	s_or_b32 exec_lo, exec_lo, s14
	v_readfirstlane_b32 s23, v0
	s_and_not1_b32 s14, s82, exec_lo
	s_and_b32 s22, s22, exec_lo
	s_and_not1_b32 s24, s80, exec_lo
	s_and_b32 s20, s20, exec_lo
	s_and_not1_b32 s79, s79, exec_lo
	s_wait_alu 0xfffe
	s_or_b32 s82, s14, s22
	s_or_b32 s80, s24, s20
                                        ; implicit-def: $vgpr10
	s_and_saveexec_b32 s14, s18
	s_cbranch_execz .LBB41_6
; %bb.103:                              ;   in Loop: Header=BB41_7 Depth=1
	v_dual_mov_b32 v10, 1 :: v_dual_mov_b32 v9, 1
	s_xor_b32 s17, s17, -1
	s_mov_b32 s22, 0
	s_wait_alu 0xfffe
	s_and_saveexec_b32 s16, s17
	s_cbranch_execz .LBB41_112
; %bb.104:                              ;   in Loop: Header=BB41_7 Depth=1
	s_mov_b32 s17, exec_lo
	v_cmpx_ge_i32_e64 s15, v41
	s_wait_alu 0xfffe
	s_xor_b32 s17, exec_lo, s17
	s_cbranch_execz .LBB41_109
; %bb.105:                              ;   in Loop: Header=BB41_7 Depth=1
	ds_load_b32 v1, v13 offset:4096
	v_and_b32_e32 v19, s13, v19
	v_and_b32_e32 v18, s12, v18
	v_or_b32_e32 v22, s11, v22
	v_or_b32_e32 v21, s10, v21
	s_wait_dscnt 0x0
	v_cmp_ne_u32_e32 vcc_lo, 0, v1
	s_cbranch_vccnz .LBB41_109
; %bb.106:                              ;   in Loop: Header=BB41_7 Depth=1
	s_and_saveexec_b32 s18, s2
; %bb.107:                              ;   in Loop: Header=BB41_7 Depth=1
	v_mov_b32_e32 v1, s15
	ds_store_b32 v13, v1 offset:4100
; %bb.108:                              ;   in Loop: Header=BB41_7 Depth=1
	s_wait_alu 0xfffe
	s_or_b32 exec_lo, exec_lo, s18
	s_wait_loadcnt_dscnt 0x0
	s_barrier_signal -1
	s_barrier_wait -1
	global_inv scope:SCOPE_SE
.LBB41_109:                             ;   in Loop: Header=BB41_7 Depth=1
	s_wait_alu 0xfffe
	s_or_saveexec_b32 s17, s17
	v_mov_b32_e32 v9, 8
	s_mov_b32 s18, 0
	s_wait_alu 0xfffe
	s_xor_b32 exec_lo, exec_lo, s17
; %bb.110:                              ;   in Loop: Header=BB41_7 Depth=1
	v_subrev_nc_u32_e32 v41, s15, v41
	v_mov_b32_e32 v9, 0
	s_mov_b32 s18, exec_lo
; %bb.111:                              ;   in Loop: Header=BB41_7 Depth=1
	s_or_b32 exec_lo, exec_lo, s17
	s_delay_alu instid0(VALU_DEP_2)
	v_mov_b32_e32 v10, v41
	s_wait_alu 0xfffe
	s_and_b32 s22, s18, exec_lo
.LBB41_112:                             ;   in Loop: Header=BB41_7 Depth=1
	s_wait_alu 0xfffe
	s_or_b32 exec_lo, exec_lo, s16
	s_mov_b32 s15, -1
	s_mov_b32 s20, -1
                                        ; implicit-def: $sgpr17
                                        ; implicit-def: $sgpr18
	s_and_saveexec_b32 s16, s22
	s_wait_alu 0xfffe
	s_xor_b32 s16, exec_lo, s16
	s_cbranch_execz .LBB41_235
; %bb.113:                              ;   in Loop: Header=BB41_7 Depth=1
	v_cmp_eq_u32_e32 vcc_lo, 1, v10
	s_cmp_eq_u32 s21, 1
	s_mov_b32 s23, -1
	s_cselect_b32 s17, -1, 0
                                        ; implicit-def: $sgpr18
	s_wait_alu 0xfffe
	s_and_b32 s22, s17, vcc_lo
                                        ; implicit-def: $sgpr17
	s_wait_alu 0xfffe
	s_and_saveexec_b32 s20, s22
	s_cbranch_execz .LBB41_141
; %bb.114:                              ;   in Loop: Header=BB41_7 Depth=1
	ds_load_b32 v1, v13 offset:4096
	s_wait_loadcnt_dscnt 0x0
	s_barrier_signal -1
	s_barrier_wait -1
	global_inv scope:SCOPE_SE
	v_readfirstlane_b32 s23, v1
	s_and_saveexec_b32 s17, s1
; %bb.115:                              ;   in Loop: Header=BB41_7 Depth=1
	v_mov_b32_e32 v12, v13
	ds_store_b64 v30, v[12:13]
; %bb.116:                              ;   in Loop: Header=BB41_7 Depth=1
	s_wait_alu 0xfffe
	s_or_b32 exec_lo, exec_lo, s17
	v_and_b32_e32 v1, s13, v19
	v_and_b32_e32 v3, s12, v18
	s_lshl_b64 s[24:25], 1, s84
	v_or_b32_e32 v22, s11, v22
	v_or_b32_e32 v21, s10, v21
	s_wait_alu 0xfffe
	v_or_b32_e32 v19, s25, v1
	v_or_b32_e32 v18, s24, v3
	s_mov_b32 s17, -1
	s_mov_b32 s18, 0
	s_cmp_gt_i32 s23, 0
	s_mov_b32 s24, 0
	s_mov_b32 s25, -1
	s_wait_loadcnt_dscnt 0x0
	s_barrier_signal -1
	s_barrier_wait -1
	global_inv scope:SCOPE_SE
                                        ; implicit-def: $vgpr5_vgpr6
	s_cbranch_scc1 .LBB41_128
; %bb.117:                              ;   in Loop: Header=BB41_7 Depth=1
	s_mov_b32 s25, 0
                                        ; implicit-def: $vgpr5_vgpr6
	s_and_saveexec_b32 s26, s8
	s_cbranch_execz .LBB41_127
; %bb.118:                              ;   in Loop: Header=BB41_7 Depth=1
	v_dual_mov_b32 v7, v11 :: v_dual_mov_b32 v12, v0
                                        ; implicit-def: $sgpr27
	s_branch .LBB41_122
.LBB41_119:                             ;   in Loop: Header=BB41_122 Depth=2
	s_or_b32 exec_lo, exec_lo, s28
	s_wait_loadcnt_dscnt 0x0
	s_barrier_signal -1
	s_barrier_wait -1
	global_inv scope:SCOPE_SE
	ds_load_b128 v[3:6], v13 offset:3072
	s_wait_loadcnt_dscnt 0x0
	s_barrier_signal -1
	s_barrier_wait -1
	global_inv scope:SCOPE_SE
	v_cmp_neq_f64_e32 vcc_lo, 0, v[3:4]
	s_cbranch_vccnz .LBB41_125
; %bb.120:                              ;   in Loop: Header=BB41_122 Depth=2
	v_add_nc_u32_e32 v12, s41, v12
	v_add_nc_u32_e32 v7, s65, v7
	s_mov_b32 s28, 0
	s_delay_alu instid0(VALU_DEP_2)
	v_cmp_le_i32_e32 vcc_lo, s74, v12
	s_or_not1_b32 s50, vcc_lo, exec_lo
.LBB41_121:                             ;   in Loop: Header=BB41_122 Depth=2
	s_wait_alu 0xfffe
	s_and_b32 s50, exec_lo, s50
	s_wait_alu 0xfffe
	s_or_b32 s24, s50, s24
	s_and_not1_b32 s27, s27, exec_lo
	s_and_b32 s28, s28, exec_lo
	s_wait_alu 0xfffe
	s_or_b32 s27, s27, s28
	s_and_not1_b32 exec_lo, exec_lo, s24
	s_cbranch_execz .LBB41_126
.LBB41_122:                             ;   Parent Loop BB41_7 Depth=1
                                        ; =>  This Inner Loop Header: Depth=2
	s_mov_b32 s28, exec_lo
	s_delay_alu instid0(VALU_DEP_1)
	v_cmpx_gt_i32_e64 s36, v12
	s_cbranch_execz .LBB41_119
; %bb.123:                              ;   in Loop: Header=BB41_122 Depth=2
	v_ashrrev_i32_e32 v8, 31, v7
	s_delay_alu instid0(VALU_DEP_1) | instskip(NEXT) | instid1(VALU_DEP_1)
	v_lshlrev_b64_e32 v[3:4], 3, v[7:8]
	v_add_co_u32 v3, vcc_lo, s48, v3
	s_wait_alu 0xfffd
	s_delay_alu instid0(VALU_DEP_2) | instskip(SKIP_4) | instid1(VALU_DEP_1)
	v_add_co_ci_u32_e64 v4, null, s49, v4, vcc_lo
	global_load_b64 v[3:4], v[3:4], off
	s_wait_loadcnt 0x0
	v_cmp_o_f64_e32 vcc_lo, v[3:4], v[3:4]
	v_ashrrev_i32_e32 v1, 31, v4
	v_or_b32_e32 v5, 0x80000000, v1
	v_xor_b32_e32 v1, v1, v3
	s_delay_alu instid0(VALU_DEP_2) | instskip(SKIP_1) | instid1(VALU_DEP_1)
	v_xor_b32_e32 v5, v5, v4
	s_wait_alu 0xfffd
	v_cndmask_b32_e32 v5, -1, v5, vcc_lo
	s_delay_alu instid0(VALU_DEP_1) | instskip(NEXT) | instid1(VALU_DEP_1)
	v_dual_cndmask_b32 v1, -1, v1 :: v_dual_and_b32 v6, v5, v22
	v_and_b32_e32 v5, v1, v21
	s_delay_alu instid0(VALU_DEP_1)
	v_cmp_eq_u64_e32 vcc_lo, v[5:6], v[18:19]
	s_and_b32 exec_lo, exec_lo, vcc_lo
	s_cbranch_execz .LBB41_119
; %bb.124:                              ;   in Loop: Header=BB41_122 Depth=2
	v_mov_b32_e32 v1, v13
	ds_store_b128 v13, v[1:4] offset:3072
	s_branch .LBB41_119
.LBB41_125:                             ;   in Loop: Header=BB41_122 Depth=2
	s_mov_b32 s50, -1
	s_mov_b32 s28, -1
                                        ; implicit-def: $vgpr12
                                        ; implicit-def: $vgpr7
	s_branch .LBB41_121
.LBB41_126:                             ;   in Loop: Header=BB41_7 Depth=1
	s_or_b32 exec_lo, exec_lo, s24
	s_wait_alu 0xfffe
	s_and_b32 s24, s27, exec_lo
.LBB41_127:                             ;   in Loop: Header=BB41_7 Depth=1
	s_wait_alu 0xfffe
	s_or_b32 exec_lo, exec_lo, s26
.LBB41_128:                             ;   in Loop: Header=BB41_7 Depth=1
	s_wait_alu 0xfffe
	s_and_b32 vcc_lo, exec_lo, s25
	s_wait_alu 0xfffe
	s_cbranch_vccz .LBB41_140
; %bb.129:                              ;   in Loop: Header=BB41_7 Depth=1
	s_add_co_i32 s18, s23, s64
                                        ; implicit-def: $vgpr5_vgpr6
	s_wait_alu 0xfffe
	s_abs_i32 s50, s18
	s_ashr_i32 s25, s18, 31
	s_wait_alu 0xfffe
	s_mul_u64 s[26:27], s[50:51], s[54:55]
	s_wait_alu 0xfffe
	s_mul_i32 s17, s27, s41
	s_wait_alu 0xfffe
	s_sub_co_i32 s17, s50, s17
	s_wait_alu 0xfffe
	s_sub_co_i32 s26, s17, s41
	s_cmp_ge_u32 s17, s41
	s_wait_alu 0xfffe
	s_cselect_b32 s17, s26, s17
	s_wait_alu 0xfffe
	s_sub_co_i32 s26, s17, s41
	s_cmp_ge_u32 s17, s41
	s_wait_alu 0xfffe
	s_cselect_b32 s17, s26, s17
	s_wait_alu 0xfffe
	s_xor_b32 s17, s17, s25
	s_wait_alu 0xfffe
	s_sub_co_i32 s17, s25, s17
	s_wait_alu 0xfffe
	s_add_co_i32 s18, s18, s17
	s_mov_b32 s17, exec_lo
	s_wait_alu 0xfffe
	v_cmpx_gt_i32_e64 s18, v0
	s_cbranch_execz .LBB41_139
; %bb.130:                              ;   in Loop: Header=BB41_7 Depth=1
	v_dual_mov_b32 v7, v29 :: v_dual_mov_b32 v8, v0
	s_mov_b32 s25, 0
                                        ; implicit-def: $sgpr26
	s_branch .LBB41_134
.LBB41_131:                             ;   in Loop: Header=BB41_134 Depth=2
	s_wait_alu 0xfffe
	s_or_b32 exec_lo, exec_lo, s27
	s_wait_loadcnt_dscnt 0x0
	s_barrier_signal -1
	s_barrier_wait -1
	global_inv scope:SCOPE_SE
	ds_load_b128 v[3:6], v13 offset:3072
	s_wait_loadcnt_dscnt 0x0
	s_barrier_signal -1
	s_barrier_wait -1
	global_inv scope:SCOPE_SE
	v_cmp_eq_f64_e32 vcc_lo, 0, v[3:4]
	s_cbranch_vccz .LBB41_137
; %bb.132:                              ;   in Loop: Header=BB41_134 Depth=2
	v_add_nc_u32_e32 v8, s41, v8
	v_add_nc_u32_e32 v7, s77, v7
	s_mov_b32 s27, 0
	s_delay_alu instid0(VALU_DEP_2)
	v_cmp_le_i32_e32 vcc_lo, s18, v8
	s_or_not1_b32 s28, vcc_lo, exec_lo
.LBB41_133:                             ;   in Loop: Header=BB41_134 Depth=2
	s_delay_alu instid0(SALU_CYCLE_1)
	s_and_b32 s28, exec_lo, s28
	s_wait_alu 0xfffe
	s_or_b32 s25, s28, s25
	s_and_not1_b32 s26, s26, exec_lo
	s_and_b32 s27, s27, exec_lo
	s_wait_alu 0xfffe
	s_or_b32 s26, s26, s27
	s_and_not1_b32 exec_lo, exec_lo, s25
	s_cbranch_execz .LBB41_138
.LBB41_134:                             ;   Parent Loop BB41_7 Depth=1
                                        ; =>  This Inner Loop Header: Depth=2
	s_mov_b32 s27, exec_lo
	s_delay_alu instid0(VALU_DEP_1)
	v_cmpx_gt_i32_e64 s23, v8
	s_cbranch_execz .LBB41_131
; %bb.135:                              ;   in Loop: Header=BB41_134 Depth=2
	ds_load_b64 v[3:4], v7
	s_wait_dscnt 0x0
	v_cmp_o_f64_e32 vcc_lo, v[3:4], v[3:4]
	v_ashrrev_i32_e32 v1, 31, v4
	s_delay_alu instid0(VALU_DEP_1) | instskip(SKIP_1) | instid1(VALU_DEP_2)
	v_or_b32_e32 v5, 0x80000000, v1
	v_xor_b32_e32 v1, v1, v3
	v_xor_b32_e32 v5, v5, v4
	s_wait_alu 0xfffd
	s_delay_alu instid0(VALU_DEP_1) | instskip(NEXT) | instid1(VALU_DEP_1)
	v_cndmask_b32_e32 v5, -1, v5, vcc_lo
	v_dual_cndmask_b32 v1, -1, v1 :: v_dual_and_b32 v6, v5, v22
	s_delay_alu instid0(VALU_DEP_1) | instskip(NEXT) | instid1(VALU_DEP_1)
	v_and_b32_e32 v5, v1, v21
	v_cmp_eq_u64_e32 vcc_lo, v[5:6], v[18:19]
	s_and_b32 exec_lo, exec_lo, vcc_lo
	s_cbranch_execz .LBB41_131
; %bb.136:                              ;   in Loop: Header=BB41_134 Depth=2
	v_mov_b32_e32 v1, v13
	ds_store_b128 v13, v[1:4] offset:3072
	s_branch .LBB41_131
.LBB41_137:                             ;   in Loop: Header=BB41_134 Depth=2
	s_mov_b32 s28, -1
	s_mov_b32 s27, -1
                                        ; implicit-def: $vgpr8
                                        ; implicit-def: $vgpr7
	s_branch .LBB41_133
.LBB41_138:                             ;   in Loop: Header=BB41_7 Depth=1
	s_or_b32 exec_lo, exec_lo, s25
	s_delay_alu instid0(SALU_CYCLE_1)
	s_and_not1_b32 s18, s24, exec_lo
	s_wait_alu 0xfffe
	s_and_b32 s23, s26, exec_lo
	s_wait_alu 0xfffe
	s_or_b32 s24, s18, s23
.LBB41_139:                             ;   in Loop: Header=BB41_7 Depth=1
	s_or_b32 exec_lo, exec_lo, s17
	s_mov_b32 s17, 0
	s_mov_b32 s18, -1
.LBB41_140:                             ;   in Loop: Header=BB41_7 Depth=1
	s_wait_alu 0xfffe
	s_or_not1_b32 s23, s24, exec_lo
.LBB41_141:                             ;   in Loop: Header=BB41_7 Depth=1
	s_wait_alu 0xfffe
	s_or_b32 exec_lo, exec_lo, s20
	s_mov_b32 s24, 0
	s_and_saveexec_b32 s20, s23
	s_cbranch_execz .LBB41_234
; %bb.142:                              ;   in Loop: Header=BB41_7 Depth=1
	v_mov_b32_e32 v23, 1
	v_mov_b32_e32 v9, 1
	s_xor_b32 s23, s22, -1
	s_mov_b32 s25, 0
	s_wait_alu 0xfffe
	s_and_saveexec_b32 s22, s23
	s_cbranch_execz .LBB41_151
; %bb.143:                              ;   in Loop: Header=BB41_7 Depth=1
	s_mov_b32 s23, exec_lo
	v_cmpx_ge_i32_e64 s21, v10
	s_wait_alu 0xfffe
	s_xor_b32 s23, exec_lo, s23
	s_cbranch_execz .LBB41_148
; %bb.144:                              ;   in Loop: Header=BB41_7 Depth=1
	ds_load_b32 v1, v13 offset:4096
	v_and_b32_e32 v3, s13, v19
	v_and_b32_e32 v4, s12, v18
	s_lshl_b64 s[24:25], 1, s84
	v_or_b32_e32 v22, s11, v22
	v_or_b32_e32 v21, s10, v21
	s_wait_alu 0xfffe
	v_or_b32_e32 v19, s25, v3
	v_or_b32_e32 v18, s24, v4
	s_wait_dscnt 0x0
	v_cmp_ne_u32_e32 vcc_lo, 0, v1
	s_cbranch_vccnz .LBB41_148
; %bb.145:                              ;   in Loop: Header=BB41_7 Depth=1
	s_and_saveexec_b32 s24, s2
; %bb.146:                              ;   in Loop: Header=BB41_7 Depth=1
	v_mov_b32_e32 v1, s21
	ds_store_b32 v13, v1 offset:4100
; %bb.147:                              ;   in Loop: Header=BB41_7 Depth=1
	s_wait_alu 0xfffe
	s_or_b32 exec_lo, exec_lo, s24
	s_wait_loadcnt_dscnt 0x0
	s_barrier_signal -1
	s_barrier_wait -1
	global_inv scope:SCOPE_SE
.LBB41_148:                             ;   in Loop: Header=BB41_7 Depth=1
	s_wait_alu 0xfffe
	s_or_saveexec_b32 s23, s23
	v_mov_b32_e32 v9, 8
	s_mov_b32 s24, 0
	s_wait_alu 0xfffe
	s_xor_b32 exec_lo, exec_lo, s23
; %bb.149:                              ;   in Loop: Header=BB41_7 Depth=1
	v_subrev_nc_u32_e32 v10, s21, v10
	v_mov_b32_e32 v9, 0
	s_mov_b32 s24, exec_lo
; %bb.150:                              ;   in Loop: Header=BB41_7 Depth=1
	s_or_b32 exec_lo, exec_lo, s23
	s_delay_alu instid0(VALU_DEP_2)
	v_mov_b32_e32 v23, v10
	s_wait_alu 0xfffe
	s_and_b32 s25, s24, exec_lo
.LBB41_151:                             ;   in Loop: Header=BB41_7 Depth=1
	s_wait_alu 0xfffe
	s_or_b32 exec_lo, exec_lo, s22
	s_mov_b32 s24, -1
                                        ; implicit-def: $sgpr22
                                        ; implicit-def: $sgpr23
	s_and_saveexec_b32 s21, s25
	s_cbranch_execz .LBB41_233
; %bb.152:                              ;   in Loop: Header=BB41_7 Depth=1
	v_cmp_eq_u32_e32 vcc_lo, 1, v23
	s_cmp_eq_u32 s19, 1
	s_mov_b32 s26, -1
	s_cselect_b32 s22, -1, 0
                                        ; implicit-def: $sgpr23
	s_wait_alu 0xfffe
	s_and_b32 s25, s22, vcc_lo
                                        ; implicit-def: $sgpr22
	s_wait_alu 0xfffe
	s_and_saveexec_b32 s24, s25
	s_cbranch_execz .LBB41_180
; %bb.153:                              ;   in Loop: Header=BB41_7 Depth=1
	ds_load_b32 v1, v13 offset:4096
	s_wait_loadcnt_dscnt 0x0
	s_barrier_signal -1
	s_barrier_wait -1
	global_inv scope:SCOPE_SE
	v_readfirstlane_b32 s26, v1
	s_and_saveexec_b32 s22, s1
; %bb.154:                              ;   in Loop: Header=BB41_7 Depth=1
	v_mov_b32_e32 v12, v13
	ds_store_b64 v30, v[12:13]
; %bb.155:                              ;   in Loop: Header=BB41_7 Depth=1
	s_wait_alu 0xfffe
	s_or_b32 exec_lo, exec_lo, s22
	v_and_b32_e32 v1, s13, v19
	v_and_b32_e32 v3, s12, v18
	s_lshl_b64 s[22:23], 2, s84
	v_or_b32_e32 v22, s11, v22
	v_or_b32_e32 v21, s10, v21
	s_wait_alu 0xfffe
	v_or_b32_e32 v19, s23, v1
	v_or_b32_e32 v18, s22, v3
	s_mov_b32 s22, -1
	s_mov_b32 s23, 0
	s_cmp_gt_i32 s26, 0
	s_mov_b32 s27, 0
	s_mov_b32 s28, -1
	s_wait_loadcnt_dscnt 0x0
	s_barrier_signal -1
	s_barrier_wait -1
	global_inv scope:SCOPE_SE
                                        ; implicit-def: $vgpr5_vgpr6
	s_cbranch_scc1 .LBB41_167
; %bb.156:                              ;   in Loop: Header=BB41_7 Depth=1
	s_mov_b32 s28, 0
                                        ; implicit-def: $vgpr5_vgpr6
	s_and_saveexec_b32 s50, s8
	s_cbranch_execz .LBB41_166
; %bb.157:                              ;   in Loop: Header=BB41_7 Depth=1
	v_dual_mov_b32 v7, v11 :: v_dual_mov_b32 v10, v0
                                        ; implicit-def: $sgpr85
	s_branch .LBB41_161
.LBB41_158:                             ;   in Loop: Header=BB41_161 Depth=2
	s_wait_alu 0xfffe
	s_or_b32 exec_lo, exec_lo, s86
	s_wait_loadcnt_dscnt 0x0
	s_barrier_signal -1
	s_barrier_wait -1
	global_inv scope:SCOPE_SE
	ds_load_b128 v[3:6], v13 offset:3072
	s_wait_loadcnt_dscnt 0x0
	s_barrier_signal -1
	s_barrier_wait -1
	global_inv scope:SCOPE_SE
	v_cmp_neq_f64_e32 vcc_lo, 0, v[3:4]
	s_cbranch_vccnz .LBB41_164
; %bb.159:                              ;   in Loop: Header=BB41_161 Depth=2
	v_add_nc_u32_e32 v10, s41, v10
	v_add_nc_u32_e32 v7, s65, v7
	s_mov_b32 s86, 0
	s_delay_alu instid0(VALU_DEP_2)
	v_cmp_le_i32_e32 vcc_lo, s74, v10
	s_or_not1_b32 s87, vcc_lo, exec_lo
.LBB41_160:                             ;   in Loop: Header=BB41_161 Depth=2
	s_wait_alu 0xfffe
	s_and_b32 s87, exec_lo, s87
	s_wait_alu 0xfffe
	s_or_b32 s27, s87, s27
	s_and_not1_b32 s85, s85, exec_lo
	s_and_b32 s86, s86, exec_lo
	s_wait_alu 0xfffe
	s_or_b32 s85, s85, s86
	s_and_not1_b32 exec_lo, exec_lo, s27
	s_cbranch_execz .LBB41_165
.LBB41_161:                             ;   Parent Loop BB41_7 Depth=1
                                        ; =>  This Inner Loop Header: Depth=2
	s_mov_b32 s86, exec_lo
	s_delay_alu instid0(VALU_DEP_1)
	v_cmpx_gt_i32_e64 s36, v10
	s_cbranch_execz .LBB41_158
; %bb.162:                              ;   in Loop: Header=BB41_161 Depth=2
	v_ashrrev_i32_e32 v8, 31, v7
	s_delay_alu instid0(VALU_DEP_1) | instskip(NEXT) | instid1(VALU_DEP_1)
	v_lshlrev_b64_e32 v[3:4], 3, v[7:8]
	v_add_co_u32 v3, vcc_lo, s48, v3
	s_wait_alu 0xfffd
	s_delay_alu instid0(VALU_DEP_2) | instskip(SKIP_4) | instid1(VALU_DEP_1)
	v_add_co_ci_u32_e64 v4, null, s49, v4, vcc_lo
	global_load_b64 v[3:4], v[3:4], off
	s_wait_loadcnt 0x0
	v_cmp_o_f64_e32 vcc_lo, v[3:4], v[3:4]
	v_ashrrev_i32_e32 v1, 31, v4
	v_or_b32_e32 v5, 0x80000000, v1
	v_xor_b32_e32 v1, v1, v3
	s_delay_alu instid0(VALU_DEP_2) | instskip(SKIP_1) | instid1(VALU_DEP_1)
	v_xor_b32_e32 v5, v5, v4
	s_wait_alu 0xfffd
	v_cndmask_b32_e32 v5, -1, v5, vcc_lo
	s_delay_alu instid0(VALU_DEP_1) | instskip(NEXT) | instid1(VALU_DEP_1)
	v_dual_cndmask_b32 v1, -1, v1 :: v_dual_and_b32 v6, v5, v22
	v_and_b32_e32 v5, v1, v21
	s_delay_alu instid0(VALU_DEP_1)
	v_cmp_eq_u64_e32 vcc_lo, v[5:6], v[18:19]
	s_and_b32 exec_lo, exec_lo, vcc_lo
	s_cbranch_execz .LBB41_158
; %bb.163:                              ;   in Loop: Header=BB41_161 Depth=2
	v_mov_b32_e32 v1, v13
	ds_store_b128 v13, v[1:4] offset:3072
	s_branch .LBB41_158
.LBB41_164:                             ;   in Loop: Header=BB41_161 Depth=2
	s_mov_b32 s87, -1
	s_mov_b32 s86, -1
                                        ; implicit-def: $vgpr10
                                        ; implicit-def: $vgpr7
	s_branch .LBB41_160
.LBB41_165:                             ;   in Loop: Header=BB41_7 Depth=1
	s_or_b32 exec_lo, exec_lo, s27
	s_wait_alu 0xfffe
	s_and_b32 s27, s85, exec_lo
.LBB41_166:                             ;   in Loop: Header=BB41_7 Depth=1
	s_wait_alu 0xfffe
	s_or_b32 exec_lo, exec_lo, s50
.LBB41_167:                             ;   in Loop: Header=BB41_7 Depth=1
	s_delay_alu instid0(SALU_CYCLE_1)
	s_and_b32 vcc_lo, exec_lo, s28
	s_wait_alu 0xfffe
	s_cbranch_vccz .LBB41_179
; %bb.168:                              ;   in Loop: Header=BB41_7 Depth=1
	s_add_co_i32 s28, s26, s64
                                        ; implicit-def: $vgpr5_vgpr6
	s_delay_alu instid0(SALU_CYCLE_1)
	s_abs_i32 s50, s28
	s_wait_alu 0xfffe
	s_mul_u64 s[22:23], s[50:51], s[54:55]
	s_wait_alu 0xfffe
	s_mul_i32 s22, s23, s41
	s_ashr_i32 s23, s28, 31
	s_wait_alu 0xfffe
	s_sub_co_i32 s22, s50, s22
	s_wait_alu 0xfffe
	s_sub_co_i32 s50, s22, s41
	s_cmp_ge_u32 s22, s41
	s_wait_alu 0xfffe
	s_cselect_b32 s22, s50, s22
	s_wait_alu 0xfffe
	s_sub_co_i32 s50, s22, s41
	s_cmp_ge_u32 s22, s41
	s_wait_alu 0xfffe
	s_cselect_b32 s22, s50, s22
	s_wait_alu 0xfffe
	s_xor_b32 s22, s22, s23
	s_wait_alu 0xfffe
	s_sub_co_i32 s22, s23, s22
	s_wait_alu 0xfffe
	s_add_co_i32 s23, s28, s22
	s_mov_b32 s22, exec_lo
	s_wait_alu 0xfffe
	v_cmpx_gt_i32_e64 s23, v0
	s_cbranch_execz .LBB41_178
; %bb.169:                              ;   in Loop: Header=BB41_7 Depth=1
	v_dual_mov_b32 v7, v29 :: v_dual_mov_b32 v8, v0
	s_mov_b32 s28, 0
                                        ; implicit-def: $sgpr50
	s_branch .LBB41_173
.LBB41_170:                             ;   in Loop: Header=BB41_173 Depth=2
	s_wait_alu 0xfffe
	s_or_b32 exec_lo, exec_lo, s85
	s_wait_loadcnt_dscnt 0x0
	s_barrier_signal -1
	s_barrier_wait -1
	global_inv scope:SCOPE_SE
	ds_load_b128 v[3:6], v13 offset:3072
	s_wait_loadcnt_dscnt 0x0
	s_barrier_signal -1
	s_barrier_wait -1
	global_inv scope:SCOPE_SE
	v_cmp_eq_f64_e32 vcc_lo, 0, v[3:4]
	s_cbranch_vccz .LBB41_176
; %bb.171:                              ;   in Loop: Header=BB41_173 Depth=2
	v_add_nc_u32_e32 v8, s41, v8
	v_add_nc_u32_e32 v7, s77, v7
	s_mov_b32 s85, 0
	s_delay_alu instid0(VALU_DEP_2)
	v_cmp_le_i32_e32 vcc_lo, s23, v8
	s_or_not1_b32 s86, vcc_lo, exec_lo
.LBB41_172:                             ;   in Loop: Header=BB41_173 Depth=2
	s_wait_alu 0xfffe
	s_and_b32 s86, exec_lo, s86
	s_wait_alu 0xfffe
	s_or_b32 s28, s86, s28
	s_and_not1_b32 s50, s50, exec_lo
	s_and_b32 s85, s85, exec_lo
	s_wait_alu 0xfffe
	s_or_b32 s50, s50, s85
	s_and_not1_b32 exec_lo, exec_lo, s28
	s_cbranch_execz .LBB41_177
.LBB41_173:                             ;   Parent Loop BB41_7 Depth=1
                                        ; =>  This Inner Loop Header: Depth=2
	s_mov_b32 s85, exec_lo
	s_delay_alu instid0(VALU_DEP_1)
	v_cmpx_gt_i32_e64 s26, v8
	s_cbranch_execz .LBB41_170
; %bb.174:                              ;   in Loop: Header=BB41_173 Depth=2
	ds_load_b64 v[3:4], v7
	s_wait_dscnt 0x0
	v_cmp_o_f64_e32 vcc_lo, v[3:4], v[3:4]
	v_ashrrev_i32_e32 v1, 31, v4
	s_delay_alu instid0(VALU_DEP_1) | instskip(SKIP_1) | instid1(VALU_DEP_2)
	v_or_b32_e32 v5, 0x80000000, v1
	v_xor_b32_e32 v1, v1, v3
	v_xor_b32_e32 v5, v5, v4
	s_wait_alu 0xfffd
	s_delay_alu instid0(VALU_DEP_1) | instskip(NEXT) | instid1(VALU_DEP_1)
	v_cndmask_b32_e32 v5, -1, v5, vcc_lo
	v_dual_cndmask_b32 v1, -1, v1 :: v_dual_and_b32 v6, v5, v22
	s_delay_alu instid0(VALU_DEP_1) | instskip(NEXT) | instid1(VALU_DEP_1)
	v_and_b32_e32 v5, v1, v21
	v_cmp_eq_u64_e32 vcc_lo, v[5:6], v[18:19]
	s_and_b32 exec_lo, exec_lo, vcc_lo
	s_cbranch_execz .LBB41_170
; %bb.175:                              ;   in Loop: Header=BB41_173 Depth=2
	v_mov_b32_e32 v1, v13
	ds_store_b128 v13, v[1:4] offset:3072
	s_branch .LBB41_170
.LBB41_176:                             ;   in Loop: Header=BB41_173 Depth=2
	s_mov_b32 s86, -1
	s_mov_b32 s85, -1
                                        ; implicit-def: $vgpr8
                                        ; implicit-def: $vgpr7
	s_branch .LBB41_172
.LBB41_177:                             ;   in Loop: Header=BB41_7 Depth=1
	s_or_b32 exec_lo, exec_lo, s28
	s_delay_alu instid0(SALU_CYCLE_1)
	s_and_not1_b32 s23, s27, exec_lo
	s_wait_alu 0xfffe
	s_and_b32 s26, s50, exec_lo
	s_wait_alu 0xfffe
	s_or_b32 s27, s23, s26
.LBB41_178:                             ;   in Loop: Header=BB41_7 Depth=1
	s_or_b32 exec_lo, exec_lo, s22
	s_mov_b32 s22, 0
	s_mov_b32 s23, -1
.LBB41_179:                             ;   in Loop: Header=BB41_7 Depth=1
	s_wait_alu 0xfffe
	s_or_not1_b32 s26, s27, exec_lo
.LBB41_180:                             ;   in Loop: Header=BB41_7 Depth=1
	s_wait_alu 0xfffe
	s_or_b32 exec_lo, exec_lo, s24
	s_mov_b32 s27, 0
	s_and_saveexec_b32 s24, s26
	s_cbranch_execz .LBB41_232
; %bb.181:                              ;   in Loop: Header=BB41_7 Depth=1
	v_dual_mov_b32 v10, 1 :: v_dual_mov_b32 v9, 1
	s_xor_b32 s26, s25, -1
	s_wait_alu 0xfffe
	s_and_saveexec_b32 s25, s26
	s_cbranch_execz .LBB41_190
; %bb.182:                              ;   in Loop: Header=BB41_7 Depth=1
	s_mov_b32 s26, exec_lo
	v_cmpx_ge_i32_e64 s19, v23
	s_wait_alu 0xfffe
	s_xor_b32 s26, exec_lo, s26
	s_cbranch_execz .LBB41_187
; %bb.183:                              ;   in Loop: Header=BB41_7 Depth=1
	ds_load_b32 v1, v13 offset:4096
	v_and_b32_e32 v3, s13, v19
	v_and_b32_e32 v4, s12, v18
	s_lshl_b64 s[12:13], 2, s84
	v_or_b32_e32 v22, s11, v22
	v_or_b32_e32 v21, s10, v21
	s_wait_alu 0xfffe
	v_or_b32_e32 v19, s13, v3
	v_or_b32_e32 v18, s12, v4
	s_wait_dscnt 0x0
	v_cmp_ne_u32_e32 vcc_lo, 0, v1
	s_cbranch_vccnz .LBB41_187
; %bb.184:                              ;   in Loop: Header=BB41_7 Depth=1
	s_and_saveexec_b32 s12, s2
; %bb.185:                              ;   in Loop: Header=BB41_7 Depth=1
	v_mov_b32_e32 v1, s19
	ds_store_b32 v13, v1 offset:4100
; %bb.186:                              ;   in Loop: Header=BB41_7 Depth=1
	s_wait_alu 0xfffe
	s_or_b32 exec_lo, exec_lo, s12
	s_wait_loadcnt_dscnt 0x0
	s_barrier_signal -1
	s_barrier_wait -1
	global_inv scope:SCOPE_SE
.LBB41_187:                             ;   in Loop: Header=BB41_7 Depth=1
	s_wait_alu 0xfffe
	s_or_saveexec_b32 s12, s26
	v_mov_b32_e32 v9, 8
	s_mov_b32 s13, 0
	s_wait_alu 0xfffe
	s_xor_b32 exec_lo, exec_lo, s12
; %bb.188:                              ;   in Loop: Header=BB41_7 Depth=1
	v_subrev_nc_u32_e32 v23, s19, v23
	v_mov_b32_e32 v9, 0
	s_mov_b32 s13, exec_lo
; %bb.189:                              ;   in Loop: Header=BB41_7 Depth=1
	s_or_b32 exec_lo, exec_lo, s12
	s_delay_alu instid0(VALU_DEP_2)
	v_mov_b32_e32 v10, v23
	s_wait_alu 0xfffe
	s_and_b32 s27, s13, exec_lo
.LBB41_190:                             ;   in Loop: Header=BB41_7 Depth=1
	s_wait_alu 0xfffe
	s_or_b32 exec_lo, exec_lo, s25
	s_mov_b32 s13, -1
                                        ; implicit-def: $sgpr26
                                        ; implicit-def: $sgpr25
	s_and_saveexec_b32 s12, s27
	s_cbranch_execz .LBB41_231
; %bb.191:                              ;   in Loop: Header=BB41_7 Depth=1
	v_cmp_eq_u32_e32 vcc_lo, 1, v10
	s_cmp_eq_u32 s9, 1
	s_mov_b32 s27, -1
	s_cselect_b32 s13, -1, 0
                                        ; implicit-def: $sgpr26
                                        ; implicit-def: $sgpr25
	s_wait_alu 0xfffe
	s_and_b32 s13, s13, vcc_lo
	s_wait_alu 0xfffe
	s_and_saveexec_b32 s19, s13
	s_cbranch_execz .LBB41_219
; %bb.192:                              ;   in Loop: Header=BB41_7 Depth=1
	ds_load_b32 v1, v13 offset:4096
	s_wait_loadcnt_dscnt 0x0
	s_barrier_signal -1
	s_barrier_wait -1
	global_inv scope:SCOPE_SE
	v_readfirstlane_b32 s27, v1
	s_and_saveexec_b32 s25, s1
; %bb.193:                              ;   in Loop: Header=BB41_7 Depth=1
	v_mov_b32_e32 v12, v13
	ds_store_b64 v30, v[12:13]
; %bb.194:                              ;   in Loop: Header=BB41_7 Depth=1
	s_wait_alu 0xfffe
	s_or_b32 exec_lo, exec_lo, s25
	v_or_b32_e32 v19, s11, v19
	v_or_b32_e32 v18, s10, v18
	;; [unrolled: 1-line block ×4, first 2 shown]
	s_mov_b32 s25, -1
	s_mov_b32 s26, 0
	s_cmp_gt_i32 s27, 0
	s_mov_b32 s28, 0
	s_mov_b32 s50, -1
	s_wait_loadcnt_dscnt 0x0
	s_barrier_signal -1
	s_barrier_wait -1
	global_inv scope:SCOPE_SE
                                        ; implicit-def: $vgpr5_vgpr6
	s_cbranch_scc1 .LBB41_206
; %bb.195:                              ;   in Loop: Header=BB41_7 Depth=1
	s_mov_b32 s50, 0
                                        ; implicit-def: $vgpr5_vgpr6
	s_and_saveexec_b32 s85, s8
	s_cbranch_execz .LBB41_205
; %bb.196:                              ;   in Loop: Header=BB41_7 Depth=1
	v_dual_mov_b32 v7, v11 :: v_dual_mov_b32 v12, v0
                                        ; implicit-def: $sgpr86
	s_branch .LBB41_200
.LBB41_197:                             ;   in Loop: Header=BB41_200 Depth=2
	s_wait_alu 0xfffe
	s_or_b32 exec_lo, exec_lo, s87
	s_wait_loadcnt_dscnt 0x0
	s_barrier_signal -1
	s_barrier_wait -1
	global_inv scope:SCOPE_SE
	ds_load_b128 v[3:6], v13 offset:3072
	s_wait_loadcnt_dscnt 0x0
	s_barrier_signal -1
	s_barrier_wait -1
	global_inv scope:SCOPE_SE
	v_cmp_neq_f64_e32 vcc_lo, 0, v[3:4]
	s_cbranch_vccnz .LBB41_203
; %bb.198:                              ;   in Loop: Header=BB41_200 Depth=2
	v_add_nc_u32_e32 v12, s41, v12
	v_add_nc_u32_e32 v7, s65, v7
	s_mov_b32 s87, 0
	s_delay_alu instid0(VALU_DEP_2)
	v_cmp_le_i32_e32 vcc_lo, s74, v12
	s_or_not1_b32 s88, vcc_lo, exec_lo
.LBB41_199:                             ;   in Loop: Header=BB41_200 Depth=2
	s_wait_alu 0xfffe
	s_and_b32 s88, exec_lo, s88
	s_wait_alu 0xfffe
	s_or_b32 s28, s88, s28
	s_and_not1_b32 s86, s86, exec_lo
	s_and_b32 s87, s87, exec_lo
	s_wait_alu 0xfffe
	s_or_b32 s86, s86, s87
	s_and_not1_b32 exec_lo, exec_lo, s28
	s_cbranch_execz .LBB41_204
.LBB41_200:                             ;   Parent Loop BB41_7 Depth=1
                                        ; =>  This Inner Loop Header: Depth=2
	s_mov_b32 s87, exec_lo
	s_delay_alu instid0(VALU_DEP_1)
	v_cmpx_gt_i32_e64 s36, v12
	s_cbranch_execz .LBB41_197
; %bb.201:                              ;   in Loop: Header=BB41_200 Depth=2
	v_ashrrev_i32_e32 v8, 31, v7
	s_delay_alu instid0(VALU_DEP_1) | instskip(NEXT) | instid1(VALU_DEP_1)
	v_lshlrev_b64_e32 v[3:4], 3, v[7:8]
	v_add_co_u32 v3, vcc_lo, s48, v3
	s_wait_alu 0xfffd
	s_delay_alu instid0(VALU_DEP_2) | instskip(SKIP_4) | instid1(VALU_DEP_1)
	v_add_co_ci_u32_e64 v4, null, s49, v4, vcc_lo
	global_load_b64 v[3:4], v[3:4], off
	s_wait_loadcnt 0x0
	v_cmp_o_f64_e32 vcc_lo, v[3:4], v[3:4]
	v_ashrrev_i32_e32 v1, 31, v4
	v_or_b32_e32 v5, 0x80000000, v1
	v_xor_b32_e32 v1, v1, v3
	s_delay_alu instid0(VALU_DEP_2) | instskip(SKIP_1) | instid1(VALU_DEP_1)
	v_xor_b32_e32 v5, v5, v4
	s_wait_alu 0xfffd
	v_cndmask_b32_e32 v5, -1, v5, vcc_lo
	s_delay_alu instid0(VALU_DEP_1) | instskip(NEXT) | instid1(VALU_DEP_1)
	v_dual_cndmask_b32 v1, -1, v1 :: v_dual_and_b32 v6, v5, v22
	v_and_b32_e32 v5, v1, v21
	s_delay_alu instid0(VALU_DEP_1)
	v_cmp_eq_u64_e32 vcc_lo, v[5:6], v[18:19]
	s_and_b32 exec_lo, exec_lo, vcc_lo
	s_cbranch_execz .LBB41_197
; %bb.202:                              ;   in Loop: Header=BB41_200 Depth=2
	v_mov_b32_e32 v1, v13
	ds_store_b128 v13, v[1:4] offset:3072
	s_branch .LBB41_197
.LBB41_203:                             ;   in Loop: Header=BB41_200 Depth=2
	s_mov_b32 s88, -1
	s_mov_b32 s87, -1
                                        ; implicit-def: $vgpr12
                                        ; implicit-def: $vgpr7
	s_branch .LBB41_199
.LBB41_204:                             ;   in Loop: Header=BB41_7 Depth=1
	s_or_b32 exec_lo, exec_lo, s28
	s_wait_alu 0xfffe
	s_and_b32 s28, s86, exec_lo
.LBB41_205:                             ;   in Loop: Header=BB41_7 Depth=1
	s_wait_alu 0xfffe
	s_or_b32 exec_lo, exec_lo, s85
.LBB41_206:                             ;   in Loop: Header=BB41_7 Depth=1
	s_wait_alu 0xfffe
	s_and_b32 vcc_lo, exec_lo, s50
	s_wait_alu 0xfffe
	s_cbranch_vccz .LBB41_218
; %bb.207:                              ;   in Loop: Header=BB41_7 Depth=1
	s_add_co_i32 s26, s27, s64
                                        ; implicit-def: $vgpr5_vgpr6
	s_wait_alu 0xfffe
	s_abs_i32 s50, s26
	s_wait_alu 0xfffe
	s_mul_u64 s[86:87], s[50:51], s[54:55]
	s_wait_alu 0xfffe
	s_mul_i32 s25, s87, s41
	s_wait_alu 0xfffe
	s_sub_co_i32 s25, s50, s25
	s_ashr_i32 s50, s26, 31
	s_wait_alu 0xfffe
	s_sub_co_i32 s85, s25, s41
	s_cmp_ge_u32 s25, s41
	s_wait_alu 0xfffe
	s_cselect_b32 s25, s85, s25
	s_wait_alu 0xfffe
	s_sub_co_i32 s85, s25, s41
	s_cmp_ge_u32 s25, s41
	s_wait_alu 0xfffe
	s_cselect_b32 s25, s85, s25
	s_wait_alu 0xfffe
	s_xor_b32 s25, s25, s50
	s_wait_alu 0xfffe
	s_sub_co_i32 s25, s50, s25
	s_wait_alu 0xfffe
	s_add_co_i32 s26, s26, s25
	s_mov_b32 s25, exec_lo
	s_wait_alu 0xfffe
	v_cmpx_gt_i32_e64 s26, v0
	s_cbranch_execz .LBB41_217
; %bb.208:                              ;   in Loop: Header=BB41_7 Depth=1
	v_dual_mov_b32 v7, v29 :: v_dual_mov_b32 v8, v0
	s_mov_b32 s50, 0
                                        ; implicit-def: $sgpr85
	s_branch .LBB41_212
.LBB41_209:                             ;   in Loop: Header=BB41_212 Depth=2
	s_wait_alu 0xfffe
	s_or_b32 exec_lo, exec_lo, s86
	s_wait_loadcnt_dscnt 0x0
	s_barrier_signal -1
	s_barrier_wait -1
	global_inv scope:SCOPE_SE
	ds_load_b128 v[3:6], v13 offset:3072
	s_wait_loadcnt_dscnt 0x0
	s_barrier_signal -1
	s_barrier_wait -1
	global_inv scope:SCOPE_SE
	v_cmp_eq_f64_e32 vcc_lo, 0, v[3:4]
	s_cbranch_vccz .LBB41_215
; %bb.210:                              ;   in Loop: Header=BB41_212 Depth=2
	v_add_nc_u32_e32 v8, s41, v8
	v_add_nc_u32_e32 v7, s77, v7
	s_mov_b32 s86, 0
	s_delay_alu instid0(VALU_DEP_2)
	v_cmp_le_i32_e32 vcc_lo, s26, v8
	s_or_not1_b32 s87, vcc_lo, exec_lo
.LBB41_211:                             ;   in Loop: Header=BB41_212 Depth=2
	s_wait_alu 0xfffe
	s_and_b32 s87, exec_lo, s87
	s_wait_alu 0xfffe
	s_or_b32 s50, s87, s50
	s_and_not1_b32 s85, s85, exec_lo
	s_and_b32 s86, s86, exec_lo
	s_wait_alu 0xfffe
	s_or_b32 s85, s85, s86
	s_and_not1_b32 exec_lo, exec_lo, s50
	s_cbranch_execz .LBB41_216
.LBB41_212:                             ;   Parent Loop BB41_7 Depth=1
                                        ; =>  This Inner Loop Header: Depth=2
	s_mov_b32 s86, exec_lo
	s_delay_alu instid0(VALU_DEP_1)
	v_cmpx_gt_i32_e64 s27, v8
	s_cbranch_execz .LBB41_209
; %bb.213:                              ;   in Loop: Header=BB41_212 Depth=2
	ds_load_b64 v[3:4], v7
	s_wait_dscnt 0x0
	v_cmp_o_f64_e32 vcc_lo, v[3:4], v[3:4]
	v_ashrrev_i32_e32 v1, 31, v4
	s_delay_alu instid0(VALU_DEP_1) | instskip(SKIP_1) | instid1(VALU_DEP_2)
	v_or_b32_e32 v5, 0x80000000, v1
	v_xor_b32_e32 v1, v1, v3
	v_xor_b32_e32 v5, v5, v4
	s_wait_alu 0xfffd
	s_delay_alu instid0(VALU_DEP_1) | instskip(NEXT) | instid1(VALU_DEP_1)
	v_cndmask_b32_e32 v5, -1, v5, vcc_lo
	v_dual_cndmask_b32 v1, -1, v1 :: v_dual_and_b32 v6, v5, v22
	s_delay_alu instid0(VALU_DEP_1) | instskip(NEXT) | instid1(VALU_DEP_1)
	v_and_b32_e32 v5, v1, v21
	v_cmp_eq_u64_e32 vcc_lo, v[5:6], v[18:19]
	s_and_b32 exec_lo, exec_lo, vcc_lo
	s_cbranch_execz .LBB41_209
; %bb.214:                              ;   in Loop: Header=BB41_212 Depth=2
	v_mov_b32_e32 v1, v13
	ds_store_b128 v13, v[1:4] offset:3072
	s_branch .LBB41_209
.LBB41_215:                             ;   in Loop: Header=BB41_212 Depth=2
	s_mov_b32 s87, -1
	s_mov_b32 s86, -1
                                        ; implicit-def: $vgpr8
                                        ; implicit-def: $vgpr7
	s_branch .LBB41_211
.LBB41_216:                             ;   in Loop: Header=BB41_7 Depth=1
	s_or_b32 exec_lo, exec_lo, s50
	s_delay_alu instid0(SALU_CYCLE_1)
	s_and_not1_b32 s26, s28, exec_lo
	s_wait_alu 0xfffe
	s_and_b32 s27, s85, exec_lo
	s_wait_alu 0xfffe
	s_or_b32 s28, s26, s27
.LBB41_217:                             ;   in Loop: Header=BB41_7 Depth=1
	s_or_b32 exec_lo, exec_lo, s25
	s_mov_b32 s25, 0
	s_mov_b32 s26, -1
.LBB41_218:                             ;   in Loop: Header=BB41_7 Depth=1
	s_or_not1_b32 s27, s28, exec_lo
.LBB41_219:                             ;   in Loop: Header=BB41_7 Depth=1
	s_wait_alu 0xfffe
	s_or_b32 exec_lo, exec_lo, s19
	s_mov_b32 s28, 0
	s_and_saveexec_b32 s19, s27
	s_cbranch_execz .LBB41_230
; %bb.220:                              ;   in Loop: Header=BB41_7 Depth=1
	v_mov_b32_e32 v9, 1
	v_mov_b32_e32 v1, 1
	s_xor_b32 s27, s13, -1
	s_wait_alu 0xfffe
	s_and_saveexec_b32 s13, s27
	s_cbranch_execz .LBB41_229
; %bb.221:                              ;   in Loop: Header=BB41_7 Depth=1
	s_mov_b32 s27, exec_lo
	v_cmpx_ge_i32_e64 s9, v10
	s_wait_alu 0xfffe
	s_xor_b32 s27, exec_lo, s27
	s_cbranch_execz .LBB41_226
; %bb.222:                              ;   in Loop: Header=BB41_7 Depth=1
	ds_load_b32 v1, v13 offset:4096
	v_or_b32_e32 v19, s11, v19
	v_or_b32_e32 v18, s10, v18
	;; [unrolled: 1-line block ×4, first 2 shown]
	s_wait_dscnt 0x0
	v_cmp_ne_u32_e32 vcc_lo, 0, v1
	s_cbranch_vccnz .LBB41_226
; %bb.223:                              ;   in Loop: Header=BB41_7 Depth=1
	s_and_saveexec_b32 s10, s2
; %bb.224:                              ;   in Loop: Header=BB41_7 Depth=1
	v_mov_b32_e32 v1, s9
	ds_store_b32 v13, v1 offset:4100
; %bb.225:                              ;   in Loop: Header=BB41_7 Depth=1
	s_wait_alu 0xfffe
	s_or_b32 exec_lo, exec_lo, s10
	s_wait_loadcnt_dscnt 0x0
	s_barrier_signal -1
	s_barrier_wait -1
	global_inv scope:SCOPE_SE
.LBB41_226:                             ;   in Loop: Header=BB41_7 Depth=1
	s_wait_alu 0xfffe
	s_and_not1_saveexec_b32 s10, s27
; %bb.227:                              ;   in Loop: Header=BB41_7 Depth=1
	v_subrev_nc_u32_e32 v10, s9, v10
; %bb.228:                              ;   in Loop: Header=BB41_7 Depth=1
	s_wait_alu 0xfffe
	s_or_b32 exec_lo, exec_lo, s10
	v_mov_b32_e32 v9, 8
	s_delay_alu instid0(VALU_DEP_2)
	v_mov_b32_e32 v1, v10
.LBB41_229:                             ;   in Loop: Header=BB41_7 Depth=1
	s_wait_alu 0xfffe
	s_or_b32 exec_lo, exec_lo, s13
	s_delay_alu instid0(VALU_DEP_1)
	v_mov_b32_e32 v10, v1
	s_mov_b32 s28, exec_lo
.LBB41_230:                             ;   in Loop: Header=BB41_7 Depth=1
	s_wait_alu 0xfffe
	s_or_b32 exec_lo, exec_lo, s19
	s_delay_alu instid0(SALU_CYCLE_1)
	s_or_not1_b32 s13, s28, exec_lo
.LBB41_231:                             ;   in Loop: Header=BB41_7 Depth=1
	s_wait_alu 0xfffe
	s_or_b32 exec_lo, exec_lo, s12
	v_mov_b32_e32 v23, v10
	s_and_not1_b32 s9, s23, exec_lo
	s_and_b32 s10, s26, exec_lo
	s_and_not1_b32 s11, s22, exec_lo
	s_and_b32 s12, s25, exec_lo
	s_wait_alu 0xfffe
	s_or_b32 s23, s9, s10
	s_or_b32 s22, s11, s12
	s_and_b32 s27, s13, exec_lo
.LBB41_232:                             ;   in Loop: Header=BB41_7 Depth=1
	s_wait_alu 0xfffe
	s_or_b32 exec_lo, exec_lo, s24
	s_delay_alu instid0(SALU_CYCLE_1)
	s_or_not1_b32 s24, s27, exec_lo
.LBB41_233:                             ;   in Loop: Header=BB41_7 Depth=1
	s_wait_alu 0xfffe
	s_or_b32 exec_lo, exec_lo, s21
	v_mov_b32_e32 v10, v23
	s_and_not1_b32 s9, s18, exec_lo
	s_and_b32 s10, s23, exec_lo
	s_and_not1_b32 s11, s17, exec_lo
	s_and_b32 s12, s22, exec_lo
	s_wait_alu 0xfffe
	s_or_b32 s18, s9, s10
	s_or_b32 s17, s11, s12
	s_and_b32 s24, s24, exec_lo
.LBB41_234:                             ;   in Loop: Header=BB41_7 Depth=1
	s_wait_alu 0xfffe
	s_or_b32 exec_lo, exec_lo, s20
	s_delay_alu instid0(SALU_CYCLE_1)
	s_or_not1_b32 s20, s24, exec_lo
.LBB41_235:                             ;   in Loop: Header=BB41_7 Depth=1
	s_wait_alu 0xfffe
	s_or_b32 exec_lo, exec_lo, s16
	s_mov_b32 s10, 0
                                        ; implicit-def: $sgpr23
	s_and_saveexec_b32 s9, s20
	s_wait_alu 0xfffe
	s_xor_b32 s9, exec_lo, s9
	s_cbranch_execz .LBB41_5
; %bb.236:                              ;   in Loop: Header=BB41_7 Depth=1
	v_and_b32_e32 v1, 7, v9
	s_mov_b32 s11, -1
	s_mov_b32 s10, -1
	s_mov_b32 s12, exec_lo
                                        ; implicit-def: $sgpr23
	s_delay_alu instid0(VALU_DEP_1)
	v_cmpx_eq_u32_e32 0, v1
	s_cbranch_execz .LBB41_4
; %bb.237:                              ;   in Loop: Header=BB41_7 Depth=1
	s_add_co_i32 s23, s84, -2
	s_cmp_eq_u32 s84, 0
	v_xor_b32_e32 v40, 1, v40
	s_cselect_b32 s11, -1, 0
	s_xor_b32 s10, exec_lo, -1
	s_wait_alu 0xfffe
	s_or_not1_b32 s11, s11, exec_lo
	s_branch .LBB41_4
.LBB41_238:
	s_or_b32 exec_lo, exec_lo, s37
	s_xor_b32 s3, s83, -1
	s_xor_b32 s1, s81, -1
	;; [unrolled: 1-line block ×3, first 2 shown]
	s_mov_b32 s0, 0
	s_wait_alu 0xfffe
	s_and_saveexec_b32 s5, s1
	s_wait_alu 0xfffe
	s_xor_b32 s1, exec_lo, s5
	s_cbranch_execnz .LBB41_243
; %bb.239:
	s_wait_alu 0xfffe
	s_and_not1_saveexec_b32 s1, s1
	s_cbranch_execnz .LBB41_263
.LBB41_240:
	s_wait_alu 0xfffe
	s_or_b32 exec_lo, exec_lo, s1
	s_and_saveexec_b32 s1, s0
.LBB41_241:
	; divergent unreachable
.LBB41_242:
	s_endpgm
.LBB41_243:
	s_and_saveexec_b32 s0, s3
	s_wait_alu 0xfffe
	s_xor_b32 s3, exec_lo, s0
	s_cbranch_execz .LBB41_261
; %bb.244:
	s_and_saveexec_b32 s0, s4
	s_wait_alu 0xfffe
	s_xor_b32 s0, exec_lo, s0
; %bb.245:
	v_lshrrev_b32_e32 v1, 31, v19
	s_delay_alu instid0(VALU_DEP_1) | instskip(SKIP_2) | instid1(VALU_DEP_2)
	v_add_co_u32 v1, s4, v1, -1
	s_wait_alu 0xf1ff
	v_add_co_ci_u32_e64 v2, null, 0, -1, s4
	v_xor_b32_e32 v5, v1, v18
	s_delay_alu instid0(VALU_DEP_2) | instskip(NEXT) | instid1(VALU_DEP_1)
	v_or_b32_e32 v2, 0x80000000, v2
	v_xor_b32_e32 v6, v2, v19
; %bb.246:
	s_wait_alu 0xfffe
	s_or_b32 exec_lo, exec_lo, s0
	s_and_saveexec_b32 s0, s2
; %bb.247:
	v_dual_mov_b32 v1, 0 :: v_dual_mov_b32 v2, s36
	ds_store_b32 v1, v2 offset:4108
; %bb.248:
	s_wait_alu 0xfffe
	s_or_b32 exec_lo, exec_lo, s0
	v_mov_b32_e32 v1, 0
	s_wait_loadcnt_dscnt 0x0
	s_barrier_signal -1
	s_barrier_wait -1
	global_inv scope:SCOPE_SE
	ds_load_b32 v1, v1 offset:4108
	s_mov_b32 s4, exec_lo
	s_wait_dscnt 0x0
	v_min_i32_e32 v1, s36, v1
	s_delay_alu instid0(VALU_DEP_1)
	v_cmpx_lt_i32_e64 v0, v1
	s_cbranch_execz .LBB41_258
; %bb.249:
	v_cmp_u_f64_e32 vcc_lo, v[5:6], v[5:6]
	s_mov_b32 s5, 0
                                        ; implicit-def: $sgpr6
                                        ; implicit-def: $sgpr9
                                        ; implicit-def: $sgpr8
	s_xor_b32 s7, vcc_lo, -1
	s_branch .LBB41_251
.LBB41_250:                             ;   in Loop: Header=BB41_251 Depth=1
	s_wait_alu 0xfffe
	s_or_b32 exec_lo, exec_lo, s0
	s_delay_alu instid0(SALU_CYCLE_1)
	s_and_b32 s0, exec_lo, s9
	s_wait_alu 0xfffe
	s_or_b32 s5, s0, s5
	s_and_not1_b32 s0, s6, exec_lo
	s_and_b32 s6, s8, exec_lo
	s_wait_alu 0xfffe
	s_or_b32 s6, s0, s6
	s_and_not1_b32 exec_lo, exec_lo, s5
	s_cbranch_execz .LBB41_253
.LBB41_251:                             ; =>This Inner Loop Header: Depth=1
	v_ashrrev_i32_e32 v12, 31, v11
	s_or_b32 s8, s8, exec_lo
	s_or_b32 s9, s9, exec_lo
	s_delay_alu instid0(VALU_DEP_1) | instskip(NEXT) | instid1(VALU_DEP_1)
	v_lshlrev_b64_e32 v[2:3], 3, v[11:12]
	v_add_co_u32 v2, vcc_lo, s48, v2
	s_wait_alu 0xfffd
	s_delay_alu instid0(VALU_DEP_2)
	v_add_co_ci_u32_e64 v3, null, s49, v3, vcc_lo
	global_load_b64 v[2:3], v[2:3], off
	s_wait_loadcnt 0x0
	v_cmp_o_f64_e32 vcc_lo, v[2:3], v[2:3]
	v_cmp_neq_f64_e64 s0, v[2:3], v[5:6]
	v_mov_b32_e32 v2, v0
                                        ; implicit-def: $vgpr0
	s_or_b32 s10, vcc_lo, s7
	s_wait_alu 0xfffe
	s_and_b32 s10, s0, s10
	s_wait_alu 0xfffe
	s_and_saveexec_b32 s0, s10
	s_cbranch_execz .LBB41_250
; %bb.252:                              ;   in Loop: Header=BB41_251 Depth=1
	v_add_nc_u32_e32 v0, s41, v2
	v_add_nc_u32_e32 v11, s65, v11
	s_and_not1_b32 s9, s9, exec_lo
	s_and_not1_b32 s8, s8, exec_lo
	s_delay_alu instid0(VALU_DEP_2)
	v_cmp_ge_i32_e32 vcc_lo, v0, v1
	s_and_b32 s10, vcc_lo, exec_lo
	s_wait_alu 0xfffe
	s_or_b32 s9, s9, s10
	s_branch .LBB41_250
.LBB41_253:
	s_or_b32 exec_lo, exec_lo, s5
	s_and_saveexec_b32 s0, s6
	s_wait_alu 0xfffe
	s_xor_b32 s0, exec_lo, s0
	s_cbranch_execz .LBB41_258
; %bb.254:
	s_mov_b32 s5, exec_lo
	s_brev_b32 s0, -2
.LBB41_255:                             ; =>This Inner Loop Header: Depth=1
	s_wait_alu 0xfffe
	s_ctz_i32_b32 s6, s5
	s_wait_alu 0xfffe
	v_readlane_b32 s7, v2, s6
	s_lshl_b32 s6, 1, s6
	s_wait_alu 0xfffe
	s_and_not1_b32 s5, s5, s6
	s_min_i32 s0, s0, s7
	s_wait_alu 0xfffe
	s_cmp_lg_u32 s5, 0
	s_cbranch_scc1 .LBB41_255
; %bb.256:
	v_mbcnt_lo_u32_b32 v0, exec_lo, 0
	s_mov_b32 s5, exec_lo
	s_delay_alu instid0(VALU_DEP_1)
	v_cmpx_eq_u32_e32 0, v0
	s_wait_alu 0xfffe
	s_xor_b32 s5, exec_lo, s5
; %bb.257:
	v_dual_mov_b32 v0, 0 :: v_dual_mov_b32 v1, s0
	ds_min_i32 v0, v1 offset:4108
.LBB41_258:
	s_wait_alu 0xfffe
	s_or_b32 exec_lo, exec_lo, s4
	s_wait_loadcnt_dscnt 0x0
	s_barrier_signal -1
	s_barrier_wait -1
	global_inv scope:SCOPE_SE
	s_and_saveexec_b32 s0, s2
	s_cbranch_execz .LBB41_260
; %bb.259:
	s_mul_i32 s2, s47, s60
	s_xor_b32 s4, s61, s63
	s_wait_alu 0xfffe
	s_sub_co_i32 s2, s40, s2
	s_add_co_i32 s5, s47, 1
	s_wait_alu 0xfffe
	s_sub_co_i32 s6, s2, s60
	s_cmp_ge_u32 s2, s60
	v_mov_b32_e32 v2, 0
	s_cselect_b32 s5, s5, s47
	s_wait_alu 0xfffe
	s_cselect_b32 s2, s6, s2
	s_add_co_i32 s6, s5, 1
	s_wait_alu 0xfffe
	s_cmp_ge_u32 s2, s60
	s_mul_i32 s2, s29, s59
	s_cselect_b32 s5, s6, s5
	s_wait_alu 0xfffe
	s_sub_co_i32 s2, s40, s2
	s_xor_b32 s5, s5, s4
	s_xor_b32 s6, s61, s62
	s_wait_alu 0xfffe
	s_sub_co_i32 s4, s5, s4
	s_add_co_i32 s7, s29, 1
	s_wait_alu 0xfffe
	s_mul_i32 s5, s4, s58
	s_mul_i32 s4, s4, s30
	s_wait_alu 0xfffe
	s_sub_co_i32 s5, s33, s5
	s_sub_co_i32 s8, s2, s59
	s_wait_alu 0xfffe
	s_mul_i32 s5, s5, s31
	ds_load_b32 v0, v2 offset:4108
	s_wait_alu 0xfffe
	s_add_co_i32 s4, s4, s5
	s_cmp_ge_u32 s2, s59
	s_cselect_b32 s5, s7, s29
	s_cselect_b32 s2, s8, s2
	s_wait_alu 0xfffe
	s_add_co_i32 s7, s5, 1
	s_cmp_ge_u32 s2, s59
	s_wait_alu 0xfffe
	s_cselect_b32 s2, s7, s5
	s_wait_alu 0xfffe
	s_xor_b32 s2, s2, s6
	s_wait_alu 0xfffe
	s_sub_co_i32 s2, s2, s6
	s_wait_alu 0xfffe
	s_mul_i32 s5, s2, s38
	s_mul_i32 s2, s2, s34
	s_wait_alu 0xfffe
	s_sub_co_i32 s5, s33, s5
	s_wait_alu 0xfffe
	s_mul_i32 s5, s5, s35
	s_wait_dscnt 0x0
	v_ashrrev_i32_e32 v1, 31, v0
	s_wait_alu 0xfffe
	s_add_co_i32 s6, s2, s5
	s_ashr_i32 s5, s4, 31
	s_wait_alu 0xfffe
	s_ashr_i32 s7, s6, 31
	s_lshl_b64 s[4:5], s[4:5], 3
	s_wait_alu 0xfffe
	s_lshl_b64 s[6:7], s[6:7], 3
	s_add_nc_u64 s[4:5], s[44:45], s[4:5]
	s_wait_alu 0xfffe
	s_add_nc_u64 s[6:7], s[42:43], s[6:7]
	s_clause 0x1
	global_store_b64 v2, v[0:1], s[6:7]
	global_store_b64 v2, v[5:6], s[4:5]
.LBB41_260:
	s_wait_alu 0xfffe
	s_or_b32 exec_lo, exec_lo, s0
.LBB41_261:
	s_wait_alu 0xfffe
	s_or_saveexec_b32 s0, s3
	s_mov_b32 s2, 0
	s_wait_alu 0xfffe
	s_xor_b32 exec_lo, exec_lo, s0
	s_cbranch_execnz .LBB41_264
.LBB41_262:
	s_or_b32 exec_lo, exec_lo, s0
	s_wait_alu 0xfffe
	s_and_b32 s0, s2, exec_lo
	s_and_not1_saveexec_b32 s1, s1
	s_cbranch_execz .LBB41_240
.LBB41_263:
	s_wait_alu 0xfffe
	s_or_b32 s0, s0, exec_lo
	s_trap 2
	s_or_b32 exec_lo, exec_lo, s1
	s_wait_alu 0xfffe
	s_and_saveexec_b32 s1, s0
	s_cbranch_execnz .LBB41_241
	s_branch .LBB41_242
.LBB41_264:
	s_mov_b32 s2, exec_lo
	s_trap 2
	s_branch .LBB41_262
	.section	.rodata,"a",@progbits
	.p2align	6, 0x0
	.amdhsa_kernel _ZN2at6native12_GLOBAL__N_114gatherKthValueIdiLi2EEEvNS_4cuda6detail10TensorInfoIKT_T0_EES8_S8_S8_S8_NS5_IS6_S8_EENS5_IlS8_EE
		.amdhsa_group_segment_fixed_size 4112
		.amdhsa_private_segment_fixed_size 0
		.amdhsa_kernarg_size 920
		.amdhsa_user_sgpr_count 2
		.amdhsa_user_sgpr_dispatch_ptr 0
		.amdhsa_user_sgpr_queue_ptr 0
		.amdhsa_user_sgpr_kernarg_segment_ptr 1
		.amdhsa_user_sgpr_dispatch_id 0
		.amdhsa_user_sgpr_private_segment_size 0
		.amdhsa_wavefront_size32 1
		.amdhsa_uses_dynamic_stack 0
		.amdhsa_enable_private_segment 0
		.amdhsa_system_sgpr_workgroup_id_x 1
		.amdhsa_system_sgpr_workgroup_id_y 1
		.amdhsa_system_sgpr_workgroup_id_z 1
		.amdhsa_system_sgpr_workgroup_info 0
		.amdhsa_system_vgpr_workitem_id 0
		.amdhsa_next_free_vgpr 56
		.amdhsa_next_free_sgpr 92
		.amdhsa_reserve_vcc 1
		.amdhsa_float_round_mode_32 0
		.amdhsa_float_round_mode_16_64 0
		.amdhsa_float_denorm_mode_32 3
		.amdhsa_float_denorm_mode_16_64 3
		.amdhsa_fp16_overflow 0
		.amdhsa_workgroup_processor_mode 1
		.amdhsa_memory_ordered 1
		.amdhsa_forward_progress 1
		.amdhsa_inst_pref_size 96
		.amdhsa_round_robin_scheduling 0
		.amdhsa_exception_fp_ieee_invalid_op 0
		.amdhsa_exception_fp_denorm_src 0
		.amdhsa_exception_fp_ieee_div_zero 0
		.amdhsa_exception_fp_ieee_overflow 0
		.amdhsa_exception_fp_ieee_underflow 0
		.amdhsa_exception_fp_ieee_inexact 0
		.amdhsa_exception_int_div_zero 0
	.end_amdhsa_kernel
	.section	.text._ZN2at6native12_GLOBAL__N_114gatherKthValueIdiLi2EEEvNS_4cuda6detail10TensorInfoIKT_T0_EES8_S8_S8_S8_NS5_IS6_S8_EENS5_IlS8_EE,"axG",@progbits,_ZN2at6native12_GLOBAL__N_114gatherKthValueIdiLi2EEEvNS_4cuda6detail10TensorInfoIKT_T0_EES8_S8_S8_S8_NS5_IS6_S8_EENS5_IlS8_EE,comdat
.Lfunc_end41:
	.size	_ZN2at6native12_GLOBAL__N_114gatherKthValueIdiLi2EEEvNS_4cuda6detail10TensorInfoIKT_T0_EES8_S8_S8_S8_NS5_IS6_S8_EENS5_IlS8_EE, .Lfunc_end41-_ZN2at6native12_GLOBAL__N_114gatherKthValueIdiLi2EEEvNS_4cuda6detail10TensorInfoIKT_T0_EES8_S8_S8_S8_NS5_IS6_S8_EENS5_IlS8_EE
                                        ; -- End function
	.set _ZN2at6native12_GLOBAL__N_114gatherKthValueIdiLi2EEEvNS_4cuda6detail10TensorInfoIKT_T0_EES8_S8_S8_S8_NS5_IS6_S8_EENS5_IlS8_EE.num_vgpr, 56
	.set _ZN2at6native12_GLOBAL__N_114gatherKthValueIdiLi2EEEvNS_4cuda6detail10TensorInfoIKT_T0_EES8_S8_S8_S8_NS5_IS6_S8_EENS5_IlS8_EE.num_agpr, 0
	.set _ZN2at6native12_GLOBAL__N_114gatherKthValueIdiLi2EEEvNS_4cuda6detail10TensorInfoIKT_T0_EES8_S8_S8_S8_NS5_IS6_S8_EENS5_IlS8_EE.numbered_sgpr, 92
	.set _ZN2at6native12_GLOBAL__N_114gatherKthValueIdiLi2EEEvNS_4cuda6detail10TensorInfoIKT_T0_EES8_S8_S8_S8_NS5_IS6_S8_EENS5_IlS8_EE.num_named_barrier, 0
	.set _ZN2at6native12_GLOBAL__N_114gatherKthValueIdiLi2EEEvNS_4cuda6detail10TensorInfoIKT_T0_EES8_S8_S8_S8_NS5_IS6_S8_EENS5_IlS8_EE.private_seg_size, 0
	.set _ZN2at6native12_GLOBAL__N_114gatherKthValueIdiLi2EEEvNS_4cuda6detail10TensorInfoIKT_T0_EES8_S8_S8_S8_NS5_IS6_S8_EENS5_IlS8_EE.uses_vcc, 1
	.set _ZN2at6native12_GLOBAL__N_114gatherKthValueIdiLi2EEEvNS_4cuda6detail10TensorInfoIKT_T0_EES8_S8_S8_S8_NS5_IS6_S8_EENS5_IlS8_EE.uses_flat_scratch, 0
	.set _ZN2at6native12_GLOBAL__N_114gatherKthValueIdiLi2EEEvNS_4cuda6detail10TensorInfoIKT_T0_EES8_S8_S8_S8_NS5_IS6_S8_EENS5_IlS8_EE.has_dyn_sized_stack, 0
	.set _ZN2at6native12_GLOBAL__N_114gatherKthValueIdiLi2EEEvNS_4cuda6detail10TensorInfoIKT_T0_EES8_S8_S8_S8_NS5_IS6_S8_EENS5_IlS8_EE.has_recursion, 0
	.set _ZN2at6native12_GLOBAL__N_114gatherKthValueIdiLi2EEEvNS_4cuda6detail10TensorInfoIKT_T0_EES8_S8_S8_S8_NS5_IS6_S8_EENS5_IlS8_EE.has_indirect_call, 0
	.section	.AMDGPU.csdata,"",@progbits
; Kernel info:
; codeLenInByte = 12228
; TotalNumSgprs: 94
; NumVgprs: 56
; ScratchSize: 0
; MemoryBound: 0
; FloatMode: 240
; IeeeMode: 1
; LDSByteSize: 4112 bytes/workgroup (compile time only)
; SGPRBlocks: 0
; VGPRBlocks: 6
; NumSGPRsForWavesPerEU: 94
; NumVGPRsForWavesPerEU: 56
; Occupancy: 16
; WaveLimiterHint : 1
; COMPUTE_PGM_RSRC2:SCRATCH_EN: 0
; COMPUTE_PGM_RSRC2:USER_SGPR: 2
; COMPUTE_PGM_RSRC2:TRAP_HANDLER: 0
; COMPUTE_PGM_RSRC2:TGID_X_EN: 1
; COMPUTE_PGM_RSRC2:TGID_Y_EN: 1
; COMPUTE_PGM_RSRC2:TGID_Z_EN: 1
; COMPUTE_PGM_RSRC2:TIDIG_COMP_CNT: 0
	.section	.text._ZN2at6native12_GLOBAL__N_114gatherKthValueIdiLi3EEEvNS_4cuda6detail10TensorInfoIKT_T0_EES8_S8_S8_S8_NS5_IS6_S8_EENS5_IlS8_EE,"axG",@progbits,_ZN2at6native12_GLOBAL__N_114gatherKthValueIdiLi3EEEvNS_4cuda6detail10TensorInfoIKT_T0_EES8_S8_S8_S8_NS5_IS6_S8_EENS5_IlS8_EE,comdat
	.globl	_ZN2at6native12_GLOBAL__N_114gatherKthValueIdiLi3EEEvNS_4cuda6detail10TensorInfoIKT_T0_EES8_S8_S8_S8_NS5_IS6_S8_EENS5_IlS8_EE ; -- Begin function _ZN2at6native12_GLOBAL__N_114gatherKthValueIdiLi3EEEvNS_4cuda6detail10TensorInfoIKT_T0_EES8_S8_S8_S8_NS5_IS6_S8_EENS5_IlS8_EE
	.p2align	8
	.type	_ZN2at6native12_GLOBAL__N_114gatherKthValueIdiLi3EEEvNS_4cuda6detail10TensorInfoIKT_T0_EES8_S8_S8_S8_NS5_IS6_S8_EENS5_IlS8_EE,@function
_ZN2at6native12_GLOBAL__N_114gatherKthValueIdiLi3EEEvNS_4cuda6detail10TensorInfoIKT_T0_EES8_S8_S8_S8_NS5_IS6_S8_EENS5_IlS8_EE: ; @_ZN2at6native12_GLOBAL__N_114gatherKthValueIdiLi3EEEvNS_4cuda6detail10TensorInfoIKT_T0_EES8_S8_S8_S8_NS5_IS6_S8_EENS5_IlS8_EE
; %bb.0:
	s_clause 0x1
	s_load_b64 s[8:9], s[0:1], 0x298
	s_load_b128 s[36:39], s[0:1], 0xd8
	s_lshr_b32 s2, ttmp7, 16
	s_and_b32 s3, ttmp7, 0xffff
	s_wait_kmcnt 0x0
	s_mul_i32 s2, s9, s2
	s_delay_alu instid0(SALU_CYCLE_1) | instskip(NEXT) | instid1(SALU_CYCLE_1)
	s_add_co_i32 s2, s2, s3
	s_mul_i32 s33, s2, s8
	s_delay_alu instid0(SALU_CYCLE_1) | instskip(NEXT) | instid1(SALU_CYCLE_1)
	s_add_co_i32 s33, s33, ttmp9
	s_cmp_ge_i32 s33, s38
	s_cbranch_scc1 .LBB42_242
; %bb.1:
	s_clause 0x2
	s_load_b64 s[12:13], s[0:1], 0xc
	s_load_b64 s[30:31], s[0:1], 0xf4
	;; [unrolled: 1-line block ×3, first 2 shown]
	s_abs_i32 s10, s33
	s_ashr_i32 s11, s33, 31
	s_mov_b32 s59, 0
	s_delay_alu instid0(SALU_CYCLE_1) | instskip(SKIP_3) | instid1(SALU_CYCLE_1)
	s_mov_b32 s49, s59
	s_mov_b32 s51, s59
	s_wait_kmcnt 0x0
	s_abs_i32 s2, s13
	s_cvt_f32_u32 s3, s2
	s_sub_co_i32 s4, 0, s2
	s_delay_alu instid0(SALU_CYCLE_2) | instskip(NEXT) | instid1(TRANS32_DEP_1)
	v_rcp_iflag_f32_e32 v1, s3
	v_readfirstlane_b32 s3, v1
	s_mul_f32 s3, s3, 0x4f7ffffe
	s_wait_alu 0xfffe
	s_delay_alu instid0(SALU_CYCLE_2) | instskip(SKIP_1) | instid1(SALU_CYCLE_2)
	s_cvt_u32_f32 s3, s3
	s_wait_alu 0xfffe
	s_mul_i32 s4, s4, s3
	s_delay_alu instid0(SALU_CYCLE_1) | instskip(NEXT) | instid1(SALU_CYCLE_1)
	s_mul_hi_u32 s4, s3, s4
	s_add_co_i32 s3, s3, s4
	s_ashr_i32 s4, s13, 31
	s_wait_alu 0xfffe
	s_mul_hi_u32 s3, s10, s3
	s_xor_b32 s7, s11, s4
	s_wait_alu 0xfffe
	s_mul_i32 s5, s3, s2
	s_delay_alu instid0(SALU_CYCLE_1)
	s_sub_co_i32 s4, s10, s5
	s_add_co_i32 s5, s3, 1
	s_sub_co_i32 s6, s4, s2
	s_cmp_ge_u32 s4, s2
	s_cselect_b32 s3, s5, s3
	s_cselect_b32 s4, s6, s4
	s_wait_alu 0xfffe
	s_add_co_i32 s9, s3, 1
	s_cmp_ge_u32 s4, s2
	s_load_b96 s[4:6], s[0:1], 0x6c
	s_cselect_b32 s2, s9, s3
	s_abs_i32 s3, s31
	s_abs_i32 s9, s12
	s_wait_alu 0xfffe
	s_cvt_f32_u32 s14, s3
	s_cvt_f32_u32 s15, s9
	s_xor_b32 s2, s2, s7
	s_sub_co_i32 s17, 0, s9
	v_rcp_iflag_f32_e32 v1, s14
	v_rcp_iflag_f32_e32 v2, s15
	s_ashr_i32 s15, s31, 31
	s_wait_alu 0xfffe
	s_sub_co_i32 s7, s2, s7
	s_xor_b32 s18, s11, s15
	s_sub_co_i32 s15, 0, s3
	s_ashr_i32 s20, s12, 31
	s_ashr_i32 s21, s7, 31
	s_delay_alu instid0(TRANS32_DEP_2) | instskip(NEXT) | instid1(TRANS32_DEP_1)
	v_readfirstlane_b32 s14, v1
	v_readfirstlane_b32 s16, v2
	s_mul_f32 s14, s14, 0x4f7ffffe
	s_wait_alu 0xfffe
	s_delay_alu instid0(SALU_CYCLE_2) | instskip(SKIP_2) | instid1(SALU_CYCLE_1)
	s_cvt_u32_f32 s2, s14
	s_mul_f32 s14, s16, 0x4f7ffffe
	s_wait_alu 0xfffe
	s_mul_i32 s15, s15, s2
	s_delay_alu instid0(SALU_CYCLE_1)
	s_cvt_u32_f32 s16, s14
	s_wait_alu 0xfffe
	s_mul_hi_u32 s15, s2, s15
	s_abs_i32 s14, s7
	s_wait_alu 0xfffe
	s_add_co_i32 s2, s2, s15
	s_mul_i32 s17, s17, s16
	s_wait_alu 0xfffe
	s_mul_hi_u32 s2, s10, s2
	s_mul_hi_u32 s15, s16, s17
	s_wait_alu 0xfffe
	s_mul_i32 s17, s2, s3
	s_add_co_i32 s58, s16, s15
	s_sub_co_i32 s15, s10, s17
	s_add_co_i32 s16, s2, 1
	s_wait_alu 0xfffe
	s_sub_co_i32 s17, s15, s3
	s_cmp_ge_u32 s15, s3
	s_cselect_b32 s2, s16, s2
	s_cselect_b32 s15, s17, s15
	s_wait_alu 0xfffe
	s_add_co_i32 s16, s2, 1
	s_cmp_ge_u32 s15, s3
	s_mov_b32 s15, s59
	s_cselect_b32 s16, s16, s2
	s_abs_i32 s17, s35
	s_abs_i32 s68, s30
	s_cvt_f32_u32 s2, s17
	s_cvt_f32_u32 s3, s68
	s_xor_b32 s16, s16, s18
	s_sub_co_i32 s22, 0, s68
	s_wait_alu 0xfffe
	v_rcp_iflag_f32_e32 v1, s2
	v_rcp_iflag_f32_e32 v2, s3
	s_mul_u64 s[2:3], s[14:15], s[58:59]
	s_ashr_i32 s2, s35, 31
	s_sub_co_i32 s43, s16, s18
	s_wait_alu 0xfffe
	s_xor_b32 s23, s11, s2
	s_abs_i32 s48, s43
	s_delay_alu instid0(TRANS32_DEP_2) | instskip(NEXT) | instid1(TRANS32_DEP_1)
	v_readfirstlane_b32 s19, v1
	v_readfirstlane_b32 s15, v2
	s_mul_f32 s19, s19, 0x4f7ffffe
	s_mul_f32 s11, s15, 0x4f7ffffe
	s_sub_co_i32 s15, 0, s17
	s_delay_alu instid0(SALU_CYCLE_1) | instskip(NEXT) | instid1(SALU_CYCLE_1)
	s_cvt_u32_f32 s2, s19
	s_cvt_u32_f32 s11, s11
	s_wait_alu 0xfffe
	s_delay_alu instid0(SALU_CYCLE_1) | instskip(NEXT) | instid1(SALU_CYCLE_1)
	s_mul_i32 s15, s15, s2
	s_mul_i32 s22, s22, s11
	s_wait_alu 0xfffe
	s_mul_hi_u32 s15, s2, s15
	s_wait_alu 0xfffe
	s_add_co_i32 s2, s2, s15
	s_mul_hi_u32 s15, s11, s22
	s_wait_alu 0xfffe
	s_mul_hi_u32 s2, s10, s2
	s_add_co_i32 s58, s11, s15
	s_wait_alu 0xfffe
	s_mul_i32 s16, s2, s17
	s_add_co_i32 s11, s2, 1
	s_sub_co_i32 s10, s10, s16
	s_delay_alu instid0(SALU_CYCLE_1)
	s_sub_co_i32 s15, s10, s17
	s_cmp_ge_u32 s10, s17
	s_cselect_b32 s2, s11, s2
	s_wait_alu 0xfffe
	s_cselect_b32 s10, s15, s10
	s_add_co_i32 s11, s2, 1
	s_cmp_ge_u32 s10, s17
	s_load_b64 s[16:17], s[0:1], 0x0
	s_cselect_b32 s15, s11, s2
	s_abs_i32 s38, s34
	s_wait_alu 0xfffe
	s_xor_b32 s15, s15, s23
	s_cvt_f32_u32 s2, s38
	s_sub_co_i32 s19, 0, s38
	s_wait_alu 0xfffe
	s_sub_co_i32 s47, s15, s23
	s_add_nc_u64 s[10:11], s[0:1], 0x298
	v_rcp_iflag_f32_e32 v1, s2
	s_abs_i32 s50, s47
	s_delay_alu instid0(TRANS32_DEP_1) | instskip(SKIP_2) | instid1(SALU_CYCLE_2)
	v_readfirstlane_b32 s2, v1
	s_mul_f32 s18, s2, 0x4f7ffffe
	v_cmp_eq_u32_e64 s2, 0, v0
	s_cvt_u32_f32 s18, s18
	s_delay_alu instid0(SALU_CYCLE_3) | instskip(NEXT) | instid1(SALU_CYCLE_1)
	s_mul_i32 s19, s19, s18
	s_mul_hi_u32 s15, s18, s19
	s_mov_b32 s19, s59
	s_wait_alu 0xfffe
	s_add_co_i32 s18, s18, s15
	s_and_saveexec_b32 s15, s2
; %bb.2:
	v_dual_mov_b32 v1, 0 :: v_dual_mov_b32 v2, s36
	s_delay_alu instid0(VALU_DEP_1)
	v_mov_b32_e32 v3, v1
	ds_store_b96 v1, v[1:3] offset:4096
; %bb.3:
	s_wait_alu 0xfffe
	s_or_b32 exec_lo, exec_lo, s15
	s_mul_i32 s15, s3, s9
	s_mul_i32 s13, s7, s13
	s_wait_alu 0xfffe
	s_sub_co_i32 s14, s14, s15
	s_ashr_i32 s71, s43, 31
	s_ashr_i32 s72, s30, 31
	;; [unrolled: 1-line block ×4, first 2 shown]
	s_sub_co_i32 s13, s33, s13
	s_xor_b32 s20, s21, s20
	s_add_co_i32 s15, s3, 1
	s_wait_alu 0xfffe
	s_sub_co_i32 s21, s14, s9
	s_cmp_ge_u32 s14, s9
	s_wait_dscnt 0x0
	s_cselect_b32 s3, s15, s3
	s_cselect_b32 s14, s21, s14
	s_wait_alu 0xfffe
	s_add_co_i32 s15, s3, 1
	s_cmp_ge_u32 s14, s9
	s_barrier_signal -1
	s_barrier_wait -1
	global_inv scope:SCOPE_SE
	s_load_b32 s9, s[10:11], 0xc
	s_cselect_b32 s3, s15, s3
	s_wait_kmcnt 0x0
	s_mul_i32 s13, s13, s6
	s_wait_alu 0xfffe
	s_xor_b32 s3, s3, s20
	s_clause 0x1
	s_load_b96 s[40:42], s[0:1], 0x22c
	s_load_b64 s[52:53], s[0:1], 0x1c0
	s_sub_co_i32 s3, s3, s20
	s_clause 0x1
	s_load_b96 s[44:46], s[0:1], 0x154
	s_load_b64 s[54:55], s[0:1], 0xe8
	s_mul_i32 s12, s3, s12
	s_mul_i32 s3, s3, s4
	s_sub_co_i32 s7, s7, s12
	s_mul_u64 s[56:57], s[48:49], s[58:59]
	s_mul_i32 s5, s7, s5
	s_mul_u64 s[28:29], s[50:51], s[18:19]
	s_add_co_i32 s5, s5, s13
	v_mbcnt_lo_u32_b32 v27, -1, 0
	s_wait_alu 0xfffe
	s_add_co_i32 s0, s5, s3
	v_cmp_gt_u32_e32 vcc_lo, 32, v0
	s_ashr_i32 s1, s0, 31
	v_dual_mov_b32 v13, 0 :: v_dual_lshlrev_b32 v28, 2, v0
	s_and_b32 s49, s9, 0xffff
	s_lshl_b64 s[0:1], s[0:1], 3
	s_lshl_b32 s51, s49, 2
	s_add_nc_u64 s[60:61], s[16:17], s[0:1]
	s_cvt_f32_u32 s1, s51
	v_cmp_gt_i32_e64 s0, 4, v27
	s_add_co_i32 s56, s49, -1
	s_bfe_u32 s3, s9, 0xb0005
	v_rcp_iflag_f32_e32 v1, s1
	s_add_co_i32 s82, s56, s36
	s_and_b32 s74, vcc_lo, s0
	s_cmp_gt_i32 s36, 0x180
	v_mul_lo_u32 v11, s39, v0
	s_cselect_b32 s75, -1, 0
	s_cmp_gt_u32 s49, 31
	v_dual_mov_b32 v12, v13 :: v_dual_lshlrev_b32 v29, 3, v0
	s_cselect_b32 s76, -1, 0
	s_cmp_lt_u32 ttmp9, s8
	v_readfirstlane_b32 s5, v1
	s_cselect_b32 s58, 12, 18
	s_wait_alu 0xfffe
	s_add_co_i32 s4, s3, -1
	s_bfe_u32 s77, s49, 0x30005
	s_and_b32 s4, s4, 0xffff
	v_lshlrev_b64_e32 v[1:2], 3, v[11:12]
	s_cmp_gt_u32 s4, 6
	s_mul_f32 s4, s5, 0x4f7ffffe
	s_cselect_b32 s78, -1, 0
	s_and_b32 s79, s3, 0x7f8
	s_cmp_lg_u32 s77, 0
	s_cvt_u32_f32 s3, s4
	s_cselect_b32 s80, -1, 0
	s_sub_co_i32 s4, 0, s51
	v_add_co_u32 v14, vcc_lo, s60, v1
	s_wait_alu 0xfffe
	s_mul_i32 s4, s4, s3
	v_add_co_ci_u32_e64 v15, null, s61, v2, vcc_lo
	s_mul_hi_u32 s4, s3, s4
	v_lshlrev_b64_e64 v[1:2], v27, -1
	s_add_co_i32 s62, s3, s4
	s_cvt_f32_u32 s3, s49
	s_mul_hi_u32 s4, s36, s62
	v_lshrrev_b32_e32 v2, 1, v0
	s_mul_i32 s4, s4, s51
	s_wait_alu 0xfffe
	v_rcp_iflag_f32_e32 v3, s3
	s_sub_co_i32 s4, s36, s4
	v_not_b32_e32 v32, v1
	s_sub_co_i32 s5, s4, s51
	s_cmp_ge_u32 s4, s51
	v_mov_b32_e32 v18, 0
	s_cselect_b32 s4, s5, s4
	s_mov_b32 s12, s39
	s_sub_co_i32 s6, s4, s51
	s_cmp_ge_u32 s4, s51
	v_readfirstlane_b32 s5, v3
	s_cselect_b32 s9, s6, s4
	s_sub_co_i32 s6, 0, s49
	s_sub_co_i32 s81, s36, s9
	s_abs_i32 s7, s82
	s_mul_f32 s5, s5, 0x4f7ffffe
	v_add_nc_u32_e32 v31, s81, v0
	v_or_b32_e32 v3, 3, v28
	v_mad_co_u64_u32 v[20:21], null, s39, v28, s[12:13]
	s_cvt_u32_f32 s5, s5
	v_mul_lo_u32 v1, v31, s39
	v_mul_lo_u32 v35, s39, v3
	v_dual_mov_b32 v5, 0 :: v_dual_lshlrev_b32 v36, 2, v11
	s_mul_i32 s6, s6, s5
	v_dual_mov_b32 v6, 0 :: v_dual_mov_b32 v21, 0
	s_mul_hi_u32 s6, s5, s6
	v_cmp_eq_u32_e64 s0, 0, v27
	s_add_co_i32 s64, s5, s6
	s_movk_i32 s5, 0x1f0
	s_mul_hi_u32 s6, s7, s64
	v_and_or_b32 v33, v2, s5, 0xc00
	v_ashrrev_i32_e32 v2, 31, v1
	s_mul_i32 s6, s6, s49
	v_cmp_gt_u32_e64 s1, 2, v0
	s_sub_co_i32 s5, s7, s6
	s_ashr_i32 s7, s82, 31
	v_lshlrev_b64_e32 v[1:2], 3, v[1:2]
	s_wait_alu 0xfffe
	s_sub_co_i32 s6, s5, s49
	s_cmp_ge_u32 s5, s49
	v_dual_mov_b32 v19, 0 :: v_dual_add_nc_u32 v30, 0xc00, v29
	s_cselect_b32 s6, s6, s5
	v_add_co_u32 v16, vcc_lo, s60, v1
	v_add3_u32 v1, s49, s36, v0
	s_sub_co_i32 s8, s6, s49
	s_cmp_ge_u32 s6, s49
	s_wait_alu 0xfffd
	v_add_co_ci_u32_e64 v17, null, s61, v2, vcc_lo
	s_cselect_b32 s8, s8, s6
	v_or_b32_e32 v2, 2, v28
	v_subrev_nc_u32_e32 v1, s9, v1
	s_xor_b32 s8, s8, s7
	v_cmp_gt_u32_e64 s3, s36, v0
	s_wait_alu 0xfffe
	s_sub_co_i32 s8, s7, s8
	v_mul_lo_u32 v34, s39, v2
	v_mul_lo_u32 v37, s39, v1
	s_wait_alu 0xfffe
	s_add_co_i32 s82, s82, s8
	v_cmp_gt_i32_e64 s4, s36, v0
	v_cmp_gt_i32_e64 s5, s81, v28
	v_cmp_gt_u32_e64 s6, s36, v31
	v_cmp_gt_i32_e64 s7, s36, v31
	v_cmp_gt_i32_e64 s8, s82, v0
	v_dual_mov_b32 v41, s37 :: v_dual_lshlrev_b32 v38, 5, v0
	v_lshl_or_b32 v39, v27, 2, 0xc00
	v_mov_b32_e32 v2, 0x3ff00000
	v_mov_b32_e32 v22, 0
	v_mov_b32_e32 v40, 0
	s_mul_i32 s73, s39, s49
	s_mov_b32 s63, s59
	s_mov_b32 s65, s59
	s_lshl_b32 s83, s73, 2
	s_lshl_b32 s84, s49, 5
	;; [unrolled: 1-line block ×3, first 2 shown]
	s_mov_b32 s92, 62
	s_add_nc_u64 s[66:67], s[10:11], s[58:59]
	s_mov_b32 s37, s59
                                        ; implicit-def: $sgpr89
                                        ; implicit-def: $sgpr91
                                        ; implicit-def: $sgpr86
                                        ; implicit-def: $sgpr88
                                        ; implicit-def: $sgpr90
                                        ; implicit-def: $sgpr87
	s_branch .LBB42_7
.LBB42_4:                               ;   in Loop: Header=BB42_7 Depth=1
	s_wait_alu 0xfffe
	s_or_b32 exec_lo, exec_lo, s12
	s_delay_alu instid0(SALU_CYCLE_1)
	s_and_b32 s10, s10, exec_lo
	s_and_not1_b32 s18, s18, exec_lo
	s_and_not1_b32 s17, s17, exec_lo
	s_or_not1_b32 s15, s11, exec_lo
.LBB42_5:                               ;   in Loop: Header=BB42_7 Depth=1
	s_wait_alu 0xfffe
	s_or_b32 exec_lo, exec_lo, s9
	s_delay_alu instid0(SALU_CYCLE_1)
	s_and_not1_b32 s9, s87, exec_lo
	s_and_b32 s10, s10, exec_lo
	s_and_not1_b32 s11, s88, exec_lo
	s_wait_alu 0xfffe
	s_or_b32 s87, s9, s10
	s_and_not1_b32 s9, s90, exec_lo
	s_and_b32 s10, s18, exec_lo
	s_and_b32 s12, s17, exec_lo
	s_wait_alu 0xfffe
	s_or_b32 s90, s9, s10
	s_or_b32 s88, s11, s12
	s_or_not1_b32 s16, s15, exec_lo
.LBB42_6:                               ;   in Loop: Header=BB42_7 Depth=1
	s_wait_alu 0xfffe
	s_or_b32 exec_lo, exec_lo, s14
	s_delay_alu instid0(SALU_CYCLE_1)
	s_and_b32 s9, exec_lo, s16
	v_mov_b32_e32 v41, v10
	s_wait_alu 0xfffe
	s_or_b32 s37, s9, s37
	s_and_not1_b32 s9, s86, exec_lo
	s_and_b32 s10, s87, exec_lo
	s_and_not1_b32 s11, s91, exec_lo
	s_wait_alu 0xfffe
	s_or_b32 s86, s9, s10
	s_and_b32 s9, s90, exec_lo
	s_and_not1_b32 s10, s89, exec_lo
	s_and_b32 s12, s88, exec_lo
	s_wait_alu 0xfffe
	s_or_b32 s91, s11, s9
	s_or_b32 s89, s10, s12
	s_mov_b32 s92, s23
	s_and_not1_b32 exec_lo, exec_lo, s37
	s_cbranch_execz .LBB42_238
.LBB42_7:                               ; =>This Loop Header: Depth=1
                                        ;     Child Loop BB42_13 Depth 2
                                        ;     Child Loop BB42_28 Depth 2
	;; [unrolled: 1-line block ×16, first 2 shown]
	ds_load_b64 v[3:4], v13 offset:4096
	s_wait_dscnt 0x0
	v_readfirstlane_b32 s58, v3
	s_cmp_gt_i32 s58, 0
	s_cbranch_scc1 .LBB42_35
; %bb.8:                                ;   in Loop: Header=BB42_7 Depth=1
	s_and_b32 vcc_lo, exec_lo, s75
	s_wait_alu 0xfffe
	s_cbranch_vccz .LBB42_21
; %bb.9:                                ;   in Loop: Header=BB42_7 Depth=1
	v_cmp_gt_i32_e32 vcc_lo, 0x181, v4
	s_mov_b32 s10, 0
	s_mov_b32 s9, 0
	s_cbranch_vccz .LBB42_22
; %bb.10:                               ;   in Loop: Header=BB42_7 Depth=1
	s_and_saveexec_b32 s11, s3
	s_cbranch_execz .LBB42_67
; %bb.11:                               ;   in Loop: Header=BB42_7 Depth=1
	global_load_b64 v[3:4], v[14:15], off
	s_load_u16 s12, s[66:67], 0x0
	s_mov_b32 s14, 0
	s_wait_kmcnt 0x0
	v_add_nc_u32_e32 v1, s12, v0
	s_mul_i32 s13, s39, s12
	s_delay_alu instid0(VALU_DEP_1)
	v_mul_lo_u32 v12, s39, v1
	v_mov_b32_e32 v1, v0
	s_branch .LBB42_13
.LBB42_12:                              ;   in Loop: Header=BB42_13 Depth=2
	s_wait_alu 0xfffe
	s_or_b32 exec_lo, exec_lo, s9
	v_cmp_le_i32_e32 vcc_lo, s36, v1
	v_dual_mov_b32 v3, v7 :: v_dual_add_nc_u32 v12, s13, v12
	v_mov_b32_e32 v4, v8
	s_or_b32 s14, vcc_lo, s14
	s_wait_alu 0xfffe
	s_and_not1_b32 exec_lo, exec_lo, s14
	s_cbranch_execz .LBB42_67
.LBB42_13:                              ;   Parent Loop BB42_7 Depth=1
                                        ; =>  This Inner Loop Header: Depth=2
	v_mov_b32_e32 v7, 0
	s_delay_alu instid0(VALU_DEP_2) | instskip(SKIP_1) | instid1(VALU_DEP_1)
	v_dual_mov_b32 v8, 0 :: v_dual_add_nc_u32 v1, s12, v1
	s_mov_b32 s9, exec_lo
	v_cmpx_gt_u32_e64 s36, v1
	s_cbranch_execz .LBB42_15
; %bb.14:                               ;   in Loop: Header=BB42_13 Depth=2
	v_lshlrev_b64_e32 v[7:8], 3, v[12:13]
	s_delay_alu instid0(VALU_DEP_1) | instskip(SKIP_1) | instid1(VALU_DEP_2)
	v_add_co_u32 v7, vcc_lo, s60, v7
	s_wait_alu 0xfffd
	v_add_co_ci_u32_e64 v8, null, s61, v8, vcc_lo
	global_load_b64 v[7:8], v[7:8], off
.LBB42_15:                              ;   in Loop: Header=BB42_13 Depth=2
	s_wait_alu 0xfffe
	s_or_b32 exec_lo, exec_lo, s9
	s_wait_loadcnt 0x0
	v_cmp_o_f64_e32 vcc_lo, v[3:4], v[3:4]
	s_wait_dscnt 0x0
	v_ashrrev_i32_e32 v9, 31, v4
	s_delay_alu instid0(VALU_DEP_1) | instskip(SKIP_1) | instid1(VALU_DEP_2)
	v_or_b32_e32 v10, 0x80000000, v9
	v_xor_b32_e32 v9, v9, v3
	v_xor_b32_e32 v10, v10, v4
	s_wait_alu 0xfffd
	s_delay_alu instid0(VALU_DEP_1) | instskip(NEXT) | instid1(VALU_DEP_1)
	v_dual_cndmask_b32 v10, -1, v10 :: v_dual_cndmask_b32 v9, -1, v9
	v_and_b32_e32 v10, v10, v22
	s_delay_alu instid0(VALU_DEP_2) | instskip(NEXT) | instid1(VALU_DEP_1)
	v_and_b32_e32 v9, v9, v21
	v_cmp_eq_u64_e32 vcc_lo, v[9:10], v[18:19]
	v_mov_b32_e32 v9, 0
	s_cmp_lg_u32 vcc_lo, 0
	s_cselect_b32 s9, -1, 0
	s_wait_alu 0xfffe
	s_and_b32 s9, s0, s9
	s_wait_alu 0xfffe
	s_and_saveexec_b32 s15, s9
	s_cbranch_execz .LBB42_19
; %bb.16:                               ;   in Loop: Header=BB42_13 Depth=2
	s_mov_b32 s18, exec_lo
	s_bcnt1_i32_b32 s16, vcc_lo
	s_wait_alu 0xfffe
	v_mbcnt_lo_u32_b32 v9, s18, 0
	s_mov_b32 s17, exec_lo
                                        ; implicit-def: $vgpr10
	s_delay_alu instid0(VALU_DEP_1)
	v_cmpx_eq_u32_e32 0, v9
; %bb.17:                               ;   in Loop: Header=BB42_13 Depth=2
	s_bcnt1_i32_b32 s9, s18
	s_wait_alu 0xfffe
	s_mul_i32 s9, s16, s9
	s_wait_alu 0xfffe
	v_mov_b32_e32 v10, s9
	ds_add_rtn_u32 v10, v13, v10 offset:4104
; %bb.18:                               ;   in Loop: Header=BB42_13 Depth=2
	s_or_b32 exec_lo, exec_lo, s17
	s_wait_dscnt 0x0
	v_readfirstlane_b32 s9, v10
	s_wait_alu 0xf1ff
	s_delay_alu instid0(VALU_DEP_1)
	v_mad_u32_u24 v9, s16, v9, s9
.LBB42_19:                              ;   in Loop: Header=BB42_13 Depth=2
	s_wait_alu 0xfffe
	s_or_b32 exec_lo, exec_lo, s15
	ds_bpermute_b32 v9, v13, v9
	s_and_saveexec_b32 s9, vcc_lo
	s_cbranch_execz .LBB42_12
; %bb.20:                               ;   in Loop: Header=BB42_13 Depth=2
	v_and_b32_e32 v10, vcc_lo, v32
	s_delay_alu instid0(VALU_DEP_1) | instskip(NEXT) | instid1(VALU_DEP_1)
	v_bcnt_u32_b32 v10, v10, 0
	v_lshlrev_b32_e32 v10, 3, v10
	s_wait_dscnt 0x0
	s_delay_alu instid0(VALU_DEP_1)
	v_lshl_add_u32 v9, v9, 3, v10
	ds_store_b64 v9, v[3:4]
	s_branch .LBB42_12
.LBB42_21:                              ;   in Loop: Header=BB42_7 Depth=1
	s_mov_b32 s10, -1
	s_mov_b32 s9, 0
.LBB42_22:                              ;   in Loop: Header=BB42_7 Depth=1
	s_wait_alu 0xfffe
	s_and_b32 vcc_lo, exec_lo, s10
	s_wait_alu 0xfffe
	s_cbranch_vccz .LBB42_33
.LBB42_23:                              ;   in Loop: Header=BB42_7 Depth=1
	v_mov_b32_e32 v3, 0
	v_mov_b32_e32 v4, 0
	s_and_saveexec_b32 s9, s3
	s_cbranch_execz .LBB42_25
; %bb.24:                               ;   in Loop: Header=BB42_7 Depth=1
	global_load_b64 v[3:4], v[14:15], off
.LBB42_25:                              ;   in Loop: Header=BB42_7 Depth=1
	s_wait_alu 0xfffe
	s_or_b32 exec_lo, exec_lo, s9
	s_and_saveexec_b32 s9, s4
	s_cbranch_execz .LBB42_30
; %bb.26:                               ;   in Loop: Header=BB42_7 Depth=1
	s_load_u16 s10, s[66:67], 0x0
	v_mov_b32_e32 v9, v0
	s_mov_b32 s13, 0
	s_wait_kmcnt 0x0
	v_add_nc_u32_e32 v1, s10, v0
	s_lshl_b32 s11, s10, 3
	s_mul_i32 s12, s39, s10
	s_delay_alu instid0(VALU_DEP_1)
	v_mul_lo_u32 v12, s39, v1
	v_mov_b32_e32 v1, v29
	s_branch .LBB42_28
.LBB42_27:                              ;   in Loop: Header=BB42_28 Depth=2
	s_wait_alu 0xfffe
	s_or_b32 exec_lo, exec_lo, s14
	v_cmp_le_i32_e32 vcc_lo, s36, v9
	s_wait_loadcnt 0x0
	ds_store_b64 v1, v[3:4]
	v_dual_mov_b32 v3, v7 :: v_dual_add_nc_u32 v12, s12, v12
	v_dual_mov_b32 v4, v8 :: v_dual_add_nc_u32 v1, s11, v1
	s_or_b32 s13, vcc_lo, s13
	s_wait_alu 0xfffe
	s_and_not1_b32 exec_lo, exec_lo, s13
	s_cbranch_execz .LBB42_30
.LBB42_28:                              ;   Parent Loop BB42_7 Depth=1
                                        ; =>  This Inner Loop Header: Depth=2
	v_mov_b32_e32 v7, 0
	v_dual_mov_b32 v8, 0 :: v_dual_add_nc_u32 v9, s10, v9
	s_mov_b32 s14, exec_lo
	s_delay_alu instid0(VALU_DEP_1)
	v_cmpx_gt_u32_e64 s36, v9
	s_cbranch_execz .LBB42_27
; %bb.29:                               ;   in Loop: Header=BB42_28 Depth=2
	v_lshlrev_b64_e32 v[7:8], 3, v[12:13]
	s_delay_alu instid0(VALU_DEP_1) | instskip(SKIP_1) | instid1(VALU_DEP_2)
	v_add_co_u32 v7, vcc_lo, s60, v7
	s_wait_alu 0xfffd
	v_add_co_ci_u32_e64 v8, null, s61, v8, vcc_lo
	global_load_b64 v[7:8], v[7:8], off
	s_branch .LBB42_27
.LBB42_30:                              ;   in Loop: Header=BB42_7 Depth=1
	s_wait_alu 0xfffe
	s_or_b32 exec_lo, exec_lo, s9
	s_wait_loadcnt_dscnt 0x0
	s_barrier_signal -1
	s_barrier_wait -1
	global_inv scope:SCOPE_SE
	s_and_saveexec_b32 s9, s2
; %bb.31:                               ;   in Loop: Header=BB42_7 Depth=1
	v_mov_b32_e32 v1, s36
	ds_store_b32 v13, v1 offset:4096
; %bb.32:                               ;   in Loop: Header=BB42_7 Depth=1
	s_wait_alu 0xfffe
	s_or_b32 exec_lo, exec_lo, s9
	s_mov_b32 s9, -1
	s_wait_loadcnt_dscnt 0x0
	s_barrier_signal -1
	s_barrier_wait -1
.LBB42_33:                              ;   in Loop: Header=BB42_7 Depth=1
	s_wait_alu 0xfffe
	s_and_b32 vcc_lo, exec_lo, s9
	s_wait_alu 0xfffe
	s_cbranch_vccz .LBB42_35
; %bb.34:                               ;   in Loop: Header=BB42_7 Depth=1
	s_wait_loadcnt 0x0
	global_inv scope:SCOPE_SE
	ds_load_b32 v1, v13 offset:4096
	s_wait_dscnt 0x0
	v_readfirstlane_b32 s58, v1
.LBB42_35:                              ;   in Loop: Header=BB42_7 Depth=1
	s_delay_alu instid0(VALU_DEP_1)
	s_cmp_lt_i32 s58, 1
	s_mov_b32 s9, -1
                                        ; implicit-def: $vgpr7
	s_cbranch_scc1 .LBB42_45
; %bb.36:                               ;   in Loop: Header=BB42_7 Depth=1
	s_wait_alu 0xfffe
	s_and_b32 vcc_lo, exec_lo, s9
	s_wait_alu 0xfffe
	s_cbranch_vccnz .LBB42_58
.LBB42_37:                              ;   in Loop: Header=BB42_7 Depth=1
	v_lshlrev_b32_e32 v1, 7, v40
	s_and_saveexec_b32 s9, s0
.LBB42_38:                              ;   in Loop: Header=BB42_7 Depth=1
	s_delay_alu instid0(VALU_DEP_1)
	v_lshl_add_u32 v3, v1, 2, v33
	ds_store_b128 v3, v[7:10]
.LBB42_39:                              ;   in Loop: Header=BB42_7 Depth=1
	s_wait_alu 0xfffe
	s_or_b32 exec_lo, exec_lo, s9
	s_wait_loadcnt_dscnt 0x0
	s_barrier_signal -1
	s_barrier_wait -1
	global_inv scope:SCOPE_SE
	s_and_saveexec_b32 s9, s74
	s_cbranch_execz .LBB42_74
; %bb.40:                               ;   in Loop: Header=BB42_7 Depth=1
	v_mov_b32_e32 v3, 0
	s_and_not1_b32 vcc_lo, exec_lo, s76
	s_wait_alu 0xfffe
	s_cbranch_vccnz .LBB42_73
; %bb.41:                               ;   in Loop: Header=BB42_7 Depth=1
	s_and_not1_b32 vcc_lo, exec_lo, s78
	s_wait_alu 0xfffe
	s_cbranch_vccnz .LBB42_70
; %bb.42:                               ;   in Loop: Header=BB42_7 Depth=1
	v_lshl_add_u32 v4, v40, 9, v39
	v_mov_b32_e32 v3, 0
	s_mov_b32 s10, 0
.LBB42_43:                              ;   Parent Loop BB42_7 Depth=1
                                        ; =>  This Inner Loop Header: Depth=2
	ds_load_2addr_b32 v[7:8], v4 offset1:4
	ds_load_2addr_b32 v[9:10], v4 offset0:8 offset1:12
	ds_load_2addr_b32 v[23:24], v4 offset0:16 offset1:20
	;; [unrolled: 1-line block ×3, first 2 shown]
	v_add_nc_u32_e32 v4, 0x80, v4
	s_wait_alu 0xfffe
	s_add_co_i32 s10, s10, 8
	s_wait_alu 0xfffe
	s_cmp_eq_u32 s79, s10
	s_wait_dscnt 0x3
	v_add3_u32 v3, v7, v3, v8
	s_wait_dscnt 0x2
	s_delay_alu instid0(VALU_DEP_1) | instskip(SKIP_1) | instid1(VALU_DEP_1)
	v_add3_u32 v3, v9, v3, v10
	s_wait_dscnt 0x1
	v_add3_u32 v3, v23, v3, v24
	s_wait_dscnt 0x0
	s_delay_alu instid0(VALU_DEP_1)
	v_add3_u32 v3, v25, v3, v26
	s_cbranch_scc0 .LBB42_43
; %bb.44:                               ;   in Loop: Header=BB42_7 Depth=1
	s_mov_b32 s10, s79
	s_and_not1_b32 vcc_lo, exec_lo, s80
	s_wait_alu 0xfffe
	s_cbranch_vccz .LBB42_71
	s_branch .LBB42_73
.LBB42_45:                              ;   in Loop: Header=BB42_7 Depth=1
	v_dual_mov_b32 v7, 0 :: v_dual_mov_b32 v8, 0
	v_dual_mov_b32 v9, 0 :: v_dual_mov_b32 v10, 0
	s_and_saveexec_b32 s93, s5
	s_cbranch_execz .LBB42_49
; %bb.46:                               ;   in Loop: Header=BB42_7 Depth=1
	v_mov_b32_e32 v1, v28
	s_mov_b32 s94, 0
	s_mov_b32 s95, 0
	;; [unrolled: 1-line block ×6, first 2 shown]
.LBB42_47:                              ;   Parent Loop BB42_7 Depth=1
                                        ; =>  This Inner Loop Header: Depth=2
	s_wait_alu 0xfffe
	v_add_nc_u32_e32 v3, s95, v36
	v_add_nc_u32_e32 v7, s95, v20
	;; [unrolled: 1-line block ×5, first 2 shown]
	v_ashrrev_i32_e32 v4, 31, v3
	v_ashrrev_i32_e32 v8, 31, v7
	;; [unrolled: 1-line block ×4, first 2 shown]
	s_add_co_i32 s95, s95, s83
	v_lshlrev_b64_e32 v[3:4], 3, v[3:4]
	v_lshlrev_b64_e32 v[7:8], 3, v[7:8]
	;; [unrolled: 1-line block ×4, first 2 shown]
	s_delay_alu instid0(VALU_DEP_4)
	v_add_co_u32 v3, vcc_lo, s60, v3
	s_wait_alu 0xfffd
	v_add_co_ci_u32_e64 v4, null, s61, v4, vcc_lo
	v_add_co_u32 v7, vcc_lo, s60, v7
	s_wait_alu 0xfffd
	v_add_co_ci_u32_e64 v8, null, s61, v8, vcc_lo
	;; [unrolled: 3-line block ×4, first 2 shown]
	s_clause 0x3
	global_load_b64 v[3:4], v[3:4], off
	global_load_b64 v[7:8], v[7:8], off
	;; [unrolled: 1-line block ×4, first 2 shown]
	v_cmp_le_i32_e32 vcc_lo, s81, v1
	s_wait_loadcnt 0x3
	v_cmp_o_f64_e64 s9, v[3:4], v[3:4]
	s_wait_loadcnt 0x2
	v_cmp_o_f64_e64 s10, v[7:8], v[7:8]
	;; [unrolled: 2-line block ×4, first 2 shown]
	v_ashrrev_i32_e32 v12, 31, v4
	v_ashrrev_i32_e32 v26, 31, v8
	v_ashrrev_i32_e32 v42, 31, v10
	v_ashrrev_i32_e32 v44, 31, v24
	s_delay_alu instid0(VALU_DEP_4) | instskip(NEXT) | instid1(VALU_DEP_4)
	v_or_b32_e32 v46, 0x80000000, v12
	v_or_b32_e32 v47, 0x80000000, v26
	s_delay_alu instid0(VALU_DEP_4) | instskip(NEXT) | instid1(VALU_DEP_4)
	v_or_b32_e32 v48, 0x80000000, v42
	v_or_b32_e32 v49, 0x80000000, v44
	v_xor_b32_e32 v12, v12, v3
	v_xor_b32_e32 v46, v46, v4
	;; [unrolled: 1-line block ×8, first 2 shown]
	s_wait_alu 0xf1ff
	v_cndmask_b32_e64 v4, -1, v46, s9
	v_cndmask_b32_e64 v8, -1, v3, s10
	;; [unrolled: 1-line block ×7, first 2 shown]
	v_dual_mov_b32 v25, v13 :: v_dual_and_b32 v46, v3, v21
	v_and_b32_e32 v47, v4, v22
	v_lshrrev_b64 v[3:4], s92, v[3:4]
	v_cndmask_b32_e64 v23, -1, v44, s12
	v_dual_mov_b32 v43, v13 :: v_dual_and_b32 v48, v7, v21
	v_and_b32_e32 v49, v8, v22
	v_lshrrev_b64 v[7:8], s92, v[7:8]
	v_and_b32_e32 v50, v9, v21
	v_lshrrev_b64 v[8:9], s92, v[9:10]
	;; [unrolled: 2-line block ×3, first 2 shown]
	v_and_b32_e32 v12, 3, v3
	v_and_b32_e32 v53, v24, v22
	;; [unrolled: 1-line block ×4, first 2 shown]
	v_cmp_eq_u64_e64 s9, v[46:47], v[18:19]
	v_cmp_eq_u64_e64 s13, 0, v[12:13]
	v_dual_mov_b32 v45, v13 :: v_dual_and_b32 v52, v23, v21
	v_and_b32_e32 v44, 3, v9
	v_cmp_eq_u64_e64 s10, v[48:49], v[18:19]
	v_cmp_eq_u64_e64 s14, 0, v[24:25]
	;; [unrolled: 1-line block ×6, first 2 shown]
	s_and_b32 s13, s9, s13
	v_cmp_eq_u64_e64 s17, 1, v[12:13]
	s_wait_alu 0xfffe
	v_cndmask_b32_e64 v3, 0, 1, s13
	s_and_b32 s13, s10, s14
	v_cmp_eq_u64_e64 s18, 1, v[24:25]
	s_wait_alu 0xfffe
	v_cndmask_b32_e64 v4, 0, 1, s13
	;; [unrolled: 4-line block ×4, first 2 shown]
	s_and_b32 s13, s9, s17
	v_cmp_eq_u64_e64 s21, 2, v[12:13]
	v_cmp_eq_u64_e64 s25, 3, v[12:13]
	s_wait_alu 0xfffe
	v_cndmask_b32_e64 v9, 0, 1, s13
	s_and_b32 s13, s10, s18
	v_cmp_eq_u64_e64 s22, 2, v[24:25]
	v_cmp_eq_u64_e64 s26, 3, v[24:25]
	s_wait_alu 0xfffe
	v_cndmask_b32_e64 v10, 0, 1, s13
	;; [unrolled: 5-line block ×4, first 2 shown]
	s_and_b32 s13, s9, s21
	s_and_b32 s9, s9, s25
	s_wait_alu 0xfffe
	v_cndmask_b32_e64 v24, 0, 1, s13
	s_and_b32 s13, s10, s22
	v_cndmask_b32_e64 v43, 0, 1, s9
	s_and_b32 s9, s10, s26
	s_wait_alu 0xfffe
	v_cndmask_b32_e64 v25, 0, 1, s13
	s_and_b32 s13, s11, s23
	v_cndmask_b32_e64 v44, 0, 1, s9
	;; [unrolled: 5-line block ×3, first 2 shown]
	s_and_b32 s9, s12, s28
	s_wait_alu 0xfffe
	v_cndmask_b32_e64 v42, 0, 1, s13
	v_cndmask_b32_e64 v46, 0, 1, s9
	v_cmp_ne_u32_e64 s9, 0, v3
	v_cmp_ne_u32_e64 s13, 0, v9
	;; [unrolled: 1-line block ×12, first 2 shown]
	s_bcnt1_i32_b32 s9, s9
	s_bcnt1_i32_b32 s13, s13
	;; [unrolled: 1-line block ×4, first 2 shown]
	v_cmp_ne_u32_e64 s12, 0, v8
	v_cmp_ne_u32_e64 s16, 0, v23
	;; [unrolled: 1-line block ×4, first 2 shown]
	s_bcnt1_i32_b32 s10, s10
	s_bcnt1_i32_b32 s14, s14
	s_bcnt1_i32_b32 s18, s18
	s_bcnt1_i32_b32 s22, s22
	s_wait_alu 0xfffe
	s_add_co_i32 s9, s9, s99
	s_add_co_i32 s13, s13, s98
	s_add_co_i32 s17, s17, s97
	s_add_co_i32 s21, s21, s96
	s_bcnt1_i32_b32 s11, s11
	s_bcnt1_i32_b32 s15, s15
	s_bcnt1_i32_b32 s19, s19
	s_bcnt1_i32_b32 s23, s23
	s_wait_alu 0xfffe
	s_add_co_i32 s9, s9, s10
	s_add_co_i32 s10, s13, s14
	s_add_co_i32 s13, s17, s18
	s_add_co_i32 s14, s21, s22
	;; [unrolled: 9-line block ×3, first 2 shown]
	s_wait_alu 0xfffe
	s_add_co_i32 s99, s9, s12
	s_add_co_i32 s98, s10, s16
	;; [unrolled: 1-line block ×4, first 2 shown]
	s_wait_alu 0xfffe
	v_dual_mov_b32 v7, s99 :: v_dual_mov_b32 v8, s98
	v_dual_mov_b32 v9, s97 :: v_dual_mov_b32 v10, s96
	s_or_b32 s94, vcc_lo, s94
	s_wait_alu 0xfffe
	s_and_not1_b32 exec_lo, exec_lo, s94
	s_cbranch_execnz .LBB42_47
; %bb.48:                               ;   in Loop: Header=BB42_7 Depth=1
	s_or_b32 exec_lo, exec_lo, s94
.LBB42_49:                              ;   in Loop: Header=BB42_7 Depth=1
	s_wait_alu 0xfffe
	s_or_b32 exec_lo, exec_lo, s93
	v_mov_b32_e32 v25, 0
	v_mov_b32_e32 v26, 0
	s_and_saveexec_b32 s9, s6
	s_cbranch_execz .LBB42_51
; %bb.50:                               ;   in Loop: Header=BB42_7 Depth=1
	global_load_b64 v[25:26], v[16:17], off
.LBB42_51:                              ;   in Loop: Header=BB42_7 Depth=1
	s_wait_alu 0xfffe
	s_or_b32 exec_lo, exec_lo, s9
	s_and_saveexec_b32 s13, s7
	s_cbranch_execz .LBB42_57
; %bb.52:                               ;   in Loop: Header=BB42_7 Depth=1
	v_mov_b32_e32 v3, v37
	v_mov_b32_e32 v1, v31
	s_mov_b32 s14, 0
	s_branch .LBB42_54
.LBB42_53:                              ;   in Loop: Header=BB42_54 Depth=2
	s_wait_alu 0xfffe
	s_or_b32 exec_lo, exec_lo, s9
	s_wait_loadcnt 0x0
	v_cmp_o_f64_e32 vcc_lo, v[25:26], v[25:26]
	v_ashrrev_i32_e32 v4, 31, v26
	v_add_nc_u32_e32 v3, s73, v3
	s_delay_alu instid0(VALU_DEP_2) | instskip(SKIP_1) | instid1(VALU_DEP_2)
	v_or_b32_e32 v12, 0x80000000, v4
	v_xor_b32_e32 v4, v4, v25
	v_xor_b32_e32 v12, v12, v26
	s_wait_alu 0xfffd
	s_delay_alu instid0(VALU_DEP_2) | instskip(NEXT) | instid1(VALU_DEP_2)
	v_cndmask_b32_e32 v25, -1, v4, vcc_lo
	v_cndmask_b32_e32 v26, -1, v12, vcc_lo
	s_delay_alu instid0(VALU_DEP_1) | instskip(SKIP_2) | instid1(VALU_DEP_3)
	v_lshrrev_b64 v[42:43], s92, v[25:26]
	v_and_b32_e32 v25, v25, v21
	v_and_b32_e32 v26, v26, v22
	v_and_b32_e32 v12, 3, v42
	s_delay_alu instid0(VALU_DEP_2) | instskip(NEXT) | instid1(VALU_DEP_2)
	v_cmp_eq_u64_e32 vcc_lo, v[25:26], v[18:19]
	v_cmp_eq_u64_e64 s9, 0, v[12:13]
	v_cmp_eq_u64_e64 s10, 1, v[12:13]
	v_cmp_eq_u64_e64 s11, 2, v[12:13]
	v_cmp_eq_u64_e64 s12, 3, v[12:13]
	s_and_b32 s9, vcc_lo, s9
	s_wait_alu 0xfffe
	v_cndmask_b32_e64 v4, 0, 1, s9
	s_and_b32 s9, vcc_lo, s10
	s_wait_alu 0xfffe
	v_cndmask_b32_e64 v12, 0, 1, s9
	;; [unrolled: 3-line block ×3, first 2 shown]
	s_and_b32 s9, vcc_lo, s12
	v_cmp_ne_u32_e32 vcc_lo, 0, v4
	s_wait_alu 0xfffe
	v_cndmask_b32_e64 v26, 0, 1, s9
	v_cmp_ne_u32_e64 s9, 0, v12
	v_cmp_ne_u32_e64 s10, 0, v25
	v_cmp_le_i32_e64 s12, s36, v1
	s_bcnt1_i32_b32 s15, vcc_lo
	v_cmp_ne_u32_e64 s11, 0, v26
	s_bcnt1_i32_b32 s9, s9
	s_bcnt1_i32_b32 s10, s10
	s_wait_alu 0xfffe
	v_dual_mov_b32 v26, v24 :: v_dual_add_nc_u32 v7, s15, v7
	s_bcnt1_i32_b32 s11, s11
	v_add_nc_u32_e32 v8, s9, v8
	v_add_nc_u32_e32 v9, s10, v9
	s_wait_alu 0xfffe
	v_dual_mov_b32 v25, v23 :: v_dual_add_nc_u32 v10, s11, v10
	s_or_b32 s14, s12, s14
	s_wait_alu 0xfffe
	s_and_not1_b32 exec_lo, exec_lo, s14
	s_cbranch_execz .LBB42_56
.LBB42_54:                              ;   Parent Loop BB42_7 Depth=1
                                        ; =>  This Inner Loop Header: Depth=2
	v_mov_b32_e32 v23, 0
	s_delay_alu instid0(VALU_DEP_2) | instskip(SKIP_1) | instid1(VALU_DEP_1)
	v_dual_mov_b32 v24, 0 :: v_dual_add_nc_u32 v1, s49, v1
	s_mov_b32 s9, exec_lo
	v_cmpx_gt_u32_e64 s36, v1
	s_cbranch_execz .LBB42_53
; %bb.55:                               ;   in Loop: Header=BB42_54 Depth=2
	v_ashrrev_i32_e32 v4, 31, v3
	s_delay_alu instid0(VALU_DEP_1) | instskip(NEXT) | instid1(VALU_DEP_1)
	v_lshlrev_b64_e32 v[23:24], 3, v[3:4]
	v_add_co_u32 v23, vcc_lo, s60, v23
	s_wait_alu 0xfffd
	s_delay_alu instid0(VALU_DEP_2)
	v_add_co_ci_u32_e64 v24, null, s61, v24, vcc_lo
	global_load_b64 v[23:24], v[23:24], off
	s_branch .LBB42_53
.LBB42_56:                              ;   in Loop: Header=BB42_7 Depth=1
	s_or_b32 exec_lo, exec_lo, s14
.LBB42_57:                              ;   in Loop: Header=BB42_7 Depth=1
	s_wait_alu 0xfffe
	s_or_b32 exec_lo, exec_lo, s13
	s_branch .LBB42_37
.LBB42_58:                              ;   in Loop: Header=BB42_7 Depth=1
	s_mul_u64 s[10:11], s[58:59], s[62:63]
	v_dual_mov_b32 v7, 0 :: v_dual_mov_b32 v8, 0
	s_wait_alu 0xfffe
	s_mul_i32 s9, s11, s51
	v_dual_mov_b32 v9, 0 :: v_dual_mov_b32 v10, 0
	s_wait_alu 0xfffe
	s_sub_co_i32 s9, s58, s9
	s_mov_b32 s94, exec_lo
	s_wait_alu 0xfffe
	s_sub_co_i32 s10, s9, s51
	s_cmp_ge_u32 s9, s51
	s_wait_alu 0xfffe
	s_cselect_b32 s9, s10, s9
	s_wait_alu 0xfffe
	s_sub_co_i32 s10, s9, s51
	s_cmp_ge_u32 s9, s51
	s_wait_alu 0xfffe
	s_cselect_b32 s9, s10, s9
	s_wait_alu 0xfffe
	s_sub_co_i32 s93, s58, s9
	s_wait_alu 0xfffe
	v_cmpx_gt_u32_e64 s93, v28
	s_cbranch_execz .LBB42_62
; %bb.59:                               ;   in Loop: Header=BB42_7 Depth=1
	v_mov_b32_e32 v1, v38
	v_mov_b32_e32 v3, v28
	s_mov_b32 s95, 0
	s_mov_b32 s96, 0
	;; [unrolled: 1-line block ×5, first 2 shown]
.LBB42_60:                              ;   Parent Loop BB42_7 Depth=1
                                        ; =>  This Inner Loop Header: Depth=2
	ds_load_b128 v[7:10], v1
	s_wait_loadcnt 0x0
	ds_load_b128 v[23:26], v1 offset:16
	s_wait_dscnt 0x1
	v_cmp_o_f64_e64 s9, v[7:8], v[7:8]
	v_cmp_o_f64_e64 s10, v[9:10], v[9:10]
	s_wait_dscnt 0x0
	v_cmp_o_f64_e64 s11, v[23:24], v[23:24]
	v_cmp_o_f64_e64 s12, v[25:26], v[25:26]
	v_ashrrev_i32_e32 v4, 31, v8
	v_ashrrev_i32_e32 v12, 31, v10
	;; [unrolled: 1-line block ×4, first 2 shown]
	s_delay_alu instid0(VALU_DEP_4) | instskip(NEXT) | instid1(VALU_DEP_4)
	v_or_b32_e32 v46, 0x80000000, v4
	v_or_b32_e32 v48, 0x80000000, v12
	s_delay_alu instid0(VALU_DEP_4) | instskip(NEXT) | instid1(VALU_DEP_4)
	v_or_b32_e32 v49, 0x80000000, v42
	v_or_b32_e32 v50, 0x80000000, v44
	v_xor_b32_e32 v4, v4, v7
	v_xor_b32_e32 v46, v46, v8
	;; [unrolled: 1-line block ×8, first 2 shown]
	s_wait_alu 0xf1ff
	v_cndmask_b32_e64 v8, -1, v46, s9
	v_cndmask_b32_e64 v10, -1, v7, s10
	v_cndmask_b32_e64 v7, -1, v4, s9
	v_cndmask_b32_e64 v24, -1, v9, s11
	v_cndmask_b32_e64 v9, -1, v12, s10
	v_cndmask_b32_e64 v26, -1, v23, s12
	v_cndmask_b32_e64 v23, -1, v42, s11
	v_dual_mov_b32 v43, v13 :: v_dual_and_b32 v48, v7, v21
	v_and_b32_e32 v49, v8, v22
	v_lshrrev_b64 v[7:8], s92, v[7:8]
	v_cndmask_b32_e64 v25, -1, v44, s12
	v_and_b32_e32 v50, v9, v21
	v_lshrrev_b64 v[8:9], s92, v[9:10]
	v_and_b32_e32 v51, v10, v22
	v_lshrrev_b64 v[9:10], s92, v[23:24]
	v_dual_mov_b32 v45, v13 :: v_dual_and_b32 v52, v23, v21
	v_dual_mov_b32 v47, v13 :: v_dual_and_b32 v12, 3, v7
	v_and_b32_e32 v53, v24, v22
	v_lshrrev_b64 v[23:24], s92, v[25:26]
	v_and_b32_e32 v42, 3, v8
	v_and_b32_e32 v44, 3, v9
	v_cmp_eq_u64_e64 s9, v[48:49], v[18:19]
	v_cmp_eq_u64_e64 s13, 0, v[12:13]
	v_and_b32_e32 v55, v26, v22
	v_and_b32_e32 v54, v25, v21
	;; [unrolled: 1-line block ×3, first 2 shown]
	v_cmp_eq_u64_e64 s10, v[50:51], v[18:19]
	v_cmp_eq_u64_e64 s14, 0, v[42:43]
	v_cmp_eq_u64_e64 s11, v[52:53], v[18:19]
	v_cmp_eq_u64_e64 s15, 0, v[44:45]
	v_cmp_eq_u64_e64 s12, v[54:55], v[18:19]
	v_cmp_eq_u64_e64 s16, 0, v[46:47]
	s_and_b32 s13, s9, s13
	v_cmp_eq_u64_e64 s17, 1, v[12:13]
	s_wait_alu 0xfffe
	v_cndmask_b32_e64 v4, 0, 1, s13
	s_and_b32 s13, s10, s14
	v_cmp_eq_u64_e64 s18, 1, v[42:43]
	s_wait_alu 0xfffe
	v_cndmask_b32_e64 v7, 0, 1, s13
	;; [unrolled: 4-line block ×4, first 2 shown]
	s_and_b32 s13, s9, s17
	v_cmp_eq_u64_e64 s21, 2, v[12:13]
	v_cmp_eq_u64_e64 s25, 3, v[12:13]
	s_wait_alu 0xfffe
	v_cndmask_b32_e64 v10, 0, 1, s13
	s_and_b32 s13, s10, s18
	v_cmp_eq_u64_e64 s22, 2, v[42:43]
	v_cmp_eq_u64_e64 s26, 3, v[42:43]
	s_wait_alu 0xfffe
	v_cndmask_b32_e64 v12, 0, 1, s13
	;; [unrolled: 5-line block ×4, first 2 shown]
	s_and_b32 s13, s9, s21
	s_and_b32 s9, s9, s25
	s_wait_alu 0xfffe
	v_cndmask_b32_e64 v25, 0, 1, s13
	s_and_b32 s13, s10, s22
	v_cndmask_b32_e64 v44, 0, 1, s9
	s_and_b32 s9, s10, s26
	s_wait_alu 0xfffe
	v_cndmask_b32_e64 v26, 0, 1, s13
	s_and_b32 s13, s11, s23
	v_cndmask_b32_e64 v45, 0, 1, s9
	;; [unrolled: 5-line block ×3, first 2 shown]
	s_and_b32 s9, s12, s28
	s_wait_alu 0xfffe
	v_cndmask_b32_e64 v43, 0, 1, s13
	v_cndmask_b32_e64 v47, 0, 1, s9
	v_cmp_ne_u32_e64 s9, 0, v4
	v_cmp_ne_u32_e64 s13, 0, v10
	;; [unrolled: 1-line block ×7, first 2 shown]
	s_bcnt1_i32_b32 s9, s9
	s_bcnt1_i32_b32 s13, s13
	v_cmp_ne_u32_e64 s16, 0, v24
	v_cmp_ne_u32_e64 s18, 0, v26
	;; [unrolled: 1-line block ×3, first 2 shown]
	s_bcnt1_i32_b32 s10, s10
	s_bcnt1_i32_b32 s14, s14
	s_wait_alu 0xfffe
	s_add_co_i32 s9, s9, s99
	s_add_co_i32 s13, s13, s98
	v_cmp_ne_u32_e64 s11, 0, v8
	v_cmp_ne_u32_e64 s19, 0, v42
	;; [unrolled: 1-line block ×3, first 2 shown]
	s_bcnt1_i32_b32 s15, s15
	s_wait_alu 0xfffe
	s_add_co_i32 s9, s9, s10
	s_add_co_i32 s10, s13, s14
	s_bcnt1_i32_b32 s17, s17
	s_bcnt1_i32_b32 s21, s21
	v_cmp_ne_u32_e64 s12, 0, v9
	v_cmp_ne_u32_e64 s20, 0, v43
	;; [unrolled: 1-line block ×3, first 2 shown]
	s_bcnt1_i32_b32 s16, s16
	s_wait_alu 0xfffe
	s_add_co_i32 s10, s10, s15
	s_bcnt1_i32_b32 s18, s18
	s_bcnt1_i32_b32 s22, s22
	s_add_co_i32 s17, s17, s97
	s_add_co_i32 s21, s21, s96
	s_wait_alu 0xfffe
	s_add_co_i32 s98, s10, s16
	s_wait_alu 0xfffe
	v_dual_mov_b32 v8, s98 :: v_dual_add_nc_u32 v3, s51, v3
	s_bcnt1_i32_b32 s11, s11
	s_bcnt1_i32_b32 s19, s19
	;; [unrolled: 1-line block ×3, first 2 shown]
	s_add_co_i32 s13, s17, s18
	s_add_co_i32 s14, s21, s22
	s_bcnt1_i32_b32 s12, s12
	s_bcnt1_i32_b32 s20, s20
	;; [unrolled: 1-line block ×3, first 2 shown]
	s_wait_alu 0xfffe
	s_add_co_i32 s9, s9, s11
	s_add_co_i32 s11, s13, s19
	;; [unrolled: 1-line block ×3, first 2 shown]
	v_cmp_le_i32_e32 vcc_lo, s93, v3
	s_wait_alu 0xfffe
	s_add_co_i32 s99, s9, s12
	s_add_co_i32 s97, s11, s20
	s_add_co_i32 s96, s13, s24
	s_wait_alu 0xfffe
	v_dual_mov_b32 v10, s96 :: v_dual_add_nc_u32 v1, s84, v1
	v_mov_b32_e32 v7, s99
	v_mov_b32_e32 v9, s97
	s_or_b32 s95, vcc_lo, s95
	s_wait_alu 0xfffe
	s_and_not1_b32 exec_lo, exec_lo, s95
	s_cbranch_execnz .LBB42_60
; %bb.61:                               ;   in Loop: Header=BB42_7 Depth=1
	s_or_b32 exec_lo, exec_lo, s95
.LBB42_62:                              ;   in Loop: Header=BB42_7 Depth=1
	s_delay_alu instid0(SALU_CYCLE_1) | instskip(SKIP_2) | instid1(VALU_DEP_1)
	s_or_b32 exec_lo, exec_lo, s94
	v_add_nc_u32_e32 v1, s93, v0
	s_mov_b32 s14, exec_lo
	v_cmpx_gt_i32_e64 s58, v1
	s_cbranch_execz .LBB42_66
; %bb.63:                               ;   in Loop: Header=BB42_7 Depth=1
	v_lshlrev_b32_e32 v3, 3, v1
	s_mov_b32 s15, 0
.LBB42_64:                              ;   Parent Loop BB42_7 Depth=1
                                        ; =>  This Inner Loop Header: Depth=2
	ds_load_b64 v[23:24], v3
	v_add_nc_u32_e32 v3, s85, v3
	s_wait_dscnt 0x0
	v_cmp_o_f64_e32 vcc_lo, v[23:24], v[23:24]
	v_ashrrev_i32_e32 v4, 31, v24
	s_delay_alu instid0(VALU_DEP_1) | instskip(SKIP_1) | instid1(VALU_DEP_2)
	v_or_b32_e32 v12, 0x80000000, v4
	v_xor_b32_e32 v4, v4, v23
	v_xor_b32_e32 v12, v12, v24
	s_wait_alu 0xfffd
	s_delay_alu instid0(VALU_DEP_1) | instskip(NEXT) | instid1(VALU_DEP_1)
	v_dual_cndmask_b32 v24, -1, v12 :: v_dual_add_nc_u32 v1, s49, v1
	v_cmp_le_i32_e64 s9, s58, v1
	s_wait_loadcnt 0x0
	s_delay_alu instid0(VALU_DEP_2) | instskip(NEXT) | instid1(VALU_DEP_1)
	v_dual_cndmask_b32 v23, -1, v4 :: v_dual_and_b32 v26, v24, v22
	v_and_b32_e32 v25, v23, v21
	v_lshrrev_b64 v[23:24], s92, v[23:24]
	s_delay_alu instid0(VALU_DEP_2) | instskip(NEXT) | instid1(VALU_DEP_2)
	v_cmp_eq_u64_e32 vcc_lo, v[25:26], v[18:19]
	v_and_b32_e32 v12, 3, v23
	s_delay_alu instid0(VALU_DEP_1)
	v_cmp_eq_u64_e64 s10, 0, v[12:13]
	v_cmp_eq_u64_e64 s11, 1, v[12:13]
	;; [unrolled: 1-line block ×4, first 2 shown]
	s_and_b32 s10, vcc_lo, s10
	s_wait_alu 0xfffe
	v_cndmask_b32_e64 v4, 0, 1, s10
	s_and_b32 s10, vcc_lo, s11
	s_wait_alu 0xfffe
	v_cndmask_b32_e64 v12, 0, 1, s10
	s_and_b32 s10, vcc_lo, s12
	s_wait_alu 0xfffe
	v_cndmask_b32_e64 v23, 0, 1, s10
	s_and_b32 s10, vcc_lo, s13
	v_cmp_ne_u32_e32 vcc_lo, 0, v4
	s_wait_alu 0xfffe
	v_cndmask_b32_e64 v24, 0, 1, s10
	v_cmp_ne_u32_e64 s10, 0, v12
	v_cmp_ne_u32_e64 s11, 0, v23
	s_bcnt1_i32_b32 s13, vcc_lo
	v_cmp_ne_u32_e64 s12, 0, v24
	s_bcnt1_i32_b32 s10, s10
	s_bcnt1_i32_b32 s11, s11
	s_wait_alu 0xfffe
	v_add_nc_u32_e32 v7, s13, v7
	v_add_nc_u32_e32 v8, s10, v8
	s_bcnt1_i32_b32 s12, s12
	v_add_nc_u32_e32 v9, s11, v9
	s_wait_alu 0xfffe
	v_add_nc_u32_e32 v10, s12, v10
	s_or_b32 s15, s9, s15
	s_wait_alu 0xfffe
	s_and_not1_b32 exec_lo, exec_lo, s15
	s_cbranch_execnz .LBB42_64
; %bb.65:                               ;   in Loop: Header=BB42_7 Depth=1
	s_or_b32 exec_lo, exec_lo, s15
.LBB42_66:                              ;   in Loop: Header=BB42_7 Depth=1
	s_wait_alu 0xfffe
	s_or_b32 exec_lo, exec_lo, s14
	v_lshlrev_b32_e32 v1, 7, v40
	s_and_saveexec_b32 s9, s0
	s_cbranch_execnz .LBB42_38
	s_branch .LBB42_39
.LBB42_67:                              ;   in Loop: Header=BB42_7 Depth=1
	s_wait_alu 0xfffe
	s_or_b32 exec_lo, exec_lo, s11
	s_wait_loadcnt_dscnt 0x0
	s_barrier_signal -1
	s_barrier_wait -1
	global_inv scope:SCOPE_SE
	s_and_saveexec_b32 s9, s2
	s_cbranch_execz .LBB42_69
; %bb.68:                               ;   in Loop: Header=BB42_7 Depth=1
	ds_load_b32 v1, v13 offset:4104
	s_wait_dscnt 0x0
	ds_store_b32 v13, v1 offset:4096
.LBB42_69:                              ;   in Loop: Header=BB42_7 Depth=1
	s_wait_alu 0xfffe
	s_or_b32 exec_lo, exec_lo, s9
	s_wait_loadcnt_dscnt 0x0
	s_barrier_signal -1
	s_mov_b32 s9, -1
	s_barrier_wait -1
	s_and_b32 vcc_lo, exec_lo, s10
	s_wait_alu 0xfffe
	s_cbranch_vccnz .LBB42_23
	s_branch .LBB42_33
.LBB42_70:                              ;   in Loop: Header=BB42_7 Depth=1
	v_mov_b32_e32 v3, 0
	s_mov_b32 s10, 0
	s_and_not1_b32 vcc_lo, exec_lo, s80
	s_wait_alu 0xfffe
	s_cbranch_vccnz .LBB42_73
.LBB42_71:                              ;   in Loop: Header=BB42_7 Depth=1
	v_lshlrev_b32_e32 v4, 9, v40
	s_lshl_b32 s10, s10, 4
	s_wait_alu 0xfffe
	s_delay_alu instid0(VALU_DEP_1)
	v_add3_u32 v4, v4, s10, v39
	s_mov_b32 s10, s77
.LBB42_72:                              ;   Parent Loop BB42_7 Depth=1
                                        ; =>  This Inner Loop Header: Depth=2
	ds_load_b32 v7, v4
	v_add_nc_u32_e32 v4, 16, v4
	s_wait_alu 0xfffe
	s_add_co_i32 s10, s10, -1
	s_wait_alu 0xfffe
	s_cmp_lg_u32 s10, 0
	s_wait_dscnt 0x0
	v_add_nc_u32_e32 v3, v7, v3
	s_cbranch_scc1 .LBB42_72
.LBB42_73:                              ;   in Loop: Header=BB42_7 Depth=1
	v_add_lshl_u32 v4, v1, v27, 2
	ds_store_b32 v4, v3 offset:3072
.LBB42_74:                              ;   in Loop: Header=BB42_7 Depth=1
	s_wait_alu 0xfffe
	s_or_b32 exec_lo, exec_lo, s9
	v_lshlrev_b32_e32 v1, 2, v1
	s_wait_loadcnt_dscnt 0x0
	s_barrier_signal -1
	s_barrier_wait -1
	global_inv scope:SCOPE_SE
	ds_load_b128 v[7:10], v1 offset:3072
	s_lshl_b64 s[10:11], 3, s92
	v_cmp_eq_u32_e32 vcc_lo, 1, v41
	s_wait_alu 0xfffe
	s_not_b64 s[12:13], s[10:11]
	s_mov_b32 s16, -1
	s_mov_b32 s18, -1
                                        ; implicit-def: $sgpr22
                                        ; implicit-def: $sgpr20
	s_wait_dscnt 0x0
	v_readfirstlane_b32 s15, v7
	v_readfirstlane_b32 s21, v8
	;; [unrolled: 1-line block ×4, first 2 shown]
	s_cmp_eq_u32 s15, 1
	s_cselect_b32 s14, -1, 0
	s_wait_alu 0xfffe
	s_and_b32 s17, s14, vcc_lo
	s_wait_alu 0xfffe
	s_and_saveexec_b32 s14, s17
	s_cbranch_execz .LBB42_102
; %bb.75:                               ;   in Loop: Header=BB42_7 Depth=1
	ds_load_b32 v1, v13 offset:4096
	s_wait_loadcnt_dscnt 0x0
	s_barrier_signal -1
	s_barrier_wait -1
	global_inv scope:SCOPE_SE
	v_readfirstlane_b32 s18, v1
	s_and_saveexec_b32 s20, s1
; %bb.76:                               ;   in Loop: Header=BB42_7 Depth=1
	v_mov_b32_e32 v12, v13
	ds_store_b64 v30, v[12:13]
; %bb.77:                               ;   in Loop: Header=BB42_7 Depth=1
	s_wait_alu 0xfffe
	s_or_b32 exec_lo, exec_lo, s20
	v_and_b32_e32 v19, s13, v19
	v_and_b32_e32 v18, s12, v18
	v_or_b32_e32 v22, s11, v22
	v_or_b32_e32 v21, s10, v21
	s_mov_b32 s20, -1
	s_mov_b32 s22, 0
	s_cmp_lt_i32 s18, 1
	s_mov_b32 s23, 0
	s_mov_b32 s24, -1
	s_wait_loadcnt_dscnt 0x0
	s_barrier_signal -1
	s_barrier_wait -1
	global_inv scope:SCOPE_SE
                                        ; implicit-def: $vgpr5_vgpr6
	s_cbranch_scc0 .LBB42_89
; %bb.78:                               ;   in Loop: Header=BB42_7 Depth=1
	s_mov_b32 s24, 0
                                        ; implicit-def: $vgpr5_vgpr6
	s_and_saveexec_b32 s25, s8
	s_cbranch_execz .LBB42_88
; %bb.79:                               ;   in Loop: Header=BB42_7 Depth=1
	v_mov_b32_e32 v7, v11
	v_mov_b32_e32 v9, v0
                                        ; implicit-def: $sgpr26
	s_branch .LBB42_83
.LBB42_80:                              ;   in Loop: Header=BB42_83 Depth=2
	s_wait_alu 0xfffe
	s_or_b32 exec_lo, exec_lo, s27
	s_wait_loadcnt_dscnt 0x0
	s_barrier_signal -1
	s_barrier_wait -1
	global_inv scope:SCOPE_SE
	ds_load_b128 v[3:6], v13 offset:3072
	s_wait_loadcnt_dscnt 0x0
	s_barrier_signal -1
	s_barrier_wait -1
	global_inv scope:SCOPE_SE
	v_cmp_neq_f64_e32 vcc_lo, 0, v[3:4]
	s_cbranch_vccnz .LBB42_86
; %bb.81:                               ;   in Loop: Header=BB42_83 Depth=2
	v_add_nc_u32_e32 v9, s49, v9
	v_add_nc_u32_e32 v7, s73, v7
	s_mov_b32 s27, 0
	s_delay_alu instid0(VALU_DEP_2)
	v_cmp_le_i32_e32 vcc_lo, s82, v9
	s_or_not1_b32 s28, vcc_lo, exec_lo
.LBB42_82:                              ;   in Loop: Header=BB42_83 Depth=2
	s_delay_alu instid0(SALU_CYCLE_1)
	s_and_b32 s28, exec_lo, s28
	s_wait_alu 0xfffe
	s_or_b32 s23, s28, s23
	s_and_not1_b32 s26, s26, exec_lo
	s_and_b32 s27, s27, exec_lo
	s_wait_alu 0xfffe
	s_or_b32 s26, s26, s27
	s_and_not1_b32 exec_lo, exec_lo, s23
	s_cbranch_execz .LBB42_87
.LBB42_83:                              ;   Parent Loop BB42_7 Depth=1
                                        ; =>  This Inner Loop Header: Depth=2
	s_mov_b32 s27, exec_lo
	s_delay_alu instid0(VALU_DEP_1)
	v_cmpx_gt_i32_e64 s36, v9
	s_cbranch_execz .LBB42_80
; %bb.84:                               ;   in Loop: Header=BB42_83 Depth=2
	v_ashrrev_i32_e32 v8, 31, v7
	s_delay_alu instid0(VALU_DEP_1) | instskip(NEXT) | instid1(VALU_DEP_1)
	v_lshlrev_b64_e32 v[3:4], 3, v[7:8]
	v_add_co_u32 v3, vcc_lo, s60, v3
	s_wait_alu 0xfffd
	s_delay_alu instid0(VALU_DEP_2) | instskip(SKIP_4) | instid1(VALU_DEP_1)
	v_add_co_ci_u32_e64 v4, null, s61, v4, vcc_lo
	global_load_b64 v[3:4], v[3:4], off
	s_wait_loadcnt 0x0
	v_cmp_o_f64_e32 vcc_lo, v[3:4], v[3:4]
	v_ashrrev_i32_e32 v1, 31, v4
	v_or_b32_e32 v5, 0x80000000, v1
	v_xor_b32_e32 v1, v1, v3
	s_delay_alu instid0(VALU_DEP_2) | instskip(SKIP_1) | instid1(VALU_DEP_1)
	v_xor_b32_e32 v5, v5, v4
	s_wait_alu 0xfffd
	v_cndmask_b32_e32 v5, -1, v5, vcc_lo
	s_delay_alu instid0(VALU_DEP_1) | instskip(NEXT) | instid1(VALU_DEP_1)
	v_dual_cndmask_b32 v1, -1, v1 :: v_dual_and_b32 v6, v5, v22
	v_and_b32_e32 v5, v1, v21
	s_delay_alu instid0(VALU_DEP_1)
	v_cmp_eq_u64_e32 vcc_lo, v[5:6], v[18:19]
	s_and_b32 exec_lo, exec_lo, vcc_lo
	s_cbranch_execz .LBB42_80
; %bb.85:                               ;   in Loop: Header=BB42_83 Depth=2
	v_mov_b32_e32 v1, v13
	ds_store_b128 v13, v[1:4] offset:3072
	s_branch .LBB42_80
.LBB42_86:                              ;   in Loop: Header=BB42_83 Depth=2
	s_mov_b32 s28, -1
	s_mov_b32 s27, -1
                                        ; implicit-def: $vgpr9
                                        ; implicit-def: $vgpr7
	s_branch .LBB42_82
.LBB42_87:                              ;   in Loop: Header=BB42_7 Depth=1
	s_or_b32 exec_lo, exec_lo, s23
	s_wait_alu 0xfffe
	s_and_b32 s23, s26, exec_lo
.LBB42_88:                              ;   in Loop: Header=BB42_7 Depth=1
	s_wait_alu 0xfffe
	s_or_b32 exec_lo, exec_lo, s25
.LBB42_89:                              ;   in Loop: Header=BB42_7 Depth=1
	s_wait_alu 0xfffe
	s_and_b32 vcc_lo, exec_lo, s24
	s_wait_alu 0xfffe
	s_cbranch_vccz .LBB42_101
; %bb.90:                               ;   in Loop: Header=BB42_7 Depth=1
	s_add_co_i32 s22, s18, s56
                                        ; implicit-def: $vgpr5_vgpr6
	s_wait_alu 0xfffe
	s_abs_i32 s58, s22
	s_wait_alu 0xfffe
	s_mul_u64 s[24:25], s[58:59], s[64:65]
	s_ashr_i32 s24, s22, 31
	s_wait_alu 0xfffe
	s_mul_i32 s20, s25, s49
	s_wait_alu 0xfffe
	s_sub_co_i32 s20, s58, s20
	s_wait_alu 0xfffe
	s_sub_co_i32 s25, s20, s49
	s_cmp_ge_u32 s20, s49
	s_wait_alu 0xfffe
	s_cselect_b32 s20, s25, s20
	s_wait_alu 0xfffe
	s_sub_co_i32 s25, s20, s49
	s_cmp_ge_u32 s20, s49
	s_wait_alu 0xfffe
	s_cselect_b32 s20, s25, s20
	s_wait_alu 0xfffe
	s_xor_b32 s20, s20, s24
	s_wait_alu 0xfffe
	s_sub_co_i32 s20, s24, s20
	s_wait_alu 0xfffe
	s_add_co_i32 s22, s22, s20
	s_mov_b32 s20, exec_lo
	s_wait_alu 0xfffe
	v_cmpx_gt_i32_e64 s22, v0
	s_cbranch_execz .LBB42_100
; %bb.91:                               ;   in Loop: Header=BB42_7 Depth=1
	v_dual_mov_b32 v7, v29 :: v_dual_mov_b32 v8, v0
	s_mov_b32 s25, 0
                                        ; implicit-def: $sgpr24
	s_branch .LBB42_95
.LBB42_92:                              ;   in Loop: Header=BB42_95 Depth=2
	s_wait_alu 0xfffe
	s_or_b32 exec_lo, exec_lo, s26
	s_wait_loadcnt_dscnt 0x0
	s_barrier_signal -1
	s_barrier_wait -1
	global_inv scope:SCOPE_SE
	ds_load_b128 v[3:6], v13 offset:3072
	s_wait_loadcnt_dscnt 0x0
	s_barrier_signal -1
	s_barrier_wait -1
	global_inv scope:SCOPE_SE
	v_cmp_neq_f64_e32 vcc_lo, 0, v[3:4]
	s_cbranch_vccnz .LBB42_98
; %bb.93:                               ;   in Loop: Header=BB42_95 Depth=2
	v_add_nc_u32_e32 v8, s49, v8
	v_add_nc_u32_e32 v7, s85, v7
	s_mov_b32 s26, 0
	s_delay_alu instid0(VALU_DEP_2)
	v_cmp_le_i32_e32 vcc_lo, s22, v8
	s_or_not1_b32 s27, vcc_lo, exec_lo
.LBB42_94:                              ;   in Loop: Header=BB42_95 Depth=2
	s_wait_alu 0xfffe
	s_and_b32 s27, exec_lo, s27
	s_wait_alu 0xfffe
	s_or_b32 s25, s27, s25
	s_and_not1_b32 s24, s24, exec_lo
	s_and_b32 s26, s26, exec_lo
	s_wait_alu 0xfffe
	s_or_b32 s24, s24, s26
	s_and_not1_b32 exec_lo, exec_lo, s25
	s_cbranch_execz .LBB42_99
.LBB42_95:                              ;   Parent Loop BB42_7 Depth=1
                                        ; =>  This Inner Loop Header: Depth=2
	s_mov_b32 s26, exec_lo
	s_delay_alu instid0(VALU_DEP_1)
	v_cmpx_gt_i32_e64 s18, v8
	s_cbranch_execz .LBB42_92
; %bb.96:                               ;   in Loop: Header=BB42_95 Depth=2
	ds_load_b64 v[3:4], v7
	s_wait_dscnt 0x0
	v_cmp_o_f64_e32 vcc_lo, v[3:4], v[3:4]
	v_ashrrev_i32_e32 v1, 31, v4
	s_delay_alu instid0(VALU_DEP_1) | instskip(SKIP_1) | instid1(VALU_DEP_2)
	v_or_b32_e32 v5, 0x80000000, v1
	v_xor_b32_e32 v1, v1, v3
	v_xor_b32_e32 v5, v5, v4
	s_wait_alu 0xfffd
	s_delay_alu instid0(VALU_DEP_1) | instskip(NEXT) | instid1(VALU_DEP_1)
	v_cndmask_b32_e32 v5, -1, v5, vcc_lo
	v_dual_cndmask_b32 v1, -1, v1 :: v_dual_and_b32 v6, v5, v22
	s_delay_alu instid0(VALU_DEP_1) | instskip(NEXT) | instid1(VALU_DEP_1)
	v_and_b32_e32 v5, v1, v21
	v_cmp_eq_u64_e32 vcc_lo, v[5:6], v[18:19]
	s_and_b32 exec_lo, exec_lo, vcc_lo
	s_cbranch_execz .LBB42_92
; %bb.97:                               ;   in Loop: Header=BB42_95 Depth=2
	v_mov_b32_e32 v1, v13
	ds_store_b128 v13, v[1:4] offset:3072
	s_branch .LBB42_92
.LBB42_98:                              ;   in Loop: Header=BB42_95 Depth=2
	s_mov_b32 s27, -1
	s_mov_b32 s26, -1
                                        ; implicit-def: $vgpr8
                                        ; implicit-def: $vgpr7
	s_branch .LBB42_94
.LBB42_99:                              ;   in Loop: Header=BB42_7 Depth=1
	s_or_b32 exec_lo, exec_lo, s25
	s_delay_alu instid0(SALU_CYCLE_1)
	s_and_not1_b32 s18, s23, exec_lo
	s_wait_alu 0xfffe
	s_and_b32 s22, s24, exec_lo
	s_wait_alu 0xfffe
	s_or_b32 s23, s18, s22
.LBB42_100:                             ;   in Loop: Header=BB42_7 Depth=1
	s_or_b32 exec_lo, exec_lo, s20
	s_mov_b32 s20, 0
	s_mov_b32 s22, -1
.LBB42_101:                             ;   in Loop: Header=BB42_7 Depth=1
	s_wait_alu 0xfffe
	s_or_not1_b32 s18, s23, exec_lo
.LBB42_102:                             ;   in Loop: Header=BB42_7 Depth=1
	s_wait_alu 0xfffe
	s_or_b32 exec_lo, exec_lo, s14
	v_readfirstlane_b32 s23, v0
	s_and_not1_b32 s14, s90, exec_lo
	s_and_b32 s22, s22, exec_lo
	s_and_not1_b32 s24, s88, exec_lo
	s_and_b32 s20, s20, exec_lo
	s_and_not1_b32 s87, s87, exec_lo
	s_wait_alu 0xfffe
	s_or_b32 s90, s14, s22
	s_or_b32 s88, s24, s20
                                        ; implicit-def: $vgpr10
	s_and_saveexec_b32 s14, s18
	s_cbranch_execz .LBB42_6
; %bb.103:                              ;   in Loop: Header=BB42_7 Depth=1
	v_dual_mov_b32 v10, 1 :: v_dual_mov_b32 v9, 1
	s_xor_b32 s17, s17, -1
	s_mov_b32 s22, 0
	s_wait_alu 0xfffe
	s_and_saveexec_b32 s16, s17
	s_cbranch_execz .LBB42_112
; %bb.104:                              ;   in Loop: Header=BB42_7 Depth=1
	s_mov_b32 s17, exec_lo
	v_cmpx_ge_i32_e64 s15, v41
	s_wait_alu 0xfffe
	s_xor_b32 s17, exec_lo, s17
	s_cbranch_execz .LBB42_109
; %bb.105:                              ;   in Loop: Header=BB42_7 Depth=1
	ds_load_b32 v1, v13 offset:4096
	v_and_b32_e32 v19, s13, v19
	v_and_b32_e32 v18, s12, v18
	v_or_b32_e32 v22, s11, v22
	v_or_b32_e32 v21, s10, v21
	s_wait_dscnt 0x0
	v_cmp_ne_u32_e32 vcc_lo, 0, v1
	s_cbranch_vccnz .LBB42_109
; %bb.106:                              ;   in Loop: Header=BB42_7 Depth=1
	s_and_saveexec_b32 s18, s2
; %bb.107:                              ;   in Loop: Header=BB42_7 Depth=1
	v_mov_b32_e32 v1, s15
	ds_store_b32 v13, v1 offset:4100
; %bb.108:                              ;   in Loop: Header=BB42_7 Depth=1
	s_wait_alu 0xfffe
	s_or_b32 exec_lo, exec_lo, s18
	s_wait_loadcnt_dscnt 0x0
	s_barrier_signal -1
	s_barrier_wait -1
	global_inv scope:SCOPE_SE
.LBB42_109:                             ;   in Loop: Header=BB42_7 Depth=1
	s_wait_alu 0xfffe
	s_or_saveexec_b32 s17, s17
	v_mov_b32_e32 v9, 8
	s_mov_b32 s18, 0
	s_wait_alu 0xfffe
	s_xor_b32 exec_lo, exec_lo, s17
; %bb.110:                              ;   in Loop: Header=BB42_7 Depth=1
	v_subrev_nc_u32_e32 v41, s15, v41
	v_mov_b32_e32 v9, 0
	s_mov_b32 s18, exec_lo
; %bb.111:                              ;   in Loop: Header=BB42_7 Depth=1
	s_or_b32 exec_lo, exec_lo, s17
	s_delay_alu instid0(VALU_DEP_2)
	v_mov_b32_e32 v10, v41
	s_wait_alu 0xfffe
	s_and_b32 s22, s18, exec_lo
.LBB42_112:                             ;   in Loop: Header=BB42_7 Depth=1
	s_wait_alu 0xfffe
	s_or_b32 exec_lo, exec_lo, s16
	s_mov_b32 s15, -1
	s_mov_b32 s20, -1
                                        ; implicit-def: $sgpr17
                                        ; implicit-def: $sgpr18
	s_and_saveexec_b32 s16, s22
	s_wait_alu 0xfffe
	s_xor_b32 s16, exec_lo, s16
	s_cbranch_execz .LBB42_235
; %bb.113:                              ;   in Loop: Header=BB42_7 Depth=1
	v_cmp_eq_u32_e32 vcc_lo, 1, v10
	s_cmp_eq_u32 s21, 1
	s_mov_b32 s23, -1
	s_cselect_b32 s17, -1, 0
                                        ; implicit-def: $sgpr18
	s_wait_alu 0xfffe
	s_and_b32 s22, s17, vcc_lo
                                        ; implicit-def: $sgpr17
	s_wait_alu 0xfffe
	s_and_saveexec_b32 s20, s22
	s_cbranch_execz .LBB42_141
; %bb.114:                              ;   in Loop: Header=BB42_7 Depth=1
	ds_load_b32 v1, v13 offset:4096
	s_wait_loadcnt_dscnt 0x0
	s_barrier_signal -1
	s_barrier_wait -1
	global_inv scope:SCOPE_SE
	v_readfirstlane_b32 s23, v1
	s_and_saveexec_b32 s17, s1
; %bb.115:                              ;   in Loop: Header=BB42_7 Depth=1
	v_mov_b32_e32 v12, v13
	ds_store_b64 v30, v[12:13]
; %bb.116:                              ;   in Loop: Header=BB42_7 Depth=1
	s_wait_alu 0xfffe
	s_or_b32 exec_lo, exec_lo, s17
	v_and_b32_e32 v1, s13, v19
	v_and_b32_e32 v3, s12, v18
	s_lshl_b64 s[24:25], 1, s92
	v_or_b32_e32 v22, s11, v22
	v_or_b32_e32 v21, s10, v21
	s_wait_alu 0xfffe
	v_or_b32_e32 v19, s25, v1
	v_or_b32_e32 v18, s24, v3
	s_mov_b32 s17, -1
	s_mov_b32 s18, 0
	s_cmp_gt_i32 s23, 0
	s_mov_b32 s24, 0
	s_mov_b32 s25, -1
	s_wait_loadcnt_dscnt 0x0
	s_barrier_signal -1
	s_barrier_wait -1
	global_inv scope:SCOPE_SE
                                        ; implicit-def: $vgpr5_vgpr6
	s_cbranch_scc1 .LBB42_128
; %bb.117:                              ;   in Loop: Header=BB42_7 Depth=1
	s_mov_b32 s25, 0
                                        ; implicit-def: $vgpr5_vgpr6
	s_and_saveexec_b32 s26, s8
	s_cbranch_execz .LBB42_127
; %bb.118:                              ;   in Loop: Header=BB42_7 Depth=1
	v_dual_mov_b32 v7, v11 :: v_dual_mov_b32 v12, v0
                                        ; implicit-def: $sgpr27
	s_branch .LBB42_122
.LBB42_119:                             ;   in Loop: Header=BB42_122 Depth=2
	s_or_b32 exec_lo, exec_lo, s28
	s_wait_loadcnt_dscnt 0x0
	s_barrier_signal -1
	s_barrier_wait -1
	global_inv scope:SCOPE_SE
	ds_load_b128 v[3:6], v13 offset:3072
	s_wait_loadcnt_dscnt 0x0
	s_barrier_signal -1
	s_barrier_wait -1
	global_inv scope:SCOPE_SE
	v_cmp_neq_f64_e32 vcc_lo, 0, v[3:4]
	s_cbranch_vccnz .LBB42_125
; %bb.120:                              ;   in Loop: Header=BB42_122 Depth=2
	v_add_nc_u32_e32 v12, s49, v12
	v_add_nc_u32_e32 v7, s73, v7
	s_mov_b32 s28, 0
	s_delay_alu instid0(VALU_DEP_2)
	v_cmp_le_i32_e32 vcc_lo, s82, v12
	s_or_not1_b32 s58, vcc_lo, exec_lo
.LBB42_121:                             ;   in Loop: Header=BB42_122 Depth=2
	s_wait_alu 0xfffe
	s_and_b32 s58, exec_lo, s58
	s_wait_alu 0xfffe
	s_or_b32 s24, s58, s24
	s_and_not1_b32 s27, s27, exec_lo
	s_and_b32 s28, s28, exec_lo
	s_wait_alu 0xfffe
	s_or_b32 s27, s27, s28
	s_and_not1_b32 exec_lo, exec_lo, s24
	s_cbranch_execz .LBB42_126
.LBB42_122:                             ;   Parent Loop BB42_7 Depth=1
                                        ; =>  This Inner Loop Header: Depth=2
	s_mov_b32 s28, exec_lo
	s_delay_alu instid0(VALU_DEP_1)
	v_cmpx_gt_i32_e64 s36, v12
	s_cbranch_execz .LBB42_119
; %bb.123:                              ;   in Loop: Header=BB42_122 Depth=2
	v_ashrrev_i32_e32 v8, 31, v7
	s_delay_alu instid0(VALU_DEP_1) | instskip(NEXT) | instid1(VALU_DEP_1)
	v_lshlrev_b64_e32 v[3:4], 3, v[7:8]
	v_add_co_u32 v3, vcc_lo, s60, v3
	s_wait_alu 0xfffd
	s_delay_alu instid0(VALU_DEP_2) | instskip(SKIP_4) | instid1(VALU_DEP_1)
	v_add_co_ci_u32_e64 v4, null, s61, v4, vcc_lo
	global_load_b64 v[3:4], v[3:4], off
	s_wait_loadcnt 0x0
	v_cmp_o_f64_e32 vcc_lo, v[3:4], v[3:4]
	v_ashrrev_i32_e32 v1, 31, v4
	v_or_b32_e32 v5, 0x80000000, v1
	v_xor_b32_e32 v1, v1, v3
	s_delay_alu instid0(VALU_DEP_2) | instskip(SKIP_1) | instid1(VALU_DEP_1)
	v_xor_b32_e32 v5, v5, v4
	s_wait_alu 0xfffd
	v_cndmask_b32_e32 v5, -1, v5, vcc_lo
	s_delay_alu instid0(VALU_DEP_1) | instskip(NEXT) | instid1(VALU_DEP_1)
	v_dual_cndmask_b32 v1, -1, v1 :: v_dual_and_b32 v6, v5, v22
	v_and_b32_e32 v5, v1, v21
	s_delay_alu instid0(VALU_DEP_1)
	v_cmp_eq_u64_e32 vcc_lo, v[5:6], v[18:19]
	s_and_b32 exec_lo, exec_lo, vcc_lo
	s_cbranch_execz .LBB42_119
; %bb.124:                              ;   in Loop: Header=BB42_122 Depth=2
	v_mov_b32_e32 v1, v13
	ds_store_b128 v13, v[1:4] offset:3072
	s_branch .LBB42_119
.LBB42_125:                             ;   in Loop: Header=BB42_122 Depth=2
	s_mov_b32 s58, -1
	s_mov_b32 s28, -1
                                        ; implicit-def: $vgpr12
                                        ; implicit-def: $vgpr7
	s_branch .LBB42_121
.LBB42_126:                             ;   in Loop: Header=BB42_7 Depth=1
	s_or_b32 exec_lo, exec_lo, s24
	s_wait_alu 0xfffe
	s_and_b32 s24, s27, exec_lo
.LBB42_127:                             ;   in Loop: Header=BB42_7 Depth=1
	s_wait_alu 0xfffe
	s_or_b32 exec_lo, exec_lo, s26
.LBB42_128:                             ;   in Loop: Header=BB42_7 Depth=1
	s_wait_alu 0xfffe
	s_and_b32 vcc_lo, exec_lo, s25
	s_wait_alu 0xfffe
	s_cbranch_vccz .LBB42_140
; %bb.129:                              ;   in Loop: Header=BB42_7 Depth=1
	s_add_co_i32 s18, s23, s56
                                        ; implicit-def: $vgpr5_vgpr6
	s_wait_alu 0xfffe
	s_abs_i32 s58, s18
	s_ashr_i32 s25, s18, 31
	s_wait_alu 0xfffe
	s_mul_u64 s[26:27], s[58:59], s[64:65]
	s_wait_alu 0xfffe
	s_mul_i32 s17, s27, s49
	s_wait_alu 0xfffe
	s_sub_co_i32 s17, s58, s17
	s_wait_alu 0xfffe
	s_sub_co_i32 s26, s17, s49
	s_cmp_ge_u32 s17, s49
	s_wait_alu 0xfffe
	s_cselect_b32 s17, s26, s17
	s_wait_alu 0xfffe
	s_sub_co_i32 s26, s17, s49
	s_cmp_ge_u32 s17, s49
	s_wait_alu 0xfffe
	s_cselect_b32 s17, s26, s17
	s_wait_alu 0xfffe
	s_xor_b32 s17, s17, s25
	s_wait_alu 0xfffe
	s_sub_co_i32 s17, s25, s17
	s_wait_alu 0xfffe
	s_add_co_i32 s18, s18, s17
	s_mov_b32 s17, exec_lo
	s_wait_alu 0xfffe
	v_cmpx_gt_i32_e64 s18, v0
	s_cbranch_execz .LBB42_139
; %bb.130:                              ;   in Loop: Header=BB42_7 Depth=1
	v_dual_mov_b32 v7, v29 :: v_dual_mov_b32 v8, v0
	s_mov_b32 s25, 0
                                        ; implicit-def: $sgpr26
	s_branch .LBB42_134
.LBB42_131:                             ;   in Loop: Header=BB42_134 Depth=2
	s_wait_alu 0xfffe
	s_or_b32 exec_lo, exec_lo, s27
	s_wait_loadcnt_dscnt 0x0
	s_barrier_signal -1
	s_barrier_wait -1
	global_inv scope:SCOPE_SE
	ds_load_b128 v[3:6], v13 offset:3072
	s_wait_loadcnt_dscnt 0x0
	s_barrier_signal -1
	s_barrier_wait -1
	global_inv scope:SCOPE_SE
	v_cmp_eq_f64_e32 vcc_lo, 0, v[3:4]
	s_cbranch_vccz .LBB42_137
; %bb.132:                              ;   in Loop: Header=BB42_134 Depth=2
	v_add_nc_u32_e32 v8, s49, v8
	v_add_nc_u32_e32 v7, s85, v7
	s_mov_b32 s27, 0
	s_delay_alu instid0(VALU_DEP_2)
	v_cmp_le_i32_e32 vcc_lo, s18, v8
	s_or_not1_b32 s28, vcc_lo, exec_lo
.LBB42_133:                             ;   in Loop: Header=BB42_134 Depth=2
	s_delay_alu instid0(SALU_CYCLE_1)
	s_and_b32 s28, exec_lo, s28
	s_wait_alu 0xfffe
	s_or_b32 s25, s28, s25
	s_and_not1_b32 s26, s26, exec_lo
	s_and_b32 s27, s27, exec_lo
	s_wait_alu 0xfffe
	s_or_b32 s26, s26, s27
	s_and_not1_b32 exec_lo, exec_lo, s25
	s_cbranch_execz .LBB42_138
.LBB42_134:                             ;   Parent Loop BB42_7 Depth=1
                                        ; =>  This Inner Loop Header: Depth=2
	s_mov_b32 s27, exec_lo
	s_delay_alu instid0(VALU_DEP_1)
	v_cmpx_gt_i32_e64 s23, v8
	s_cbranch_execz .LBB42_131
; %bb.135:                              ;   in Loop: Header=BB42_134 Depth=2
	ds_load_b64 v[3:4], v7
	s_wait_dscnt 0x0
	v_cmp_o_f64_e32 vcc_lo, v[3:4], v[3:4]
	v_ashrrev_i32_e32 v1, 31, v4
	s_delay_alu instid0(VALU_DEP_1) | instskip(SKIP_1) | instid1(VALU_DEP_2)
	v_or_b32_e32 v5, 0x80000000, v1
	v_xor_b32_e32 v1, v1, v3
	v_xor_b32_e32 v5, v5, v4
	s_wait_alu 0xfffd
	s_delay_alu instid0(VALU_DEP_1) | instskip(NEXT) | instid1(VALU_DEP_1)
	v_cndmask_b32_e32 v5, -1, v5, vcc_lo
	v_dual_cndmask_b32 v1, -1, v1 :: v_dual_and_b32 v6, v5, v22
	s_delay_alu instid0(VALU_DEP_1) | instskip(NEXT) | instid1(VALU_DEP_1)
	v_and_b32_e32 v5, v1, v21
	v_cmp_eq_u64_e32 vcc_lo, v[5:6], v[18:19]
	s_and_b32 exec_lo, exec_lo, vcc_lo
	s_cbranch_execz .LBB42_131
; %bb.136:                              ;   in Loop: Header=BB42_134 Depth=2
	v_mov_b32_e32 v1, v13
	ds_store_b128 v13, v[1:4] offset:3072
	s_branch .LBB42_131
.LBB42_137:                             ;   in Loop: Header=BB42_134 Depth=2
	s_mov_b32 s28, -1
	s_mov_b32 s27, -1
                                        ; implicit-def: $vgpr8
                                        ; implicit-def: $vgpr7
	s_branch .LBB42_133
.LBB42_138:                             ;   in Loop: Header=BB42_7 Depth=1
	s_or_b32 exec_lo, exec_lo, s25
	s_delay_alu instid0(SALU_CYCLE_1)
	s_and_not1_b32 s18, s24, exec_lo
	s_wait_alu 0xfffe
	s_and_b32 s23, s26, exec_lo
	s_wait_alu 0xfffe
	s_or_b32 s24, s18, s23
.LBB42_139:                             ;   in Loop: Header=BB42_7 Depth=1
	s_or_b32 exec_lo, exec_lo, s17
	s_mov_b32 s17, 0
	s_mov_b32 s18, -1
.LBB42_140:                             ;   in Loop: Header=BB42_7 Depth=1
	s_wait_alu 0xfffe
	s_or_not1_b32 s23, s24, exec_lo
.LBB42_141:                             ;   in Loop: Header=BB42_7 Depth=1
	s_wait_alu 0xfffe
	s_or_b32 exec_lo, exec_lo, s20
	s_mov_b32 s24, 0
	s_and_saveexec_b32 s20, s23
	s_cbranch_execz .LBB42_234
; %bb.142:                              ;   in Loop: Header=BB42_7 Depth=1
	v_mov_b32_e32 v23, 1
	v_mov_b32_e32 v9, 1
	s_xor_b32 s23, s22, -1
	s_mov_b32 s25, 0
	s_wait_alu 0xfffe
	s_and_saveexec_b32 s22, s23
	s_cbranch_execz .LBB42_151
; %bb.143:                              ;   in Loop: Header=BB42_7 Depth=1
	s_mov_b32 s23, exec_lo
	v_cmpx_ge_i32_e64 s21, v10
	s_wait_alu 0xfffe
	s_xor_b32 s23, exec_lo, s23
	s_cbranch_execz .LBB42_148
; %bb.144:                              ;   in Loop: Header=BB42_7 Depth=1
	ds_load_b32 v1, v13 offset:4096
	v_and_b32_e32 v3, s13, v19
	v_and_b32_e32 v4, s12, v18
	s_lshl_b64 s[24:25], 1, s92
	v_or_b32_e32 v22, s11, v22
	v_or_b32_e32 v21, s10, v21
	s_wait_alu 0xfffe
	v_or_b32_e32 v19, s25, v3
	v_or_b32_e32 v18, s24, v4
	s_wait_dscnt 0x0
	v_cmp_ne_u32_e32 vcc_lo, 0, v1
	s_cbranch_vccnz .LBB42_148
; %bb.145:                              ;   in Loop: Header=BB42_7 Depth=1
	s_and_saveexec_b32 s24, s2
; %bb.146:                              ;   in Loop: Header=BB42_7 Depth=1
	v_mov_b32_e32 v1, s21
	ds_store_b32 v13, v1 offset:4100
; %bb.147:                              ;   in Loop: Header=BB42_7 Depth=1
	s_wait_alu 0xfffe
	s_or_b32 exec_lo, exec_lo, s24
	s_wait_loadcnt_dscnt 0x0
	s_barrier_signal -1
	s_barrier_wait -1
	global_inv scope:SCOPE_SE
.LBB42_148:                             ;   in Loop: Header=BB42_7 Depth=1
	s_wait_alu 0xfffe
	s_or_saveexec_b32 s23, s23
	v_mov_b32_e32 v9, 8
	s_mov_b32 s24, 0
	s_wait_alu 0xfffe
	s_xor_b32 exec_lo, exec_lo, s23
; %bb.149:                              ;   in Loop: Header=BB42_7 Depth=1
	v_subrev_nc_u32_e32 v10, s21, v10
	v_mov_b32_e32 v9, 0
	s_mov_b32 s24, exec_lo
; %bb.150:                              ;   in Loop: Header=BB42_7 Depth=1
	s_or_b32 exec_lo, exec_lo, s23
	s_delay_alu instid0(VALU_DEP_2)
	v_mov_b32_e32 v23, v10
	s_wait_alu 0xfffe
	s_and_b32 s25, s24, exec_lo
.LBB42_151:                             ;   in Loop: Header=BB42_7 Depth=1
	s_wait_alu 0xfffe
	s_or_b32 exec_lo, exec_lo, s22
	s_mov_b32 s24, -1
                                        ; implicit-def: $sgpr22
                                        ; implicit-def: $sgpr23
	s_and_saveexec_b32 s21, s25
	s_cbranch_execz .LBB42_233
; %bb.152:                              ;   in Loop: Header=BB42_7 Depth=1
	v_cmp_eq_u32_e32 vcc_lo, 1, v23
	s_cmp_eq_u32 s19, 1
	s_mov_b32 s26, -1
	s_cselect_b32 s22, -1, 0
                                        ; implicit-def: $sgpr23
	s_wait_alu 0xfffe
	s_and_b32 s25, s22, vcc_lo
                                        ; implicit-def: $sgpr22
	s_wait_alu 0xfffe
	s_and_saveexec_b32 s24, s25
	s_cbranch_execz .LBB42_180
; %bb.153:                              ;   in Loop: Header=BB42_7 Depth=1
	ds_load_b32 v1, v13 offset:4096
	s_wait_loadcnt_dscnt 0x0
	s_barrier_signal -1
	s_barrier_wait -1
	global_inv scope:SCOPE_SE
	v_readfirstlane_b32 s26, v1
	s_and_saveexec_b32 s22, s1
; %bb.154:                              ;   in Loop: Header=BB42_7 Depth=1
	v_mov_b32_e32 v12, v13
	ds_store_b64 v30, v[12:13]
; %bb.155:                              ;   in Loop: Header=BB42_7 Depth=1
	s_wait_alu 0xfffe
	s_or_b32 exec_lo, exec_lo, s22
	v_and_b32_e32 v1, s13, v19
	v_and_b32_e32 v3, s12, v18
	s_lshl_b64 s[22:23], 2, s92
	v_or_b32_e32 v22, s11, v22
	v_or_b32_e32 v21, s10, v21
	s_wait_alu 0xfffe
	v_or_b32_e32 v19, s23, v1
	v_or_b32_e32 v18, s22, v3
	s_mov_b32 s22, -1
	s_mov_b32 s23, 0
	s_cmp_gt_i32 s26, 0
	s_mov_b32 s27, 0
	s_mov_b32 s28, -1
	s_wait_loadcnt_dscnt 0x0
	s_barrier_signal -1
	s_barrier_wait -1
	global_inv scope:SCOPE_SE
                                        ; implicit-def: $vgpr5_vgpr6
	s_cbranch_scc1 .LBB42_167
; %bb.156:                              ;   in Loop: Header=BB42_7 Depth=1
	s_mov_b32 s28, 0
                                        ; implicit-def: $vgpr5_vgpr6
	s_and_saveexec_b32 s58, s8
	s_cbranch_execz .LBB42_166
; %bb.157:                              ;   in Loop: Header=BB42_7 Depth=1
	v_dual_mov_b32 v7, v11 :: v_dual_mov_b32 v10, v0
                                        ; implicit-def: $sgpr93
	s_branch .LBB42_161
.LBB42_158:                             ;   in Loop: Header=BB42_161 Depth=2
	s_wait_alu 0xfffe
	s_or_b32 exec_lo, exec_lo, s94
	s_wait_loadcnt_dscnt 0x0
	s_barrier_signal -1
	s_barrier_wait -1
	global_inv scope:SCOPE_SE
	ds_load_b128 v[3:6], v13 offset:3072
	s_wait_loadcnt_dscnt 0x0
	s_barrier_signal -1
	s_barrier_wait -1
	global_inv scope:SCOPE_SE
	v_cmp_neq_f64_e32 vcc_lo, 0, v[3:4]
	s_cbranch_vccnz .LBB42_164
; %bb.159:                              ;   in Loop: Header=BB42_161 Depth=2
	v_add_nc_u32_e32 v10, s49, v10
	v_add_nc_u32_e32 v7, s73, v7
	s_mov_b32 s94, 0
	s_delay_alu instid0(VALU_DEP_2)
	v_cmp_le_i32_e32 vcc_lo, s82, v10
	s_or_not1_b32 s95, vcc_lo, exec_lo
.LBB42_160:                             ;   in Loop: Header=BB42_161 Depth=2
	s_wait_alu 0xfffe
	s_and_b32 s95, exec_lo, s95
	s_wait_alu 0xfffe
	s_or_b32 s27, s95, s27
	s_and_not1_b32 s93, s93, exec_lo
	s_and_b32 s94, s94, exec_lo
	s_wait_alu 0xfffe
	s_or_b32 s93, s93, s94
	s_and_not1_b32 exec_lo, exec_lo, s27
	s_cbranch_execz .LBB42_165
.LBB42_161:                             ;   Parent Loop BB42_7 Depth=1
                                        ; =>  This Inner Loop Header: Depth=2
	s_mov_b32 s94, exec_lo
	s_delay_alu instid0(VALU_DEP_1)
	v_cmpx_gt_i32_e64 s36, v10
	s_cbranch_execz .LBB42_158
; %bb.162:                              ;   in Loop: Header=BB42_161 Depth=2
	v_ashrrev_i32_e32 v8, 31, v7
	s_delay_alu instid0(VALU_DEP_1) | instskip(NEXT) | instid1(VALU_DEP_1)
	v_lshlrev_b64_e32 v[3:4], 3, v[7:8]
	v_add_co_u32 v3, vcc_lo, s60, v3
	s_wait_alu 0xfffd
	s_delay_alu instid0(VALU_DEP_2) | instskip(SKIP_4) | instid1(VALU_DEP_1)
	v_add_co_ci_u32_e64 v4, null, s61, v4, vcc_lo
	global_load_b64 v[3:4], v[3:4], off
	s_wait_loadcnt 0x0
	v_cmp_o_f64_e32 vcc_lo, v[3:4], v[3:4]
	v_ashrrev_i32_e32 v1, 31, v4
	v_or_b32_e32 v5, 0x80000000, v1
	v_xor_b32_e32 v1, v1, v3
	s_delay_alu instid0(VALU_DEP_2) | instskip(SKIP_1) | instid1(VALU_DEP_1)
	v_xor_b32_e32 v5, v5, v4
	s_wait_alu 0xfffd
	v_cndmask_b32_e32 v5, -1, v5, vcc_lo
	s_delay_alu instid0(VALU_DEP_1) | instskip(NEXT) | instid1(VALU_DEP_1)
	v_dual_cndmask_b32 v1, -1, v1 :: v_dual_and_b32 v6, v5, v22
	v_and_b32_e32 v5, v1, v21
	s_delay_alu instid0(VALU_DEP_1)
	v_cmp_eq_u64_e32 vcc_lo, v[5:6], v[18:19]
	s_and_b32 exec_lo, exec_lo, vcc_lo
	s_cbranch_execz .LBB42_158
; %bb.163:                              ;   in Loop: Header=BB42_161 Depth=2
	v_mov_b32_e32 v1, v13
	ds_store_b128 v13, v[1:4] offset:3072
	s_branch .LBB42_158
.LBB42_164:                             ;   in Loop: Header=BB42_161 Depth=2
	s_mov_b32 s95, -1
	s_mov_b32 s94, -1
                                        ; implicit-def: $vgpr10
                                        ; implicit-def: $vgpr7
	s_branch .LBB42_160
.LBB42_165:                             ;   in Loop: Header=BB42_7 Depth=1
	s_or_b32 exec_lo, exec_lo, s27
	s_wait_alu 0xfffe
	s_and_b32 s27, s93, exec_lo
.LBB42_166:                             ;   in Loop: Header=BB42_7 Depth=1
	s_wait_alu 0xfffe
	s_or_b32 exec_lo, exec_lo, s58
.LBB42_167:                             ;   in Loop: Header=BB42_7 Depth=1
	s_delay_alu instid0(SALU_CYCLE_1)
	s_and_b32 vcc_lo, exec_lo, s28
	s_wait_alu 0xfffe
	s_cbranch_vccz .LBB42_179
; %bb.168:                              ;   in Loop: Header=BB42_7 Depth=1
	s_add_co_i32 s28, s26, s56
                                        ; implicit-def: $vgpr5_vgpr6
	s_delay_alu instid0(SALU_CYCLE_1)
	s_abs_i32 s58, s28
	s_wait_alu 0xfffe
	s_mul_u64 s[22:23], s[58:59], s[64:65]
	s_wait_alu 0xfffe
	s_mul_i32 s22, s23, s49
	s_ashr_i32 s23, s28, 31
	s_wait_alu 0xfffe
	s_sub_co_i32 s22, s58, s22
	s_wait_alu 0xfffe
	s_sub_co_i32 s58, s22, s49
	s_cmp_ge_u32 s22, s49
	s_wait_alu 0xfffe
	s_cselect_b32 s22, s58, s22
	s_wait_alu 0xfffe
	s_sub_co_i32 s58, s22, s49
	s_cmp_ge_u32 s22, s49
	s_wait_alu 0xfffe
	s_cselect_b32 s22, s58, s22
	s_wait_alu 0xfffe
	s_xor_b32 s22, s22, s23
	s_wait_alu 0xfffe
	s_sub_co_i32 s22, s23, s22
	s_wait_alu 0xfffe
	s_add_co_i32 s23, s28, s22
	s_mov_b32 s22, exec_lo
	s_wait_alu 0xfffe
	v_cmpx_gt_i32_e64 s23, v0
	s_cbranch_execz .LBB42_178
; %bb.169:                              ;   in Loop: Header=BB42_7 Depth=1
	v_dual_mov_b32 v7, v29 :: v_dual_mov_b32 v8, v0
	s_mov_b32 s28, 0
                                        ; implicit-def: $sgpr58
	s_branch .LBB42_173
.LBB42_170:                             ;   in Loop: Header=BB42_173 Depth=2
	s_wait_alu 0xfffe
	s_or_b32 exec_lo, exec_lo, s93
	s_wait_loadcnt_dscnt 0x0
	s_barrier_signal -1
	s_barrier_wait -1
	global_inv scope:SCOPE_SE
	ds_load_b128 v[3:6], v13 offset:3072
	s_wait_loadcnt_dscnt 0x0
	s_barrier_signal -1
	s_barrier_wait -1
	global_inv scope:SCOPE_SE
	v_cmp_eq_f64_e32 vcc_lo, 0, v[3:4]
	s_cbranch_vccz .LBB42_176
; %bb.171:                              ;   in Loop: Header=BB42_173 Depth=2
	v_add_nc_u32_e32 v8, s49, v8
	v_add_nc_u32_e32 v7, s85, v7
	s_mov_b32 s93, 0
	s_delay_alu instid0(VALU_DEP_2)
	v_cmp_le_i32_e32 vcc_lo, s23, v8
	s_or_not1_b32 s94, vcc_lo, exec_lo
.LBB42_172:                             ;   in Loop: Header=BB42_173 Depth=2
	s_wait_alu 0xfffe
	s_and_b32 s94, exec_lo, s94
	s_wait_alu 0xfffe
	s_or_b32 s28, s94, s28
	s_and_not1_b32 s58, s58, exec_lo
	s_and_b32 s93, s93, exec_lo
	s_wait_alu 0xfffe
	s_or_b32 s58, s58, s93
	s_and_not1_b32 exec_lo, exec_lo, s28
	s_cbranch_execz .LBB42_177
.LBB42_173:                             ;   Parent Loop BB42_7 Depth=1
                                        ; =>  This Inner Loop Header: Depth=2
	s_mov_b32 s93, exec_lo
	s_delay_alu instid0(VALU_DEP_1)
	v_cmpx_gt_i32_e64 s26, v8
	s_cbranch_execz .LBB42_170
; %bb.174:                              ;   in Loop: Header=BB42_173 Depth=2
	ds_load_b64 v[3:4], v7
	s_wait_dscnt 0x0
	v_cmp_o_f64_e32 vcc_lo, v[3:4], v[3:4]
	v_ashrrev_i32_e32 v1, 31, v4
	s_delay_alu instid0(VALU_DEP_1) | instskip(SKIP_1) | instid1(VALU_DEP_2)
	v_or_b32_e32 v5, 0x80000000, v1
	v_xor_b32_e32 v1, v1, v3
	v_xor_b32_e32 v5, v5, v4
	s_wait_alu 0xfffd
	s_delay_alu instid0(VALU_DEP_1) | instskip(NEXT) | instid1(VALU_DEP_1)
	v_cndmask_b32_e32 v5, -1, v5, vcc_lo
	v_dual_cndmask_b32 v1, -1, v1 :: v_dual_and_b32 v6, v5, v22
	s_delay_alu instid0(VALU_DEP_1) | instskip(NEXT) | instid1(VALU_DEP_1)
	v_and_b32_e32 v5, v1, v21
	v_cmp_eq_u64_e32 vcc_lo, v[5:6], v[18:19]
	s_and_b32 exec_lo, exec_lo, vcc_lo
	s_cbranch_execz .LBB42_170
; %bb.175:                              ;   in Loop: Header=BB42_173 Depth=2
	v_mov_b32_e32 v1, v13
	ds_store_b128 v13, v[1:4] offset:3072
	s_branch .LBB42_170
.LBB42_176:                             ;   in Loop: Header=BB42_173 Depth=2
	s_mov_b32 s94, -1
	s_mov_b32 s93, -1
                                        ; implicit-def: $vgpr8
                                        ; implicit-def: $vgpr7
	s_branch .LBB42_172
.LBB42_177:                             ;   in Loop: Header=BB42_7 Depth=1
	s_or_b32 exec_lo, exec_lo, s28
	s_delay_alu instid0(SALU_CYCLE_1)
	s_and_not1_b32 s23, s27, exec_lo
	s_wait_alu 0xfffe
	s_and_b32 s26, s58, exec_lo
	s_wait_alu 0xfffe
	s_or_b32 s27, s23, s26
.LBB42_178:                             ;   in Loop: Header=BB42_7 Depth=1
	s_or_b32 exec_lo, exec_lo, s22
	s_mov_b32 s22, 0
	s_mov_b32 s23, -1
.LBB42_179:                             ;   in Loop: Header=BB42_7 Depth=1
	s_wait_alu 0xfffe
	s_or_not1_b32 s26, s27, exec_lo
.LBB42_180:                             ;   in Loop: Header=BB42_7 Depth=1
	s_wait_alu 0xfffe
	s_or_b32 exec_lo, exec_lo, s24
	s_mov_b32 s27, 0
	s_and_saveexec_b32 s24, s26
	s_cbranch_execz .LBB42_232
; %bb.181:                              ;   in Loop: Header=BB42_7 Depth=1
	v_dual_mov_b32 v10, 1 :: v_dual_mov_b32 v9, 1
	s_xor_b32 s26, s25, -1
	s_wait_alu 0xfffe
	s_and_saveexec_b32 s25, s26
	s_cbranch_execz .LBB42_190
; %bb.182:                              ;   in Loop: Header=BB42_7 Depth=1
	s_mov_b32 s26, exec_lo
	v_cmpx_ge_i32_e64 s19, v23
	s_wait_alu 0xfffe
	s_xor_b32 s26, exec_lo, s26
	s_cbranch_execz .LBB42_187
; %bb.183:                              ;   in Loop: Header=BB42_7 Depth=1
	ds_load_b32 v1, v13 offset:4096
	v_and_b32_e32 v3, s13, v19
	v_and_b32_e32 v4, s12, v18
	s_lshl_b64 s[12:13], 2, s92
	v_or_b32_e32 v22, s11, v22
	v_or_b32_e32 v21, s10, v21
	s_wait_alu 0xfffe
	v_or_b32_e32 v19, s13, v3
	v_or_b32_e32 v18, s12, v4
	s_wait_dscnt 0x0
	v_cmp_ne_u32_e32 vcc_lo, 0, v1
	s_cbranch_vccnz .LBB42_187
; %bb.184:                              ;   in Loop: Header=BB42_7 Depth=1
	s_and_saveexec_b32 s12, s2
; %bb.185:                              ;   in Loop: Header=BB42_7 Depth=1
	v_mov_b32_e32 v1, s19
	ds_store_b32 v13, v1 offset:4100
; %bb.186:                              ;   in Loop: Header=BB42_7 Depth=1
	s_wait_alu 0xfffe
	s_or_b32 exec_lo, exec_lo, s12
	s_wait_loadcnt_dscnt 0x0
	s_barrier_signal -1
	s_barrier_wait -1
	global_inv scope:SCOPE_SE
.LBB42_187:                             ;   in Loop: Header=BB42_7 Depth=1
	s_wait_alu 0xfffe
	s_or_saveexec_b32 s12, s26
	v_mov_b32_e32 v9, 8
	s_mov_b32 s13, 0
	s_wait_alu 0xfffe
	s_xor_b32 exec_lo, exec_lo, s12
; %bb.188:                              ;   in Loop: Header=BB42_7 Depth=1
	v_subrev_nc_u32_e32 v23, s19, v23
	v_mov_b32_e32 v9, 0
	s_mov_b32 s13, exec_lo
; %bb.189:                              ;   in Loop: Header=BB42_7 Depth=1
	s_or_b32 exec_lo, exec_lo, s12
	s_delay_alu instid0(VALU_DEP_2)
	v_mov_b32_e32 v10, v23
	s_wait_alu 0xfffe
	s_and_b32 s27, s13, exec_lo
.LBB42_190:                             ;   in Loop: Header=BB42_7 Depth=1
	s_wait_alu 0xfffe
	s_or_b32 exec_lo, exec_lo, s25
	s_mov_b32 s13, -1
                                        ; implicit-def: $sgpr26
                                        ; implicit-def: $sgpr25
	s_and_saveexec_b32 s12, s27
	s_cbranch_execz .LBB42_231
; %bb.191:                              ;   in Loop: Header=BB42_7 Depth=1
	v_cmp_eq_u32_e32 vcc_lo, 1, v10
	s_cmp_eq_u32 s9, 1
	s_mov_b32 s27, -1
	s_cselect_b32 s13, -1, 0
                                        ; implicit-def: $sgpr26
                                        ; implicit-def: $sgpr25
	s_wait_alu 0xfffe
	s_and_b32 s13, s13, vcc_lo
	s_wait_alu 0xfffe
	s_and_saveexec_b32 s19, s13
	s_cbranch_execz .LBB42_219
; %bb.192:                              ;   in Loop: Header=BB42_7 Depth=1
	ds_load_b32 v1, v13 offset:4096
	s_wait_loadcnt_dscnt 0x0
	s_barrier_signal -1
	s_barrier_wait -1
	global_inv scope:SCOPE_SE
	v_readfirstlane_b32 s27, v1
	s_and_saveexec_b32 s25, s1
; %bb.193:                              ;   in Loop: Header=BB42_7 Depth=1
	v_mov_b32_e32 v12, v13
	ds_store_b64 v30, v[12:13]
; %bb.194:                              ;   in Loop: Header=BB42_7 Depth=1
	s_wait_alu 0xfffe
	s_or_b32 exec_lo, exec_lo, s25
	v_or_b32_e32 v19, s11, v19
	v_or_b32_e32 v18, s10, v18
	;; [unrolled: 1-line block ×4, first 2 shown]
	s_mov_b32 s25, -1
	s_mov_b32 s26, 0
	s_cmp_gt_i32 s27, 0
	s_mov_b32 s28, 0
	s_mov_b32 s58, -1
	s_wait_loadcnt_dscnt 0x0
	s_barrier_signal -1
	s_barrier_wait -1
	global_inv scope:SCOPE_SE
                                        ; implicit-def: $vgpr5_vgpr6
	s_cbranch_scc1 .LBB42_206
; %bb.195:                              ;   in Loop: Header=BB42_7 Depth=1
	s_mov_b32 s58, 0
                                        ; implicit-def: $vgpr5_vgpr6
	s_and_saveexec_b32 s93, s8
	s_cbranch_execz .LBB42_205
; %bb.196:                              ;   in Loop: Header=BB42_7 Depth=1
	v_dual_mov_b32 v7, v11 :: v_dual_mov_b32 v12, v0
                                        ; implicit-def: $sgpr94
	s_branch .LBB42_200
.LBB42_197:                             ;   in Loop: Header=BB42_200 Depth=2
	s_wait_alu 0xfffe
	s_or_b32 exec_lo, exec_lo, s95
	s_wait_loadcnt_dscnt 0x0
	s_barrier_signal -1
	s_barrier_wait -1
	global_inv scope:SCOPE_SE
	ds_load_b128 v[3:6], v13 offset:3072
	s_wait_loadcnt_dscnt 0x0
	s_barrier_signal -1
	s_barrier_wait -1
	global_inv scope:SCOPE_SE
	v_cmp_neq_f64_e32 vcc_lo, 0, v[3:4]
	s_cbranch_vccnz .LBB42_203
; %bb.198:                              ;   in Loop: Header=BB42_200 Depth=2
	v_add_nc_u32_e32 v12, s49, v12
	v_add_nc_u32_e32 v7, s73, v7
	s_mov_b32 s95, 0
	s_delay_alu instid0(VALU_DEP_2)
	v_cmp_le_i32_e32 vcc_lo, s82, v12
	s_or_not1_b32 s96, vcc_lo, exec_lo
.LBB42_199:                             ;   in Loop: Header=BB42_200 Depth=2
	s_wait_alu 0xfffe
	s_and_b32 s96, exec_lo, s96
	s_wait_alu 0xfffe
	s_or_b32 s28, s96, s28
	s_and_not1_b32 s94, s94, exec_lo
	s_and_b32 s95, s95, exec_lo
	s_wait_alu 0xfffe
	s_or_b32 s94, s94, s95
	s_and_not1_b32 exec_lo, exec_lo, s28
	s_cbranch_execz .LBB42_204
.LBB42_200:                             ;   Parent Loop BB42_7 Depth=1
                                        ; =>  This Inner Loop Header: Depth=2
	s_mov_b32 s95, exec_lo
	s_delay_alu instid0(VALU_DEP_1)
	v_cmpx_gt_i32_e64 s36, v12
	s_cbranch_execz .LBB42_197
; %bb.201:                              ;   in Loop: Header=BB42_200 Depth=2
	v_ashrrev_i32_e32 v8, 31, v7
	s_delay_alu instid0(VALU_DEP_1) | instskip(NEXT) | instid1(VALU_DEP_1)
	v_lshlrev_b64_e32 v[3:4], 3, v[7:8]
	v_add_co_u32 v3, vcc_lo, s60, v3
	s_wait_alu 0xfffd
	s_delay_alu instid0(VALU_DEP_2) | instskip(SKIP_4) | instid1(VALU_DEP_1)
	v_add_co_ci_u32_e64 v4, null, s61, v4, vcc_lo
	global_load_b64 v[3:4], v[3:4], off
	s_wait_loadcnt 0x0
	v_cmp_o_f64_e32 vcc_lo, v[3:4], v[3:4]
	v_ashrrev_i32_e32 v1, 31, v4
	v_or_b32_e32 v5, 0x80000000, v1
	v_xor_b32_e32 v1, v1, v3
	s_delay_alu instid0(VALU_DEP_2) | instskip(SKIP_1) | instid1(VALU_DEP_1)
	v_xor_b32_e32 v5, v5, v4
	s_wait_alu 0xfffd
	v_cndmask_b32_e32 v5, -1, v5, vcc_lo
	s_delay_alu instid0(VALU_DEP_1) | instskip(NEXT) | instid1(VALU_DEP_1)
	v_dual_cndmask_b32 v1, -1, v1 :: v_dual_and_b32 v6, v5, v22
	v_and_b32_e32 v5, v1, v21
	s_delay_alu instid0(VALU_DEP_1)
	v_cmp_eq_u64_e32 vcc_lo, v[5:6], v[18:19]
	s_and_b32 exec_lo, exec_lo, vcc_lo
	s_cbranch_execz .LBB42_197
; %bb.202:                              ;   in Loop: Header=BB42_200 Depth=2
	v_mov_b32_e32 v1, v13
	ds_store_b128 v13, v[1:4] offset:3072
	s_branch .LBB42_197
.LBB42_203:                             ;   in Loop: Header=BB42_200 Depth=2
	s_mov_b32 s96, -1
	s_mov_b32 s95, -1
                                        ; implicit-def: $vgpr12
                                        ; implicit-def: $vgpr7
	s_branch .LBB42_199
.LBB42_204:                             ;   in Loop: Header=BB42_7 Depth=1
	s_or_b32 exec_lo, exec_lo, s28
	s_wait_alu 0xfffe
	s_and_b32 s28, s94, exec_lo
.LBB42_205:                             ;   in Loop: Header=BB42_7 Depth=1
	s_wait_alu 0xfffe
	s_or_b32 exec_lo, exec_lo, s93
.LBB42_206:                             ;   in Loop: Header=BB42_7 Depth=1
	s_wait_alu 0xfffe
	s_and_b32 vcc_lo, exec_lo, s58
	s_wait_alu 0xfffe
	s_cbranch_vccz .LBB42_218
; %bb.207:                              ;   in Loop: Header=BB42_7 Depth=1
	s_add_co_i32 s26, s27, s56
                                        ; implicit-def: $vgpr5_vgpr6
	s_wait_alu 0xfffe
	s_abs_i32 s58, s26
	s_wait_alu 0xfffe
	s_mul_u64 s[94:95], s[58:59], s[64:65]
	s_wait_alu 0xfffe
	s_mul_i32 s25, s95, s49
	s_wait_alu 0xfffe
	s_sub_co_i32 s25, s58, s25
	s_ashr_i32 s58, s26, 31
	s_wait_alu 0xfffe
	s_sub_co_i32 s93, s25, s49
	s_cmp_ge_u32 s25, s49
	s_wait_alu 0xfffe
	s_cselect_b32 s25, s93, s25
	s_wait_alu 0xfffe
	s_sub_co_i32 s93, s25, s49
	s_cmp_ge_u32 s25, s49
	s_wait_alu 0xfffe
	s_cselect_b32 s25, s93, s25
	s_wait_alu 0xfffe
	s_xor_b32 s25, s25, s58
	s_wait_alu 0xfffe
	s_sub_co_i32 s25, s58, s25
	s_wait_alu 0xfffe
	s_add_co_i32 s26, s26, s25
	s_mov_b32 s25, exec_lo
	s_wait_alu 0xfffe
	v_cmpx_gt_i32_e64 s26, v0
	s_cbranch_execz .LBB42_217
; %bb.208:                              ;   in Loop: Header=BB42_7 Depth=1
	v_dual_mov_b32 v7, v29 :: v_dual_mov_b32 v8, v0
	s_mov_b32 s58, 0
                                        ; implicit-def: $sgpr93
	s_branch .LBB42_212
.LBB42_209:                             ;   in Loop: Header=BB42_212 Depth=2
	s_wait_alu 0xfffe
	s_or_b32 exec_lo, exec_lo, s94
	s_wait_loadcnt_dscnt 0x0
	s_barrier_signal -1
	s_barrier_wait -1
	global_inv scope:SCOPE_SE
	ds_load_b128 v[3:6], v13 offset:3072
	s_wait_loadcnt_dscnt 0x0
	s_barrier_signal -1
	s_barrier_wait -1
	global_inv scope:SCOPE_SE
	v_cmp_eq_f64_e32 vcc_lo, 0, v[3:4]
	s_cbranch_vccz .LBB42_215
; %bb.210:                              ;   in Loop: Header=BB42_212 Depth=2
	v_add_nc_u32_e32 v8, s49, v8
	v_add_nc_u32_e32 v7, s85, v7
	s_mov_b32 s94, 0
	s_delay_alu instid0(VALU_DEP_2)
	v_cmp_le_i32_e32 vcc_lo, s26, v8
	s_or_not1_b32 s95, vcc_lo, exec_lo
.LBB42_211:                             ;   in Loop: Header=BB42_212 Depth=2
	s_wait_alu 0xfffe
	s_and_b32 s95, exec_lo, s95
	s_wait_alu 0xfffe
	s_or_b32 s58, s95, s58
	s_and_not1_b32 s93, s93, exec_lo
	s_and_b32 s94, s94, exec_lo
	s_wait_alu 0xfffe
	s_or_b32 s93, s93, s94
	s_and_not1_b32 exec_lo, exec_lo, s58
	s_cbranch_execz .LBB42_216
.LBB42_212:                             ;   Parent Loop BB42_7 Depth=1
                                        ; =>  This Inner Loop Header: Depth=2
	s_mov_b32 s94, exec_lo
	s_delay_alu instid0(VALU_DEP_1)
	v_cmpx_gt_i32_e64 s27, v8
	s_cbranch_execz .LBB42_209
; %bb.213:                              ;   in Loop: Header=BB42_212 Depth=2
	ds_load_b64 v[3:4], v7
	s_wait_dscnt 0x0
	v_cmp_o_f64_e32 vcc_lo, v[3:4], v[3:4]
	v_ashrrev_i32_e32 v1, 31, v4
	s_delay_alu instid0(VALU_DEP_1) | instskip(SKIP_1) | instid1(VALU_DEP_2)
	v_or_b32_e32 v5, 0x80000000, v1
	v_xor_b32_e32 v1, v1, v3
	v_xor_b32_e32 v5, v5, v4
	s_wait_alu 0xfffd
	s_delay_alu instid0(VALU_DEP_1) | instskip(NEXT) | instid1(VALU_DEP_1)
	v_cndmask_b32_e32 v5, -1, v5, vcc_lo
	v_dual_cndmask_b32 v1, -1, v1 :: v_dual_and_b32 v6, v5, v22
	s_delay_alu instid0(VALU_DEP_1) | instskip(NEXT) | instid1(VALU_DEP_1)
	v_and_b32_e32 v5, v1, v21
	v_cmp_eq_u64_e32 vcc_lo, v[5:6], v[18:19]
	s_and_b32 exec_lo, exec_lo, vcc_lo
	s_cbranch_execz .LBB42_209
; %bb.214:                              ;   in Loop: Header=BB42_212 Depth=2
	v_mov_b32_e32 v1, v13
	ds_store_b128 v13, v[1:4] offset:3072
	s_branch .LBB42_209
.LBB42_215:                             ;   in Loop: Header=BB42_212 Depth=2
	s_mov_b32 s95, -1
	s_mov_b32 s94, -1
                                        ; implicit-def: $vgpr8
                                        ; implicit-def: $vgpr7
	s_branch .LBB42_211
.LBB42_216:                             ;   in Loop: Header=BB42_7 Depth=1
	s_or_b32 exec_lo, exec_lo, s58
	s_delay_alu instid0(SALU_CYCLE_1)
	s_and_not1_b32 s26, s28, exec_lo
	s_wait_alu 0xfffe
	s_and_b32 s27, s93, exec_lo
	s_wait_alu 0xfffe
	s_or_b32 s28, s26, s27
.LBB42_217:                             ;   in Loop: Header=BB42_7 Depth=1
	s_or_b32 exec_lo, exec_lo, s25
	s_mov_b32 s25, 0
	s_mov_b32 s26, -1
.LBB42_218:                             ;   in Loop: Header=BB42_7 Depth=1
	s_or_not1_b32 s27, s28, exec_lo
.LBB42_219:                             ;   in Loop: Header=BB42_7 Depth=1
	s_wait_alu 0xfffe
	s_or_b32 exec_lo, exec_lo, s19
	s_mov_b32 s28, 0
	s_and_saveexec_b32 s19, s27
	s_cbranch_execz .LBB42_230
; %bb.220:                              ;   in Loop: Header=BB42_7 Depth=1
	v_mov_b32_e32 v9, 1
	v_mov_b32_e32 v1, 1
	s_xor_b32 s27, s13, -1
	s_wait_alu 0xfffe
	s_and_saveexec_b32 s13, s27
	s_cbranch_execz .LBB42_229
; %bb.221:                              ;   in Loop: Header=BB42_7 Depth=1
	s_mov_b32 s27, exec_lo
	v_cmpx_ge_i32_e64 s9, v10
	s_wait_alu 0xfffe
	s_xor_b32 s27, exec_lo, s27
	s_cbranch_execz .LBB42_226
; %bb.222:                              ;   in Loop: Header=BB42_7 Depth=1
	ds_load_b32 v1, v13 offset:4096
	v_or_b32_e32 v19, s11, v19
	v_or_b32_e32 v18, s10, v18
	v_or_b32_e32 v22, s11, v22
	v_or_b32_e32 v21, s10, v21
	s_wait_dscnt 0x0
	v_cmp_ne_u32_e32 vcc_lo, 0, v1
	s_cbranch_vccnz .LBB42_226
; %bb.223:                              ;   in Loop: Header=BB42_7 Depth=1
	s_and_saveexec_b32 s10, s2
; %bb.224:                              ;   in Loop: Header=BB42_7 Depth=1
	v_mov_b32_e32 v1, s9
	ds_store_b32 v13, v1 offset:4100
; %bb.225:                              ;   in Loop: Header=BB42_7 Depth=1
	s_wait_alu 0xfffe
	s_or_b32 exec_lo, exec_lo, s10
	s_wait_loadcnt_dscnt 0x0
	s_barrier_signal -1
	s_barrier_wait -1
	global_inv scope:SCOPE_SE
.LBB42_226:                             ;   in Loop: Header=BB42_7 Depth=1
	s_wait_alu 0xfffe
	s_and_not1_saveexec_b32 s10, s27
; %bb.227:                              ;   in Loop: Header=BB42_7 Depth=1
	v_subrev_nc_u32_e32 v10, s9, v10
; %bb.228:                              ;   in Loop: Header=BB42_7 Depth=1
	s_wait_alu 0xfffe
	s_or_b32 exec_lo, exec_lo, s10
	v_mov_b32_e32 v9, 8
	s_delay_alu instid0(VALU_DEP_2)
	v_mov_b32_e32 v1, v10
.LBB42_229:                             ;   in Loop: Header=BB42_7 Depth=1
	s_wait_alu 0xfffe
	s_or_b32 exec_lo, exec_lo, s13
	s_delay_alu instid0(VALU_DEP_1)
	v_mov_b32_e32 v10, v1
	s_mov_b32 s28, exec_lo
.LBB42_230:                             ;   in Loop: Header=BB42_7 Depth=1
	s_wait_alu 0xfffe
	s_or_b32 exec_lo, exec_lo, s19
	s_delay_alu instid0(SALU_CYCLE_1)
	s_or_not1_b32 s13, s28, exec_lo
.LBB42_231:                             ;   in Loop: Header=BB42_7 Depth=1
	s_wait_alu 0xfffe
	s_or_b32 exec_lo, exec_lo, s12
	v_mov_b32_e32 v23, v10
	s_and_not1_b32 s9, s23, exec_lo
	s_and_b32 s10, s26, exec_lo
	s_and_not1_b32 s11, s22, exec_lo
	s_and_b32 s12, s25, exec_lo
	s_wait_alu 0xfffe
	s_or_b32 s23, s9, s10
	s_or_b32 s22, s11, s12
	s_and_b32 s27, s13, exec_lo
.LBB42_232:                             ;   in Loop: Header=BB42_7 Depth=1
	s_wait_alu 0xfffe
	s_or_b32 exec_lo, exec_lo, s24
	s_delay_alu instid0(SALU_CYCLE_1)
	s_or_not1_b32 s24, s27, exec_lo
.LBB42_233:                             ;   in Loop: Header=BB42_7 Depth=1
	s_wait_alu 0xfffe
	s_or_b32 exec_lo, exec_lo, s21
	v_mov_b32_e32 v10, v23
	s_and_not1_b32 s9, s18, exec_lo
	s_and_b32 s10, s23, exec_lo
	s_and_not1_b32 s11, s17, exec_lo
	s_and_b32 s12, s22, exec_lo
	s_wait_alu 0xfffe
	s_or_b32 s18, s9, s10
	s_or_b32 s17, s11, s12
	s_and_b32 s24, s24, exec_lo
.LBB42_234:                             ;   in Loop: Header=BB42_7 Depth=1
	s_wait_alu 0xfffe
	s_or_b32 exec_lo, exec_lo, s20
	s_delay_alu instid0(SALU_CYCLE_1)
	s_or_not1_b32 s20, s24, exec_lo
.LBB42_235:                             ;   in Loop: Header=BB42_7 Depth=1
	s_wait_alu 0xfffe
	s_or_b32 exec_lo, exec_lo, s16
	s_mov_b32 s10, 0
                                        ; implicit-def: $sgpr23
	s_and_saveexec_b32 s9, s20
	s_wait_alu 0xfffe
	s_xor_b32 s9, exec_lo, s9
	s_cbranch_execz .LBB42_5
; %bb.236:                              ;   in Loop: Header=BB42_7 Depth=1
	v_and_b32_e32 v1, 7, v9
	s_mov_b32 s11, -1
	s_mov_b32 s10, -1
	s_mov_b32 s12, exec_lo
                                        ; implicit-def: $sgpr23
	s_delay_alu instid0(VALU_DEP_1)
	v_cmpx_eq_u32_e32 0, v1
	s_cbranch_execz .LBB42_4
; %bb.237:                              ;   in Loop: Header=BB42_7 Depth=1
	s_add_co_i32 s23, s92, -2
	s_cmp_eq_u32 s92, 0
	v_xor_b32_e32 v40, 1, v40
	s_cselect_b32 s11, -1, 0
	s_xor_b32 s10, exec_lo, -1
	s_wait_alu 0xfffe
	s_or_not1_b32 s11, s11, exec_lo
	s_branch .LBB42_4
.LBB42_238:
	s_or_b32 exec_lo, exec_lo, s37
	s_xor_b32 s3, s91, -1
	s_xor_b32 s1, s89, -1
	;; [unrolled: 1-line block ×3, first 2 shown]
	s_mov_b32 s0, 0
	s_wait_alu 0xfffe
	s_and_saveexec_b32 s5, s1
	s_wait_alu 0xfffe
	s_xor_b32 s1, exec_lo, s5
	s_cbranch_execnz .LBB42_243
; %bb.239:
	s_wait_alu 0xfffe
	s_and_not1_saveexec_b32 s1, s1
	s_cbranch_execnz .LBB42_263
.LBB42_240:
	s_wait_alu 0xfffe
	s_or_b32 exec_lo, exec_lo, s1
	s_and_saveexec_b32 s1, s0
.LBB42_241:
	; divergent unreachable
.LBB42_242:
	s_endpgm
.LBB42_243:
	s_and_saveexec_b32 s0, s3
	s_wait_alu 0xfffe
	s_xor_b32 s3, exec_lo, s0
	s_cbranch_execz .LBB42_261
; %bb.244:
	s_and_saveexec_b32 s0, s4
	s_wait_alu 0xfffe
	s_xor_b32 s0, exec_lo, s0
; %bb.245:
	v_lshrrev_b32_e32 v1, 31, v19
	s_delay_alu instid0(VALU_DEP_1) | instskip(SKIP_2) | instid1(VALU_DEP_2)
	v_add_co_u32 v1, s4, v1, -1
	s_wait_alu 0xf1ff
	v_add_co_ci_u32_e64 v2, null, 0, -1, s4
	v_xor_b32_e32 v5, v1, v18
	s_delay_alu instid0(VALU_DEP_2) | instskip(NEXT) | instid1(VALU_DEP_1)
	v_or_b32_e32 v2, 0x80000000, v2
	v_xor_b32_e32 v6, v2, v19
; %bb.246:
	s_wait_alu 0xfffe
	s_or_b32 exec_lo, exec_lo, s0
	s_and_saveexec_b32 s0, s2
; %bb.247:
	v_dual_mov_b32 v1, 0 :: v_dual_mov_b32 v2, s36
	ds_store_b32 v1, v2 offset:4108
; %bb.248:
	s_wait_alu 0xfffe
	s_or_b32 exec_lo, exec_lo, s0
	v_mov_b32_e32 v1, 0
	s_wait_loadcnt_dscnt 0x0
	s_barrier_signal -1
	s_barrier_wait -1
	global_inv scope:SCOPE_SE
	ds_load_b32 v1, v1 offset:4108
	s_mov_b32 s4, exec_lo
	s_wait_dscnt 0x0
	v_min_i32_e32 v1, s36, v1
	s_delay_alu instid0(VALU_DEP_1)
	v_cmpx_lt_i32_e64 v0, v1
	s_cbranch_execz .LBB42_258
; %bb.249:
	v_cmp_u_f64_e32 vcc_lo, v[5:6], v[5:6]
	s_mov_b32 s5, 0
                                        ; implicit-def: $sgpr6
                                        ; implicit-def: $sgpr9
                                        ; implicit-def: $sgpr8
	s_xor_b32 s7, vcc_lo, -1
	s_branch .LBB42_251
.LBB42_250:                             ;   in Loop: Header=BB42_251 Depth=1
	s_wait_alu 0xfffe
	s_or_b32 exec_lo, exec_lo, s0
	s_delay_alu instid0(SALU_CYCLE_1)
	s_and_b32 s0, exec_lo, s9
	s_wait_alu 0xfffe
	s_or_b32 s5, s0, s5
	s_and_not1_b32 s0, s6, exec_lo
	s_and_b32 s6, s8, exec_lo
	s_wait_alu 0xfffe
	s_or_b32 s6, s0, s6
	s_and_not1_b32 exec_lo, exec_lo, s5
	s_cbranch_execz .LBB42_253
.LBB42_251:                             ; =>This Inner Loop Header: Depth=1
	v_ashrrev_i32_e32 v12, 31, v11
	s_or_b32 s8, s8, exec_lo
	s_or_b32 s9, s9, exec_lo
	s_delay_alu instid0(VALU_DEP_1) | instskip(NEXT) | instid1(VALU_DEP_1)
	v_lshlrev_b64_e32 v[2:3], 3, v[11:12]
	v_add_co_u32 v2, vcc_lo, s60, v2
	s_wait_alu 0xfffd
	s_delay_alu instid0(VALU_DEP_2)
	v_add_co_ci_u32_e64 v3, null, s61, v3, vcc_lo
	global_load_b64 v[2:3], v[2:3], off
	s_wait_loadcnt 0x0
	v_cmp_o_f64_e32 vcc_lo, v[2:3], v[2:3]
	v_cmp_neq_f64_e64 s0, v[2:3], v[5:6]
	v_mov_b32_e32 v2, v0
                                        ; implicit-def: $vgpr0
	s_or_b32 s10, vcc_lo, s7
	s_wait_alu 0xfffe
	s_and_b32 s10, s0, s10
	s_wait_alu 0xfffe
	s_and_saveexec_b32 s0, s10
	s_cbranch_execz .LBB42_250
; %bb.252:                              ;   in Loop: Header=BB42_251 Depth=1
	v_add_nc_u32_e32 v0, s49, v2
	v_add_nc_u32_e32 v11, s73, v11
	s_and_not1_b32 s9, s9, exec_lo
	s_and_not1_b32 s8, s8, exec_lo
	s_delay_alu instid0(VALU_DEP_2)
	v_cmp_ge_i32_e32 vcc_lo, v0, v1
	s_and_b32 s10, vcc_lo, exec_lo
	s_wait_alu 0xfffe
	s_or_b32 s9, s9, s10
	s_branch .LBB42_250
.LBB42_253:
	s_or_b32 exec_lo, exec_lo, s5
	s_and_saveexec_b32 s0, s6
	s_wait_alu 0xfffe
	s_xor_b32 s0, exec_lo, s0
	s_cbranch_execz .LBB42_258
; %bb.254:
	s_mov_b32 s5, exec_lo
	s_brev_b32 s0, -2
.LBB42_255:                             ; =>This Inner Loop Header: Depth=1
	s_wait_alu 0xfffe
	s_ctz_i32_b32 s6, s5
	s_wait_alu 0xfffe
	v_readlane_b32 s7, v2, s6
	s_lshl_b32 s6, 1, s6
	s_wait_alu 0xfffe
	s_and_not1_b32 s5, s5, s6
	s_min_i32 s0, s0, s7
	s_wait_alu 0xfffe
	s_cmp_lg_u32 s5, 0
	s_cbranch_scc1 .LBB42_255
; %bb.256:
	v_mbcnt_lo_u32_b32 v0, exec_lo, 0
	s_mov_b32 s5, exec_lo
	s_delay_alu instid0(VALU_DEP_1)
	v_cmpx_eq_u32_e32 0, v0
	s_wait_alu 0xfffe
	s_xor_b32 s5, exec_lo, s5
; %bb.257:
	v_dual_mov_b32 v0, 0 :: v_dual_mov_b32 v1, s0
	ds_min_i32 v0, v1 offset:4108
.LBB42_258:
	s_wait_alu 0xfffe
	s_or_b32 exec_lo, exec_lo, s4
	s_wait_loadcnt_dscnt 0x0
	s_barrier_signal -1
	s_barrier_wait -1
	global_inv scope:SCOPE_SE
	s_and_saveexec_b32 s0, s2
	s_cbranch_execz .LBB42_260
; %bb.259:
	s_mul_i32 s4, s57, s68
	s_mul_i32 s2, s43, s31
	s_wait_alu 0xfffe
	s_sub_co_i32 s4, s48, s4
	s_sub_co_i32 s2, s33, s2
	s_xor_b32 s5, s71, s72
	s_add_co_i32 s6, s57, 1
	s_wait_alu 0xfffe
	s_sub_co_i32 s7, s4, s68
	s_cmp_ge_u32 s4, s68
	s_wait_kmcnt 0x0
	s_mul_i32 s2, s2, s46
	s_cselect_b32 s6, s6, s57
	s_wait_alu 0xfffe
	s_cselect_b32 s4, s7, s4
	s_add_co_i32 s7, s6, 1
	s_wait_alu 0xfffe
	s_cmp_ge_u32 s4, s68
	v_mov_b32_e32 v2, 0
	s_cselect_b32 s4, s7, s6
	s_mul_i32 s7, s29, s38
	s_wait_alu 0xfffe
	s_xor_b32 s4, s4, s5
	s_mul_i32 s6, s47, s35
	s_wait_alu 0xfffe
	s_sub_co_i32 s4, s4, s5
	s_sub_co_i32 s6, s33, s6
	s_wait_alu 0xfffe
	s_mul_i32 s5, s4, s30
	s_mul_i32 s4, s4, s44
	s_wait_alu 0xfffe
	s_sub_co_i32 s5, s43, s5
	s_xor_b32 s8, s69, s70
	s_wait_alu 0xfffe
	s_mul_i32 s5, s5, s45
	ds_load_b32 v0, v2 offset:4108
	s_wait_alu 0xfffe
	s_add_co_i32 s2, s5, s2
	s_sub_co_i32 s5, s50, s7
	s_wait_alu 0xfffe
	s_add_co_i32 s4, s2, s4
	s_add_co_i32 s2, s29, 1
	s_sub_co_i32 s7, s5, s38
	s_cmp_ge_u32 s5, s38
	s_mul_i32 s6, s6, s42
	s_wait_alu 0xfffe
	s_cselect_b32 s2, s2, s29
	s_cselect_b32 s5, s7, s5
	s_wait_alu 0xfffe
	s_add_co_i32 s7, s2, 1
	s_cmp_ge_u32 s5, s38
	s_wait_alu 0xfffe
	s_cselect_b32 s2, s7, s2
	s_wait_alu 0xfffe
	s_xor_b32 s2, s2, s8
	s_wait_alu 0xfffe
	s_sub_co_i32 s2, s2, s8
	s_wait_alu 0xfffe
	s_mul_i32 s5, s2, s34
	s_mul_i32 s2, s2, s40
	s_wait_alu 0xfffe
	s_sub_co_i32 s5, s47, s5
	s_wait_dscnt 0x0
	v_ashrrev_i32_e32 v1, 31, v0
	s_wait_alu 0xfffe
	s_mul_i32 s5, s5, s41
	s_wait_alu 0xfffe
	s_add_co_i32 s5, s5, s6
	s_wait_alu 0xfffe
	s_add_co_i32 s6, s5, s2
	s_ashr_i32 s5, s4, 31
	s_wait_alu 0xfffe
	s_ashr_i32 s7, s6, 31
	s_lshl_b64 s[4:5], s[4:5], 3
	s_wait_alu 0xfffe
	s_lshl_b64 s[6:7], s[6:7], 3
	s_add_nc_u64 s[4:5], s[54:55], s[4:5]
	s_wait_alu 0xfffe
	s_add_nc_u64 s[6:7], s[52:53], s[6:7]
	s_clause 0x1
	global_store_b64 v2, v[0:1], s[6:7]
	global_store_b64 v2, v[5:6], s[4:5]
.LBB42_260:
	s_wait_alu 0xfffe
	s_or_b32 exec_lo, exec_lo, s0
.LBB42_261:
	s_wait_alu 0xfffe
	s_or_saveexec_b32 s0, s3
	s_mov_b32 s2, 0
	s_wait_alu 0xfffe
	s_xor_b32 exec_lo, exec_lo, s0
	s_cbranch_execnz .LBB42_264
.LBB42_262:
	s_or_b32 exec_lo, exec_lo, s0
	s_wait_alu 0xfffe
	s_and_b32 s0, s2, exec_lo
	s_and_not1_saveexec_b32 s1, s1
	s_cbranch_execz .LBB42_240
.LBB42_263:
	s_wait_alu 0xfffe
	s_or_b32 s0, s0, exec_lo
	s_trap 2
	s_or_b32 exec_lo, exec_lo, s1
	s_wait_alu 0xfffe
	s_and_saveexec_b32 s1, s0
	s_cbranch_execnz .LBB42_241
	s_branch .LBB42_242
.LBB42_264:
	s_mov_b32 s2, exec_lo
	s_trap 2
	s_branch .LBB42_262
	.section	.rodata,"a",@progbits
	.p2align	6, 0x0
	.amdhsa_kernel _ZN2at6native12_GLOBAL__N_114gatherKthValueIdiLi3EEEvNS_4cuda6detail10TensorInfoIKT_T0_EES8_S8_S8_S8_NS5_IS6_S8_EENS5_IlS8_EE
		.amdhsa_group_segment_fixed_size 4112
		.amdhsa_private_segment_fixed_size 0
		.amdhsa_kernarg_size 920
		.amdhsa_user_sgpr_count 2
		.amdhsa_user_sgpr_dispatch_ptr 0
		.amdhsa_user_sgpr_queue_ptr 0
		.amdhsa_user_sgpr_kernarg_segment_ptr 1
		.amdhsa_user_sgpr_dispatch_id 0
		.amdhsa_user_sgpr_private_segment_size 0
		.amdhsa_wavefront_size32 1
		.amdhsa_uses_dynamic_stack 0
		.amdhsa_enable_private_segment 0
		.amdhsa_system_sgpr_workgroup_id_x 1
		.amdhsa_system_sgpr_workgroup_id_y 1
		.amdhsa_system_sgpr_workgroup_id_z 1
		.amdhsa_system_sgpr_workgroup_info 0
		.amdhsa_system_vgpr_workitem_id 0
		.amdhsa_next_free_vgpr 56
		.amdhsa_next_free_sgpr 100
		.amdhsa_reserve_vcc 1
		.amdhsa_float_round_mode_32 0
		.amdhsa_float_round_mode_16_64 0
		.amdhsa_float_denorm_mode_32 3
		.amdhsa_float_denorm_mode_16_64 3
		.amdhsa_fp16_overflow 0
		.amdhsa_workgroup_processor_mode 1
		.amdhsa_memory_ordered 1
		.amdhsa_forward_progress 1
		.amdhsa_inst_pref_size 100
		.amdhsa_round_robin_scheduling 0
		.amdhsa_exception_fp_ieee_invalid_op 0
		.amdhsa_exception_fp_denorm_src 0
		.amdhsa_exception_fp_ieee_div_zero 0
		.amdhsa_exception_fp_ieee_overflow 0
		.amdhsa_exception_fp_ieee_underflow 0
		.amdhsa_exception_fp_ieee_inexact 0
		.amdhsa_exception_int_div_zero 0
	.end_amdhsa_kernel
	.section	.text._ZN2at6native12_GLOBAL__N_114gatherKthValueIdiLi3EEEvNS_4cuda6detail10TensorInfoIKT_T0_EES8_S8_S8_S8_NS5_IS6_S8_EENS5_IlS8_EE,"axG",@progbits,_ZN2at6native12_GLOBAL__N_114gatherKthValueIdiLi3EEEvNS_4cuda6detail10TensorInfoIKT_T0_EES8_S8_S8_S8_NS5_IS6_S8_EENS5_IlS8_EE,comdat
.Lfunc_end42:
	.size	_ZN2at6native12_GLOBAL__N_114gatherKthValueIdiLi3EEEvNS_4cuda6detail10TensorInfoIKT_T0_EES8_S8_S8_S8_NS5_IS6_S8_EENS5_IlS8_EE, .Lfunc_end42-_ZN2at6native12_GLOBAL__N_114gatherKthValueIdiLi3EEEvNS_4cuda6detail10TensorInfoIKT_T0_EES8_S8_S8_S8_NS5_IS6_S8_EENS5_IlS8_EE
                                        ; -- End function
	.set _ZN2at6native12_GLOBAL__N_114gatherKthValueIdiLi3EEEvNS_4cuda6detail10TensorInfoIKT_T0_EES8_S8_S8_S8_NS5_IS6_S8_EENS5_IlS8_EE.num_vgpr, 56
	.set _ZN2at6native12_GLOBAL__N_114gatherKthValueIdiLi3EEEvNS_4cuda6detail10TensorInfoIKT_T0_EES8_S8_S8_S8_NS5_IS6_S8_EENS5_IlS8_EE.num_agpr, 0
	.set _ZN2at6native12_GLOBAL__N_114gatherKthValueIdiLi3EEEvNS_4cuda6detail10TensorInfoIKT_T0_EES8_S8_S8_S8_NS5_IS6_S8_EENS5_IlS8_EE.numbered_sgpr, 100
	.set _ZN2at6native12_GLOBAL__N_114gatherKthValueIdiLi3EEEvNS_4cuda6detail10TensorInfoIKT_T0_EES8_S8_S8_S8_NS5_IS6_S8_EENS5_IlS8_EE.num_named_barrier, 0
	.set _ZN2at6native12_GLOBAL__N_114gatherKthValueIdiLi3EEEvNS_4cuda6detail10TensorInfoIKT_T0_EES8_S8_S8_S8_NS5_IS6_S8_EENS5_IlS8_EE.private_seg_size, 0
	.set _ZN2at6native12_GLOBAL__N_114gatherKthValueIdiLi3EEEvNS_4cuda6detail10TensorInfoIKT_T0_EES8_S8_S8_S8_NS5_IS6_S8_EENS5_IlS8_EE.uses_vcc, 1
	.set _ZN2at6native12_GLOBAL__N_114gatherKthValueIdiLi3EEEvNS_4cuda6detail10TensorInfoIKT_T0_EES8_S8_S8_S8_NS5_IS6_S8_EENS5_IlS8_EE.uses_flat_scratch, 0
	.set _ZN2at6native12_GLOBAL__N_114gatherKthValueIdiLi3EEEvNS_4cuda6detail10TensorInfoIKT_T0_EES8_S8_S8_S8_NS5_IS6_S8_EENS5_IlS8_EE.has_dyn_sized_stack, 0
	.set _ZN2at6native12_GLOBAL__N_114gatherKthValueIdiLi3EEEvNS_4cuda6detail10TensorInfoIKT_T0_EES8_S8_S8_S8_NS5_IS6_S8_EENS5_IlS8_EE.has_recursion, 0
	.set _ZN2at6native12_GLOBAL__N_114gatherKthValueIdiLi3EEEvNS_4cuda6detail10TensorInfoIKT_T0_EES8_S8_S8_S8_NS5_IS6_S8_EENS5_IlS8_EE.has_indirect_call, 0
	.section	.AMDGPU.csdata,"",@progbits
; Kernel info:
; codeLenInByte = 12744
; TotalNumSgprs: 102
; NumVgprs: 56
; ScratchSize: 0
; MemoryBound: 0
; FloatMode: 240
; IeeeMode: 1
; LDSByteSize: 4112 bytes/workgroup (compile time only)
; SGPRBlocks: 0
; VGPRBlocks: 6
; NumSGPRsForWavesPerEU: 102
; NumVGPRsForWavesPerEU: 56
; Occupancy: 16
; WaveLimiterHint : 1
; COMPUTE_PGM_RSRC2:SCRATCH_EN: 0
; COMPUTE_PGM_RSRC2:USER_SGPR: 2
; COMPUTE_PGM_RSRC2:TRAP_HANDLER: 0
; COMPUTE_PGM_RSRC2:TGID_X_EN: 1
; COMPUTE_PGM_RSRC2:TGID_Y_EN: 1
; COMPUTE_PGM_RSRC2:TGID_Z_EN: 1
; COMPUTE_PGM_RSRC2:TIDIG_COMP_CNT: 0
	.section	.text._ZN2at6native12_GLOBAL__N_114gatherKthValueIdiLin1EEEvNS_4cuda6detail10TensorInfoIKT_T0_EES8_S8_S8_S8_NS5_IS6_S8_EENS5_IlS8_EE,"axG",@progbits,_ZN2at6native12_GLOBAL__N_114gatherKthValueIdiLin1EEEvNS_4cuda6detail10TensorInfoIKT_T0_EES8_S8_S8_S8_NS5_IS6_S8_EENS5_IlS8_EE,comdat
	.globl	_ZN2at6native12_GLOBAL__N_114gatherKthValueIdiLin1EEEvNS_4cuda6detail10TensorInfoIKT_T0_EES8_S8_S8_S8_NS5_IS6_S8_EENS5_IlS8_EE ; -- Begin function _ZN2at6native12_GLOBAL__N_114gatherKthValueIdiLin1EEEvNS_4cuda6detail10TensorInfoIKT_T0_EES8_S8_S8_S8_NS5_IS6_S8_EENS5_IlS8_EE
	.p2align	8
	.type	_ZN2at6native12_GLOBAL__N_114gatherKthValueIdiLin1EEEvNS_4cuda6detail10TensorInfoIKT_T0_EES8_S8_S8_S8_NS5_IS6_S8_EENS5_IlS8_EE,@function
_ZN2at6native12_GLOBAL__N_114gatherKthValueIdiLin1EEEvNS_4cuda6detail10TensorInfoIKT_T0_EES8_S8_S8_S8_NS5_IS6_S8_EENS5_IlS8_EE: ; @_ZN2at6native12_GLOBAL__N_114gatherKthValueIdiLin1EEEvNS_4cuda6detail10TensorInfoIKT_T0_EES8_S8_S8_S8_NS5_IS6_S8_EENS5_IlS8_EE
; %bb.0:
	s_clause 0x1
	s_load_b64 s[4:5], s[0:1], 0x298
	s_load_b128 s[36:39], s[0:1], 0xd8
	s_lshr_b32 s2, ttmp7, 16
	s_and_b32 s3, ttmp7, 0xffff
	s_wait_kmcnt 0x0
	s_mul_i32 s2, s5, s2
	s_delay_alu instid0(SALU_CYCLE_1) | instskip(NEXT) | instid1(SALU_CYCLE_1)
	s_add_co_i32 s2, s2, s3
	s_mul_i32 s2, s2, s4
	s_delay_alu instid0(SALU_CYCLE_1) | instskip(NEXT) | instid1(SALU_CYCLE_1)
	s_add_co_i32 s33, s2, ttmp9
	s_cmp_ge_i32 s33, s38
	s_cbranch_scc1 .LBB43_251
; %bb.1:
	s_load_b32 s6, s[0:1], 0xd0
	s_mov_b32 s3, 0
	s_mov_b32 s5, s33
	s_wait_kmcnt 0x0
	s_cmp_lt_i32 s6, 2
	s_cbranch_scc1 .LBB43_4
; %bb.2:
	s_add_co_i32 s2, s6, -1
	s_mov_b32 s5, s33
	s_lshl_b64 s[8:9], s[2:3], 2
	s_add_co_i32 s2, s6, 1
	s_add_nc_u64 s[8:9], s[0:1], s[8:9]
	s_delay_alu instid0(SALU_CYCLE_1)
	s_add_nc_u64 s[6:7], s[8:9], 8
.LBB43_3:                               ; =>This Inner Loop Header: Depth=1
	s_clause 0x1
	s_load_b32 s8, s[6:7], 0x0
	s_load_b32 s9, s[6:7], 0x64
	s_mov_b32 s13, s5
	s_add_nc_u64 s[6:7], s[6:7], -4
	s_wait_kmcnt 0x0
	s_abs_i32 s10, s8
	s_wait_alu 0xfffe
	s_cvt_f32_u32 s11, s10
	s_sub_co_i32 s12, 0, s10
	s_wait_alu 0xfffe
	s_delay_alu instid0(SALU_CYCLE_1) | instskip(NEXT) | instid1(TRANS32_DEP_1)
	v_rcp_iflag_f32_e32 v1, s11
	v_readfirstlane_b32 s11, v1
	s_mul_f32 s11, s11, 0x4f7ffffe
	s_wait_alu 0xfffe
	s_delay_alu instid0(SALU_CYCLE_2) | instskip(SKIP_1) | instid1(SALU_CYCLE_2)
	s_cvt_u32_f32 s11, s11
	s_wait_alu 0xfffe
	s_mul_i32 s12, s12, s11
	s_delay_alu instid0(SALU_CYCLE_1)
	s_mul_hi_u32 s5, s11, s12
	s_abs_i32 s12, s13
	s_add_co_i32 s11, s11, s5
	s_wait_alu 0xfffe
	s_mul_hi_u32 s5, s12, s11
	s_xor_b32 s11, s13, s8
	s_mul_i32 s14, s5, s10
	s_wait_alu 0xfffe
	s_ashr_i32 s11, s11, 31
	s_sub_co_i32 s12, s12, s14
	s_add_co_i32 s14, s5, 1
	s_sub_co_i32 s15, s12, s10
	s_cmp_ge_u32 s12, s10
	s_cselect_b32 s5, s14, s5
	s_cselect_b32 s12, s15, s12
	s_add_co_i32 s14, s5, 1
	s_cmp_ge_u32 s12, s10
	s_cselect_b32 s5, s14, s5
	s_add_co_i32 s2, s2, -1
	s_wait_alu 0xfffe
	s_xor_b32 s5, s5, s11
	s_delay_alu instid0(SALU_CYCLE_1) | instskip(NEXT) | instid1(SALU_CYCLE_1)
	s_sub_co_i32 s5, s5, s11
	s_mul_i32 s8, s5, s8
	s_delay_alu instid0(SALU_CYCLE_1) | instskip(NEXT) | instid1(SALU_CYCLE_1)
	s_sub_co_i32 s8, s13, s8
	s_mul_i32 s8, s9, s8
	s_delay_alu instid0(SALU_CYCLE_1)
	s_add_co_i32 s3, s8, s3
	s_cmp_gt_u32 s2, 2
	s_cbranch_scc1 .LBB43_3
.LBB43_4:
	s_load_b32 s2, s[0:1], 0x1b8
	s_add_nc_u64 s[10:11], s[0:1], 0x298
	s_add_nc_u64 s[6:7], s[0:1], 0xe8
	s_mov_b32 s29, 0
	s_mov_b32 s38, s33
	s_wait_kmcnt 0x0
	s_cmp_lt_i32 s2, 2
	s_cbranch_scc1 .LBB43_7
; %bb.5:
	s_add_co_i32 s28, s2, -1
	s_add_co_i32 s2, s2, 1
	s_lshl_b64 s[8:9], s[28:29], 2
	s_mov_b32 s38, s33
	s_add_nc_u64 s[8:9], s[6:7], s[8:9]
	s_delay_alu instid0(SALU_CYCLE_1)
	s_add_nc_u64 s[8:9], s[8:9], 8
.LBB43_6:                               ; =>This Inner Loop Header: Depth=1
	s_clause 0x1
	s_load_b32 s12, s[8:9], 0x0
	s_load_b32 s13, s[8:9], 0x64
	s_abs_i32 s18, s38
	s_mov_b32 s17, s38
	s_add_nc_u64 s[8:9], s[8:9], -4
	s_wait_kmcnt 0x0
	s_abs_i32 s14, s12
	s_wait_alu 0xfffe
	s_cvt_f32_u32 s15, s14
	s_sub_co_i32 s16, 0, s14
	s_wait_alu 0xfffe
	s_delay_alu instid0(SALU_CYCLE_1) | instskip(NEXT) | instid1(TRANS32_DEP_1)
	v_rcp_iflag_f32_e32 v1, s15
	v_readfirstlane_b32 s15, v1
	s_mul_f32 s15, s15, 0x4f7ffffe
	s_wait_alu 0xfffe
	s_delay_alu instid0(SALU_CYCLE_2) | instskip(SKIP_1) | instid1(SALU_CYCLE_2)
	s_cvt_u32_f32 s15, s15
	s_wait_alu 0xfffe
	s_mul_i32 s16, s16, s15
	s_delay_alu instid0(SALU_CYCLE_1) | instskip(NEXT) | instid1(SALU_CYCLE_1)
	s_mul_hi_u32 s16, s15, s16
	s_add_co_i32 s15, s15, s16
	s_xor_b32 s16, s38, s12
	s_wait_alu 0xfffe
	s_mul_hi_u32 s15, s18, s15
	s_ashr_i32 s16, s16, 31
	s_wait_alu 0xfffe
	s_mul_i32 s19, s15, s14
	s_delay_alu instid0(SALU_CYCLE_1)
	s_sub_co_i32 s18, s18, s19
	s_add_co_i32 s19, s15, 1
	s_sub_co_i32 s20, s18, s14
	s_cmp_ge_u32 s18, s14
	s_cselect_b32 s15, s19, s15
	s_cselect_b32 s18, s20, s18
	s_wait_alu 0xfffe
	s_add_co_i32 s19, s15, 1
	s_cmp_ge_u32 s18, s14
	s_cselect_b32 s14, s19, s15
	s_add_co_i32 s2, s2, -1
	s_wait_alu 0xfffe
	s_xor_b32 s14, s14, s16
	s_wait_alu 0xfffe
	s_sub_co_i32 s38, s14, s16
	s_delay_alu instid0(SALU_CYCLE_1) | instskip(NEXT) | instid1(SALU_CYCLE_1)
	s_mul_i32 s12, s38, s12
	s_sub_co_i32 s12, s17, s12
	s_delay_alu instid0(SALU_CYCLE_1) | instskip(NEXT) | instid1(SALU_CYCLE_1)
	s_mul_i32 s12, s13, s12
	s_add_co_i32 s29, s12, s29
	s_cmp_gt_u32 s2, 2
	s_cbranch_scc1 .LBB43_6
.LBB43_7:
	s_clause 0x1
	s_load_b32 s12, s[0:1], 0x6c
	s_load_b32 s2, s[0:1], 0x290
	s_mov_b32 s31, 0
	s_wait_kmcnt 0x0
	s_cmp_lt_i32 s2, 2
	s_cbranch_scc1 .LBB43_10
; %bb.8:
	s_add_co_i32 s30, s2, -1
	s_add_nc_u64 s[8:9], s[0:1], 0x1c0
	s_lshl_b64 s[14:15], s[30:31], 2
	s_add_co_i32 s2, s2, 1
	s_wait_alu 0xfffe
	s_add_nc_u64 s[8:9], s[8:9], s[14:15]
	s_delay_alu instid0(SALU_CYCLE_1)
	s_add_nc_u64 s[8:9], s[8:9], 8
.LBB43_9:                               ; =>This Inner Loop Header: Depth=1
	s_clause 0x1
	s_load_b32 s13, s[8:9], 0x0
	s_load_b32 s14, s[8:9], 0x64
	s_abs_i32 s19, s33
	s_mov_b32 s18, s33
	s_add_nc_u64 s[8:9], s[8:9], -4
	s_wait_kmcnt 0x0
	s_abs_i32 s15, s13
	s_wait_alu 0xfffe
	s_cvt_f32_u32 s16, s15
	s_sub_co_i32 s17, 0, s15
	s_wait_alu 0xfffe
	s_delay_alu instid0(SALU_CYCLE_1) | instskip(NEXT) | instid1(TRANS32_DEP_1)
	v_rcp_iflag_f32_e32 v1, s16
	v_readfirstlane_b32 s16, v1
	s_mul_f32 s16, s16, 0x4f7ffffe
	s_wait_alu 0xfffe
	s_delay_alu instid0(SALU_CYCLE_2) | instskip(SKIP_1) | instid1(SALU_CYCLE_2)
	s_cvt_u32_f32 s16, s16
	s_wait_alu 0xfffe
	s_mul_i32 s17, s17, s16
	s_wait_alu 0xfffe
	s_mul_hi_u32 s17, s16, s17
	s_wait_alu 0xfffe
	s_add_co_i32 s16, s16, s17
	s_xor_b32 s17, s33, s13
	s_wait_alu 0xfffe
	s_mul_hi_u32 s16, s19, s16
	s_ashr_i32 s17, s17, 31
	s_wait_alu 0xfffe
	s_mul_i32 s20, s16, s15
	s_delay_alu instid0(SALU_CYCLE_1)
	s_sub_co_i32 s19, s19, s20
	s_add_co_i32 s20, s16, 1
	s_sub_co_i32 s21, s19, s15
	s_cmp_ge_u32 s19, s15
	s_cselect_b32 s16, s20, s16
	s_cselect_b32 s19, s21, s19
	s_wait_alu 0xfffe
	s_add_co_i32 s20, s16, 1
	s_cmp_ge_u32 s19, s15
	s_cselect_b32 s15, s20, s16
	s_add_co_i32 s2, s2, -1
	s_wait_alu 0xfffe
	s_xor_b32 s15, s15, s17
	s_wait_alu 0xfffe
	s_sub_co_i32 s33, s15, s17
	s_delay_alu instid0(SALU_CYCLE_1) | instskip(NEXT) | instid1(SALU_CYCLE_1)
	s_mul_i32 s13, s33, s13
	s_sub_co_i32 s13, s18, s13
	s_delay_alu instid0(SALU_CYCLE_1) | instskip(NEXT) | instid1(SALU_CYCLE_1)
	s_mul_i32 s13, s14, s13
	s_add_co_i32 s31, s13, s31
	s_cmp_gt_u32 s2, 2
	s_cbranch_scc1 .LBB43_9
.LBB43_10:
	s_clause 0x1
	s_load_b32 s30, s[6:7], 0x6c
	s_load_b64 s[6:7], s[0:1], 0x0
	v_cmp_eq_u32_e64 s2, 0, v0
	s_mov_b32 s43, 0
	s_and_saveexec_b32 s8, s2
; %bb.11:
	v_dual_mov_b32 v1, 0 :: v_dual_mov_b32 v2, s36
	s_delay_alu instid0(VALU_DEP_1)
	v_mov_b32_e32 v3, v1
	ds_store_b96 v1, v[1:3] offset:4096
; %bb.12:
	s_or_b32 exec_lo, exec_lo, s8
	s_wait_dscnt 0x0
	s_barrier_signal -1
	s_barrier_wait -1
	global_inv scope:SCOPE_SE
	s_load_b32 s13, s[10:11], 0xc
	s_clause 0x2
	s_load_b32 s52, s[0:1], 0x22c
	s_load_b64 s[34:35], s[0:1], 0xe8
	s_load_b64 s[40:41], s[0:1], 0x1c0
	v_mbcnt_lo_u32_b32 v27, -1, 0
	v_cmp_gt_u32_e32 vcc_lo, 32, v0
	s_mul_i32 s0, s12, s5
	v_dual_mov_b32 v13, 0 :: v_dual_lshlrev_b32 v28, 2, v0
	s_delay_alu instid0(VALU_DEP_3)
	v_cmp_gt_i32_e64 s1, 4, v27
	s_add_co_i32 s8, s0, s3
	v_mul_lo_u32 v11, s39, v0
	s_ashr_i32 s9, s8, 31
	v_dual_mov_b32 v12, v13 :: v_dual_lshlrev_b32 v29, 3, v0
	s_and_b32 s54, vcc_lo, s1
	s_lshl_b64 s[8:9], s[8:9], 3
	v_mov_b32_e32 v5, 0
	s_wait_kmcnt 0x0
	s_add_nc_u64 s[44:45], s[6:7], s[8:9]
	v_lshlrev_b32_e32 v36, 2, v11
	s_and_b32 s53, s13, 0xffff
	s_bfe_u32 s3, s13, 0xb0005
	s_lshl_b32 s55, s53, 2
	s_add_co_i32 s56, s53, -1
	s_cvt_f32_u32 s1, s55
	s_add_co_i32 s65, s56, s36
	s_cmp_gt_i32 s36, 0x180
	s_cvt_f32_u32 s12, s53
	v_rcp_iflag_f32_e32 v1, s1
	s_cselect_b32 s58, -1, 0
	s_cmp_gt_u32 s53, 31
	v_rcp_iflag_f32_e32 v4, s12
	s_cselect_b32 s59, -1, 0
	s_cmp_lt_u32 ttmp9, s4
	v_mov_b32_e32 v6, 0
	s_cselect_b32 s42, 12, 18
	s_add_co_i32 s4, s3, -1
	s_bfe_u32 s60, s53, 0x30005
	v_readfirstlane_b32 s5, v1
	s_and_b32 s4, s4, 0xffff
	v_lshlrev_b64_e64 v[1:2], v27, -1
	s_cmp_gt_u32 s4, 6
	v_lshlrev_b64_e32 v[2:3], 3, v[11:12]
	s_mul_f32 s4, s5, 0x4f7ffffe
	s_cselect_b32 s61, -1, 0
	s_and_b32 s62, s3, 0x7f8
	s_cmp_lg_u32 s60, 0
	s_cvt_u32_f32 s5, s4
	s_cselect_b32 s63, -1, 0
	s_sub_co_i32 s4, 0, s55
	v_not_b32_e32 v32, v1
	s_mul_i32 s4, s4, s5
	v_add_co_u32 v14, vcc_lo, s44, v2
	s_mul_hi_u32 s13, s5, s4
	v_lshrrev_b32_e32 v2, 1, v0
	s_wait_alu 0xfffe
	s_add_co_i32 s46, s5, s13
	v_add_co_ci_u32_e64 v15, null, s45, v3, vcc_lo
	s_mul_hi_u32 s5, s36, s46
	v_or_b32_e32 v3, 3, v28
	s_mul_i32 s5, s5, s55
	v_cmp_gt_u32_e64 s0, 2, v0
	s_sub_co_i32 s5, s36, s5
	v_cmp_gt_u32_e64 s1, s36, v0
	s_sub_co_i32 s12, s5, s55
	s_cmp_ge_u32 s5, s55
	v_mul_lo_u32 v35, s39, v3
	s_wait_alu 0xfffe
	s_cselect_b32 s5, s12, s5
	v_readfirstlane_b32 s12, v4
	s_sub_co_i32 s13, s5, s55
	s_cmp_ge_u32 s5, s55
	v_mov_b32_e32 v18, 0
	s_wait_alu 0xfffe
	s_cselect_b32 s9, s13, s5
	s_mul_f32 s5, s12, 0x4f7ffffe
	s_sub_co_i32 s64, s36, s9
	s_sub_co_i32 s6, 0, s53
	v_add_nc_u32_e32 v31, s64, v0
	s_cvt_u32_f32 s5, s5
	s_abs_i32 s7, s65
	s_mov_b32 s12, s39
	v_cmp_gt_i32_e64 s3, s36, v0
	v_mul_lo_u32 v1, v31, s39
	s_mul_i32 s6, s6, s5
	s_wait_alu 0xfffe
	v_mad_co_u64_u32 v[20:21], null, s39, v28, s[12:13]
	s_mul_hi_u32 s6, s5, s6
	v_mov_b32_e32 v21, 0
	s_add_co_i32 s48, s5, s6
	s_movk_i32 s5, 0x1f0
	s_mul_hi_u32 s6, s7, s48
	v_and_or_b32 v33, v2, s5, 0xc00
	v_ashrrev_i32_e32 v2, 31, v1
	s_mul_i32 s6, s6, s53
	v_cmp_eq_u32_e64 s4, 0, v27
	s_sub_co_i32 s5, s7, s6
	s_ashr_i32 s7, s65, 31
	v_lshlrev_b64_e32 v[1:2], 3, v[1:2]
	s_wait_alu 0xfffe
	s_sub_co_i32 s6, s5, s53
	s_cmp_ge_u32 s5, s53
	v_dual_mov_b32 v19, 0 :: v_dual_add_nc_u32 v30, 0xc00, v29
	s_cselect_b32 s6, s6, s5
	v_add_co_u32 v16, vcc_lo, s44, v1
	v_add3_u32 v1, s53, s36, v0
	s_sub_co_i32 s8, s6, s53
	s_cmp_ge_u32 s6, s53
	s_wait_alu 0xfffd
	v_add_co_ci_u32_e64 v17, null, s45, v2, vcc_lo
	s_cselect_b32 s8, s8, s6
	v_or_b32_e32 v2, 2, v28
	v_subrev_nc_u32_e32 v1, s9, v1
	s_xor_b32 s8, s8, s7
	v_cmp_gt_i32_e64 s5, s64, v28
	s_wait_alu 0xfffe
	s_sub_co_i32 s8, s7, s8
	v_mul_lo_u32 v34, s39, v2
	v_mul_lo_u32 v37, s39, v1
	s_wait_alu 0xfffe
	s_add_co_i32 s65, s65, s8
	v_cmp_gt_u32_e64 s6, s36, v31
	v_cmp_gt_i32_e64 s7, s36, v31
	s_wait_alu 0xfffe
	v_cmp_gt_i32_e64 s8, s65, v0
	v_dual_mov_b32 v41, s37 :: v_dual_lshlrev_b32 v38, 5, v0
	v_lshl_or_b32 v39, v27, 2, 0xc00
	v_mov_b32_e32 v2, 0x3ff00000
	v_mov_b32_e32 v22, 0
	v_mov_b32_e32 v40, 0
	s_mul_i32 s57, s39, s53
	s_mov_b32 s47, s43
	s_mov_b32 s49, s43
	s_lshl_b32 s66, s57, 2
	s_lshl_b32 s67, s53, 5
	;; [unrolled: 1-line block ×3, first 2 shown]
	s_mov_b32 s75, 62
	s_add_nc_u64 s[50:51], s[10:11], s[42:43]
	s_mov_b32 s37, 0
                                        ; implicit-def: $sgpr72
                                        ; implicit-def: $sgpr74
                                        ; implicit-def: $sgpr69
                                        ; implicit-def: $sgpr71
                                        ; implicit-def: $sgpr73
                                        ; implicit-def: $sgpr70
	s_branch .LBB43_16
.LBB43_13:                              ;   in Loop: Header=BB43_16 Depth=1
	s_wait_alu 0xfffe
	s_or_b32 exec_lo, exec_lo, s12
	s_delay_alu instid0(SALU_CYCLE_1)
	s_and_b32 s10, s10, exec_lo
	s_and_not1_b32 s18, s18, exec_lo
	s_and_not1_b32 s17, s17, exec_lo
	s_or_not1_b32 s15, s11, exec_lo
.LBB43_14:                              ;   in Loop: Header=BB43_16 Depth=1
	s_wait_alu 0xfffe
	s_or_b32 exec_lo, exec_lo, s9
	s_delay_alu instid0(SALU_CYCLE_1)
	s_and_not1_b32 s9, s70, exec_lo
	s_and_b32 s10, s10, exec_lo
	s_and_not1_b32 s11, s71, exec_lo
	s_wait_alu 0xfffe
	s_or_b32 s70, s9, s10
	s_and_not1_b32 s9, s73, exec_lo
	s_and_b32 s10, s18, exec_lo
	s_and_b32 s12, s17, exec_lo
	s_wait_alu 0xfffe
	s_or_b32 s73, s9, s10
	s_or_b32 s71, s11, s12
	s_or_not1_b32 s16, s15, exec_lo
.LBB43_15:                              ;   in Loop: Header=BB43_16 Depth=1
	s_wait_alu 0xfffe
	s_or_b32 exec_lo, exec_lo, s14
	s_delay_alu instid0(SALU_CYCLE_1)
	s_and_b32 s9, exec_lo, s16
	v_mov_b32_e32 v41, v10
	s_wait_alu 0xfffe
	s_or_b32 s37, s9, s37
	s_and_not1_b32 s9, s69, exec_lo
	s_and_b32 s10, s70, exec_lo
	s_and_not1_b32 s11, s74, exec_lo
	s_wait_alu 0xfffe
	s_or_b32 s69, s9, s10
	s_and_b32 s9, s73, exec_lo
	s_and_not1_b32 s10, s72, exec_lo
	s_and_b32 s12, s71, exec_lo
	s_wait_alu 0xfffe
	s_or_b32 s74, s11, s9
	s_or_b32 s72, s10, s12
	s_mov_b32 s75, s23
	s_and_not1_b32 exec_lo, exec_lo, s37
	s_cbranch_execz .LBB43_247
.LBB43_16:                              ; =>This Loop Header: Depth=1
                                        ;     Child Loop BB43_22 Depth 2
                                        ;     Child Loop BB43_37 Depth 2
                                        ;     Child Loop BB43_69 Depth 2
                                        ;     Child Loop BB43_73 Depth 2
                                        ;     Child Loop BB43_56 Depth 2
                                        ;     Child Loop BB43_63 Depth 2
                                        ;     Child Loop BB43_52 Depth 2
                                        ;     Child Loop BB43_81 Depth 2
                                        ;     Child Loop BB43_92 Depth 2
                                        ;     Child Loop BB43_104 Depth 2
                                        ;     Child Loop BB43_131 Depth 2
                                        ;     Child Loop BB43_143 Depth 2
                                        ;     Child Loop BB43_170 Depth 2
                                        ;     Child Loop BB43_182 Depth 2
                                        ;     Child Loop BB43_209 Depth 2
                                        ;     Child Loop BB43_221 Depth 2
	ds_load_b64 v[3:4], v13 offset:4096
	s_wait_dscnt 0x0
	v_readfirstlane_b32 s42, v3
	s_cmp_gt_i32 s42, 0
	s_cbranch_scc1 .LBB43_44
; %bb.17:                               ;   in Loop: Header=BB43_16 Depth=1
	s_and_b32 vcc_lo, exec_lo, s58
	s_wait_alu 0xfffe
	s_cbranch_vccz .LBB43_30
; %bb.18:                               ;   in Loop: Header=BB43_16 Depth=1
	v_cmp_gt_i32_e32 vcc_lo, 0x181, v4
	s_mov_b32 s10, 0
	s_mov_b32 s9, 0
	s_cbranch_vccz .LBB43_31
; %bb.19:                               ;   in Loop: Header=BB43_16 Depth=1
	s_and_saveexec_b32 s11, s1
	s_cbranch_execz .LBB43_76
; %bb.20:                               ;   in Loop: Header=BB43_16 Depth=1
	global_load_b64 v[3:4], v[14:15], off
	s_load_u16 s12, s[50:51], 0x0
	s_mov_b32 s14, 0
	s_wait_kmcnt 0x0
	v_add_nc_u32_e32 v1, s12, v0
	s_mul_i32 s13, s39, s12
	s_delay_alu instid0(VALU_DEP_1)
	v_mul_lo_u32 v12, s39, v1
	v_mov_b32_e32 v1, v0
	s_branch .LBB43_22
.LBB43_21:                              ;   in Loop: Header=BB43_22 Depth=2
	s_wait_alu 0xfffe
	s_or_b32 exec_lo, exec_lo, s9
	v_cmp_le_i32_e32 vcc_lo, s36, v1
	v_dual_mov_b32 v3, v7 :: v_dual_add_nc_u32 v12, s13, v12
	v_mov_b32_e32 v4, v8
	s_or_b32 s14, vcc_lo, s14
	s_wait_alu 0xfffe
	s_and_not1_b32 exec_lo, exec_lo, s14
	s_cbranch_execz .LBB43_76
.LBB43_22:                              ;   Parent Loop BB43_16 Depth=1
                                        ; =>  This Inner Loop Header: Depth=2
	v_mov_b32_e32 v7, 0
	s_delay_alu instid0(VALU_DEP_2) | instskip(SKIP_1) | instid1(VALU_DEP_1)
	v_dual_mov_b32 v8, 0 :: v_dual_add_nc_u32 v1, s12, v1
	s_mov_b32 s9, exec_lo
	v_cmpx_gt_u32_e64 s36, v1
	s_cbranch_execz .LBB43_24
; %bb.23:                               ;   in Loop: Header=BB43_22 Depth=2
	v_lshlrev_b64_e32 v[7:8], 3, v[12:13]
	s_delay_alu instid0(VALU_DEP_1) | instskip(SKIP_1) | instid1(VALU_DEP_2)
	v_add_co_u32 v7, vcc_lo, s44, v7
	s_wait_alu 0xfffd
	v_add_co_ci_u32_e64 v8, null, s45, v8, vcc_lo
	global_load_b64 v[7:8], v[7:8], off
.LBB43_24:                              ;   in Loop: Header=BB43_22 Depth=2
	s_wait_alu 0xfffe
	s_or_b32 exec_lo, exec_lo, s9
	s_wait_loadcnt 0x0
	v_cmp_o_f64_e32 vcc_lo, v[3:4], v[3:4]
	s_wait_dscnt 0x0
	v_ashrrev_i32_e32 v9, 31, v4
	s_delay_alu instid0(VALU_DEP_1) | instskip(SKIP_1) | instid1(VALU_DEP_2)
	v_or_b32_e32 v10, 0x80000000, v9
	v_xor_b32_e32 v9, v9, v3
	v_xor_b32_e32 v10, v10, v4
	s_wait_alu 0xfffd
	s_delay_alu instid0(VALU_DEP_1) | instskip(NEXT) | instid1(VALU_DEP_1)
	v_dual_cndmask_b32 v10, -1, v10 :: v_dual_cndmask_b32 v9, -1, v9
	v_and_b32_e32 v10, v10, v22
	s_delay_alu instid0(VALU_DEP_2) | instskip(NEXT) | instid1(VALU_DEP_1)
	v_and_b32_e32 v9, v9, v21
	v_cmp_eq_u64_e32 vcc_lo, v[9:10], v[18:19]
	v_mov_b32_e32 v9, 0
	s_cmp_lg_u32 vcc_lo, 0
	s_cselect_b32 s9, -1, 0
	s_wait_alu 0xfffe
	s_and_b32 s9, s4, s9
	s_wait_alu 0xfffe
	s_and_saveexec_b32 s15, s9
	s_cbranch_execz .LBB43_28
; %bb.25:                               ;   in Loop: Header=BB43_22 Depth=2
	s_mov_b32 s18, exec_lo
	s_bcnt1_i32_b32 s16, vcc_lo
	s_wait_alu 0xfffe
	v_mbcnt_lo_u32_b32 v9, s18, 0
	s_mov_b32 s17, exec_lo
                                        ; implicit-def: $vgpr10
	s_delay_alu instid0(VALU_DEP_1)
	v_cmpx_eq_u32_e32 0, v9
; %bb.26:                               ;   in Loop: Header=BB43_22 Depth=2
	s_bcnt1_i32_b32 s9, s18
	s_wait_alu 0xfffe
	s_mul_i32 s9, s16, s9
	s_wait_alu 0xfffe
	v_mov_b32_e32 v10, s9
	ds_add_rtn_u32 v10, v13, v10 offset:4104
; %bb.27:                               ;   in Loop: Header=BB43_22 Depth=2
	s_or_b32 exec_lo, exec_lo, s17
	s_wait_dscnt 0x0
	v_readfirstlane_b32 s9, v10
	s_wait_alu 0xf1ff
	s_delay_alu instid0(VALU_DEP_1)
	v_mad_u32_u24 v9, s16, v9, s9
.LBB43_28:                              ;   in Loop: Header=BB43_22 Depth=2
	s_wait_alu 0xfffe
	s_or_b32 exec_lo, exec_lo, s15
	ds_bpermute_b32 v9, v13, v9
	s_and_saveexec_b32 s9, vcc_lo
	s_cbranch_execz .LBB43_21
; %bb.29:                               ;   in Loop: Header=BB43_22 Depth=2
	v_and_b32_e32 v10, vcc_lo, v32
	s_delay_alu instid0(VALU_DEP_1) | instskip(NEXT) | instid1(VALU_DEP_1)
	v_bcnt_u32_b32 v10, v10, 0
	v_lshlrev_b32_e32 v10, 3, v10
	s_wait_dscnt 0x0
	s_delay_alu instid0(VALU_DEP_1)
	v_lshl_add_u32 v9, v9, 3, v10
	ds_store_b64 v9, v[3:4]
	s_branch .LBB43_21
.LBB43_30:                              ;   in Loop: Header=BB43_16 Depth=1
	s_mov_b32 s10, -1
	s_mov_b32 s9, 0
.LBB43_31:                              ;   in Loop: Header=BB43_16 Depth=1
	s_wait_alu 0xfffe
	s_and_b32 vcc_lo, exec_lo, s10
	s_wait_alu 0xfffe
	s_cbranch_vccz .LBB43_42
.LBB43_32:                              ;   in Loop: Header=BB43_16 Depth=1
	v_mov_b32_e32 v3, 0
	v_mov_b32_e32 v4, 0
	s_and_saveexec_b32 s9, s1
	s_cbranch_execz .LBB43_34
; %bb.33:                               ;   in Loop: Header=BB43_16 Depth=1
	global_load_b64 v[3:4], v[14:15], off
.LBB43_34:                              ;   in Loop: Header=BB43_16 Depth=1
	s_wait_alu 0xfffe
	s_or_b32 exec_lo, exec_lo, s9
	s_and_saveexec_b32 s9, s3
	s_cbranch_execz .LBB43_39
; %bb.35:                               ;   in Loop: Header=BB43_16 Depth=1
	s_load_u16 s10, s[50:51], 0x0
	v_mov_b32_e32 v9, v0
	s_mov_b32 s13, 0
	s_wait_kmcnt 0x0
	v_add_nc_u32_e32 v1, s10, v0
	s_lshl_b32 s11, s10, 3
	s_mul_i32 s12, s39, s10
	s_delay_alu instid0(VALU_DEP_1)
	v_mul_lo_u32 v12, s39, v1
	v_mov_b32_e32 v1, v29
	s_branch .LBB43_37
.LBB43_36:                              ;   in Loop: Header=BB43_37 Depth=2
	s_wait_alu 0xfffe
	s_or_b32 exec_lo, exec_lo, s14
	v_cmp_le_i32_e32 vcc_lo, s36, v9
	s_wait_loadcnt 0x0
	ds_store_b64 v1, v[3:4]
	v_dual_mov_b32 v3, v7 :: v_dual_add_nc_u32 v12, s12, v12
	v_dual_mov_b32 v4, v8 :: v_dual_add_nc_u32 v1, s11, v1
	s_or_b32 s13, vcc_lo, s13
	s_wait_alu 0xfffe
	s_and_not1_b32 exec_lo, exec_lo, s13
	s_cbranch_execz .LBB43_39
.LBB43_37:                              ;   Parent Loop BB43_16 Depth=1
                                        ; =>  This Inner Loop Header: Depth=2
	v_mov_b32_e32 v7, 0
	v_dual_mov_b32 v8, 0 :: v_dual_add_nc_u32 v9, s10, v9
	s_mov_b32 s14, exec_lo
	s_delay_alu instid0(VALU_DEP_1)
	v_cmpx_gt_u32_e64 s36, v9
	s_cbranch_execz .LBB43_36
; %bb.38:                               ;   in Loop: Header=BB43_37 Depth=2
	v_lshlrev_b64_e32 v[7:8], 3, v[12:13]
	s_delay_alu instid0(VALU_DEP_1) | instskip(SKIP_1) | instid1(VALU_DEP_2)
	v_add_co_u32 v7, vcc_lo, s44, v7
	s_wait_alu 0xfffd
	v_add_co_ci_u32_e64 v8, null, s45, v8, vcc_lo
	global_load_b64 v[7:8], v[7:8], off
	s_branch .LBB43_36
.LBB43_39:                              ;   in Loop: Header=BB43_16 Depth=1
	s_wait_alu 0xfffe
	s_or_b32 exec_lo, exec_lo, s9
	s_wait_loadcnt_dscnt 0x0
	s_barrier_signal -1
	s_barrier_wait -1
	global_inv scope:SCOPE_SE
	s_and_saveexec_b32 s9, s2
; %bb.40:                               ;   in Loop: Header=BB43_16 Depth=1
	v_mov_b32_e32 v1, s36
	ds_store_b32 v13, v1 offset:4096
; %bb.41:                               ;   in Loop: Header=BB43_16 Depth=1
	s_wait_alu 0xfffe
	s_or_b32 exec_lo, exec_lo, s9
	s_mov_b32 s9, -1
	s_wait_loadcnt_dscnt 0x0
	s_barrier_signal -1
	s_barrier_wait -1
.LBB43_42:                              ;   in Loop: Header=BB43_16 Depth=1
	s_wait_alu 0xfffe
	s_and_b32 vcc_lo, exec_lo, s9
	s_wait_alu 0xfffe
	s_cbranch_vccz .LBB43_44
; %bb.43:                               ;   in Loop: Header=BB43_16 Depth=1
	s_wait_loadcnt 0x0
	global_inv scope:SCOPE_SE
	ds_load_b32 v1, v13 offset:4096
	s_wait_dscnt 0x0
	v_readfirstlane_b32 s42, v1
.LBB43_44:                              ;   in Loop: Header=BB43_16 Depth=1
	s_delay_alu instid0(VALU_DEP_1)
	s_cmp_lt_i32 s42, 1
	s_mov_b32 s9, -1
                                        ; implicit-def: $vgpr7
	s_cbranch_scc1 .LBB43_54
; %bb.45:                               ;   in Loop: Header=BB43_16 Depth=1
	s_wait_alu 0xfffe
	s_and_b32 vcc_lo, exec_lo, s9
	s_wait_alu 0xfffe
	s_cbranch_vccnz .LBB43_67
.LBB43_46:                              ;   in Loop: Header=BB43_16 Depth=1
	v_lshlrev_b32_e32 v1, 7, v40
	s_and_saveexec_b32 s9, s4
.LBB43_47:                              ;   in Loop: Header=BB43_16 Depth=1
	s_delay_alu instid0(VALU_DEP_1)
	v_lshl_add_u32 v3, v1, 2, v33
	ds_store_b128 v3, v[7:10]
.LBB43_48:                              ;   in Loop: Header=BB43_16 Depth=1
	s_wait_alu 0xfffe
	s_or_b32 exec_lo, exec_lo, s9
	s_wait_loadcnt_dscnt 0x0
	s_barrier_signal -1
	s_barrier_wait -1
	global_inv scope:SCOPE_SE
	s_and_saveexec_b32 s9, s54
	s_cbranch_execz .LBB43_83
; %bb.49:                               ;   in Loop: Header=BB43_16 Depth=1
	v_mov_b32_e32 v3, 0
	s_and_not1_b32 vcc_lo, exec_lo, s59
	s_wait_alu 0xfffe
	s_cbranch_vccnz .LBB43_82
; %bb.50:                               ;   in Loop: Header=BB43_16 Depth=1
	s_and_not1_b32 vcc_lo, exec_lo, s61
	s_wait_alu 0xfffe
	s_cbranch_vccnz .LBB43_79
; %bb.51:                               ;   in Loop: Header=BB43_16 Depth=1
	v_lshl_add_u32 v4, v40, 9, v39
	v_mov_b32_e32 v3, 0
	s_mov_b32 s10, 0
.LBB43_52:                              ;   Parent Loop BB43_16 Depth=1
                                        ; =>  This Inner Loop Header: Depth=2
	ds_load_2addr_b32 v[7:8], v4 offset1:4
	ds_load_2addr_b32 v[9:10], v4 offset0:8 offset1:12
	ds_load_2addr_b32 v[23:24], v4 offset0:16 offset1:20
	;; [unrolled: 1-line block ×3, first 2 shown]
	v_add_nc_u32_e32 v4, 0x80, v4
	s_wait_alu 0xfffe
	s_add_co_i32 s10, s10, 8
	s_wait_alu 0xfffe
	s_cmp_eq_u32 s62, s10
	s_wait_dscnt 0x3
	v_add3_u32 v3, v7, v3, v8
	s_wait_dscnt 0x2
	s_delay_alu instid0(VALU_DEP_1) | instskip(SKIP_1) | instid1(VALU_DEP_1)
	v_add3_u32 v3, v9, v3, v10
	s_wait_dscnt 0x1
	v_add3_u32 v3, v23, v3, v24
	s_wait_dscnt 0x0
	s_delay_alu instid0(VALU_DEP_1)
	v_add3_u32 v3, v25, v3, v26
	s_cbranch_scc0 .LBB43_52
; %bb.53:                               ;   in Loop: Header=BB43_16 Depth=1
	s_mov_b32 s10, s62
	s_and_not1_b32 vcc_lo, exec_lo, s63
	s_wait_alu 0xfffe
	s_cbranch_vccz .LBB43_80
	s_branch .LBB43_82
.LBB43_54:                              ;   in Loop: Header=BB43_16 Depth=1
	v_dual_mov_b32 v7, 0 :: v_dual_mov_b32 v8, 0
	v_dual_mov_b32 v9, 0 :: v_dual_mov_b32 v10, 0
	s_and_saveexec_b32 s76, s5
	s_cbranch_execz .LBB43_58
; %bb.55:                               ;   in Loop: Header=BB43_16 Depth=1
	v_mov_b32_e32 v1, v28
	s_mov_b32 s77, 0
	s_mov_b32 s78, 0
	;; [unrolled: 1-line block ×6, first 2 shown]
.LBB43_56:                              ;   Parent Loop BB43_16 Depth=1
                                        ; =>  This Inner Loop Header: Depth=2
	s_wait_alu 0xfffe
	v_add_nc_u32_e32 v3, s78, v36
	v_add_nc_u32_e32 v7, s78, v20
	v_add_nc_u32_e32 v9, s78, v34
	v_add_nc_u32_e32 v23, s78, v35
	v_add_nc_u32_e32 v1, s55, v1
	v_ashrrev_i32_e32 v4, 31, v3
	v_ashrrev_i32_e32 v8, 31, v7
	;; [unrolled: 1-line block ×4, first 2 shown]
	s_add_co_i32 s78, s78, s66
	v_lshlrev_b64_e32 v[3:4], 3, v[3:4]
	v_lshlrev_b64_e32 v[7:8], 3, v[7:8]
	;; [unrolled: 1-line block ×4, first 2 shown]
	s_delay_alu instid0(VALU_DEP_4)
	v_add_co_u32 v3, vcc_lo, s44, v3
	s_wait_alu 0xfffd
	v_add_co_ci_u32_e64 v4, null, s45, v4, vcc_lo
	v_add_co_u32 v7, vcc_lo, s44, v7
	s_wait_alu 0xfffd
	v_add_co_ci_u32_e64 v8, null, s45, v8, vcc_lo
	;; [unrolled: 3-line block ×4, first 2 shown]
	s_clause 0x3
	global_load_b64 v[3:4], v[3:4], off
	global_load_b64 v[7:8], v[7:8], off
	;; [unrolled: 1-line block ×4, first 2 shown]
	v_cmp_le_i32_e32 vcc_lo, s64, v1
	s_wait_loadcnt 0x3
	v_cmp_o_f64_e64 s9, v[3:4], v[3:4]
	s_wait_loadcnt 0x2
	v_cmp_o_f64_e64 s10, v[7:8], v[7:8]
	;; [unrolled: 2-line block ×4, first 2 shown]
	v_ashrrev_i32_e32 v12, 31, v4
	v_ashrrev_i32_e32 v26, 31, v8
	;; [unrolled: 1-line block ×4, first 2 shown]
	s_delay_alu instid0(VALU_DEP_4) | instskip(NEXT) | instid1(VALU_DEP_4)
	v_or_b32_e32 v46, 0x80000000, v12
	v_or_b32_e32 v47, 0x80000000, v26
	s_delay_alu instid0(VALU_DEP_4) | instskip(NEXT) | instid1(VALU_DEP_4)
	v_or_b32_e32 v48, 0x80000000, v42
	v_or_b32_e32 v49, 0x80000000, v44
	v_xor_b32_e32 v12, v12, v3
	v_xor_b32_e32 v46, v46, v4
	;; [unrolled: 1-line block ×8, first 2 shown]
	s_wait_alu 0xf1ff
	v_cndmask_b32_e64 v4, -1, v46, s9
	v_cndmask_b32_e64 v8, -1, v3, s10
	;; [unrolled: 1-line block ×7, first 2 shown]
	v_dual_mov_b32 v25, v13 :: v_dual_and_b32 v46, v3, v21
	v_and_b32_e32 v47, v4, v22
	v_lshrrev_b64 v[3:4], s75, v[3:4]
	v_cndmask_b32_e64 v23, -1, v44, s12
	v_dual_mov_b32 v43, v13 :: v_dual_and_b32 v48, v7, v21
	v_and_b32_e32 v49, v8, v22
	v_lshrrev_b64 v[7:8], s75, v[7:8]
	v_and_b32_e32 v50, v9, v21
	v_lshrrev_b64 v[8:9], s75, v[9:10]
	;; [unrolled: 2-line block ×3, first 2 shown]
	v_and_b32_e32 v12, 3, v3
	v_and_b32_e32 v53, v24, v22
	;; [unrolled: 1-line block ×4, first 2 shown]
	v_cmp_eq_u64_e64 s9, v[46:47], v[18:19]
	v_cmp_eq_u64_e64 s13, 0, v[12:13]
	v_dual_mov_b32 v45, v13 :: v_dual_and_b32 v52, v23, v21
	v_and_b32_e32 v44, 3, v9
	v_cmp_eq_u64_e64 s10, v[48:49], v[18:19]
	v_cmp_eq_u64_e64 s14, 0, v[24:25]
	;; [unrolled: 1-line block ×6, first 2 shown]
	s_and_b32 s13, s9, s13
	v_cmp_eq_u64_e64 s17, 1, v[12:13]
	s_wait_alu 0xfffe
	v_cndmask_b32_e64 v3, 0, 1, s13
	s_and_b32 s13, s10, s14
	v_cmp_eq_u64_e64 s18, 1, v[24:25]
	s_wait_alu 0xfffe
	v_cndmask_b32_e64 v4, 0, 1, s13
	;; [unrolled: 4-line block ×4, first 2 shown]
	s_and_b32 s13, s9, s17
	v_cmp_eq_u64_e64 s21, 2, v[12:13]
	v_cmp_eq_u64_e64 s25, 3, v[12:13]
	s_wait_alu 0xfffe
	v_cndmask_b32_e64 v9, 0, 1, s13
	s_and_b32 s13, s10, s18
	v_cmp_eq_u64_e64 s22, 2, v[24:25]
	v_cmp_eq_u64_e64 s26, 3, v[24:25]
	s_wait_alu 0xfffe
	v_cndmask_b32_e64 v10, 0, 1, s13
	;; [unrolled: 5-line block ×4, first 2 shown]
	s_and_b32 s13, s9, s21
	s_and_b32 s9, s9, s25
	s_wait_alu 0xfffe
	v_cndmask_b32_e64 v24, 0, 1, s13
	s_and_b32 s13, s10, s22
	v_cndmask_b32_e64 v43, 0, 1, s9
	s_and_b32 s9, s10, s26
	s_wait_alu 0xfffe
	v_cndmask_b32_e64 v25, 0, 1, s13
	s_and_b32 s13, s11, s23
	v_cndmask_b32_e64 v44, 0, 1, s9
	;; [unrolled: 5-line block ×3, first 2 shown]
	s_and_b32 s9, s12, s28
	s_wait_alu 0xfffe
	v_cndmask_b32_e64 v42, 0, 1, s13
	v_cndmask_b32_e64 v46, 0, 1, s9
	v_cmp_ne_u32_e64 s9, 0, v3
	v_cmp_ne_u32_e64 s13, 0, v9
	;; [unrolled: 1-line block ×12, first 2 shown]
	s_bcnt1_i32_b32 s9, s9
	s_bcnt1_i32_b32 s13, s13
	;; [unrolled: 1-line block ×4, first 2 shown]
	v_cmp_ne_u32_e64 s12, 0, v8
	v_cmp_ne_u32_e64 s16, 0, v23
	;; [unrolled: 1-line block ×4, first 2 shown]
	s_bcnt1_i32_b32 s10, s10
	s_bcnt1_i32_b32 s14, s14
	s_bcnt1_i32_b32 s18, s18
	s_bcnt1_i32_b32 s22, s22
	s_wait_alu 0xfffe
	s_add_co_i32 s9, s9, s82
	s_add_co_i32 s13, s13, s81
	s_add_co_i32 s17, s17, s80
	s_add_co_i32 s21, s21, s79
	s_bcnt1_i32_b32 s11, s11
	s_bcnt1_i32_b32 s15, s15
	s_bcnt1_i32_b32 s19, s19
	s_bcnt1_i32_b32 s23, s23
	s_wait_alu 0xfffe
	s_add_co_i32 s9, s9, s10
	s_add_co_i32 s10, s13, s14
	s_add_co_i32 s13, s17, s18
	s_add_co_i32 s14, s21, s22
	;; [unrolled: 9-line block ×3, first 2 shown]
	s_wait_alu 0xfffe
	s_add_co_i32 s82, s9, s12
	s_add_co_i32 s81, s10, s16
	;; [unrolled: 1-line block ×4, first 2 shown]
	s_wait_alu 0xfffe
	v_dual_mov_b32 v7, s82 :: v_dual_mov_b32 v8, s81
	v_dual_mov_b32 v9, s80 :: v_dual_mov_b32 v10, s79
	s_or_b32 s77, vcc_lo, s77
	s_wait_alu 0xfffe
	s_and_not1_b32 exec_lo, exec_lo, s77
	s_cbranch_execnz .LBB43_56
; %bb.57:                               ;   in Loop: Header=BB43_16 Depth=1
	s_or_b32 exec_lo, exec_lo, s77
.LBB43_58:                              ;   in Loop: Header=BB43_16 Depth=1
	s_wait_alu 0xfffe
	s_or_b32 exec_lo, exec_lo, s76
	v_mov_b32_e32 v25, 0
	v_mov_b32_e32 v26, 0
	s_and_saveexec_b32 s9, s6
	s_cbranch_execz .LBB43_60
; %bb.59:                               ;   in Loop: Header=BB43_16 Depth=1
	global_load_b64 v[25:26], v[16:17], off
.LBB43_60:                              ;   in Loop: Header=BB43_16 Depth=1
	s_wait_alu 0xfffe
	s_or_b32 exec_lo, exec_lo, s9
	s_and_saveexec_b32 s13, s7
	s_cbranch_execz .LBB43_66
; %bb.61:                               ;   in Loop: Header=BB43_16 Depth=1
	v_mov_b32_e32 v3, v37
	v_mov_b32_e32 v1, v31
	s_mov_b32 s14, 0
	s_branch .LBB43_63
.LBB43_62:                              ;   in Loop: Header=BB43_63 Depth=2
	s_wait_alu 0xfffe
	s_or_b32 exec_lo, exec_lo, s9
	s_wait_loadcnt 0x0
	v_cmp_o_f64_e32 vcc_lo, v[25:26], v[25:26]
	v_ashrrev_i32_e32 v4, 31, v26
	v_add_nc_u32_e32 v3, s57, v3
	s_delay_alu instid0(VALU_DEP_2) | instskip(SKIP_1) | instid1(VALU_DEP_2)
	v_or_b32_e32 v12, 0x80000000, v4
	v_xor_b32_e32 v4, v4, v25
	v_xor_b32_e32 v12, v12, v26
	s_wait_alu 0xfffd
	s_delay_alu instid0(VALU_DEP_2) | instskip(NEXT) | instid1(VALU_DEP_2)
	v_cndmask_b32_e32 v25, -1, v4, vcc_lo
	v_cndmask_b32_e32 v26, -1, v12, vcc_lo
	s_delay_alu instid0(VALU_DEP_1) | instskip(SKIP_2) | instid1(VALU_DEP_3)
	v_lshrrev_b64 v[42:43], s75, v[25:26]
	v_and_b32_e32 v25, v25, v21
	v_and_b32_e32 v26, v26, v22
	;; [unrolled: 1-line block ×3, first 2 shown]
	s_delay_alu instid0(VALU_DEP_2) | instskip(NEXT) | instid1(VALU_DEP_2)
	v_cmp_eq_u64_e32 vcc_lo, v[25:26], v[18:19]
	v_cmp_eq_u64_e64 s9, 0, v[12:13]
	v_cmp_eq_u64_e64 s10, 1, v[12:13]
	;; [unrolled: 1-line block ×4, first 2 shown]
	s_and_b32 s9, vcc_lo, s9
	s_wait_alu 0xfffe
	v_cndmask_b32_e64 v4, 0, 1, s9
	s_and_b32 s9, vcc_lo, s10
	s_wait_alu 0xfffe
	v_cndmask_b32_e64 v12, 0, 1, s9
	s_and_b32 s9, vcc_lo, s11
	s_wait_alu 0xfffe
	v_cndmask_b32_e64 v25, 0, 1, s9
	s_and_b32 s9, vcc_lo, s12
	v_cmp_ne_u32_e32 vcc_lo, 0, v4
	s_wait_alu 0xfffe
	v_cndmask_b32_e64 v26, 0, 1, s9
	v_cmp_ne_u32_e64 s9, 0, v12
	v_cmp_ne_u32_e64 s10, 0, v25
	v_cmp_le_i32_e64 s12, s36, v1
	s_bcnt1_i32_b32 s15, vcc_lo
	v_cmp_ne_u32_e64 s11, 0, v26
	s_bcnt1_i32_b32 s9, s9
	s_bcnt1_i32_b32 s10, s10
	s_wait_alu 0xfffe
	v_dual_mov_b32 v26, v24 :: v_dual_add_nc_u32 v7, s15, v7
	s_bcnt1_i32_b32 s11, s11
	v_add_nc_u32_e32 v8, s9, v8
	v_add_nc_u32_e32 v9, s10, v9
	s_wait_alu 0xfffe
	v_dual_mov_b32 v25, v23 :: v_dual_add_nc_u32 v10, s11, v10
	s_or_b32 s14, s12, s14
	s_wait_alu 0xfffe
	s_and_not1_b32 exec_lo, exec_lo, s14
	s_cbranch_execz .LBB43_65
.LBB43_63:                              ;   Parent Loop BB43_16 Depth=1
                                        ; =>  This Inner Loop Header: Depth=2
	v_mov_b32_e32 v23, 0
	s_delay_alu instid0(VALU_DEP_2) | instskip(SKIP_1) | instid1(VALU_DEP_1)
	v_dual_mov_b32 v24, 0 :: v_dual_add_nc_u32 v1, s53, v1
	s_mov_b32 s9, exec_lo
	v_cmpx_gt_u32_e64 s36, v1
	s_cbranch_execz .LBB43_62
; %bb.64:                               ;   in Loop: Header=BB43_63 Depth=2
	v_ashrrev_i32_e32 v4, 31, v3
	s_delay_alu instid0(VALU_DEP_1) | instskip(NEXT) | instid1(VALU_DEP_1)
	v_lshlrev_b64_e32 v[23:24], 3, v[3:4]
	v_add_co_u32 v23, vcc_lo, s44, v23
	s_wait_alu 0xfffd
	s_delay_alu instid0(VALU_DEP_2)
	v_add_co_ci_u32_e64 v24, null, s45, v24, vcc_lo
	global_load_b64 v[23:24], v[23:24], off
	s_branch .LBB43_62
.LBB43_65:                              ;   in Loop: Header=BB43_16 Depth=1
	s_or_b32 exec_lo, exec_lo, s14
.LBB43_66:                              ;   in Loop: Header=BB43_16 Depth=1
	s_wait_alu 0xfffe
	s_or_b32 exec_lo, exec_lo, s13
	s_branch .LBB43_46
.LBB43_67:                              ;   in Loop: Header=BB43_16 Depth=1
	s_mul_u64 s[10:11], s[42:43], s[46:47]
	v_dual_mov_b32 v7, 0 :: v_dual_mov_b32 v8, 0
	s_wait_alu 0xfffe
	s_mul_i32 s9, s11, s55
	v_dual_mov_b32 v9, 0 :: v_dual_mov_b32 v10, 0
	s_wait_alu 0xfffe
	s_sub_co_i32 s9, s42, s9
	s_mov_b32 s77, exec_lo
	s_wait_alu 0xfffe
	s_sub_co_i32 s10, s9, s55
	s_cmp_ge_u32 s9, s55
	s_wait_alu 0xfffe
	s_cselect_b32 s9, s10, s9
	s_wait_alu 0xfffe
	s_sub_co_i32 s10, s9, s55
	s_cmp_ge_u32 s9, s55
	s_wait_alu 0xfffe
	s_cselect_b32 s9, s10, s9
	s_wait_alu 0xfffe
	s_sub_co_i32 s76, s42, s9
	s_wait_alu 0xfffe
	v_cmpx_gt_u32_e64 s76, v28
	s_cbranch_execz .LBB43_71
; %bb.68:                               ;   in Loop: Header=BB43_16 Depth=1
	v_mov_b32_e32 v1, v38
	v_mov_b32_e32 v3, v28
	s_mov_b32 s78, 0
	s_mov_b32 s79, 0
	s_mov_b32 s80, 0
	s_mov_b32 s81, 0
	s_mov_b32 s82, 0
.LBB43_69:                              ;   Parent Loop BB43_16 Depth=1
                                        ; =>  This Inner Loop Header: Depth=2
	ds_load_b128 v[7:10], v1
	s_wait_loadcnt 0x0
	ds_load_b128 v[23:26], v1 offset:16
	s_wait_dscnt 0x1
	v_cmp_o_f64_e64 s9, v[7:8], v[7:8]
	v_cmp_o_f64_e64 s10, v[9:10], v[9:10]
	s_wait_dscnt 0x0
	v_cmp_o_f64_e64 s11, v[23:24], v[23:24]
	v_cmp_o_f64_e64 s12, v[25:26], v[25:26]
	v_ashrrev_i32_e32 v4, 31, v8
	v_ashrrev_i32_e32 v12, 31, v10
	;; [unrolled: 1-line block ×4, first 2 shown]
	s_delay_alu instid0(VALU_DEP_4) | instskip(NEXT) | instid1(VALU_DEP_4)
	v_or_b32_e32 v46, 0x80000000, v4
	v_or_b32_e32 v48, 0x80000000, v12
	s_delay_alu instid0(VALU_DEP_4) | instskip(NEXT) | instid1(VALU_DEP_4)
	v_or_b32_e32 v49, 0x80000000, v42
	v_or_b32_e32 v50, 0x80000000, v44
	v_xor_b32_e32 v4, v4, v7
	v_xor_b32_e32 v46, v46, v8
	;; [unrolled: 1-line block ×8, first 2 shown]
	s_wait_alu 0xf1ff
	v_cndmask_b32_e64 v8, -1, v46, s9
	v_cndmask_b32_e64 v10, -1, v7, s10
	;; [unrolled: 1-line block ×7, first 2 shown]
	v_dual_mov_b32 v43, v13 :: v_dual_and_b32 v48, v7, v21
	v_and_b32_e32 v49, v8, v22
	v_lshrrev_b64 v[7:8], s75, v[7:8]
	v_cndmask_b32_e64 v25, -1, v44, s12
	v_and_b32_e32 v50, v9, v21
	v_lshrrev_b64 v[8:9], s75, v[9:10]
	v_and_b32_e32 v51, v10, v22
	v_lshrrev_b64 v[9:10], s75, v[23:24]
	v_dual_mov_b32 v45, v13 :: v_dual_and_b32 v52, v23, v21
	v_dual_mov_b32 v47, v13 :: v_dual_and_b32 v12, 3, v7
	v_and_b32_e32 v53, v24, v22
	v_lshrrev_b64 v[23:24], s75, v[25:26]
	v_and_b32_e32 v42, 3, v8
	v_and_b32_e32 v44, 3, v9
	v_cmp_eq_u64_e64 s9, v[48:49], v[18:19]
	v_cmp_eq_u64_e64 s13, 0, v[12:13]
	v_and_b32_e32 v55, v26, v22
	v_and_b32_e32 v54, v25, v21
	;; [unrolled: 1-line block ×3, first 2 shown]
	v_cmp_eq_u64_e64 s10, v[50:51], v[18:19]
	v_cmp_eq_u64_e64 s14, 0, v[42:43]
	;; [unrolled: 1-line block ×6, first 2 shown]
	s_and_b32 s13, s9, s13
	v_cmp_eq_u64_e64 s17, 1, v[12:13]
	s_wait_alu 0xfffe
	v_cndmask_b32_e64 v4, 0, 1, s13
	s_and_b32 s13, s10, s14
	v_cmp_eq_u64_e64 s18, 1, v[42:43]
	s_wait_alu 0xfffe
	v_cndmask_b32_e64 v7, 0, 1, s13
	;; [unrolled: 4-line block ×4, first 2 shown]
	s_and_b32 s13, s9, s17
	v_cmp_eq_u64_e64 s21, 2, v[12:13]
	v_cmp_eq_u64_e64 s25, 3, v[12:13]
	s_wait_alu 0xfffe
	v_cndmask_b32_e64 v10, 0, 1, s13
	s_and_b32 s13, s10, s18
	v_cmp_eq_u64_e64 s22, 2, v[42:43]
	v_cmp_eq_u64_e64 s26, 3, v[42:43]
	s_wait_alu 0xfffe
	v_cndmask_b32_e64 v12, 0, 1, s13
	;; [unrolled: 5-line block ×4, first 2 shown]
	s_and_b32 s13, s9, s21
	s_and_b32 s9, s9, s25
	s_wait_alu 0xfffe
	v_cndmask_b32_e64 v25, 0, 1, s13
	s_and_b32 s13, s10, s22
	v_cndmask_b32_e64 v44, 0, 1, s9
	s_and_b32 s9, s10, s26
	s_wait_alu 0xfffe
	v_cndmask_b32_e64 v26, 0, 1, s13
	s_and_b32 s13, s11, s23
	v_cndmask_b32_e64 v45, 0, 1, s9
	;; [unrolled: 5-line block ×3, first 2 shown]
	s_and_b32 s9, s12, s28
	s_wait_alu 0xfffe
	v_cndmask_b32_e64 v43, 0, 1, s13
	v_cndmask_b32_e64 v47, 0, 1, s9
	v_cmp_ne_u32_e64 s9, 0, v4
	v_cmp_ne_u32_e64 s13, 0, v10
	;; [unrolled: 1-line block ×7, first 2 shown]
	s_bcnt1_i32_b32 s9, s9
	s_bcnt1_i32_b32 s13, s13
	v_cmp_ne_u32_e64 s16, 0, v24
	v_cmp_ne_u32_e64 s18, 0, v26
	v_cmp_ne_u32_e64 s22, 0, v45
	s_bcnt1_i32_b32 s10, s10
	s_bcnt1_i32_b32 s14, s14
	s_wait_alu 0xfffe
	s_add_co_i32 s9, s9, s82
	s_add_co_i32 s13, s13, s81
	v_cmp_ne_u32_e64 s11, 0, v8
	v_cmp_ne_u32_e64 s19, 0, v42
	v_cmp_ne_u32_e64 s23, 0, v46
	s_bcnt1_i32_b32 s15, s15
	s_wait_alu 0xfffe
	s_add_co_i32 s9, s9, s10
	s_add_co_i32 s10, s13, s14
	s_bcnt1_i32_b32 s17, s17
	s_bcnt1_i32_b32 s21, s21
	v_cmp_ne_u32_e64 s12, 0, v9
	v_cmp_ne_u32_e64 s20, 0, v43
	;; [unrolled: 1-line block ×3, first 2 shown]
	s_bcnt1_i32_b32 s16, s16
	s_wait_alu 0xfffe
	s_add_co_i32 s10, s10, s15
	s_bcnt1_i32_b32 s18, s18
	s_bcnt1_i32_b32 s22, s22
	s_add_co_i32 s17, s17, s80
	s_add_co_i32 s21, s21, s79
	s_wait_alu 0xfffe
	s_add_co_i32 s81, s10, s16
	s_wait_alu 0xfffe
	v_dual_mov_b32 v8, s81 :: v_dual_add_nc_u32 v3, s55, v3
	s_bcnt1_i32_b32 s11, s11
	s_bcnt1_i32_b32 s19, s19
	;; [unrolled: 1-line block ×3, first 2 shown]
	s_add_co_i32 s13, s17, s18
	s_add_co_i32 s14, s21, s22
	s_bcnt1_i32_b32 s12, s12
	s_bcnt1_i32_b32 s20, s20
	;; [unrolled: 1-line block ×3, first 2 shown]
	s_wait_alu 0xfffe
	s_add_co_i32 s9, s9, s11
	s_add_co_i32 s11, s13, s19
	;; [unrolled: 1-line block ×3, first 2 shown]
	v_cmp_le_i32_e32 vcc_lo, s76, v3
	s_wait_alu 0xfffe
	s_add_co_i32 s82, s9, s12
	s_add_co_i32 s80, s11, s20
	;; [unrolled: 1-line block ×3, first 2 shown]
	s_wait_alu 0xfffe
	v_dual_mov_b32 v10, s79 :: v_dual_add_nc_u32 v1, s67, v1
	v_mov_b32_e32 v7, s82
	v_mov_b32_e32 v9, s80
	s_or_b32 s78, vcc_lo, s78
	s_wait_alu 0xfffe
	s_and_not1_b32 exec_lo, exec_lo, s78
	s_cbranch_execnz .LBB43_69
; %bb.70:                               ;   in Loop: Header=BB43_16 Depth=1
	s_or_b32 exec_lo, exec_lo, s78
.LBB43_71:                              ;   in Loop: Header=BB43_16 Depth=1
	s_delay_alu instid0(SALU_CYCLE_1) | instskip(SKIP_2) | instid1(VALU_DEP_1)
	s_or_b32 exec_lo, exec_lo, s77
	v_add_nc_u32_e32 v1, s76, v0
	s_mov_b32 s14, exec_lo
	v_cmpx_gt_i32_e64 s42, v1
	s_cbranch_execz .LBB43_75
; %bb.72:                               ;   in Loop: Header=BB43_16 Depth=1
	v_lshlrev_b32_e32 v3, 3, v1
	s_mov_b32 s15, 0
.LBB43_73:                              ;   Parent Loop BB43_16 Depth=1
                                        ; =>  This Inner Loop Header: Depth=2
	ds_load_b64 v[23:24], v3
	v_add_nc_u32_e32 v3, s68, v3
	s_wait_dscnt 0x0
	v_cmp_o_f64_e32 vcc_lo, v[23:24], v[23:24]
	v_ashrrev_i32_e32 v4, 31, v24
	s_delay_alu instid0(VALU_DEP_1) | instskip(SKIP_1) | instid1(VALU_DEP_2)
	v_or_b32_e32 v12, 0x80000000, v4
	v_xor_b32_e32 v4, v4, v23
	v_xor_b32_e32 v12, v12, v24
	s_wait_alu 0xfffd
	s_delay_alu instid0(VALU_DEP_1) | instskip(NEXT) | instid1(VALU_DEP_1)
	v_dual_cndmask_b32 v24, -1, v12 :: v_dual_add_nc_u32 v1, s53, v1
	v_cmp_le_i32_e64 s9, s42, v1
	s_wait_loadcnt 0x0
	s_delay_alu instid0(VALU_DEP_2) | instskip(NEXT) | instid1(VALU_DEP_1)
	v_dual_cndmask_b32 v23, -1, v4 :: v_dual_and_b32 v26, v24, v22
	v_and_b32_e32 v25, v23, v21
	v_lshrrev_b64 v[23:24], s75, v[23:24]
	s_delay_alu instid0(VALU_DEP_2) | instskip(NEXT) | instid1(VALU_DEP_2)
	v_cmp_eq_u64_e32 vcc_lo, v[25:26], v[18:19]
	v_and_b32_e32 v12, 3, v23
	s_delay_alu instid0(VALU_DEP_1)
	v_cmp_eq_u64_e64 s10, 0, v[12:13]
	v_cmp_eq_u64_e64 s11, 1, v[12:13]
	;; [unrolled: 1-line block ×4, first 2 shown]
	s_and_b32 s10, vcc_lo, s10
	s_wait_alu 0xfffe
	v_cndmask_b32_e64 v4, 0, 1, s10
	s_and_b32 s10, vcc_lo, s11
	s_wait_alu 0xfffe
	v_cndmask_b32_e64 v12, 0, 1, s10
	;; [unrolled: 3-line block ×3, first 2 shown]
	s_and_b32 s10, vcc_lo, s13
	v_cmp_ne_u32_e32 vcc_lo, 0, v4
	s_wait_alu 0xfffe
	v_cndmask_b32_e64 v24, 0, 1, s10
	v_cmp_ne_u32_e64 s10, 0, v12
	v_cmp_ne_u32_e64 s11, 0, v23
	s_bcnt1_i32_b32 s13, vcc_lo
	v_cmp_ne_u32_e64 s12, 0, v24
	s_bcnt1_i32_b32 s10, s10
	s_bcnt1_i32_b32 s11, s11
	s_wait_alu 0xfffe
	v_add_nc_u32_e32 v7, s13, v7
	v_add_nc_u32_e32 v8, s10, v8
	s_bcnt1_i32_b32 s12, s12
	v_add_nc_u32_e32 v9, s11, v9
	s_wait_alu 0xfffe
	v_add_nc_u32_e32 v10, s12, v10
	s_or_b32 s15, s9, s15
	s_wait_alu 0xfffe
	s_and_not1_b32 exec_lo, exec_lo, s15
	s_cbranch_execnz .LBB43_73
; %bb.74:                               ;   in Loop: Header=BB43_16 Depth=1
	s_or_b32 exec_lo, exec_lo, s15
.LBB43_75:                              ;   in Loop: Header=BB43_16 Depth=1
	s_wait_alu 0xfffe
	s_or_b32 exec_lo, exec_lo, s14
	v_lshlrev_b32_e32 v1, 7, v40
	s_and_saveexec_b32 s9, s4
	s_cbranch_execnz .LBB43_47
	s_branch .LBB43_48
.LBB43_76:                              ;   in Loop: Header=BB43_16 Depth=1
	s_wait_alu 0xfffe
	s_or_b32 exec_lo, exec_lo, s11
	s_wait_loadcnt_dscnt 0x0
	s_barrier_signal -1
	s_barrier_wait -1
	global_inv scope:SCOPE_SE
	s_and_saveexec_b32 s9, s2
	s_cbranch_execz .LBB43_78
; %bb.77:                               ;   in Loop: Header=BB43_16 Depth=1
	ds_load_b32 v1, v13 offset:4104
	s_wait_dscnt 0x0
	ds_store_b32 v13, v1 offset:4096
.LBB43_78:                              ;   in Loop: Header=BB43_16 Depth=1
	s_wait_alu 0xfffe
	s_or_b32 exec_lo, exec_lo, s9
	s_wait_loadcnt_dscnt 0x0
	s_barrier_signal -1
	s_mov_b32 s9, -1
	s_barrier_wait -1
	s_and_b32 vcc_lo, exec_lo, s10
	s_wait_alu 0xfffe
	s_cbranch_vccnz .LBB43_32
	s_branch .LBB43_42
.LBB43_79:                              ;   in Loop: Header=BB43_16 Depth=1
	v_mov_b32_e32 v3, 0
	s_mov_b32 s10, 0
	s_and_not1_b32 vcc_lo, exec_lo, s63
	s_wait_alu 0xfffe
	s_cbranch_vccnz .LBB43_82
.LBB43_80:                              ;   in Loop: Header=BB43_16 Depth=1
	v_lshlrev_b32_e32 v4, 9, v40
	s_lshl_b32 s10, s10, 4
	s_wait_alu 0xfffe
	s_delay_alu instid0(VALU_DEP_1)
	v_add3_u32 v4, v4, s10, v39
	s_mov_b32 s10, s60
.LBB43_81:                              ;   Parent Loop BB43_16 Depth=1
                                        ; =>  This Inner Loop Header: Depth=2
	ds_load_b32 v7, v4
	v_add_nc_u32_e32 v4, 16, v4
	s_wait_alu 0xfffe
	s_add_co_i32 s10, s10, -1
	s_wait_alu 0xfffe
	s_cmp_lg_u32 s10, 0
	s_wait_dscnt 0x0
	v_add_nc_u32_e32 v3, v7, v3
	s_cbranch_scc1 .LBB43_81
.LBB43_82:                              ;   in Loop: Header=BB43_16 Depth=1
	v_add_lshl_u32 v4, v1, v27, 2
	ds_store_b32 v4, v3 offset:3072
.LBB43_83:                              ;   in Loop: Header=BB43_16 Depth=1
	s_wait_alu 0xfffe
	s_or_b32 exec_lo, exec_lo, s9
	v_lshlrev_b32_e32 v1, 2, v1
	s_wait_loadcnt_dscnt 0x0
	s_barrier_signal -1
	s_barrier_wait -1
	global_inv scope:SCOPE_SE
	ds_load_b128 v[7:10], v1 offset:3072
	s_lshl_b64 s[10:11], 3, s75
	v_cmp_eq_u32_e32 vcc_lo, 1, v41
	s_wait_alu 0xfffe
	s_not_b64 s[12:13], s[10:11]
	s_mov_b32 s16, -1
	s_mov_b32 s18, -1
                                        ; implicit-def: $sgpr22
                                        ; implicit-def: $sgpr20
	s_wait_dscnt 0x0
	v_readfirstlane_b32 s15, v7
	v_readfirstlane_b32 s21, v8
	;; [unrolled: 1-line block ×4, first 2 shown]
	s_cmp_eq_u32 s15, 1
	s_cselect_b32 s14, -1, 0
	s_wait_alu 0xfffe
	s_and_b32 s17, s14, vcc_lo
	s_wait_alu 0xfffe
	s_and_saveexec_b32 s14, s17
	s_cbranch_execz .LBB43_111
; %bb.84:                               ;   in Loop: Header=BB43_16 Depth=1
	ds_load_b32 v1, v13 offset:4096
	s_wait_loadcnt_dscnt 0x0
	s_barrier_signal -1
	s_barrier_wait -1
	global_inv scope:SCOPE_SE
	v_readfirstlane_b32 s18, v1
	s_and_saveexec_b32 s20, s0
; %bb.85:                               ;   in Loop: Header=BB43_16 Depth=1
	v_mov_b32_e32 v12, v13
	ds_store_b64 v30, v[12:13]
; %bb.86:                               ;   in Loop: Header=BB43_16 Depth=1
	s_wait_alu 0xfffe
	s_or_b32 exec_lo, exec_lo, s20
	v_and_b32_e32 v19, s13, v19
	v_and_b32_e32 v18, s12, v18
	v_or_b32_e32 v22, s11, v22
	v_or_b32_e32 v21, s10, v21
	s_mov_b32 s20, -1
	s_mov_b32 s22, 0
	s_cmp_lt_i32 s18, 1
	s_mov_b32 s23, 0
	s_mov_b32 s24, -1
	s_wait_loadcnt_dscnt 0x0
	s_barrier_signal -1
	s_barrier_wait -1
	global_inv scope:SCOPE_SE
                                        ; implicit-def: $vgpr5_vgpr6
	s_cbranch_scc0 .LBB43_98
; %bb.87:                               ;   in Loop: Header=BB43_16 Depth=1
	s_mov_b32 s24, 0
                                        ; implicit-def: $vgpr5_vgpr6
	s_and_saveexec_b32 s25, s8
	s_cbranch_execz .LBB43_97
; %bb.88:                               ;   in Loop: Header=BB43_16 Depth=1
	v_mov_b32_e32 v7, v11
	v_mov_b32_e32 v9, v0
                                        ; implicit-def: $sgpr26
	s_branch .LBB43_92
.LBB43_89:                              ;   in Loop: Header=BB43_92 Depth=2
	s_wait_alu 0xfffe
	s_or_b32 exec_lo, exec_lo, s27
	s_wait_loadcnt_dscnt 0x0
	s_barrier_signal -1
	s_barrier_wait -1
	global_inv scope:SCOPE_SE
	ds_load_b128 v[3:6], v13 offset:3072
	s_wait_loadcnt_dscnt 0x0
	s_barrier_signal -1
	s_barrier_wait -1
	global_inv scope:SCOPE_SE
	v_cmp_neq_f64_e32 vcc_lo, 0, v[3:4]
	s_cbranch_vccnz .LBB43_95
; %bb.90:                               ;   in Loop: Header=BB43_92 Depth=2
	v_add_nc_u32_e32 v9, s53, v9
	v_add_nc_u32_e32 v7, s57, v7
	s_mov_b32 s27, 0
	s_delay_alu instid0(VALU_DEP_2)
	v_cmp_le_i32_e32 vcc_lo, s65, v9
	s_or_not1_b32 s28, vcc_lo, exec_lo
.LBB43_91:                              ;   in Loop: Header=BB43_92 Depth=2
	s_delay_alu instid0(SALU_CYCLE_1)
	s_and_b32 s28, exec_lo, s28
	s_wait_alu 0xfffe
	s_or_b32 s23, s28, s23
	s_and_not1_b32 s26, s26, exec_lo
	s_and_b32 s27, s27, exec_lo
	s_wait_alu 0xfffe
	s_or_b32 s26, s26, s27
	s_and_not1_b32 exec_lo, exec_lo, s23
	s_cbranch_execz .LBB43_96
.LBB43_92:                              ;   Parent Loop BB43_16 Depth=1
                                        ; =>  This Inner Loop Header: Depth=2
	s_mov_b32 s27, exec_lo
	s_delay_alu instid0(VALU_DEP_1)
	v_cmpx_gt_i32_e64 s36, v9
	s_cbranch_execz .LBB43_89
; %bb.93:                               ;   in Loop: Header=BB43_92 Depth=2
	v_ashrrev_i32_e32 v8, 31, v7
	s_delay_alu instid0(VALU_DEP_1) | instskip(NEXT) | instid1(VALU_DEP_1)
	v_lshlrev_b64_e32 v[3:4], 3, v[7:8]
	v_add_co_u32 v3, vcc_lo, s44, v3
	s_wait_alu 0xfffd
	s_delay_alu instid0(VALU_DEP_2) | instskip(SKIP_4) | instid1(VALU_DEP_1)
	v_add_co_ci_u32_e64 v4, null, s45, v4, vcc_lo
	global_load_b64 v[3:4], v[3:4], off
	s_wait_loadcnt 0x0
	v_cmp_o_f64_e32 vcc_lo, v[3:4], v[3:4]
	v_ashrrev_i32_e32 v1, 31, v4
	v_or_b32_e32 v5, 0x80000000, v1
	v_xor_b32_e32 v1, v1, v3
	s_delay_alu instid0(VALU_DEP_2) | instskip(SKIP_1) | instid1(VALU_DEP_1)
	v_xor_b32_e32 v5, v5, v4
	s_wait_alu 0xfffd
	v_cndmask_b32_e32 v5, -1, v5, vcc_lo
	s_delay_alu instid0(VALU_DEP_1) | instskip(NEXT) | instid1(VALU_DEP_1)
	v_dual_cndmask_b32 v1, -1, v1 :: v_dual_and_b32 v6, v5, v22
	v_and_b32_e32 v5, v1, v21
	s_delay_alu instid0(VALU_DEP_1)
	v_cmp_eq_u64_e32 vcc_lo, v[5:6], v[18:19]
	s_and_b32 exec_lo, exec_lo, vcc_lo
	s_cbranch_execz .LBB43_89
; %bb.94:                               ;   in Loop: Header=BB43_92 Depth=2
	v_mov_b32_e32 v1, v13
	ds_store_b128 v13, v[1:4] offset:3072
	s_branch .LBB43_89
.LBB43_95:                              ;   in Loop: Header=BB43_92 Depth=2
	s_mov_b32 s28, -1
	s_mov_b32 s27, -1
                                        ; implicit-def: $vgpr9
                                        ; implicit-def: $vgpr7
	s_branch .LBB43_91
.LBB43_96:                              ;   in Loop: Header=BB43_16 Depth=1
	s_or_b32 exec_lo, exec_lo, s23
	s_wait_alu 0xfffe
	s_and_b32 s23, s26, exec_lo
.LBB43_97:                              ;   in Loop: Header=BB43_16 Depth=1
	s_wait_alu 0xfffe
	s_or_b32 exec_lo, exec_lo, s25
.LBB43_98:                              ;   in Loop: Header=BB43_16 Depth=1
	s_wait_alu 0xfffe
	s_and_b32 vcc_lo, exec_lo, s24
	s_wait_alu 0xfffe
	s_cbranch_vccz .LBB43_110
; %bb.99:                               ;   in Loop: Header=BB43_16 Depth=1
	s_add_co_i32 s22, s18, s56
                                        ; implicit-def: $vgpr5_vgpr6
	s_wait_alu 0xfffe
	s_abs_i32 s42, s22
	s_wait_alu 0xfffe
	s_mul_u64 s[24:25], s[42:43], s[48:49]
	s_ashr_i32 s24, s22, 31
	s_wait_alu 0xfffe
	s_mul_i32 s20, s25, s53
	s_wait_alu 0xfffe
	s_sub_co_i32 s20, s42, s20
	s_wait_alu 0xfffe
	s_sub_co_i32 s25, s20, s53
	s_cmp_ge_u32 s20, s53
	s_wait_alu 0xfffe
	s_cselect_b32 s20, s25, s20
	s_wait_alu 0xfffe
	s_sub_co_i32 s25, s20, s53
	s_cmp_ge_u32 s20, s53
	s_wait_alu 0xfffe
	s_cselect_b32 s20, s25, s20
	s_wait_alu 0xfffe
	s_xor_b32 s20, s20, s24
	s_wait_alu 0xfffe
	s_sub_co_i32 s20, s24, s20
	s_wait_alu 0xfffe
	s_add_co_i32 s22, s22, s20
	s_mov_b32 s20, exec_lo
	s_wait_alu 0xfffe
	v_cmpx_gt_i32_e64 s22, v0
	s_cbranch_execz .LBB43_109
; %bb.100:                              ;   in Loop: Header=BB43_16 Depth=1
	v_dual_mov_b32 v7, v29 :: v_dual_mov_b32 v8, v0
	s_mov_b32 s25, 0
                                        ; implicit-def: $sgpr24
	s_branch .LBB43_104
.LBB43_101:                             ;   in Loop: Header=BB43_104 Depth=2
	s_wait_alu 0xfffe
	s_or_b32 exec_lo, exec_lo, s26
	s_wait_loadcnt_dscnt 0x0
	s_barrier_signal -1
	s_barrier_wait -1
	global_inv scope:SCOPE_SE
	ds_load_b128 v[3:6], v13 offset:3072
	s_wait_loadcnt_dscnt 0x0
	s_barrier_signal -1
	s_barrier_wait -1
	global_inv scope:SCOPE_SE
	v_cmp_neq_f64_e32 vcc_lo, 0, v[3:4]
	s_cbranch_vccnz .LBB43_107
; %bb.102:                              ;   in Loop: Header=BB43_104 Depth=2
	v_add_nc_u32_e32 v8, s53, v8
	v_add_nc_u32_e32 v7, s68, v7
	s_mov_b32 s26, 0
	s_delay_alu instid0(VALU_DEP_2)
	v_cmp_le_i32_e32 vcc_lo, s22, v8
	s_or_not1_b32 s27, vcc_lo, exec_lo
.LBB43_103:                             ;   in Loop: Header=BB43_104 Depth=2
	s_wait_alu 0xfffe
	s_and_b32 s27, exec_lo, s27
	s_wait_alu 0xfffe
	s_or_b32 s25, s27, s25
	s_and_not1_b32 s24, s24, exec_lo
	s_and_b32 s26, s26, exec_lo
	s_wait_alu 0xfffe
	s_or_b32 s24, s24, s26
	s_and_not1_b32 exec_lo, exec_lo, s25
	s_cbranch_execz .LBB43_108
.LBB43_104:                             ;   Parent Loop BB43_16 Depth=1
                                        ; =>  This Inner Loop Header: Depth=2
	s_mov_b32 s26, exec_lo
	s_delay_alu instid0(VALU_DEP_1)
	v_cmpx_gt_i32_e64 s18, v8
	s_cbranch_execz .LBB43_101
; %bb.105:                              ;   in Loop: Header=BB43_104 Depth=2
	ds_load_b64 v[3:4], v7
	s_wait_dscnt 0x0
	v_cmp_o_f64_e32 vcc_lo, v[3:4], v[3:4]
	v_ashrrev_i32_e32 v1, 31, v4
	s_delay_alu instid0(VALU_DEP_1) | instskip(SKIP_1) | instid1(VALU_DEP_2)
	v_or_b32_e32 v5, 0x80000000, v1
	v_xor_b32_e32 v1, v1, v3
	v_xor_b32_e32 v5, v5, v4
	s_wait_alu 0xfffd
	s_delay_alu instid0(VALU_DEP_1) | instskip(NEXT) | instid1(VALU_DEP_1)
	v_cndmask_b32_e32 v5, -1, v5, vcc_lo
	v_dual_cndmask_b32 v1, -1, v1 :: v_dual_and_b32 v6, v5, v22
	s_delay_alu instid0(VALU_DEP_1) | instskip(NEXT) | instid1(VALU_DEP_1)
	v_and_b32_e32 v5, v1, v21
	v_cmp_eq_u64_e32 vcc_lo, v[5:6], v[18:19]
	s_and_b32 exec_lo, exec_lo, vcc_lo
	s_cbranch_execz .LBB43_101
; %bb.106:                              ;   in Loop: Header=BB43_104 Depth=2
	v_mov_b32_e32 v1, v13
	ds_store_b128 v13, v[1:4] offset:3072
	s_branch .LBB43_101
.LBB43_107:                             ;   in Loop: Header=BB43_104 Depth=2
	s_mov_b32 s27, -1
	s_mov_b32 s26, -1
                                        ; implicit-def: $vgpr8
                                        ; implicit-def: $vgpr7
	s_branch .LBB43_103
.LBB43_108:                             ;   in Loop: Header=BB43_16 Depth=1
	s_or_b32 exec_lo, exec_lo, s25
	s_delay_alu instid0(SALU_CYCLE_1)
	s_and_not1_b32 s18, s23, exec_lo
	s_wait_alu 0xfffe
	s_and_b32 s22, s24, exec_lo
	s_wait_alu 0xfffe
	s_or_b32 s23, s18, s22
.LBB43_109:                             ;   in Loop: Header=BB43_16 Depth=1
	s_or_b32 exec_lo, exec_lo, s20
	s_mov_b32 s20, 0
	s_mov_b32 s22, -1
.LBB43_110:                             ;   in Loop: Header=BB43_16 Depth=1
	s_wait_alu 0xfffe
	s_or_not1_b32 s18, s23, exec_lo
.LBB43_111:                             ;   in Loop: Header=BB43_16 Depth=1
	s_wait_alu 0xfffe
	s_or_b32 exec_lo, exec_lo, s14
	v_readfirstlane_b32 s23, v0
	s_and_not1_b32 s14, s73, exec_lo
	s_and_b32 s22, s22, exec_lo
	s_and_not1_b32 s24, s71, exec_lo
	s_and_b32 s20, s20, exec_lo
	s_and_not1_b32 s70, s70, exec_lo
	s_wait_alu 0xfffe
	s_or_b32 s73, s14, s22
	s_or_b32 s71, s24, s20
                                        ; implicit-def: $vgpr10
	s_and_saveexec_b32 s14, s18
	s_cbranch_execz .LBB43_15
; %bb.112:                              ;   in Loop: Header=BB43_16 Depth=1
	v_dual_mov_b32 v10, 1 :: v_dual_mov_b32 v9, 1
	s_xor_b32 s17, s17, -1
	s_mov_b32 s22, 0
	s_wait_alu 0xfffe
	s_and_saveexec_b32 s16, s17
	s_cbranch_execz .LBB43_121
; %bb.113:                              ;   in Loop: Header=BB43_16 Depth=1
	s_mov_b32 s17, exec_lo
	v_cmpx_ge_i32_e64 s15, v41
	s_wait_alu 0xfffe
	s_xor_b32 s17, exec_lo, s17
	s_cbranch_execz .LBB43_118
; %bb.114:                              ;   in Loop: Header=BB43_16 Depth=1
	ds_load_b32 v1, v13 offset:4096
	v_and_b32_e32 v19, s13, v19
	v_and_b32_e32 v18, s12, v18
	v_or_b32_e32 v22, s11, v22
	v_or_b32_e32 v21, s10, v21
	s_wait_dscnt 0x0
	v_cmp_ne_u32_e32 vcc_lo, 0, v1
	s_cbranch_vccnz .LBB43_118
; %bb.115:                              ;   in Loop: Header=BB43_16 Depth=1
	s_and_saveexec_b32 s18, s2
; %bb.116:                              ;   in Loop: Header=BB43_16 Depth=1
	v_mov_b32_e32 v1, s15
	ds_store_b32 v13, v1 offset:4100
; %bb.117:                              ;   in Loop: Header=BB43_16 Depth=1
	s_wait_alu 0xfffe
	s_or_b32 exec_lo, exec_lo, s18
	s_wait_loadcnt_dscnt 0x0
	s_barrier_signal -1
	s_barrier_wait -1
	global_inv scope:SCOPE_SE
.LBB43_118:                             ;   in Loop: Header=BB43_16 Depth=1
	s_wait_alu 0xfffe
	s_or_saveexec_b32 s17, s17
	v_mov_b32_e32 v9, 8
	s_mov_b32 s18, 0
	s_wait_alu 0xfffe
	s_xor_b32 exec_lo, exec_lo, s17
; %bb.119:                              ;   in Loop: Header=BB43_16 Depth=1
	v_subrev_nc_u32_e32 v41, s15, v41
	v_mov_b32_e32 v9, 0
	s_mov_b32 s18, exec_lo
; %bb.120:                              ;   in Loop: Header=BB43_16 Depth=1
	s_or_b32 exec_lo, exec_lo, s17
	s_delay_alu instid0(VALU_DEP_2)
	v_mov_b32_e32 v10, v41
	s_wait_alu 0xfffe
	s_and_b32 s22, s18, exec_lo
.LBB43_121:                             ;   in Loop: Header=BB43_16 Depth=1
	s_wait_alu 0xfffe
	s_or_b32 exec_lo, exec_lo, s16
	s_mov_b32 s15, -1
	s_mov_b32 s20, -1
                                        ; implicit-def: $sgpr17
                                        ; implicit-def: $sgpr18
	s_and_saveexec_b32 s16, s22
	s_wait_alu 0xfffe
	s_xor_b32 s16, exec_lo, s16
	s_cbranch_execz .LBB43_244
; %bb.122:                              ;   in Loop: Header=BB43_16 Depth=1
	v_cmp_eq_u32_e32 vcc_lo, 1, v10
	s_cmp_eq_u32 s21, 1
	s_mov_b32 s23, -1
	s_cselect_b32 s17, -1, 0
                                        ; implicit-def: $sgpr18
	s_wait_alu 0xfffe
	s_and_b32 s22, s17, vcc_lo
                                        ; implicit-def: $sgpr17
	s_wait_alu 0xfffe
	s_and_saveexec_b32 s20, s22
	s_cbranch_execz .LBB43_150
; %bb.123:                              ;   in Loop: Header=BB43_16 Depth=1
	ds_load_b32 v1, v13 offset:4096
	s_wait_loadcnt_dscnt 0x0
	s_barrier_signal -1
	s_barrier_wait -1
	global_inv scope:SCOPE_SE
	v_readfirstlane_b32 s23, v1
	s_and_saveexec_b32 s17, s0
; %bb.124:                              ;   in Loop: Header=BB43_16 Depth=1
	v_mov_b32_e32 v12, v13
	ds_store_b64 v30, v[12:13]
; %bb.125:                              ;   in Loop: Header=BB43_16 Depth=1
	s_wait_alu 0xfffe
	s_or_b32 exec_lo, exec_lo, s17
	v_and_b32_e32 v1, s13, v19
	v_and_b32_e32 v3, s12, v18
	s_lshl_b64 s[24:25], 1, s75
	v_or_b32_e32 v22, s11, v22
	v_or_b32_e32 v21, s10, v21
	s_wait_alu 0xfffe
	v_or_b32_e32 v19, s25, v1
	v_or_b32_e32 v18, s24, v3
	s_mov_b32 s17, -1
	s_mov_b32 s18, 0
	s_cmp_gt_i32 s23, 0
	s_mov_b32 s24, 0
	s_mov_b32 s25, -1
	s_wait_loadcnt_dscnt 0x0
	s_barrier_signal -1
	s_barrier_wait -1
	global_inv scope:SCOPE_SE
                                        ; implicit-def: $vgpr5_vgpr6
	s_cbranch_scc1 .LBB43_137
; %bb.126:                              ;   in Loop: Header=BB43_16 Depth=1
	s_mov_b32 s25, 0
                                        ; implicit-def: $vgpr5_vgpr6
	s_and_saveexec_b32 s26, s8
	s_cbranch_execz .LBB43_136
; %bb.127:                              ;   in Loop: Header=BB43_16 Depth=1
	v_dual_mov_b32 v7, v11 :: v_dual_mov_b32 v12, v0
                                        ; implicit-def: $sgpr27
	s_branch .LBB43_131
.LBB43_128:                             ;   in Loop: Header=BB43_131 Depth=2
	s_or_b32 exec_lo, exec_lo, s28
	s_wait_loadcnt_dscnt 0x0
	s_barrier_signal -1
	s_barrier_wait -1
	global_inv scope:SCOPE_SE
	ds_load_b128 v[3:6], v13 offset:3072
	s_wait_loadcnt_dscnt 0x0
	s_barrier_signal -1
	s_barrier_wait -1
	global_inv scope:SCOPE_SE
	v_cmp_neq_f64_e32 vcc_lo, 0, v[3:4]
	s_cbranch_vccnz .LBB43_134
; %bb.129:                              ;   in Loop: Header=BB43_131 Depth=2
	v_add_nc_u32_e32 v12, s53, v12
	v_add_nc_u32_e32 v7, s57, v7
	s_mov_b32 s28, 0
	s_delay_alu instid0(VALU_DEP_2)
	v_cmp_le_i32_e32 vcc_lo, s65, v12
	s_or_not1_b32 s42, vcc_lo, exec_lo
.LBB43_130:                             ;   in Loop: Header=BB43_131 Depth=2
	s_wait_alu 0xfffe
	s_and_b32 s42, exec_lo, s42
	s_wait_alu 0xfffe
	s_or_b32 s24, s42, s24
	s_and_not1_b32 s27, s27, exec_lo
	s_and_b32 s28, s28, exec_lo
	s_wait_alu 0xfffe
	s_or_b32 s27, s27, s28
	s_and_not1_b32 exec_lo, exec_lo, s24
	s_cbranch_execz .LBB43_135
.LBB43_131:                             ;   Parent Loop BB43_16 Depth=1
                                        ; =>  This Inner Loop Header: Depth=2
	s_mov_b32 s28, exec_lo
	s_delay_alu instid0(VALU_DEP_1)
	v_cmpx_gt_i32_e64 s36, v12
	s_cbranch_execz .LBB43_128
; %bb.132:                              ;   in Loop: Header=BB43_131 Depth=2
	v_ashrrev_i32_e32 v8, 31, v7
	s_delay_alu instid0(VALU_DEP_1) | instskip(NEXT) | instid1(VALU_DEP_1)
	v_lshlrev_b64_e32 v[3:4], 3, v[7:8]
	v_add_co_u32 v3, vcc_lo, s44, v3
	s_wait_alu 0xfffd
	s_delay_alu instid0(VALU_DEP_2) | instskip(SKIP_4) | instid1(VALU_DEP_1)
	v_add_co_ci_u32_e64 v4, null, s45, v4, vcc_lo
	global_load_b64 v[3:4], v[3:4], off
	s_wait_loadcnt 0x0
	v_cmp_o_f64_e32 vcc_lo, v[3:4], v[3:4]
	v_ashrrev_i32_e32 v1, 31, v4
	v_or_b32_e32 v5, 0x80000000, v1
	v_xor_b32_e32 v1, v1, v3
	s_delay_alu instid0(VALU_DEP_2) | instskip(SKIP_1) | instid1(VALU_DEP_1)
	v_xor_b32_e32 v5, v5, v4
	s_wait_alu 0xfffd
	v_cndmask_b32_e32 v5, -1, v5, vcc_lo
	s_delay_alu instid0(VALU_DEP_1) | instskip(NEXT) | instid1(VALU_DEP_1)
	v_dual_cndmask_b32 v1, -1, v1 :: v_dual_and_b32 v6, v5, v22
	v_and_b32_e32 v5, v1, v21
	s_delay_alu instid0(VALU_DEP_1)
	v_cmp_eq_u64_e32 vcc_lo, v[5:6], v[18:19]
	s_and_b32 exec_lo, exec_lo, vcc_lo
	s_cbranch_execz .LBB43_128
; %bb.133:                              ;   in Loop: Header=BB43_131 Depth=2
	v_mov_b32_e32 v1, v13
	ds_store_b128 v13, v[1:4] offset:3072
	s_branch .LBB43_128
.LBB43_134:                             ;   in Loop: Header=BB43_131 Depth=2
	s_mov_b32 s42, -1
	s_mov_b32 s28, -1
                                        ; implicit-def: $vgpr12
                                        ; implicit-def: $vgpr7
	s_branch .LBB43_130
.LBB43_135:                             ;   in Loop: Header=BB43_16 Depth=1
	s_or_b32 exec_lo, exec_lo, s24
	s_wait_alu 0xfffe
	s_and_b32 s24, s27, exec_lo
.LBB43_136:                             ;   in Loop: Header=BB43_16 Depth=1
	s_wait_alu 0xfffe
	s_or_b32 exec_lo, exec_lo, s26
.LBB43_137:                             ;   in Loop: Header=BB43_16 Depth=1
	s_wait_alu 0xfffe
	s_and_b32 vcc_lo, exec_lo, s25
	s_wait_alu 0xfffe
	s_cbranch_vccz .LBB43_149
; %bb.138:                              ;   in Loop: Header=BB43_16 Depth=1
	s_add_co_i32 s18, s23, s56
                                        ; implicit-def: $vgpr5_vgpr6
	s_wait_alu 0xfffe
	s_abs_i32 s42, s18
	s_ashr_i32 s25, s18, 31
	s_wait_alu 0xfffe
	s_mul_u64 s[26:27], s[42:43], s[48:49]
	s_wait_alu 0xfffe
	s_mul_i32 s17, s27, s53
	s_wait_alu 0xfffe
	s_sub_co_i32 s17, s42, s17
	s_wait_alu 0xfffe
	s_sub_co_i32 s26, s17, s53
	s_cmp_ge_u32 s17, s53
	s_wait_alu 0xfffe
	s_cselect_b32 s17, s26, s17
	s_wait_alu 0xfffe
	s_sub_co_i32 s26, s17, s53
	s_cmp_ge_u32 s17, s53
	s_wait_alu 0xfffe
	s_cselect_b32 s17, s26, s17
	s_wait_alu 0xfffe
	s_xor_b32 s17, s17, s25
	s_wait_alu 0xfffe
	s_sub_co_i32 s17, s25, s17
	s_wait_alu 0xfffe
	s_add_co_i32 s18, s18, s17
	s_mov_b32 s17, exec_lo
	s_wait_alu 0xfffe
	v_cmpx_gt_i32_e64 s18, v0
	s_cbranch_execz .LBB43_148
; %bb.139:                              ;   in Loop: Header=BB43_16 Depth=1
	v_dual_mov_b32 v7, v29 :: v_dual_mov_b32 v8, v0
	s_mov_b32 s25, 0
                                        ; implicit-def: $sgpr26
	s_branch .LBB43_143
.LBB43_140:                             ;   in Loop: Header=BB43_143 Depth=2
	s_wait_alu 0xfffe
	s_or_b32 exec_lo, exec_lo, s27
	s_wait_loadcnt_dscnt 0x0
	s_barrier_signal -1
	s_barrier_wait -1
	global_inv scope:SCOPE_SE
	ds_load_b128 v[3:6], v13 offset:3072
	s_wait_loadcnt_dscnt 0x0
	s_barrier_signal -1
	s_barrier_wait -1
	global_inv scope:SCOPE_SE
	v_cmp_eq_f64_e32 vcc_lo, 0, v[3:4]
	s_cbranch_vccz .LBB43_146
; %bb.141:                              ;   in Loop: Header=BB43_143 Depth=2
	v_add_nc_u32_e32 v8, s53, v8
	v_add_nc_u32_e32 v7, s68, v7
	s_mov_b32 s27, 0
	s_delay_alu instid0(VALU_DEP_2)
	v_cmp_le_i32_e32 vcc_lo, s18, v8
	s_or_not1_b32 s28, vcc_lo, exec_lo
.LBB43_142:                             ;   in Loop: Header=BB43_143 Depth=2
	s_delay_alu instid0(SALU_CYCLE_1)
	s_and_b32 s28, exec_lo, s28
	s_wait_alu 0xfffe
	s_or_b32 s25, s28, s25
	s_and_not1_b32 s26, s26, exec_lo
	s_and_b32 s27, s27, exec_lo
	s_wait_alu 0xfffe
	s_or_b32 s26, s26, s27
	s_and_not1_b32 exec_lo, exec_lo, s25
	s_cbranch_execz .LBB43_147
.LBB43_143:                             ;   Parent Loop BB43_16 Depth=1
                                        ; =>  This Inner Loop Header: Depth=2
	s_mov_b32 s27, exec_lo
	s_delay_alu instid0(VALU_DEP_1)
	v_cmpx_gt_i32_e64 s23, v8
	s_cbranch_execz .LBB43_140
; %bb.144:                              ;   in Loop: Header=BB43_143 Depth=2
	ds_load_b64 v[3:4], v7
	s_wait_dscnt 0x0
	v_cmp_o_f64_e32 vcc_lo, v[3:4], v[3:4]
	v_ashrrev_i32_e32 v1, 31, v4
	s_delay_alu instid0(VALU_DEP_1) | instskip(SKIP_1) | instid1(VALU_DEP_2)
	v_or_b32_e32 v5, 0x80000000, v1
	v_xor_b32_e32 v1, v1, v3
	v_xor_b32_e32 v5, v5, v4
	s_wait_alu 0xfffd
	s_delay_alu instid0(VALU_DEP_1) | instskip(NEXT) | instid1(VALU_DEP_1)
	v_cndmask_b32_e32 v5, -1, v5, vcc_lo
	v_dual_cndmask_b32 v1, -1, v1 :: v_dual_and_b32 v6, v5, v22
	s_delay_alu instid0(VALU_DEP_1) | instskip(NEXT) | instid1(VALU_DEP_1)
	v_and_b32_e32 v5, v1, v21
	v_cmp_eq_u64_e32 vcc_lo, v[5:6], v[18:19]
	s_and_b32 exec_lo, exec_lo, vcc_lo
	s_cbranch_execz .LBB43_140
; %bb.145:                              ;   in Loop: Header=BB43_143 Depth=2
	v_mov_b32_e32 v1, v13
	ds_store_b128 v13, v[1:4] offset:3072
	s_branch .LBB43_140
.LBB43_146:                             ;   in Loop: Header=BB43_143 Depth=2
	s_mov_b32 s28, -1
	s_mov_b32 s27, -1
                                        ; implicit-def: $vgpr8
                                        ; implicit-def: $vgpr7
	s_branch .LBB43_142
.LBB43_147:                             ;   in Loop: Header=BB43_16 Depth=1
	s_or_b32 exec_lo, exec_lo, s25
	s_delay_alu instid0(SALU_CYCLE_1)
	s_and_not1_b32 s18, s24, exec_lo
	s_wait_alu 0xfffe
	s_and_b32 s23, s26, exec_lo
	s_wait_alu 0xfffe
	s_or_b32 s24, s18, s23
.LBB43_148:                             ;   in Loop: Header=BB43_16 Depth=1
	s_or_b32 exec_lo, exec_lo, s17
	s_mov_b32 s17, 0
	s_mov_b32 s18, -1
.LBB43_149:                             ;   in Loop: Header=BB43_16 Depth=1
	s_wait_alu 0xfffe
	s_or_not1_b32 s23, s24, exec_lo
.LBB43_150:                             ;   in Loop: Header=BB43_16 Depth=1
	s_wait_alu 0xfffe
	s_or_b32 exec_lo, exec_lo, s20
	s_mov_b32 s24, 0
	s_and_saveexec_b32 s20, s23
	s_cbranch_execz .LBB43_243
; %bb.151:                              ;   in Loop: Header=BB43_16 Depth=1
	v_mov_b32_e32 v23, 1
	v_mov_b32_e32 v9, 1
	s_xor_b32 s23, s22, -1
	s_mov_b32 s25, 0
	s_wait_alu 0xfffe
	s_and_saveexec_b32 s22, s23
	s_cbranch_execz .LBB43_160
; %bb.152:                              ;   in Loop: Header=BB43_16 Depth=1
	s_mov_b32 s23, exec_lo
	v_cmpx_ge_i32_e64 s21, v10
	s_wait_alu 0xfffe
	s_xor_b32 s23, exec_lo, s23
	s_cbranch_execz .LBB43_157
; %bb.153:                              ;   in Loop: Header=BB43_16 Depth=1
	ds_load_b32 v1, v13 offset:4096
	v_and_b32_e32 v3, s13, v19
	v_and_b32_e32 v4, s12, v18
	s_lshl_b64 s[24:25], 1, s75
	v_or_b32_e32 v22, s11, v22
	v_or_b32_e32 v21, s10, v21
	s_wait_alu 0xfffe
	v_or_b32_e32 v19, s25, v3
	v_or_b32_e32 v18, s24, v4
	s_wait_dscnt 0x0
	v_cmp_ne_u32_e32 vcc_lo, 0, v1
	s_cbranch_vccnz .LBB43_157
; %bb.154:                              ;   in Loop: Header=BB43_16 Depth=1
	s_and_saveexec_b32 s24, s2
; %bb.155:                              ;   in Loop: Header=BB43_16 Depth=1
	v_mov_b32_e32 v1, s21
	ds_store_b32 v13, v1 offset:4100
; %bb.156:                              ;   in Loop: Header=BB43_16 Depth=1
	s_wait_alu 0xfffe
	s_or_b32 exec_lo, exec_lo, s24
	s_wait_loadcnt_dscnt 0x0
	s_barrier_signal -1
	s_barrier_wait -1
	global_inv scope:SCOPE_SE
.LBB43_157:                             ;   in Loop: Header=BB43_16 Depth=1
	s_wait_alu 0xfffe
	s_or_saveexec_b32 s23, s23
	v_mov_b32_e32 v9, 8
	s_mov_b32 s24, 0
	s_wait_alu 0xfffe
	s_xor_b32 exec_lo, exec_lo, s23
; %bb.158:                              ;   in Loop: Header=BB43_16 Depth=1
	v_subrev_nc_u32_e32 v10, s21, v10
	v_mov_b32_e32 v9, 0
	s_mov_b32 s24, exec_lo
; %bb.159:                              ;   in Loop: Header=BB43_16 Depth=1
	s_or_b32 exec_lo, exec_lo, s23
	s_delay_alu instid0(VALU_DEP_2)
	v_mov_b32_e32 v23, v10
	s_wait_alu 0xfffe
	s_and_b32 s25, s24, exec_lo
.LBB43_160:                             ;   in Loop: Header=BB43_16 Depth=1
	s_wait_alu 0xfffe
	s_or_b32 exec_lo, exec_lo, s22
	s_mov_b32 s24, -1
                                        ; implicit-def: $sgpr22
                                        ; implicit-def: $sgpr23
	s_and_saveexec_b32 s21, s25
	s_cbranch_execz .LBB43_242
; %bb.161:                              ;   in Loop: Header=BB43_16 Depth=1
	v_cmp_eq_u32_e32 vcc_lo, 1, v23
	s_cmp_eq_u32 s19, 1
	s_mov_b32 s26, -1
	s_cselect_b32 s22, -1, 0
                                        ; implicit-def: $sgpr23
	s_wait_alu 0xfffe
	s_and_b32 s25, s22, vcc_lo
                                        ; implicit-def: $sgpr22
	s_wait_alu 0xfffe
	s_and_saveexec_b32 s24, s25
	s_cbranch_execz .LBB43_189
; %bb.162:                              ;   in Loop: Header=BB43_16 Depth=1
	ds_load_b32 v1, v13 offset:4096
	s_wait_loadcnt_dscnt 0x0
	s_barrier_signal -1
	s_barrier_wait -1
	global_inv scope:SCOPE_SE
	v_readfirstlane_b32 s26, v1
	s_and_saveexec_b32 s22, s0
; %bb.163:                              ;   in Loop: Header=BB43_16 Depth=1
	v_mov_b32_e32 v12, v13
	ds_store_b64 v30, v[12:13]
; %bb.164:                              ;   in Loop: Header=BB43_16 Depth=1
	s_wait_alu 0xfffe
	s_or_b32 exec_lo, exec_lo, s22
	v_and_b32_e32 v1, s13, v19
	v_and_b32_e32 v3, s12, v18
	s_lshl_b64 s[22:23], 2, s75
	v_or_b32_e32 v22, s11, v22
	v_or_b32_e32 v21, s10, v21
	s_wait_alu 0xfffe
	v_or_b32_e32 v19, s23, v1
	v_or_b32_e32 v18, s22, v3
	s_mov_b32 s22, -1
	s_mov_b32 s23, 0
	s_cmp_gt_i32 s26, 0
	s_mov_b32 s27, 0
	s_mov_b32 s28, -1
	s_wait_loadcnt_dscnt 0x0
	s_barrier_signal -1
	s_barrier_wait -1
	global_inv scope:SCOPE_SE
                                        ; implicit-def: $vgpr5_vgpr6
	s_cbranch_scc1 .LBB43_176
; %bb.165:                              ;   in Loop: Header=BB43_16 Depth=1
	s_mov_b32 s28, 0
                                        ; implicit-def: $vgpr5_vgpr6
	s_and_saveexec_b32 s42, s8
	s_cbranch_execz .LBB43_175
; %bb.166:                              ;   in Loop: Header=BB43_16 Depth=1
	v_dual_mov_b32 v7, v11 :: v_dual_mov_b32 v10, v0
                                        ; implicit-def: $sgpr76
	s_branch .LBB43_170
.LBB43_167:                             ;   in Loop: Header=BB43_170 Depth=2
	s_wait_alu 0xfffe
	s_or_b32 exec_lo, exec_lo, s77
	s_wait_loadcnt_dscnt 0x0
	s_barrier_signal -1
	s_barrier_wait -1
	global_inv scope:SCOPE_SE
	ds_load_b128 v[3:6], v13 offset:3072
	s_wait_loadcnt_dscnt 0x0
	s_barrier_signal -1
	s_barrier_wait -1
	global_inv scope:SCOPE_SE
	v_cmp_neq_f64_e32 vcc_lo, 0, v[3:4]
	s_cbranch_vccnz .LBB43_173
; %bb.168:                              ;   in Loop: Header=BB43_170 Depth=2
	v_add_nc_u32_e32 v10, s53, v10
	v_add_nc_u32_e32 v7, s57, v7
	s_mov_b32 s77, 0
	s_delay_alu instid0(VALU_DEP_2)
	v_cmp_le_i32_e32 vcc_lo, s65, v10
	s_or_not1_b32 s78, vcc_lo, exec_lo
.LBB43_169:                             ;   in Loop: Header=BB43_170 Depth=2
	s_wait_alu 0xfffe
	s_and_b32 s78, exec_lo, s78
	s_wait_alu 0xfffe
	s_or_b32 s27, s78, s27
	s_and_not1_b32 s76, s76, exec_lo
	s_and_b32 s77, s77, exec_lo
	s_wait_alu 0xfffe
	s_or_b32 s76, s76, s77
	s_and_not1_b32 exec_lo, exec_lo, s27
	s_cbranch_execz .LBB43_174
.LBB43_170:                             ;   Parent Loop BB43_16 Depth=1
                                        ; =>  This Inner Loop Header: Depth=2
	s_mov_b32 s77, exec_lo
	s_delay_alu instid0(VALU_DEP_1)
	v_cmpx_gt_i32_e64 s36, v10
	s_cbranch_execz .LBB43_167
; %bb.171:                              ;   in Loop: Header=BB43_170 Depth=2
	v_ashrrev_i32_e32 v8, 31, v7
	s_delay_alu instid0(VALU_DEP_1) | instskip(NEXT) | instid1(VALU_DEP_1)
	v_lshlrev_b64_e32 v[3:4], 3, v[7:8]
	v_add_co_u32 v3, vcc_lo, s44, v3
	s_wait_alu 0xfffd
	s_delay_alu instid0(VALU_DEP_2) | instskip(SKIP_4) | instid1(VALU_DEP_1)
	v_add_co_ci_u32_e64 v4, null, s45, v4, vcc_lo
	global_load_b64 v[3:4], v[3:4], off
	s_wait_loadcnt 0x0
	v_cmp_o_f64_e32 vcc_lo, v[3:4], v[3:4]
	v_ashrrev_i32_e32 v1, 31, v4
	v_or_b32_e32 v5, 0x80000000, v1
	v_xor_b32_e32 v1, v1, v3
	s_delay_alu instid0(VALU_DEP_2) | instskip(SKIP_1) | instid1(VALU_DEP_1)
	v_xor_b32_e32 v5, v5, v4
	s_wait_alu 0xfffd
	v_cndmask_b32_e32 v5, -1, v5, vcc_lo
	s_delay_alu instid0(VALU_DEP_1) | instskip(NEXT) | instid1(VALU_DEP_1)
	v_dual_cndmask_b32 v1, -1, v1 :: v_dual_and_b32 v6, v5, v22
	v_and_b32_e32 v5, v1, v21
	s_delay_alu instid0(VALU_DEP_1)
	v_cmp_eq_u64_e32 vcc_lo, v[5:6], v[18:19]
	s_and_b32 exec_lo, exec_lo, vcc_lo
	s_cbranch_execz .LBB43_167
; %bb.172:                              ;   in Loop: Header=BB43_170 Depth=2
	v_mov_b32_e32 v1, v13
	ds_store_b128 v13, v[1:4] offset:3072
	s_branch .LBB43_167
.LBB43_173:                             ;   in Loop: Header=BB43_170 Depth=2
	s_mov_b32 s78, -1
	s_mov_b32 s77, -1
                                        ; implicit-def: $vgpr10
                                        ; implicit-def: $vgpr7
	s_branch .LBB43_169
.LBB43_174:                             ;   in Loop: Header=BB43_16 Depth=1
	s_or_b32 exec_lo, exec_lo, s27
	s_wait_alu 0xfffe
	s_and_b32 s27, s76, exec_lo
.LBB43_175:                             ;   in Loop: Header=BB43_16 Depth=1
	s_wait_alu 0xfffe
	s_or_b32 exec_lo, exec_lo, s42
.LBB43_176:                             ;   in Loop: Header=BB43_16 Depth=1
	s_delay_alu instid0(SALU_CYCLE_1)
	s_and_b32 vcc_lo, exec_lo, s28
	s_wait_alu 0xfffe
	s_cbranch_vccz .LBB43_188
; %bb.177:                              ;   in Loop: Header=BB43_16 Depth=1
	s_add_co_i32 s28, s26, s56
                                        ; implicit-def: $vgpr5_vgpr6
	s_delay_alu instid0(SALU_CYCLE_1)
	s_abs_i32 s42, s28
	s_wait_alu 0xfffe
	s_mul_u64 s[22:23], s[42:43], s[48:49]
	s_wait_alu 0xfffe
	s_mul_i32 s22, s23, s53
	s_ashr_i32 s23, s28, 31
	s_wait_alu 0xfffe
	s_sub_co_i32 s22, s42, s22
	s_wait_alu 0xfffe
	s_sub_co_i32 s42, s22, s53
	s_cmp_ge_u32 s22, s53
	s_wait_alu 0xfffe
	s_cselect_b32 s22, s42, s22
	s_wait_alu 0xfffe
	s_sub_co_i32 s42, s22, s53
	s_cmp_ge_u32 s22, s53
	s_wait_alu 0xfffe
	s_cselect_b32 s22, s42, s22
	s_wait_alu 0xfffe
	s_xor_b32 s22, s22, s23
	s_wait_alu 0xfffe
	s_sub_co_i32 s22, s23, s22
	s_wait_alu 0xfffe
	s_add_co_i32 s23, s28, s22
	s_mov_b32 s22, exec_lo
	s_wait_alu 0xfffe
	v_cmpx_gt_i32_e64 s23, v0
	s_cbranch_execz .LBB43_187
; %bb.178:                              ;   in Loop: Header=BB43_16 Depth=1
	v_dual_mov_b32 v7, v29 :: v_dual_mov_b32 v8, v0
	s_mov_b32 s28, 0
                                        ; implicit-def: $sgpr42
	s_branch .LBB43_182
.LBB43_179:                             ;   in Loop: Header=BB43_182 Depth=2
	s_wait_alu 0xfffe
	s_or_b32 exec_lo, exec_lo, s76
	s_wait_loadcnt_dscnt 0x0
	s_barrier_signal -1
	s_barrier_wait -1
	global_inv scope:SCOPE_SE
	ds_load_b128 v[3:6], v13 offset:3072
	s_wait_loadcnt_dscnt 0x0
	s_barrier_signal -1
	s_barrier_wait -1
	global_inv scope:SCOPE_SE
	v_cmp_eq_f64_e32 vcc_lo, 0, v[3:4]
	s_cbranch_vccz .LBB43_185
; %bb.180:                              ;   in Loop: Header=BB43_182 Depth=2
	v_add_nc_u32_e32 v8, s53, v8
	v_add_nc_u32_e32 v7, s68, v7
	s_mov_b32 s76, 0
	s_delay_alu instid0(VALU_DEP_2)
	v_cmp_le_i32_e32 vcc_lo, s23, v8
	s_or_not1_b32 s77, vcc_lo, exec_lo
.LBB43_181:                             ;   in Loop: Header=BB43_182 Depth=2
	s_wait_alu 0xfffe
	s_and_b32 s77, exec_lo, s77
	s_wait_alu 0xfffe
	s_or_b32 s28, s77, s28
	s_and_not1_b32 s42, s42, exec_lo
	s_and_b32 s76, s76, exec_lo
	s_wait_alu 0xfffe
	s_or_b32 s42, s42, s76
	s_and_not1_b32 exec_lo, exec_lo, s28
	s_cbranch_execz .LBB43_186
.LBB43_182:                             ;   Parent Loop BB43_16 Depth=1
                                        ; =>  This Inner Loop Header: Depth=2
	s_mov_b32 s76, exec_lo
	s_delay_alu instid0(VALU_DEP_1)
	v_cmpx_gt_i32_e64 s26, v8
	s_cbranch_execz .LBB43_179
; %bb.183:                              ;   in Loop: Header=BB43_182 Depth=2
	ds_load_b64 v[3:4], v7
	s_wait_dscnt 0x0
	v_cmp_o_f64_e32 vcc_lo, v[3:4], v[3:4]
	v_ashrrev_i32_e32 v1, 31, v4
	s_delay_alu instid0(VALU_DEP_1) | instskip(SKIP_1) | instid1(VALU_DEP_2)
	v_or_b32_e32 v5, 0x80000000, v1
	v_xor_b32_e32 v1, v1, v3
	v_xor_b32_e32 v5, v5, v4
	s_wait_alu 0xfffd
	s_delay_alu instid0(VALU_DEP_1) | instskip(NEXT) | instid1(VALU_DEP_1)
	v_cndmask_b32_e32 v5, -1, v5, vcc_lo
	v_dual_cndmask_b32 v1, -1, v1 :: v_dual_and_b32 v6, v5, v22
	s_delay_alu instid0(VALU_DEP_1) | instskip(NEXT) | instid1(VALU_DEP_1)
	v_and_b32_e32 v5, v1, v21
	v_cmp_eq_u64_e32 vcc_lo, v[5:6], v[18:19]
	s_and_b32 exec_lo, exec_lo, vcc_lo
	s_cbranch_execz .LBB43_179
; %bb.184:                              ;   in Loop: Header=BB43_182 Depth=2
	v_mov_b32_e32 v1, v13
	ds_store_b128 v13, v[1:4] offset:3072
	s_branch .LBB43_179
.LBB43_185:                             ;   in Loop: Header=BB43_182 Depth=2
	s_mov_b32 s77, -1
	s_mov_b32 s76, -1
                                        ; implicit-def: $vgpr8
                                        ; implicit-def: $vgpr7
	s_branch .LBB43_181
.LBB43_186:                             ;   in Loop: Header=BB43_16 Depth=1
	s_or_b32 exec_lo, exec_lo, s28
	s_delay_alu instid0(SALU_CYCLE_1)
	s_and_not1_b32 s23, s27, exec_lo
	s_wait_alu 0xfffe
	s_and_b32 s26, s42, exec_lo
	s_wait_alu 0xfffe
	s_or_b32 s27, s23, s26
.LBB43_187:                             ;   in Loop: Header=BB43_16 Depth=1
	s_or_b32 exec_lo, exec_lo, s22
	s_mov_b32 s22, 0
	s_mov_b32 s23, -1
.LBB43_188:                             ;   in Loop: Header=BB43_16 Depth=1
	s_wait_alu 0xfffe
	s_or_not1_b32 s26, s27, exec_lo
.LBB43_189:                             ;   in Loop: Header=BB43_16 Depth=1
	s_wait_alu 0xfffe
	s_or_b32 exec_lo, exec_lo, s24
	s_mov_b32 s27, 0
	s_and_saveexec_b32 s24, s26
	s_cbranch_execz .LBB43_241
; %bb.190:                              ;   in Loop: Header=BB43_16 Depth=1
	v_dual_mov_b32 v10, 1 :: v_dual_mov_b32 v9, 1
	s_xor_b32 s26, s25, -1
	s_wait_alu 0xfffe
	s_and_saveexec_b32 s25, s26
	s_cbranch_execz .LBB43_199
; %bb.191:                              ;   in Loop: Header=BB43_16 Depth=1
	s_mov_b32 s26, exec_lo
	v_cmpx_ge_i32_e64 s19, v23
	s_wait_alu 0xfffe
	s_xor_b32 s26, exec_lo, s26
	s_cbranch_execz .LBB43_196
; %bb.192:                              ;   in Loop: Header=BB43_16 Depth=1
	ds_load_b32 v1, v13 offset:4096
	v_and_b32_e32 v3, s13, v19
	v_and_b32_e32 v4, s12, v18
	s_lshl_b64 s[12:13], 2, s75
	v_or_b32_e32 v22, s11, v22
	v_or_b32_e32 v21, s10, v21
	s_wait_alu 0xfffe
	v_or_b32_e32 v19, s13, v3
	v_or_b32_e32 v18, s12, v4
	s_wait_dscnt 0x0
	v_cmp_ne_u32_e32 vcc_lo, 0, v1
	s_cbranch_vccnz .LBB43_196
; %bb.193:                              ;   in Loop: Header=BB43_16 Depth=1
	s_and_saveexec_b32 s12, s2
; %bb.194:                              ;   in Loop: Header=BB43_16 Depth=1
	v_mov_b32_e32 v1, s19
	ds_store_b32 v13, v1 offset:4100
; %bb.195:                              ;   in Loop: Header=BB43_16 Depth=1
	s_wait_alu 0xfffe
	s_or_b32 exec_lo, exec_lo, s12
	s_wait_loadcnt_dscnt 0x0
	s_barrier_signal -1
	s_barrier_wait -1
	global_inv scope:SCOPE_SE
.LBB43_196:                             ;   in Loop: Header=BB43_16 Depth=1
	s_wait_alu 0xfffe
	s_or_saveexec_b32 s12, s26
	v_mov_b32_e32 v9, 8
	s_mov_b32 s13, 0
	s_wait_alu 0xfffe
	s_xor_b32 exec_lo, exec_lo, s12
; %bb.197:                              ;   in Loop: Header=BB43_16 Depth=1
	v_subrev_nc_u32_e32 v23, s19, v23
	v_mov_b32_e32 v9, 0
	s_mov_b32 s13, exec_lo
; %bb.198:                              ;   in Loop: Header=BB43_16 Depth=1
	s_or_b32 exec_lo, exec_lo, s12
	s_delay_alu instid0(VALU_DEP_2)
	v_mov_b32_e32 v10, v23
	s_wait_alu 0xfffe
	s_and_b32 s27, s13, exec_lo
.LBB43_199:                             ;   in Loop: Header=BB43_16 Depth=1
	s_wait_alu 0xfffe
	s_or_b32 exec_lo, exec_lo, s25
	s_mov_b32 s13, -1
                                        ; implicit-def: $sgpr26
                                        ; implicit-def: $sgpr25
	s_and_saveexec_b32 s12, s27
	s_cbranch_execz .LBB43_240
; %bb.200:                              ;   in Loop: Header=BB43_16 Depth=1
	v_cmp_eq_u32_e32 vcc_lo, 1, v10
	s_cmp_eq_u32 s9, 1
	s_mov_b32 s27, -1
	s_cselect_b32 s13, -1, 0
                                        ; implicit-def: $sgpr26
                                        ; implicit-def: $sgpr25
	s_wait_alu 0xfffe
	s_and_b32 s13, s13, vcc_lo
	s_wait_alu 0xfffe
	s_and_saveexec_b32 s19, s13
	s_cbranch_execz .LBB43_228
; %bb.201:                              ;   in Loop: Header=BB43_16 Depth=1
	ds_load_b32 v1, v13 offset:4096
	s_wait_loadcnt_dscnt 0x0
	s_barrier_signal -1
	s_barrier_wait -1
	global_inv scope:SCOPE_SE
	v_readfirstlane_b32 s27, v1
	s_and_saveexec_b32 s25, s0
; %bb.202:                              ;   in Loop: Header=BB43_16 Depth=1
	v_mov_b32_e32 v12, v13
	ds_store_b64 v30, v[12:13]
; %bb.203:                              ;   in Loop: Header=BB43_16 Depth=1
	s_wait_alu 0xfffe
	s_or_b32 exec_lo, exec_lo, s25
	v_or_b32_e32 v19, s11, v19
	v_or_b32_e32 v18, s10, v18
	;; [unrolled: 1-line block ×4, first 2 shown]
	s_mov_b32 s25, -1
	s_mov_b32 s26, 0
	s_cmp_gt_i32 s27, 0
	s_mov_b32 s28, 0
	s_mov_b32 s42, -1
	s_wait_loadcnt_dscnt 0x0
	s_barrier_signal -1
	s_barrier_wait -1
	global_inv scope:SCOPE_SE
                                        ; implicit-def: $vgpr5_vgpr6
	s_cbranch_scc1 .LBB43_215
; %bb.204:                              ;   in Loop: Header=BB43_16 Depth=1
	s_mov_b32 s42, 0
                                        ; implicit-def: $vgpr5_vgpr6
	s_and_saveexec_b32 s76, s8
	s_cbranch_execz .LBB43_214
; %bb.205:                              ;   in Loop: Header=BB43_16 Depth=1
	v_dual_mov_b32 v7, v11 :: v_dual_mov_b32 v12, v0
                                        ; implicit-def: $sgpr77
	s_branch .LBB43_209
.LBB43_206:                             ;   in Loop: Header=BB43_209 Depth=2
	s_wait_alu 0xfffe
	s_or_b32 exec_lo, exec_lo, s78
	s_wait_loadcnt_dscnt 0x0
	s_barrier_signal -1
	s_barrier_wait -1
	global_inv scope:SCOPE_SE
	ds_load_b128 v[3:6], v13 offset:3072
	s_wait_loadcnt_dscnt 0x0
	s_barrier_signal -1
	s_barrier_wait -1
	global_inv scope:SCOPE_SE
	v_cmp_neq_f64_e32 vcc_lo, 0, v[3:4]
	s_cbranch_vccnz .LBB43_212
; %bb.207:                              ;   in Loop: Header=BB43_209 Depth=2
	v_add_nc_u32_e32 v12, s53, v12
	v_add_nc_u32_e32 v7, s57, v7
	s_mov_b32 s78, 0
	s_delay_alu instid0(VALU_DEP_2)
	v_cmp_le_i32_e32 vcc_lo, s65, v12
	s_or_not1_b32 s79, vcc_lo, exec_lo
.LBB43_208:                             ;   in Loop: Header=BB43_209 Depth=2
	s_wait_alu 0xfffe
	s_and_b32 s79, exec_lo, s79
	s_wait_alu 0xfffe
	s_or_b32 s28, s79, s28
	s_and_not1_b32 s77, s77, exec_lo
	s_and_b32 s78, s78, exec_lo
	s_wait_alu 0xfffe
	s_or_b32 s77, s77, s78
	s_and_not1_b32 exec_lo, exec_lo, s28
	s_cbranch_execz .LBB43_213
.LBB43_209:                             ;   Parent Loop BB43_16 Depth=1
                                        ; =>  This Inner Loop Header: Depth=2
	s_mov_b32 s78, exec_lo
	s_delay_alu instid0(VALU_DEP_1)
	v_cmpx_gt_i32_e64 s36, v12
	s_cbranch_execz .LBB43_206
; %bb.210:                              ;   in Loop: Header=BB43_209 Depth=2
	v_ashrrev_i32_e32 v8, 31, v7
	s_delay_alu instid0(VALU_DEP_1) | instskip(NEXT) | instid1(VALU_DEP_1)
	v_lshlrev_b64_e32 v[3:4], 3, v[7:8]
	v_add_co_u32 v3, vcc_lo, s44, v3
	s_wait_alu 0xfffd
	s_delay_alu instid0(VALU_DEP_2) | instskip(SKIP_4) | instid1(VALU_DEP_1)
	v_add_co_ci_u32_e64 v4, null, s45, v4, vcc_lo
	global_load_b64 v[3:4], v[3:4], off
	s_wait_loadcnt 0x0
	v_cmp_o_f64_e32 vcc_lo, v[3:4], v[3:4]
	v_ashrrev_i32_e32 v1, 31, v4
	v_or_b32_e32 v5, 0x80000000, v1
	v_xor_b32_e32 v1, v1, v3
	s_delay_alu instid0(VALU_DEP_2) | instskip(SKIP_1) | instid1(VALU_DEP_1)
	v_xor_b32_e32 v5, v5, v4
	s_wait_alu 0xfffd
	v_cndmask_b32_e32 v5, -1, v5, vcc_lo
	s_delay_alu instid0(VALU_DEP_1) | instskip(NEXT) | instid1(VALU_DEP_1)
	v_dual_cndmask_b32 v1, -1, v1 :: v_dual_and_b32 v6, v5, v22
	v_and_b32_e32 v5, v1, v21
	s_delay_alu instid0(VALU_DEP_1)
	v_cmp_eq_u64_e32 vcc_lo, v[5:6], v[18:19]
	s_and_b32 exec_lo, exec_lo, vcc_lo
	s_cbranch_execz .LBB43_206
; %bb.211:                              ;   in Loop: Header=BB43_209 Depth=2
	v_mov_b32_e32 v1, v13
	ds_store_b128 v13, v[1:4] offset:3072
	s_branch .LBB43_206
.LBB43_212:                             ;   in Loop: Header=BB43_209 Depth=2
	s_mov_b32 s79, -1
	s_mov_b32 s78, -1
                                        ; implicit-def: $vgpr12
                                        ; implicit-def: $vgpr7
	s_branch .LBB43_208
.LBB43_213:                             ;   in Loop: Header=BB43_16 Depth=1
	s_or_b32 exec_lo, exec_lo, s28
	s_wait_alu 0xfffe
	s_and_b32 s28, s77, exec_lo
.LBB43_214:                             ;   in Loop: Header=BB43_16 Depth=1
	s_wait_alu 0xfffe
	s_or_b32 exec_lo, exec_lo, s76
.LBB43_215:                             ;   in Loop: Header=BB43_16 Depth=1
	s_wait_alu 0xfffe
	s_and_b32 vcc_lo, exec_lo, s42
	s_wait_alu 0xfffe
	s_cbranch_vccz .LBB43_227
; %bb.216:                              ;   in Loop: Header=BB43_16 Depth=1
	s_add_co_i32 s26, s27, s56
                                        ; implicit-def: $vgpr5_vgpr6
	s_wait_alu 0xfffe
	s_abs_i32 s42, s26
	s_wait_alu 0xfffe
	s_mul_u64 s[76:77], s[42:43], s[48:49]
	s_wait_alu 0xfffe
	s_mul_i32 s25, s77, s53
	s_wait_alu 0xfffe
	s_sub_co_i32 s25, s42, s25
	s_ashr_i32 s42, s26, 31
	s_wait_alu 0xfffe
	s_sub_co_i32 s76, s25, s53
	s_cmp_ge_u32 s25, s53
	s_wait_alu 0xfffe
	s_cselect_b32 s25, s76, s25
	s_wait_alu 0xfffe
	s_sub_co_i32 s76, s25, s53
	s_cmp_ge_u32 s25, s53
	s_wait_alu 0xfffe
	s_cselect_b32 s25, s76, s25
	s_wait_alu 0xfffe
	s_xor_b32 s25, s25, s42
	s_wait_alu 0xfffe
	s_sub_co_i32 s25, s42, s25
	s_wait_alu 0xfffe
	s_add_co_i32 s26, s26, s25
	s_mov_b32 s25, exec_lo
	s_wait_alu 0xfffe
	v_cmpx_gt_i32_e64 s26, v0
	s_cbranch_execz .LBB43_226
; %bb.217:                              ;   in Loop: Header=BB43_16 Depth=1
	v_dual_mov_b32 v7, v29 :: v_dual_mov_b32 v8, v0
	s_mov_b32 s42, 0
                                        ; implicit-def: $sgpr76
	s_branch .LBB43_221
.LBB43_218:                             ;   in Loop: Header=BB43_221 Depth=2
	s_wait_alu 0xfffe
	s_or_b32 exec_lo, exec_lo, s77
	s_wait_loadcnt_dscnt 0x0
	s_barrier_signal -1
	s_barrier_wait -1
	global_inv scope:SCOPE_SE
	ds_load_b128 v[3:6], v13 offset:3072
	s_wait_loadcnt_dscnt 0x0
	s_barrier_signal -1
	s_barrier_wait -1
	global_inv scope:SCOPE_SE
	v_cmp_eq_f64_e32 vcc_lo, 0, v[3:4]
	s_cbranch_vccz .LBB43_224
; %bb.219:                              ;   in Loop: Header=BB43_221 Depth=2
	v_add_nc_u32_e32 v8, s53, v8
	v_add_nc_u32_e32 v7, s68, v7
	s_mov_b32 s77, 0
	s_delay_alu instid0(VALU_DEP_2)
	v_cmp_le_i32_e32 vcc_lo, s26, v8
	s_or_not1_b32 s78, vcc_lo, exec_lo
.LBB43_220:                             ;   in Loop: Header=BB43_221 Depth=2
	s_wait_alu 0xfffe
	s_and_b32 s78, exec_lo, s78
	s_wait_alu 0xfffe
	s_or_b32 s42, s78, s42
	s_and_not1_b32 s76, s76, exec_lo
	s_and_b32 s77, s77, exec_lo
	s_wait_alu 0xfffe
	s_or_b32 s76, s76, s77
	s_and_not1_b32 exec_lo, exec_lo, s42
	s_cbranch_execz .LBB43_225
.LBB43_221:                             ;   Parent Loop BB43_16 Depth=1
                                        ; =>  This Inner Loop Header: Depth=2
	s_mov_b32 s77, exec_lo
	s_delay_alu instid0(VALU_DEP_1)
	v_cmpx_gt_i32_e64 s27, v8
	s_cbranch_execz .LBB43_218
; %bb.222:                              ;   in Loop: Header=BB43_221 Depth=2
	ds_load_b64 v[3:4], v7
	s_wait_dscnt 0x0
	v_cmp_o_f64_e32 vcc_lo, v[3:4], v[3:4]
	v_ashrrev_i32_e32 v1, 31, v4
	s_delay_alu instid0(VALU_DEP_1) | instskip(SKIP_1) | instid1(VALU_DEP_2)
	v_or_b32_e32 v5, 0x80000000, v1
	v_xor_b32_e32 v1, v1, v3
	v_xor_b32_e32 v5, v5, v4
	s_wait_alu 0xfffd
	s_delay_alu instid0(VALU_DEP_1) | instskip(NEXT) | instid1(VALU_DEP_1)
	v_cndmask_b32_e32 v5, -1, v5, vcc_lo
	v_dual_cndmask_b32 v1, -1, v1 :: v_dual_and_b32 v6, v5, v22
	s_delay_alu instid0(VALU_DEP_1) | instskip(NEXT) | instid1(VALU_DEP_1)
	v_and_b32_e32 v5, v1, v21
	v_cmp_eq_u64_e32 vcc_lo, v[5:6], v[18:19]
	s_and_b32 exec_lo, exec_lo, vcc_lo
	s_cbranch_execz .LBB43_218
; %bb.223:                              ;   in Loop: Header=BB43_221 Depth=2
	v_mov_b32_e32 v1, v13
	ds_store_b128 v13, v[1:4] offset:3072
	s_branch .LBB43_218
.LBB43_224:                             ;   in Loop: Header=BB43_221 Depth=2
	s_mov_b32 s78, -1
	s_mov_b32 s77, -1
                                        ; implicit-def: $vgpr8
                                        ; implicit-def: $vgpr7
	s_branch .LBB43_220
.LBB43_225:                             ;   in Loop: Header=BB43_16 Depth=1
	s_or_b32 exec_lo, exec_lo, s42
	s_delay_alu instid0(SALU_CYCLE_1)
	s_and_not1_b32 s26, s28, exec_lo
	s_wait_alu 0xfffe
	s_and_b32 s27, s76, exec_lo
	s_wait_alu 0xfffe
	s_or_b32 s28, s26, s27
.LBB43_226:                             ;   in Loop: Header=BB43_16 Depth=1
	s_or_b32 exec_lo, exec_lo, s25
	s_mov_b32 s25, 0
	s_mov_b32 s26, -1
.LBB43_227:                             ;   in Loop: Header=BB43_16 Depth=1
	s_or_not1_b32 s27, s28, exec_lo
.LBB43_228:                             ;   in Loop: Header=BB43_16 Depth=1
	s_wait_alu 0xfffe
	s_or_b32 exec_lo, exec_lo, s19
	s_mov_b32 s28, 0
	s_and_saveexec_b32 s19, s27
	s_cbranch_execz .LBB43_239
; %bb.229:                              ;   in Loop: Header=BB43_16 Depth=1
	v_mov_b32_e32 v9, 1
	v_mov_b32_e32 v1, 1
	s_xor_b32 s27, s13, -1
	s_wait_alu 0xfffe
	s_and_saveexec_b32 s13, s27
	s_cbranch_execz .LBB43_238
; %bb.230:                              ;   in Loop: Header=BB43_16 Depth=1
	s_mov_b32 s27, exec_lo
	v_cmpx_ge_i32_e64 s9, v10
	s_wait_alu 0xfffe
	s_xor_b32 s27, exec_lo, s27
	s_cbranch_execz .LBB43_235
; %bb.231:                              ;   in Loop: Header=BB43_16 Depth=1
	ds_load_b32 v1, v13 offset:4096
	v_or_b32_e32 v19, s11, v19
	v_or_b32_e32 v18, s10, v18
	v_or_b32_e32 v22, s11, v22
	v_or_b32_e32 v21, s10, v21
	s_wait_dscnt 0x0
	v_cmp_ne_u32_e32 vcc_lo, 0, v1
	s_cbranch_vccnz .LBB43_235
; %bb.232:                              ;   in Loop: Header=BB43_16 Depth=1
	s_and_saveexec_b32 s10, s2
; %bb.233:                              ;   in Loop: Header=BB43_16 Depth=1
	v_mov_b32_e32 v1, s9
	ds_store_b32 v13, v1 offset:4100
; %bb.234:                              ;   in Loop: Header=BB43_16 Depth=1
	s_wait_alu 0xfffe
	s_or_b32 exec_lo, exec_lo, s10
	s_wait_loadcnt_dscnt 0x0
	s_barrier_signal -1
	s_barrier_wait -1
	global_inv scope:SCOPE_SE
.LBB43_235:                             ;   in Loop: Header=BB43_16 Depth=1
	s_wait_alu 0xfffe
	s_and_not1_saveexec_b32 s10, s27
; %bb.236:                              ;   in Loop: Header=BB43_16 Depth=1
	v_subrev_nc_u32_e32 v10, s9, v10
; %bb.237:                              ;   in Loop: Header=BB43_16 Depth=1
	s_wait_alu 0xfffe
	s_or_b32 exec_lo, exec_lo, s10
	v_mov_b32_e32 v9, 8
	s_delay_alu instid0(VALU_DEP_2)
	v_mov_b32_e32 v1, v10
.LBB43_238:                             ;   in Loop: Header=BB43_16 Depth=1
	s_wait_alu 0xfffe
	s_or_b32 exec_lo, exec_lo, s13
	s_delay_alu instid0(VALU_DEP_1)
	v_mov_b32_e32 v10, v1
	s_mov_b32 s28, exec_lo
.LBB43_239:                             ;   in Loop: Header=BB43_16 Depth=1
	s_wait_alu 0xfffe
	s_or_b32 exec_lo, exec_lo, s19
	s_delay_alu instid0(SALU_CYCLE_1)
	s_or_not1_b32 s13, s28, exec_lo
.LBB43_240:                             ;   in Loop: Header=BB43_16 Depth=1
	s_wait_alu 0xfffe
	s_or_b32 exec_lo, exec_lo, s12
	v_mov_b32_e32 v23, v10
	s_and_not1_b32 s9, s23, exec_lo
	s_and_b32 s10, s26, exec_lo
	s_and_not1_b32 s11, s22, exec_lo
	s_and_b32 s12, s25, exec_lo
	s_wait_alu 0xfffe
	s_or_b32 s23, s9, s10
	s_or_b32 s22, s11, s12
	s_and_b32 s27, s13, exec_lo
.LBB43_241:                             ;   in Loop: Header=BB43_16 Depth=1
	s_wait_alu 0xfffe
	s_or_b32 exec_lo, exec_lo, s24
	s_delay_alu instid0(SALU_CYCLE_1)
	s_or_not1_b32 s24, s27, exec_lo
.LBB43_242:                             ;   in Loop: Header=BB43_16 Depth=1
	s_wait_alu 0xfffe
	s_or_b32 exec_lo, exec_lo, s21
	v_mov_b32_e32 v10, v23
	s_and_not1_b32 s9, s18, exec_lo
	s_and_b32 s10, s23, exec_lo
	s_and_not1_b32 s11, s17, exec_lo
	s_and_b32 s12, s22, exec_lo
	s_wait_alu 0xfffe
	s_or_b32 s18, s9, s10
	s_or_b32 s17, s11, s12
	s_and_b32 s24, s24, exec_lo
.LBB43_243:                             ;   in Loop: Header=BB43_16 Depth=1
	s_wait_alu 0xfffe
	s_or_b32 exec_lo, exec_lo, s20
	s_delay_alu instid0(SALU_CYCLE_1)
	s_or_not1_b32 s20, s24, exec_lo
.LBB43_244:                             ;   in Loop: Header=BB43_16 Depth=1
	s_wait_alu 0xfffe
	s_or_b32 exec_lo, exec_lo, s16
	s_mov_b32 s10, 0
                                        ; implicit-def: $sgpr23
	s_and_saveexec_b32 s9, s20
	s_wait_alu 0xfffe
	s_xor_b32 s9, exec_lo, s9
	s_cbranch_execz .LBB43_14
; %bb.245:                              ;   in Loop: Header=BB43_16 Depth=1
	v_and_b32_e32 v1, 7, v9
	s_mov_b32 s11, -1
	s_mov_b32 s10, -1
	s_mov_b32 s12, exec_lo
                                        ; implicit-def: $sgpr23
	s_delay_alu instid0(VALU_DEP_1)
	v_cmpx_eq_u32_e32 0, v1
	s_cbranch_execz .LBB43_13
; %bb.246:                              ;   in Loop: Header=BB43_16 Depth=1
	s_add_co_i32 s23, s75, -2
	s_cmp_eq_u32 s75, 0
	v_xor_b32_e32 v40, 1, v40
	s_cselect_b32 s11, -1, 0
	s_xor_b32 s10, exec_lo, -1
	s_wait_alu 0xfffe
	s_or_not1_b32 s11, s11, exec_lo
	s_branch .LBB43_13
.LBB43_247:
	s_or_b32 exec_lo, exec_lo, s37
	s_wait_alu 0xfffe
	s_xor_b32 s3, s74, -1
	s_xor_b32 s1, s72, -1
	;; [unrolled: 1-line block ×3, first 2 shown]
	s_mov_b32 s0, 0
	s_wait_alu 0xfffe
	s_and_saveexec_b32 s5, s1
	s_wait_alu 0xfffe
	s_xor_b32 s1, exec_lo, s5
	s_cbranch_execnz .LBB43_252
; %bb.248:
	s_wait_alu 0xfffe
	s_and_not1_saveexec_b32 s1, s1
	s_cbranch_execnz .LBB43_272
.LBB43_249:
	s_wait_alu 0xfffe
	s_or_b32 exec_lo, exec_lo, s1
	s_and_saveexec_b32 s1, s0
.LBB43_250:
	; divergent unreachable
.LBB43_251:
	s_endpgm
.LBB43_252:
	s_and_saveexec_b32 s0, s3
	s_wait_alu 0xfffe
	s_xor_b32 s3, exec_lo, s0
	s_cbranch_execz .LBB43_270
; %bb.253:
	s_and_saveexec_b32 s0, s4
	s_wait_alu 0xfffe
	s_xor_b32 s0, exec_lo, s0
; %bb.254:
	v_lshrrev_b32_e32 v1, 31, v19
	s_delay_alu instid0(VALU_DEP_1) | instskip(SKIP_2) | instid1(VALU_DEP_2)
	v_add_co_u32 v1, s4, v1, -1
	s_wait_alu 0xf1ff
	v_add_co_ci_u32_e64 v2, null, 0, -1, s4
	v_xor_b32_e32 v5, v1, v18
	s_delay_alu instid0(VALU_DEP_2) | instskip(NEXT) | instid1(VALU_DEP_1)
	v_or_b32_e32 v2, 0x80000000, v2
	v_xor_b32_e32 v6, v2, v19
; %bb.255:
	s_wait_alu 0xfffe
	s_or_b32 exec_lo, exec_lo, s0
	s_and_saveexec_b32 s0, s2
; %bb.256:
	v_dual_mov_b32 v1, 0 :: v_dual_mov_b32 v2, s36
	ds_store_b32 v1, v2 offset:4108
; %bb.257:
	s_wait_alu 0xfffe
	s_or_b32 exec_lo, exec_lo, s0
	v_mov_b32_e32 v1, 0
	s_wait_loadcnt_dscnt 0x0
	s_barrier_signal -1
	s_barrier_wait -1
	global_inv scope:SCOPE_SE
	ds_load_b32 v1, v1 offset:4108
	s_mov_b32 s4, exec_lo
	s_wait_dscnt 0x0
	v_min_i32_e32 v1, s36, v1
	s_delay_alu instid0(VALU_DEP_1)
	v_cmpx_lt_i32_e64 v0, v1
	s_cbranch_execz .LBB43_267
; %bb.258:
	v_cmp_u_f64_e32 vcc_lo, v[5:6], v[5:6]
	s_mov_b32 s5, 0
                                        ; implicit-def: $sgpr6
                                        ; implicit-def: $sgpr9
                                        ; implicit-def: $sgpr8
	s_xor_b32 s7, vcc_lo, -1
	s_branch .LBB43_260
.LBB43_259:                             ;   in Loop: Header=BB43_260 Depth=1
	s_wait_alu 0xfffe
	s_or_b32 exec_lo, exec_lo, s0
	s_delay_alu instid0(SALU_CYCLE_1)
	s_and_b32 s0, exec_lo, s9
	s_wait_alu 0xfffe
	s_or_b32 s5, s0, s5
	s_and_not1_b32 s0, s6, exec_lo
	s_and_b32 s6, s8, exec_lo
	s_wait_alu 0xfffe
	s_or_b32 s6, s0, s6
	s_and_not1_b32 exec_lo, exec_lo, s5
	s_cbranch_execz .LBB43_262
.LBB43_260:                             ; =>This Inner Loop Header: Depth=1
	v_ashrrev_i32_e32 v12, 31, v11
	s_or_b32 s8, s8, exec_lo
	s_or_b32 s9, s9, exec_lo
	s_delay_alu instid0(VALU_DEP_1) | instskip(NEXT) | instid1(VALU_DEP_1)
	v_lshlrev_b64_e32 v[2:3], 3, v[11:12]
	v_add_co_u32 v2, vcc_lo, s44, v2
	s_wait_alu 0xfffd
	s_delay_alu instid0(VALU_DEP_2)
	v_add_co_ci_u32_e64 v3, null, s45, v3, vcc_lo
	global_load_b64 v[2:3], v[2:3], off
	s_wait_loadcnt 0x0
	v_cmp_o_f64_e32 vcc_lo, v[2:3], v[2:3]
	v_cmp_neq_f64_e64 s0, v[2:3], v[5:6]
	v_mov_b32_e32 v2, v0
                                        ; implicit-def: $vgpr0
	s_or_b32 s10, vcc_lo, s7
	s_wait_alu 0xfffe
	s_and_b32 s10, s0, s10
	s_wait_alu 0xfffe
	s_and_saveexec_b32 s0, s10
	s_cbranch_execz .LBB43_259
; %bb.261:                              ;   in Loop: Header=BB43_260 Depth=1
	v_add_nc_u32_e32 v0, s53, v2
	v_add_nc_u32_e32 v11, s57, v11
	s_and_not1_b32 s9, s9, exec_lo
	s_and_not1_b32 s8, s8, exec_lo
	s_delay_alu instid0(VALU_DEP_2)
	v_cmp_ge_i32_e32 vcc_lo, v0, v1
	s_and_b32 s10, vcc_lo, exec_lo
	s_wait_alu 0xfffe
	s_or_b32 s9, s9, s10
	s_branch .LBB43_259
.LBB43_262:
	s_or_b32 exec_lo, exec_lo, s5
	s_and_saveexec_b32 s0, s6
	s_wait_alu 0xfffe
	s_xor_b32 s0, exec_lo, s0
	s_cbranch_execz .LBB43_267
; %bb.263:
	s_mov_b32 s5, exec_lo
	s_brev_b32 s0, -2
.LBB43_264:                             ; =>This Inner Loop Header: Depth=1
	s_wait_alu 0xfffe
	s_ctz_i32_b32 s6, s5
	s_wait_alu 0xfffe
	v_readlane_b32 s7, v2, s6
	s_lshl_b32 s6, 1, s6
	s_wait_alu 0xfffe
	s_and_not1_b32 s5, s5, s6
	s_min_i32 s0, s0, s7
	s_wait_alu 0xfffe
	s_cmp_lg_u32 s5, 0
	s_cbranch_scc1 .LBB43_264
; %bb.265:
	v_mbcnt_lo_u32_b32 v0, exec_lo, 0
	s_mov_b32 s5, exec_lo
	s_delay_alu instid0(VALU_DEP_1)
	v_cmpx_eq_u32_e32 0, v0
	s_wait_alu 0xfffe
	s_xor_b32 s5, exec_lo, s5
; %bb.266:
	v_dual_mov_b32 v0, 0 :: v_dual_mov_b32 v1, s0
	ds_min_i32 v0, v1 offset:4108
.LBB43_267:
	s_wait_alu 0xfffe
	s_or_b32 exec_lo, exec_lo, s4
	s_wait_loadcnt_dscnt 0x0
	s_barrier_signal -1
	s_barrier_wait -1
	global_inv scope:SCOPE_SE
	s_and_saveexec_b32 s0, s2
	s_cbranch_execz .LBB43_269
; %bb.268:
	v_mov_b32_e32 v2, 0
	s_mul_i32 s5, s52, s33
	s_mul_i32 s2, s30, s38
	s_wait_alu 0xfffe
	s_add_co_i32 s6, s5, s31
	s_add_co_i32 s4, s2, s29
	ds_load_b32 v0, v2 offset:4108
	s_wait_alu 0xfffe
	s_ashr_i32 s7, s6, 31
	s_ashr_i32 s5, s4, 31
	s_wait_alu 0xfffe
	s_lshl_b64 s[6:7], s[6:7], 3
	s_lshl_b64 s[4:5], s[4:5], 3
	s_wait_alu 0xfffe
	s_add_nc_u64 s[6:7], s[40:41], s[6:7]
	s_add_nc_u64 s[4:5], s[34:35], s[4:5]
	s_wait_dscnt 0x0
	v_ashrrev_i32_e32 v1, 31, v0
	s_clause 0x1
	global_store_b64 v2, v[0:1], s[6:7]
	global_store_b64 v2, v[5:6], s[4:5]
.LBB43_269:
	s_wait_alu 0xfffe
	s_or_b32 exec_lo, exec_lo, s0
.LBB43_270:
	s_or_saveexec_b32 s0, s3
	s_mov_b32 s2, 0
	s_wait_alu 0xfffe
	s_xor_b32 exec_lo, exec_lo, s0
	s_cbranch_execnz .LBB43_273
.LBB43_271:
	s_or_b32 exec_lo, exec_lo, s0
	s_delay_alu instid0(SALU_CYCLE_1)
	s_and_b32 s0, s2, exec_lo
	s_and_not1_saveexec_b32 s1, s1
	s_cbranch_execz .LBB43_249
.LBB43_272:
	s_wait_alu 0xfffe
	s_or_b32 s0, s0, exec_lo
	s_trap 2
	s_or_b32 exec_lo, exec_lo, s1
	s_wait_alu 0xfffe
	s_and_saveexec_b32 s1, s0
	s_cbranch_execnz .LBB43_250
	s_branch .LBB43_251
.LBB43_273:
	s_mov_b32 s2, exec_lo
	s_trap 2
	s_branch .LBB43_271
	.section	.rodata,"a",@progbits
	.p2align	6, 0x0
	.amdhsa_kernel _ZN2at6native12_GLOBAL__N_114gatherKthValueIdiLin1EEEvNS_4cuda6detail10TensorInfoIKT_T0_EES8_S8_S8_S8_NS5_IS6_S8_EENS5_IlS8_EE
		.amdhsa_group_segment_fixed_size 4112
		.amdhsa_private_segment_fixed_size 0
		.amdhsa_kernarg_size 920
		.amdhsa_user_sgpr_count 2
		.amdhsa_user_sgpr_dispatch_ptr 0
		.amdhsa_user_sgpr_queue_ptr 0
		.amdhsa_user_sgpr_kernarg_segment_ptr 1
		.amdhsa_user_sgpr_dispatch_id 0
		.amdhsa_user_sgpr_private_segment_size 0
		.amdhsa_wavefront_size32 1
		.amdhsa_uses_dynamic_stack 0
		.amdhsa_enable_private_segment 0
		.amdhsa_system_sgpr_workgroup_id_x 1
		.amdhsa_system_sgpr_workgroup_id_y 1
		.amdhsa_system_sgpr_workgroup_id_z 1
		.amdhsa_system_sgpr_workgroup_info 0
		.amdhsa_system_vgpr_workitem_id 0
		.amdhsa_next_free_vgpr 56
		.amdhsa_next_free_sgpr 83
		.amdhsa_reserve_vcc 1
		.amdhsa_float_round_mode_32 0
		.amdhsa_float_round_mode_16_64 0
		.amdhsa_float_denorm_mode_32 3
		.amdhsa_float_denorm_mode_16_64 3
		.amdhsa_fp16_overflow 0
		.amdhsa_workgroup_processor_mode 1
		.amdhsa_memory_ordered 1
		.amdhsa_forward_progress 1
		.amdhsa_inst_pref_size 99
		.amdhsa_round_robin_scheduling 0
		.amdhsa_exception_fp_ieee_invalid_op 0
		.amdhsa_exception_fp_denorm_src 0
		.amdhsa_exception_fp_ieee_div_zero 0
		.amdhsa_exception_fp_ieee_overflow 0
		.amdhsa_exception_fp_ieee_underflow 0
		.amdhsa_exception_fp_ieee_inexact 0
		.amdhsa_exception_int_div_zero 0
	.end_amdhsa_kernel
	.section	.text._ZN2at6native12_GLOBAL__N_114gatherKthValueIdiLin1EEEvNS_4cuda6detail10TensorInfoIKT_T0_EES8_S8_S8_S8_NS5_IS6_S8_EENS5_IlS8_EE,"axG",@progbits,_ZN2at6native12_GLOBAL__N_114gatherKthValueIdiLin1EEEvNS_4cuda6detail10TensorInfoIKT_T0_EES8_S8_S8_S8_NS5_IS6_S8_EENS5_IlS8_EE,comdat
.Lfunc_end43:
	.size	_ZN2at6native12_GLOBAL__N_114gatherKthValueIdiLin1EEEvNS_4cuda6detail10TensorInfoIKT_T0_EES8_S8_S8_S8_NS5_IS6_S8_EENS5_IlS8_EE, .Lfunc_end43-_ZN2at6native12_GLOBAL__N_114gatherKthValueIdiLin1EEEvNS_4cuda6detail10TensorInfoIKT_T0_EES8_S8_S8_S8_NS5_IS6_S8_EENS5_IlS8_EE
                                        ; -- End function
	.set _ZN2at6native12_GLOBAL__N_114gatherKthValueIdiLin1EEEvNS_4cuda6detail10TensorInfoIKT_T0_EES8_S8_S8_S8_NS5_IS6_S8_EENS5_IlS8_EE.num_vgpr, 56
	.set _ZN2at6native12_GLOBAL__N_114gatherKthValueIdiLin1EEEvNS_4cuda6detail10TensorInfoIKT_T0_EES8_S8_S8_S8_NS5_IS6_S8_EENS5_IlS8_EE.num_agpr, 0
	.set _ZN2at6native12_GLOBAL__N_114gatherKthValueIdiLin1EEEvNS_4cuda6detail10TensorInfoIKT_T0_EES8_S8_S8_S8_NS5_IS6_S8_EENS5_IlS8_EE.numbered_sgpr, 83
	.set _ZN2at6native12_GLOBAL__N_114gatherKthValueIdiLin1EEEvNS_4cuda6detail10TensorInfoIKT_T0_EES8_S8_S8_S8_NS5_IS6_S8_EENS5_IlS8_EE.num_named_barrier, 0
	.set _ZN2at6native12_GLOBAL__N_114gatherKthValueIdiLin1EEEvNS_4cuda6detail10TensorInfoIKT_T0_EES8_S8_S8_S8_NS5_IS6_S8_EENS5_IlS8_EE.private_seg_size, 0
	.set _ZN2at6native12_GLOBAL__N_114gatherKthValueIdiLin1EEEvNS_4cuda6detail10TensorInfoIKT_T0_EES8_S8_S8_S8_NS5_IS6_S8_EENS5_IlS8_EE.uses_vcc, 1
	.set _ZN2at6native12_GLOBAL__N_114gatherKthValueIdiLin1EEEvNS_4cuda6detail10TensorInfoIKT_T0_EES8_S8_S8_S8_NS5_IS6_S8_EENS5_IlS8_EE.uses_flat_scratch, 0
	.set _ZN2at6native12_GLOBAL__N_114gatherKthValueIdiLin1EEEvNS_4cuda6detail10TensorInfoIKT_T0_EES8_S8_S8_S8_NS5_IS6_S8_EENS5_IlS8_EE.has_dyn_sized_stack, 0
	.set _ZN2at6native12_GLOBAL__N_114gatherKthValueIdiLin1EEEvNS_4cuda6detail10TensorInfoIKT_T0_EES8_S8_S8_S8_NS5_IS6_S8_EENS5_IlS8_EE.has_recursion, 0
	.set _ZN2at6native12_GLOBAL__N_114gatherKthValueIdiLin1EEEvNS_4cuda6detail10TensorInfoIKT_T0_EES8_S8_S8_S8_NS5_IS6_S8_EENS5_IlS8_EE.has_indirect_call, 0
	.section	.AMDGPU.csdata,"",@progbits
; Kernel info:
; codeLenInByte = 12564
; TotalNumSgprs: 85
; NumVgprs: 56
; ScratchSize: 0
; MemoryBound: 0
; FloatMode: 240
; IeeeMode: 1
; LDSByteSize: 4112 bytes/workgroup (compile time only)
; SGPRBlocks: 0
; VGPRBlocks: 6
; NumSGPRsForWavesPerEU: 85
; NumVGPRsForWavesPerEU: 56
; Occupancy: 16
; WaveLimiterHint : 1
; COMPUTE_PGM_RSRC2:SCRATCH_EN: 0
; COMPUTE_PGM_RSRC2:USER_SGPR: 2
; COMPUTE_PGM_RSRC2:TRAP_HANDLER: 0
; COMPUTE_PGM_RSRC2:TGID_X_EN: 1
; COMPUTE_PGM_RSRC2:TGID_Y_EN: 1
; COMPUTE_PGM_RSRC2:TGID_Z_EN: 1
; COMPUTE_PGM_RSRC2:TIDIG_COMP_CNT: 0
	.section	.text._ZN2at6native12_GLOBAL__N_114gatherKthValueIdlLi1EEEvNS_4cuda6detail10TensorInfoIKT_T0_EES8_S8_S8_S8_NS5_IS6_S8_EENS5_IlS8_EE,"axG",@progbits,_ZN2at6native12_GLOBAL__N_114gatherKthValueIdlLi1EEEvNS_4cuda6detail10TensorInfoIKT_T0_EES8_S8_S8_S8_NS5_IS6_S8_EENS5_IlS8_EE,comdat
	.globl	_ZN2at6native12_GLOBAL__N_114gatherKthValueIdlLi1EEEvNS_4cuda6detail10TensorInfoIKT_T0_EES8_S8_S8_S8_NS5_IS6_S8_EENS5_IlS8_EE ; -- Begin function _ZN2at6native12_GLOBAL__N_114gatherKthValueIdlLi1EEEvNS_4cuda6detail10TensorInfoIKT_T0_EES8_S8_S8_S8_NS5_IS6_S8_EENS5_IlS8_EE
	.p2align	8
	.type	_ZN2at6native12_GLOBAL__N_114gatherKthValueIdlLi1EEEvNS_4cuda6detail10TensorInfoIKT_T0_EES8_S8_S8_S8_NS5_IS6_S8_EENS5_IlS8_EE,@function
_ZN2at6native12_GLOBAL__N_114gatherKthValueIdlLi1EEEvNS_4cuda6detail10TensorInfoIKT_T0_EES8_S8_S8_S8_NS5_IS6_S8_EENS5_IlS8_EE: ; @_ZN2at6native12_GLOBAL__N_114gatherKthValueIdlLi1EEEvNS_4cuda6detail10TensorInfoIKT_T0_EES8_S8_S8_S8_NS5_IS6_S8_EENS5_IlS8_EE
; %bb.0:
	s_clause 0x1
	s_load_b64 s[8:9], s[0:1], 0x500
	s_load_b256 s[36:43], s[0:1], 0x1a0
	s_lshr_b32 s2, ttmp7, 16
	s_and_b32 s3, ttmp7, 0xffff
	s_mov_b32 s27, 0
	s_wait_kmcnt 0x0
	s_mul_i32 s2, s9, s2
	s_delay_alu instid0(SALU_CYCLE_1) | instskip(NEXT) | instid1(SALU_CYCLE_1)
	s_add_co_i32 s2, s2, s3
	s_mul_i32 s2, s2, s8
	s_delay_alu instid0(SALU_CYCLE_1) | instskip(NEXT) | instid1(SALU_CYCLE_1)
	s_add_co_i32 s26, s2, ttmp9
	v_cmp_le_i64_e64 s2, s[40:41], s[26:27]
	s_and_b32 vcc_lo, exec_lo, s2
	s_cbranch_vccnz .LBB44_276
; %bb.1:
	s_clause 0x1
	s_load_b64 s[10:11], s[0:1], 0xd0
	s_load_b64 s[4:5], s[0:1], 0x0
	v_cmp_eq_u32_e64 s2, 0, v0
	s_add_nc_u64 s[6:7], s[0:1], 0x500
	s_and_saveexec_b32 s3, s2
	s_cbranch_execz .LBB44_3
; %bb.2:
	v_dual_mov_b32 v1, 0 :: v_dual_mov_b32 v4, s37
	s_delay_alu instid0(VALU_DEP_1)
	v_dual_mov_b32 v3, s36 :: v_dual_mov_b32 v2, v1
	ds_store_b32 v1, v1 offset:5136
	ds_store_b128 v1, v[1:4] offset:5120
.LBB44_3:
	s_or_b32 exec_lo, exec_lo, s3
	v_lshlrev_b32_e32 v45, 5, v0
	v_mad_co_u64_u32 v[2:3], null, s42, v0, 0
	v_mbcnt_lo_u32_b32 v41, -1, 0
	s_wait_kmcnt 0x0
	s_mul_u64 s[10:11], s[10:11], s[26:27]
	v_or_b32_e32 v10, 8, v45
	s_lshl_b64 s[10:11], s[10:11], 3
	s_clause 0x3
	s_load_b64 s[34:35], s[0:1], 0x430
	s_load_b64 s[28:29], s[0:1], 0x360
	;; [unrolled: 1-line block ×4, first 2 shown]
	v_lshlrev_b64_e64 v[6:7], v41, -1
	v_dual_mov_b32 v1, v3 :: v_dual_lshlrev_b32 v42, 3, v0
	v_mad_co_u64_u32 v[26:27], null, s42, v10, 0
	s_add_nc_u64 s[48:49], s[4:5], s[10:11]
	s_wait_dscnt 0x0
	s_barrier_signal -1
	s_barrier_wait -1
	global_inv scope:SCOPE_SE
	s_load_b32 s5, s[6:7], 0xc
	v_mad_co_u64_u32 v[3:4], null, s43, v0, v[1:2]
	v_add_nc_u32_e32 v43, 0xc00, v42
	v_not_b32_e32 v44, v6
	v_dual_mov_b32 v6, v27 :: v_dual_mov_b32 v27, 0
	v_mov_b32_e32 v28, 0
	v_or_b32_e32 v7, 24, v45
	v_or_b32_e32 v9, 16, v45
	v_lshlrev_b64_e32 v[4:5], 3, v[2:3]
	v_cmp_gt_u32_e32 vcc_lo, 32, v0
	v_cmp_gt_i32_e64 s0, 4, v41
	v_mad_co_u64_u32 v[22:23], null, s42, v7, 0
	v_mad_co_u64_u32 v[24:25], null, s42, v9, 0
	v_dual_mov_b32 v19, 0 :: v_dual_lshlrev_b32 v20, 2, v0
	s_delay_alu instid0(VALU_DEP_4) | instskip(SKIP_1) | instid1(VALU_DEP_2)
	s_and_b32 s33, vcc_lo, s0
	v_add_co_u32 v16, vcc_lo, s48, v4
	v_dual_mov_b32 v1, v19 :: v_dual_mov_b32 v4, v23
	v_add_co_ci_u32_e64 v17, null, s49, v5, vcc_lo
	v_mov_b32_e32 v5, v25
	s_wait_kmcnt 0x0
	s_and_b32 s44, s5, 0xffff
	s_bfe_u32 s5, s5, 0xb0005
	s_cmp_gt_u32 s44, 31
	s_mov_b32 s25, 0
	s_cselect_b32 s81, -1, 0
	s_cmp_lt_u32 ttmp9, s8
	v_mad_co_u64_u32 v[7:8], null, s43, v7, v[4:5]
	s_cselect_b32 s24, 12, 18
	s_add_co_i32 s8, s5, -1
	s_bfe_u32 s82, s44, 0x30005
	s_and_b32 s8, s8, 0xffff
	v_mad_co_u64_u32 v[4:5], null, s43, v9, v[5:6]
	s_cmp_gt_u32 s8, 6
	v_mad_co_u64_u32 v[5:6], null, s43, v10, v[6:7]
	s_cselect_b32 s83, -1, 0
	s_and_b32 s84, s5, 0x7f8
	s_cmp_lg_u32 s82, 0
	s_movk_i32 s8, 0x3e0
	s_cselect_b32 s85, -1, 0
	s_lshl_b64 s[54:55], s[42:43], 3
	v_add_co_u32 v48, s5, s36, v0
	v_mul_lo_u32 v51, 0, s54
	v_cmp_lt_i64_e64 s80, 0x180, s[36:37]
	v_cmp_gt_u64_e64 s4, s[36:37], v[0:1]
	v_cmp_gt_i64_e64 s0, s[36:37], v[0:1]
	s_mov_b32 s45, s25
	v_mov_b32_e32 v25, v7
	v_lshlrev_b64_e32 v[29:30], 5, v[2:3]
	v_dual_mov_b32 v6, 0 :: v_dual_mov_b32 v33, s38
	v_mov_b32_e32 v31, 0
	v_cmp_eq_u32_e64 s1, 0, v41
	v_cmp_gt_u32_e64 s3, 2, v0
	v_dual_mov_b32 v21, v19 :: v_dual_mov_b32 v46, v4
	v_and_or_b32 v23, v0, s8, 0xc00
	v_dual_mov_b32 v47, v5 :: v_dual_mov_b32 v32, 0
	v_add_co_ci_u32_e64 v49, null, s37, 0, s5
	v_lshl_or_b32 v50, v41, 3, 0xc00
	v_dual_mov_b32 v7, 0 :: v_dual_mov_b32 v34, s39
	v_mov_b32_e32 v3, 0x3ff00000
	s_add_nc_u64 s[50:51], s[44:45], -1
	s_mul_u64 s[8:9], s[42:43], s[44:45]
	s_add_nc_u64 s[52:53], s[50:51], s[36:37]
	s_lshl_b64 s[56:57], s[42:43], 5
	s_wait_alu 0xfffe
	s_lshl_b64 s[46:47], s[8:9], 3
	s_lshl_b32 s86, s44, 3
	s_mov_b32 s87, 62
	s_add_nc_u64 s[38:39], s[6:7], s[24:25]
	s_mov_b32 s88, 0
	s_mov_b32 s89, 0
                                        ; implicit-def: $sgpr93
                                        ; implicit-def: $sgpr95
                                        ; implicit-def: $sgpr90
                                        ; implicit-def: $sgpr92
                                        ; implicit-def: $sgpr94
                                        ; implicit-def: $sgpr91
	s_branch .LBB44_7
.LBB44_4:                               ;   in Loop: Header=BB44_7 Depth=1
	s_wait_alu 0xfffe
	s_or_b32 exec_lo, exec_lo, s8
	s_delay_alu instid0(SALU_CYCLE_1)
	s_and_b32 s6, s6, exec_lo
	s_and_not1_b32 s58, s58, exec_lo
	s_and_not1_b32 s23, s23, exec_lo
	s_or_not1_b32 s21, s7, exec_lo
.LBB44_5:                               ;   in Loop: Header=BB44_7 Depth=1
	s_wait_alu 0xfffe
	s_or_b32 exec_lo, exec_lo, s5
	s_delay_alu instid0(SALU_CYCLE_1)
	s_and_not1_b32 s5, s91, exec_lo
	s_and_b32 s6, s6, exec_lo
	s_and_not1_b32 s7, s92, exec_lo
	s_wait_alu 0xfffe
	s_or_b32 s91, s5, s6
	s_and_not1_b32 s5, s94, exec_lo
	s_and_b32 s6, s58, exec_lo
	s_and_b32 s8, s23, exec_lo
	s_wait_alu 0xfffe
	s_or_b32 s94, s5, s6
	s_or_b32 s92, s7, s8
	s_or_not1_b32 s21, s21, exec_lo
.LBB44_6:                               ;   in Loop: Header=BB44_7 Depth=1
	s_or_b32 exec_lo, exec_lo, s20
	s_delay_alu instid0(SALU_CYCLE_1)
	s_and_b32 s5, exec_lo, s21
	v_dual_mov_b32 v34, v13 :: v_dual_mov_b32 v33, v12
	s_wait_alu 0xfffe
	s_or_b32 s88, s5, s88
	s_and_not1_b32 s5, s90, exec_lo
	s_and_b32 s6, s91, exec_lo
	s_and_not1_b32 s7, s95, exec_lo
	s_wait_alu 0xfffe
	s_or_b32 s90, s5, s6
	s_and_b32 s5, s94, exec_lo
	s_and_not1_b32 s6, s93, exec_lo
	s_and_b32 s8, s92, exec_lo
	s_wait_alu 0xfffe
	s_or_b32 s95, s7, s5
	s_or_b32 s93, s6, s8
	s_and_not1_b32 exec_lo, exec_lo, s88
	s_cbranch_execz .LBB44_272
.LBB44_7:                               ; =>This Loop Header: Depth=1
                                        ;     Child Loop BB44_13 Depth 2
                                        ;     Child Loop BB44_26 Depth 2
	;; [unrolled: 1-line block ×16, first 2 shown]
	ds_load_b128 v[8:11], v19 offset:5120
	s_wait_dscnt 0x0
	v_readfirstlane_b32 s59, v9
	v_readfirstlane_b32 s58, v8
	s_wait_alu 0xf1ff
	s_delay_alu instid0(VALU_DEP_1)
	v_cmp_gt_i64_e64 s5, s[58:59], 0
	s_and_b32 vcc_lo, exec_lo, s5
	s_wait_alu 0xfffe
	s_cbranch_vccnz .LBB44_34
; %bb.8:                                ;   in Loop: Header=BB44_7 Depth=1
	s_and_b32 vcc_lo, exec_lo, s80
	s_wait_alu 0xfffe
	s_cbranch_vccz .LBB44_21
; %bb.9:                                ;   in Loop: Header=BB44_7 Depth=1
	v_cmp_gt_i64_e32 vcc_lo, 0x181, v[10:11]
	s_mov_b32 s7, 0
	s_mov_b32 s5, 0
	s_cbranch_vccz .LBB44_22
; %bb.10:                               ;   in Loop: Header=BB44_7 Depth=1
	s_and_saveexec_b32 s8, s4
	s_cbranch_execz .LBB44_68
; %bb.11:                               ;   in Loop: Header=BB44_7 Depth=1
	global_load_u16 v2, v19, s[38:39]
	global_load_b64 v[8:9], v[16:17], off
	s_mov_b32 s9, 0
	s_wait_loadcnt 0x1
	v_and_b32_e32 v2, 0xffff, v2
	s_delay_alu instid0(VALU_DEP_1) | instskip(SKIP_2) | instid1(VALU_DEP_3)
	v_add_nc_u32_e32 v10, v0, v2
	v_mul_lo_u32 v12, v2, s55
	v_mul_hi_u32 v13, v2, s54
	v_mad_co_u64_u32 v[4:5], null, s54, v10, s[48:49]
	s_delay_alu instid0(VALU_DEP_1) | instskip(NEXT) | instid1(VALU_DEP_4)
	v_mad_co_u64_u32 v[10:11], null, s55, v10, v[5:6]
	v_add_nc_u32_e32 v5, v12, v51
	s_delay_alu instid0(VALU_DEP_1) | instskip(NEXT) | instid1(VALU_DEP_3)
	v_add_nc_u32_e32 v15, v5, v13
	v_mov_b32_e32 v5, v10
	v_mul_lo_u32 v14, v2, s54
	v_dual_mov_b32 v11, v1 :: v_dual_mov_b32 v10, v0
	s_branch .LBB44_13
.LBB44_12:                              ;   in Loop: Header=BB44_13 Depth=2
	s_wait_alu 0xfffe
	s_or_b32 exec_lo, exec_lo, s6
	v_add_co_u32 v4, vcc_lo, v4, v14
	s_wait_alu 0xfffd
	v_add_co_ci_u32_e64 v5, null, v5, v15, vcc_lo
	v_dual_mov_b32 v8, v12 :: v_dual_mov_b32 v9, v13
	s_and_not1_b32 exec_lo, exec_lo, s9
	s_cbranch_execz .LBB44_68
.LBB44_13:                              ;   Parent Loop BB44_7 Depth=1
                                        ; =>  This Inner Loop Header: Depth=2
	s_delay_alu instid0(VALU_DEP_1)
	v_add_co_u32 v10, vcc_lo, v10, v2
	v_mov_b32_e32 v12, 0
	s_wait_alu 0xfffd
	v_add_co_ci_u32_e64 v11, null, 0, v11, vcc_lo
	v_mov_b32_e32 v13, 0
	s_mov_b32 s6, exec_lo
	s_delay_alu instid0(VALU_DEP_2)
	v_cmp_le_i64_e32 vcc_lo, s[36:37], v[10:11]
	v_cmpx_gt_i64_e64 s[36:37], v[10:11]
	s_cbranch_execz .LBB44_15
; %bb.14:                               ;   in Loop: Header=BB44_13 Depth=2
	global_load_b64 v[12:13], v[4:5], off
.LBB44_15:                              ;   in Loop: Header=BB44_13 Depth=2
	s_wait_alu 0xfffe
	s_or_b32 exec_lo, exec_lo, s6
	s_wait_loadcnt 0x0
	v_cmp_o_f64_e64 s5, v[8:9], v[8:9]
	s_wait_dscnt 0x0
	v_ashrrev_i32_e32 v18, 31, v9
	s_delay_alu instid0(VALU_DEP_1) | instskip(SKIP_1) | instid1(VALU_DEP_2)
	v_or_b32_e32 v35, 0x80000000, v18
	v_xor_b32_e32 v18, v18, v8
	v_xor_b32_e32 v35, v35, v9
	s_wait_alu 0xf1ff
	s_delay_alu instid0(VALU_DEP_1) | instskip(NEXT) | instid1(VALU_DEP_3)
	v_cndmask_b32_e64 v35, -1, v35, s5
	v_cndmask_b32_e64 v18, -1, v18, s5
	s_delay_alu instid0(VALU_DEP_2) | instskip(NEXT) | instid1(VALU_DEP_2)
	v_and_b32_e32 v36, v35, v32
	v_dual_mov_b32 v18, 0 :: v_dual_and_b32 v35, v18, v31
	s_delay_alu instid0(VALU_DEP_1)
	v_cmp_eq_u64_e64 s5, v[35:36], v[27:28]
	s_cmp_lg_u32 s5, 0
	s_cselect_b32 s6, -1, 0
	s_wait_alu 0xfffe
	s_and_b32 s6, s1, s6
	s_wait_alu 0xfffe
	s_and_saveexec_b32 s10, s6
	s_cbranch_execz .LBB44_19
; %bb.16:                               ;   in Loop: Header=BB44_13 Depth=2
	s_mov_b32 s13, exec_lo
	s_bcnt1_i32_b32 s11, s5
	s_wait_alu 0xfffe
	v_mbcnt_lo_u32_b32 v18, s13, 0
	s_mov_b32 s12, exec_lo
                                        ; implicit-def: $vgpr35
	s_delay_alu instid0(VALU_DEP_1)
	v_cmpx_eq_u32_e32 0, v18
; %bb.17:                               ;   in Loop: Header=BB44_13 Depth=2
	s_bcnt1_i32_b32 s6, s13
	s_wait_alu 0xfffe
	s_mul_i32 s6, s11, s6
	s_wait_alu 0xfffe
	v_mov_b32_e32 v35, s6
	ds_add_rtn_u32 v35, v19, v35 offset:5136
; %bb.18:                               ;   in Loop: Header=BB44_13 Depth=2
	s_or_b32 exec_lo, exec_lo, s12
	s_wait_dscnt 0x0
	v_readfirstlane_b32 s6, v35
	s_wait_alu 0xf1ff
	s_delay_alu instid0(VALU_DEP_1)
	v_mad_u32_u24 v18, s11, v18, s6
.LBB44_19:                              ;   in Loop: Header=BB44_13 Depth=2
	s_wait_alu 0xfffe
	s_or_b32 exec_lo, exec_lo, s10
	ds_bpermute_b32 v18, v19, v18
	s_and_b32 s6, exec_lo, vcc_lo
	s_wait_alu 0xfffe
	s_or_b32 s9, s6, s9
	s_and_saveexec_b32 s6, s5
	s_cbranch_execz .LBB44_12
; %bb.20:                               ;   in Loop: Header=BB44_13 Depth=2
	v_and_b32_e32 v35, s5, v44
	s_delay_alu instid0(VALU_DEP_1) | instskip(NEXT) | instid1(VALU_DEP_1)
	v_bcnt_u32_b32 v35, v35, 0
	v_lshlrev_b32_e32 v35, 3, v35
	s_wait_dscnt 0x0
	s_delay_alu instid0(VALU_DEP_1)
	v_lshl_add_u32 v18, v18, 3, v35
	ds_store_b64 v18, v[8:9]
	s_branch .LBB44_12
.LBB44_21:                              ;   in Loop: Header=BB44_7 Depth=1
	s_mov_b32 s7, -1
	s_mov_b32 s5, 0
.LBB44_22:                              ;   in Loop: Header=BB44_7 Depth=1
	s_wait_alu 0xfffe
	s_and_b32 vcc_lo, exec_lo, s7
	s_wait_alu 0xfffe
	s_cbranch_vccz .LBB44_32
.LBB44_23:                              ;   in Loop: Header=BB44_7 Depth=1
	s_and_saveexec_b32 s6, s0
	s_cbranch_execz .LBB44_29
; %bb.24:                               ;   in Loop: Header=BB44_7 Depth=1
	global_load_u16 v2, v19, s[38:39]
	global_load_b64 v[4:5], v[16:17], off
	v_mov_b32_e32 v8, v0
	s_mov_b32 s7, exec_lo
	s_wait_loadcnt 0x1
	v_and_b32_e32 v2, 0xffff, v2
	s_delay_alu instid0(VALU_DEP_1) | instskip(NEXT) | instid1(VALU_DEP_1)
	v_add_nc_u32_e32 v18, v2, v0
	v_cmpx_gt_i64_e64 s[36:37], v[18:19]
	s_cbranch_execz .LBB44_28
; %bb.25:                               ;   in Loop: Header=BB44_7 Depth=1
	v_mul_lo_u32 v11, v2, s55
	v_mad_co_u64_u32 v[8:9], null, s54, v18, s[48:49]
	v_mul_hi_u32 v12, v2, s54
	v_mul_lo_u32 v35, v2, s54
	v_dual_mov_b32 v15, v1 :: v_dual_mov_b32 v14, v0
	s_mov_b32 s8, 0
	v_add_nc_u32_e32 v13, v11, v51
	v_mad_co_u64_u32 v[9:10], null, s55, v18, v[9:10]
	v_dual_mov_b32 v10, v18 :: v_dual_mov_b32 v11, v19
	s_delay_alu instid0(VALU_DEP_3)
	v_add_nc_u32_e32 v18, v13, v12
.LBB44_26:                              ;   Parent Loop BB44_7 Depth=1
                                        ; =>  This Inner Loop Header: Depth=2
	global_load_b64 v[12:13], v[8:9], off
	v_dual_mov_b32 v37, v11 :: v_dual_mov_b32 v36, v10
	v_lshlrev_b32_e32 v14, 3, v14
	s_delay_alu instid0(VALU_DEP_2) | instskip(SKIP_1) | instid1(VALU_DEP_3)
	v_add_co_u32 v10, vcc_lo, v36, v2
	s_wait_alu 0xfffd
	v_add_co_ci_u32_e64 v11, null, 0, v37, vcc_lo
	v_add_co_u32 v8, vcc_lo, v8, v35
	s_wait_loadcnt 0x1
	ds_store_b64 v14, v[4:5]
	v_cmp_le_i64_e64 s5, s[36:37], v[10:11]
	s_wait_alu 0xfffd
	v_add_co_ci_u32_e64 v9, null, v9, v18, vcc_lo
	v_dual_mov_b32 v14, v36 :: v_dual_mov_b32 v15, v37
	s_wait_alu 0xfffe
	s_delay_alu instid0(VALU_DEP_3)
	s_or_b32 s8, s5, s8
	s_wait_loadcnt 0x0
	v_dual_mov_b32 v4, v12 :: v_dual_mov_b32 v5, v13
	s_wait_alu 0xfffe
	s_and_not1_b32 exec_lo, exec_lo, s8
	s_cbranch_execnz .LBB44_26
; %bb.27:                               ;   in Loop: Header=BB44_7 Depth=1
	s_or_b32 exec_lo, exec_lo, s8
	v_sub_nc_u32_e32 v8, v10, v2
	v_dual_mov_b32 v4, v12 :: v_dual_mov_b32 v5, v13
.LBB44_28:                              ;   in Loop: Header=BB44_7 Depth=1
	s_wait_alu 0xfffe
	s_or_b32 exec_lo, exec_lo, s7
	s_delay_alu instid0(VALU_DEP_2)
	v_lshlrev_b32_e32 v2, 3, v8
	s_wait_loadcnt 0x0
	ds_store_b64 v2, v[4:5]
.LBB44_29:                              ;   in Loop: Header=BB44_7 Depth=1
	s_wait_alu 0xfffe
	s_or_b32 exec_lo, exec_lo, s6
	s_wait_loadcnt_dscnt 0x0
	s_barrier_signal -1
	s_barrier_wait -1
	global_inv scope:SCOPE_SE
	s_and_saveexec_b32 s5, s2
; %bb.30:                               ;   in Loop: Header=BB44_7 Depth=1
	v_dual_mov_b32 v4, s36 :: v_dual_mov_b32 v5, s37
	ds_store_b64 v19, v[4:5] offset:5120
; %bb.31:                               ;   in Loop: Header=BB44_7 Depth=1
	s_wait_alu 0xfffe
	s_or_b32 exec_lo, exec_lo, s5
	s_mov_b32 s5, -1
	s_wait_loadcnt_dscnt 0x0
	s_barrier_signal -1
	s_barrier_wait -1
.LBB44_32:                              ;   in Loop: Header=BB44_7 Depth=1
	s_wait_alu 0xfffe
	s_and_b32 vcc_lo, exec_lo, s5
	s_wait_alu 0xfffe
	s_cbranch_vccz .LBB44_34
; %bb.33:                               ;   in Loop: Header=BB44_7 Depth=1
	s_wait_loadcnt 0x0
	global_inv scope:SCOPE_SE
	ds_load_b64 v[4:5], v19 offset:5120
	s_wait_dscnt 0x0
	v_readfirstlane_b32 s58, v4
.LBB44_34:                              ;   in Loop: Header=BB44_7 Depth=1
	s_delay_alu instid0(VALU_DEP_1)
	s_cmp_lt_i32 s58, 1
	s_mov_b32 s5, -1
                                        ; implicit-def: $vgpr8_vgpr9
                                        ; implicit-def: $vgpr12_vgpr13
	s_cbranch_scc1 .LBB44_44
; %bb.35:                               ;   in Loop: Header=BB44_7 Depth=1
	s_wait_alu 0xfffe
	s_and_b32 vcc_lo, exec_lo, s5
	s_wait_alu 0xfffe
	s_cbranch_vccnz .LBB44_58
.LBB44_36:                              ;   in Loop: Header=BB44_7 Depth=1
	s_lshl_b32 s5, s89, 7
	s_and_saveexec_b32 s6, s1
	s_cbranch_execz .LBB44_38
.LBB44_37:                              ;   in Loop: Header=BB44_7 Depth=1
	s_wait_alu 0xfffe
	v_lshl_add_u32 v2, s5, 3, v23
	ds_store_b128 v2, v[8:11]
	ds_store_b128 v2, v[12:15] offset:16
.LBB44_38:                              ;   in Loop: Header=BB44_7 Depth=1
	s_wait_alu 0xfffe
	s_or_b32 exec_lo, exec_lo, s6
	s_wait_loadcnt_dscnt 0x0
	s_barrier_signal -1
	s_barrier_wait -1
	global_inv scope:SCOPE_SE
	s_and_saveexec_b32 s6, s33
	s_cbranch_execz .LBB44_75
; %bb.39:                               ;   in Loop: Header=BB44_7 Depth=1
	v_mov_b32_e32 v4, 0
	v_mov_b32_e32 v5, 0
	s_and_not1_b32 vcc_lo, exec_lo, s81
	s_wait_alu 0xfffe
	s_cbranch_vccnz .LBB44_74
; %bb.40:                               ;   in Loop: Header=BB44_7 Depth=1
	v_mov_b32_e32 v4, 0
	v_mov_b32_e32 v5, 0
	s_and_not1_b32 vcc_lo, exec_lo, s83
	s_wait_alu 0xfffe
	s_cbranch_vccnz .LBB44_71
; %bb.41:                               ;   in Loop: Header=BB44_7 Depth=1
	v_lshl_add_u32 v2, s89, 10, v50
	s_mov_b32 s7, 0
.LBB44_42:                              ;   Parent Loop BB44_7 Depth=1
                                        ; =>  This Inner Loop Header: Depth=2
	ds_load_2addr_b64 v[8:11], v2 offset1:4
	ds_load_2addr_b64 v[12:15], v2 offset0:8 offset1:12
	ds_load_2addr_b64 v[35:38], v2 offset0:16 offset1:20
	s_wait_alu 0xfffe
	s_add_co_i32 s7, s7, 8
	s_wait_alu 0xfffe
	s_cmp_eq_u32 s84, s7
	s_wait_dscnt 0x2
	v_add_co_u32 v4, vcc_lo, v8, v4
	s_wait_alu 0xfffd
	v_add_co_ci_u32_e64 v5, null, v9, v5, vcc_lo
	s_delay_alu instid0(VALU_DEP_2) | instskip(SKIP_1) | instid1(VALU_DEP_2)
	v_add_co_u32 v4, vcc_lo, v10, v4
	s_wait_alu 0xfffd
	v_add_co_ci_u32_e64 v5, null, v11, v5, vcc_lo
	ds_load_2addr_b64 v[8:11], v2 offset0:24 offset1:28
	s_wait_dscnt 0x2
	v_add_co_u32 v4, vcc_lo, v12, v4
	s_wait_alu 0xfffd
	v_add_co_ci_u32_e64 v5, null, v13, v5, vcc_lo
	v_add_nc_u32_e32 v2, 0x100, v2
	s_delay_alu instid0(VALU_DEP_3) | instskip(SKIP_1) | instid1(VALU_DEP_3)
	v_add_co_u32 v4, vcc_lo, v14, v4
	s_wait_alu 0xfffd
	v_add_co_ci_u32_e64 v5, null, v15, v5, vcc_lo
	s_wait_dscnt 0x1
	s_delay_alu instid0(VALU_DEP_2) | instskip(SKIP_1) | instid1(VALU_DEP_2)
	v_add_co_u32 v4, vcc_lo, v35, v4
	s_wait_alu 0xfffd
	v_add_co_ci_u32_e64 v5, null, v36, v5, vcc_lo
	s_delay_alu instid0(VALU_DEP_2) | instskip(SKIP_1) | instid1(VALU_DEP_2)
	v_add_co_u32 v4, vcc_lo, v37, v4
	s_wait_alu 0xfffd
	v_add_co_ci_u32_e64 v5, null, v38, v5, vcc_lo
	s_wait_dscnt 0x0
	s_delay_alu instid0(VALU_DEP_2) | instskip(SKIP_1) | instid1(VALU_DEP_2)
	v_add_co_u32 v4, vcc_lo, v8, v4
	s_wait_alu 0xfffd
	v_add_co_ci_u32_e64 v5, null, v9, v5, vcc_lo
	s_delay_alu instid0(VALU_DEP_2) | instskip(SKIP_1) | instid1(VALU_DEP_2)
	v_add_co_u32 v4, vcc_lo, v10, v4
	s_wait_alu 0xfffd
	v_add_co_ci_u32_e64 v5, null, v11, v5, vcc_lo
	s_cbranch_scc0 .LBB44_42
; %bb.43:                               ;   in Loop: Header=BB44_7 Depth=1
	s_mov_b32 s7, s84
	s_and_not1_b32 vcc_lo, exec_lo, s85
	s_wait_alu 0xfffe
	s_cbranch_vccz .LBB44_72
	s_branch .LBB44_74
.LBB44_44:                              ;   in Loop: Header=BB44_7 Depth=1
	global_load_u16 v2, v19, s[38:39]
	s_mov_b32 s6, s25
	s_mov_b32 s7, s37
	s_wait_loadcnt 0x0
	v_readfirstlane_b32 s5, v2
	s_wait_alu 0xfffe
	s_and_b32 s60, s5, 0xffff
	s_wait_alu 0xfffe
	s_lshl_b32 s62, s60, 2
	s_cmp_lg_u64 s[6:7], 0
	s_cbranch_scc0 .LBB44_67
; %bb.45:                               ;   in Loop: Header=BB44_7 Depth=1
	s_mov_b32 s63, s25
	s_wait_alu 0xfffe
	s_add_nc_u64 s[6:7], s[62:63], 0
	s_wait_alu 0xfffe
	s_xor_b64 s[6:7], s[6:7], 0
	s_wait_alu 0xfffe
	s_cvt_f32_u32 s5, s6
	s_cvt_f32_u32 s8, s7
	s_sub_nc_u64 s[10:11], 0, s[6:7]
	s_wait_alu 0xfffe
	s_delay_alu instid0(SALU_CYCLE_1) | instskip(SKIP_1) | instid1(SALU_CYCLE_2)
	s_fmamk_f32 s5, s8, 0x4f800000, s5
	s_wait_alu 0xfffe
	v_s_rcp_f32 s5, s5
	s_delay_alu instid0(TRANS32_DEP_1) | instskip(SKIP_1) | instid1(SALU_CYCLE_2)
	s_mul_f32 s5, s5, 0x5f7ffffc
	s_wait_alu 0xfffe
	s_mul_f32 s8, s5, 0x2f800000
	s_wait_alu 0xfffe
	s_delay_alu instid0(SALU_CYCLE_2) | instskip(SKIP_1) | instid1(SALU_CYCLE_2)
	s_trunc_f32 s8, s8
	s_wait_alu 0xfffe
	s_fmamk_f32 s5, s8, 0xcf800000, s5
	s_cvt_u32_f32 s9, s8
	s_wait_alu 0xfffe
	s_delay_alu instid0(SALU_CYCLE_1) | instskip(SKIP_1) | instid1(SALU_CYCLE_2)
	s_cvt_u32_f32 s8, s5
	s_wait_alu 0xfffe
	s_mul_u64 s[12:13], s[10:11], s[8:9]
	s_wait_alu 0xfffe
	s_mul_hi_u32 s15, s8, s13
	s_mul_i32 s14, s8, s13
	s_mul_hi_u32 s24, s8, s12
	s_mul_i32 s16, s9, s12
	s_wait_alu 0xfffe
	s_add_nc_u64 s[14:15], s[24:25], s[14:15]
	s_mul_hi_u32 s5, s9, s12
	s_mul_hi_u32 s17, s9, s13
	s_mul_i32 s12, s9, s13
	s_wait_alu 0xfffe
	s_add_co_u32 s13, s14, s16
	s_add_co_ci_u32 s24, s15, s5
	s_add_co_ci_u32 s13, s17, 0
	s_wait_alu 0xfffe
	s_add_nc_u64 s[12:13], s[24:25], s[12:13]
	s_wait_alu 0xfffe
	s_add_co_u32 s8, s8, s12
	s_cselect_b32 s5, -1, 0
	s_wait_alu 0xfffe
	s_cmp_lg_u32 s5, 0
	s_add_co_ci_u32 s9, s9, s13
	s_wait_alu 0xfffe
	s_mul_u64 s[10:11], s[10:11], s[8:9]
	s_wait_alu 0xfffe
	s_mul_hi_u32 s13, s8, s11
	s_mul_i32 s12, s8, s11
	s_mul_hi_u32 s24, s8, s10
	s_mul_i32 s14, s9, s10
	s_wait_alu 0xfffe
	s_add_nc_u64 s[12:13], s[24:25], s[12:13]
	s_mul_hi_u32 s5, s9, s10
	s_mul_hi_u32 s15, s9, s11
	s_mul_i32 s10, s9, s11
	s_wait_alu 0xfffe
	s_add_co_u32 s11, s12, s14
	s_add_co_ci_u32 s24, s13, s5
	s_add_co_ci_u32 s11, s15, 0
	s_wait_alu 0xfffe
	s_add_nc_u64 s[10:11], s[24:25], s[10:11]
	s_wait_alu 0xfffe
	s_add_co_u32 s5, s8, s10
	s_cselect_b32 s8, -1, 0
	s_wait_alu 0xfffe
	s_cmp_lg_u32 s8, 0
	s_add_co_ci_u32 s14, s9, s11
	s_ashr_i32 s8, s37, 31
	s_wait_alu 0xfffe
	s_mov_b32 s9, s8
	s_wait_alu 0xfffe
	s_add_nc_u64 s[10:11], s[36:37], s[8:9]
	s_wait_alu 0xfffe
	s_xor_b64 s[10:11], s[10:11], s[8:9]
	s_wait_alu 0xfffe
	s_mul_hi_u32 s13, s10, s14
	s_mul_i32 s12, s10, s14
	s_mul_hi_u32 s24, s10, s5
	s_mul_hi_u32 s16, s11, s5
	s_mul_i32 s5, s11, s5
	s_wait_alu 0xfffe
	s_add_nc_u64 s[12:13], s[24:25], s[12:13]
	s_mul_hi_u32 s15, s11, s14
	s_wait_alu 0xfffe
	s_add_co_u32 s5, s12, s5
	s_add_co_ci_u32 s24, s13, s16
	s_mul_i32 s14, s11, s14
	s_add_co_ci_u32 s15, s15, 0
	s_wait_alu 0xfffe
	s_add_nc_u64 s[12:13], s[24:25], s[14:15]
	s_wait_alu 0xfffe
	s_mul_u64 s[12:13], s[6:7], s[12:13]
	s_wait_alu 0xfffe
	s_sub_co_u32 s5, s10, s12
	s_cselect_b32 s10, -1, 0
	s_sub_co_i32 s12, s11, s13
	s_wait_alu 0xfffe
	s_cmp_lg_u32 s10, 0
	s_sub_co_ci_u32 s12, s12, s7
	s_sub_co_u32 s14, s5, s6
	s_cselect_b32 s15, -1, 0
	s_wait_alu 0xfffe
	s_cmp_lg_u32 s15, 0
	s_sub_co_ci_u32 s16, s12, 0
	s_wait_alu 0xfffe
	s_cmp_ge_u32 s16, s7
	s_cselect_b32 s17, -1, 0
	s_cmp_ge_u32 s14, s6
	s_cselect_b32 s18, -1, 0
	s_cmp_eq_u32 s16, s7
	s_wait_alu 0xfffe
	s_cselect_b32 s17, s18, s17
	s_cmp_lg_u32 s15, 0
	s_sub_co_ci_u32 s12, s12, s7
	s_sub_co_u32 s15, s14, s6
	s_cselect_b32 s18, -1, 0
	s_delay_alu instid0(SALU_CYCLE_1)
	s_cmp_lg_u32 s18, 0
	s_wait_alu 0xfffe
	s_sub_co_ci_u32 s12, s12, 0
	s_cmp_lg_u32 s17, 0
	s_cselect_b32 s14, s15, s14
	s_wait_alu 0xfffe
	s_cselect_b32 s12, s12, s16
	s_cmp_lg_u32 s10, 0
	s_sub_co_ci_u32 s10, s11, s13
	s_wait_alu 0xfffe
	s_cmp_ge_u32 s10, s7
	s_cselect_b32 s11, -1, 0
	s_cmp_ge_u32 s5, s6
	s_cselect_b32 s6, -1, 0
	s_cmp_eq_u32 s10, s7
	s_wait_alu 0xfffe
	s_cselect_b32 s6, s6, s11
	s_wait_alu 0xfffe
	s_cmp_lg_u32 s6, 0
	s_cselect_b32 s7, s12, s10
	s_cselect_b32 s6, s14, s5
	s_wait_alu 0xfffe
	s_xor_b64 s[6:7], s[6:7], s[8:9]
	s_wait_alu 0xfffe
	s_sub_nc_u64 s[64:65], s[6:7], s[8:9]
	s_cbranch_execnz .LBB44_47
.LBB44_46:                              ;   in Loop: Header=BB44_7 Depth=1
	s_wait_alu 0xfffe
	v_cvt_f32_u32_e32 v2, s62
	s_sub_co_i32 s6, 0, s62
	s_delay_alu instid0(VALU_DEP_1) | instskip(NEXT) | instid1(TRANS32_DEP_1)
	v_rcp_iflag_f32_e32 v2, v2
	v_mul_f32_e32 v2, 0x4f7ffffe, v2
	s_delay_alu instid0(VALU_DEP_1) | instskip(NEXT) | instid1(VALU_DEP_1)
	v_cvt_u32_f32_e32 v2, v2
	v_readfirstlane_b32 s5, v2
	s_wait_alu 0xfffe
	s_mul_i32 s6, s6, s5
	s_wait_alu 0xfffe
	s_mul_hi_u32 s6, s5, s6
	s_wait_alu 0xfffe
	s_add_co_i32 s5, s5, s6
	s_wait_alu 0xfffe
	s_mul_hi_u32 s5, s36, s5
	s_wait_alu 0xfffe
	s_mul_i32 s5, s5, s62
	s_wait_alu 0xfffe
	s_sub_co_i32 s5, s36, s5
	s_wait_alu 0xfffe
	s_sub_co_i32 s6, s5, s62
	s_cmp_ge_u32 s5, s62
	s_wait_alu 0xfffe
	s_cselect_b32 s5, s6, s5
	s_wait_alu 0xfffe
	s_sub_co_i32 s6, s5, s62
	s_cmp_ge_u32 s5, s62
	s_wait_alu 0xfffe
	s_cselect_b32 s24, s6, s5
	s_wait_alu 0xfffe
	s_mov_b64 s[64:65], s[24:25]
.LBB44_47:                              ;   in Loop: Header=BB44_7 Depth=1
	v_mov_b32_e32 v8, 0
	v_dual_mov_b32 v12, 0 :: v_dual_mov_b32 v9, 0
	v_dual_mov_b32 v10, 0 :: v_dual_mov_b32 v13, 0
	;; [unrolled: 1-line block ×3, first 2 shown]
	v_mov_b32_e32 v15, 0
	s_wait_alu 0xfffe
	s_sub_nc_u64 s[66:67], s[36:37], s[64:65]
	s_mov_b32 s61, s25
	s_mov_b32 s59, exec_lo
	s_wait_alu 0xfffe
	v_cmpx_gt_i64_e64 s[66:67], v[20:21]
	s_cbranch_execz .LBB44_51
; %bb.48:                               ;   in Loop: Header=BB44_7 Depth=1
	v_dual_mov_b32 v4, v20 :: v_dual_mov_b32 v5, v21
	s_mul_u64 s[68:69], s[56:57], s[60:61]
	s_mov_b64 s[70:71], 0
	s_mov_b32 s63, 0
	s_mov_b64 s[72:73], s[48:49]
	s_mov_b64 s[74:75], 0
	;; [unrolled: 1-line block ×4, first 2 shown]
.LBB44_49:                              ;   Parent Loop BB44_7 Depth=1
                                        ; =>  This Inner Loop Header: Depth=2
	s_wait_alu 0xfffe
	v_add_co_u32 v8, vcc_lo, s72, v29
	s_wait_alu 0xfffd
	v_add_co_ci_u32_e64 v9, null, s73, v30, vcc_lo
	v_add_co_u32 v10, vcc_lo, s72, v26
	s_wait_alu 0xfffd
	v_add_co_ci_u32_e64 v11, null, s73, v47, vcc_lo
	;; [unrolled: 3-line block ×4, first 2 shown]
	s_clause 0x3
	global_load_b64 v[8:9], v[8:9], off
	global_load_b64 v[10:11], v[10:11], off
	;; [unrolled: 1-line block ×4, first 2 shown]
	v_add_co_u32 v4, vcc_lo, v4, s62
	s_wait_alu 0xfffd
	v_add_co_ci_u32_e64 v5, null, 0, v5, vcc_lo
	s_add_nc_u64 s[72:73], s[72:73], s[68:69]
	v_cmp_le_i64_e32 vcc_lo, s[66:67], v[4:5]
	s_wait_loadcnt 0x3
	v_cmp_o_f64_e64 s5, v[8:9], v[8:9]
	s_wait_loadcnt 0x2
	v_cmp_o_f64_e64 s6, v[10:11], v[10:11]
	;; [unrolled: 2-line block ×4, first 2 shown]
	v_ashrrev_i32_e32 v2, 31, v9
	v_ashrrev_i32_e32 v18, 31, v11
	;; [unrolled: 1-line block ×4, first 2 shown]
	s_delay_alu instid0(VALU_DEP_4) | instskip(NEXT) | instid1(VALU_DEP_4)
	v_or_b32_e32 v39, 0x80000000, v2
	v_or_b32_e32 v52, 0x80000000, v18
	s_delay_alu instid0(VALU_DEP_4) | instskip(NEXT) | instid1(VALU_DEP_4)
	v_or_b32_e32 v53, 0x80000000, v35
	v_or_b32_e32 v54, 0x80000000, v37
	v_xor_b32_e32 v2, v2, v8
	v_xor_b32_e32 v39, v39, v9
	;; [unrolled: 1-line block ×8, first 2 shown]
	s_wait_alu 0xf1ff
	v_cndmask_b32_e64 v9, -1, v39, s5
	v_cndmask_b32_e64 v11, -1, v8, s6
	;; [unrolled: 1-line block ×7, first 2 shown]
	v_dual_mov_b32 v36, v19 :: v_dual_and_b32 v53, v9, v32
	v_and_b32_e32 v52, v8, v31
	v_lshrrev_b64 v[8:9], s87, v[8:9]
	v_cndmask_b32_e64 v14, -1, v37, s8
	v_and_b32_e32 v54, v10, v31
	v_lshrrev_b64 v[9:10], s87, v[10:11]
	v_and_b32_e32 v55, v11, v32
	v_lshrrev_b64 v[10:11], s87, v[12:13]
	;; [unrolled: 2-line block ×3, first 2 shown]
	v_and_b32_e32 v18, 3, v8
	v_dual_mov_b32 v40, v19 :: v_dual_and_b32 v35, 3, v9
	v_dual_mov_b32 v38, v19 :: v_dual_and_b32 v57, v13, v32
	v_and_b32_e32 v37, 3, v10
	v_cmp_eq_u64_e64 s5, v[52:53], v[27:28]
	v_cmp_eq_u64_e64 s9, 0, v[18:19]
	v_and_b32_e32 v59, v15, v32
	v_and_b32_e32 v58, v14, v31
	;; [unrolled: 1-line block ×3, first 2 shown]
	v_cmp_eq_u64_e64 s6, v[54:55], v[27:28]
	v_cmp_eq_u64_e64 s10, 0, v[35:36]
	;; [unrolled: 1-line block ×6, first 2 shown]
	s_and_b32 s9, s5, s9
	v_cmp_eq_u64_e64 s13, 1, v[18:19]
	s_wait_alu 0xfffe
	v_cndmask_b32_e64 v2, 0, 1, s9
	s_and_b32 s9, s6, s10
	v_cmp_eq_u64_e64 s14, 1, v[35:36]
	s_wait_alu 0xfffe
	v_cndmask_b32_e64 v8, 0, 1, s9
	;; [unrolled: 4-line block ×4, first 2 shown]
	s_and_b32 s9, s5, s13
	v_cmp_eq_u64_e64 s17, 2, v[18:19]
	v_cmp_eq_u64_e64 s21, 3, v[18:19]
	s_wait_alu 0xfffe
	v_cndmask_b32_e64 v11, 0, 1, s9
	s_and_b32 s9, s6, s14
	v_cmp_eq_u64_e64 s22, 3, v[35:36]
	s_wait_alu 0xfffe
	v_cndmask_b32_e64 v12, 0, 1, s9
	s_and_b32 s9, s7, s15
	v_cmp_eq_u64_e64 s18, 2, v[35:36]
	v_cmp_eq_u64_e64 s23, 3, v[37:38]
	s_wait_alu 0xfffe
	v_cndmask_b32_e64 v13, 0, 1, s9
	s_and_b32 s9, s8, s16
	v_cmp_eq_u64_e64 s19, 2, v[37:38]
	v_cmp_eq_u64_e64 s24, 3, v[39:40]
	s_wait_alu 0xfffe
	v_cndmask_b32_e64 v14, 0, 1, s9
	s_and_b32 s9, s5, s17
	s_and_b32 s5, s5, s21
	v_cmp_eq_u64_e64 s20, 2, v[39:40]
	s_wait_alu 0xfffe
	v_cndmask_b32_e64 v37, 0, 1, s5
	s_and_b32 s5, s6, s22
	v_cndmask_b32_e64 v15, 0, 1, s9
	s_and_b32 s9, s6, s18
	s_wait_alu 0xfffe
	v_cndmask_b32_e64 v38, 0, 1, s5
	s_and_b32 s5, s7, s23
	v_cndmask_b32_e64 v18, 0, 1, s9
	s_and_b32 s9, s7, s19
	;; [unrolled: 5-line block ×3, first 2 shown]
	s_wait_alu 0xfffe
	v_cndmask_b32_e64 v40, 0, 1, s5
	v_cmp_ne_u32_e64 s5, 0, v2
	v_cmp_ne_u32_e64 s6, 0, v8
	v_cndmask_b32_e64 v36, 0, 1, s9
	v_cmp_ne_u32_e64 s7, 0, v9
	v_cmp_ne_u32_e64 s9, 0, v11
	;; [unrolled: 1-line block ×7, first 2 shown]
	s_bcnt1_i32_b32 s5, s5
	s_bcnt1_i32_b32 s6, s6
	v_cmp_ne_u32_e64 s12, 0, v14
	v_cmp_ne_u32_e64 s15, 0, v35
	;; [unrolled: 1-line block ×4, first 2 shown]
	s_bcnt1_i32_b32 s7, s7
	s_bcnt1_i32_b32 s9, s9
	;; [unrolled: 1-line block ×3, first 2 shown]
	s_wait_alu 0xfffe
	s_add_co_i32 s5, s6, s5
	v_cmp_ne_u32_e64 s16, 0, v36
	v_cmp_ne_u32_e64 s19, 0, v39
	s_bcnt1_i32_b32 s8, s8
	s_bcnt1_i32_b32 s11, s11
	;; [unrolled: 1-line block ×4, first 2 shown]
	s_add_co_i32 s6, s10, s9
	s_wait_alu 0xfffe
	s_add_co_i32 s5, s5, s7
	v_cmp_ne_u32_e64 s20, 0, v40
	s_bcnt1_i32_b32 s12, s12
	s_bcnt1_i32_b32 s15, s15
	;; [unrolled: 1-line block ×4, first 2 shown]
	s_add_co_i32 s9, s14, s13
	s_add_co_i32 s6, s6, s11
	s_wait_alu 0xfffe
	s_add_co_i32 s24, s5, s8
	s_bcnt1_i32_b32 s16, s16
	s_bcnt1_i32_b32 s19, s19
	s_add_co_i32 s10, s18, s17
	s_add_co_i32 s7, s9, s15
	s_wait_alu 0xfffe
	s_add_nc_u64 s[78:79], s[78:79], s[24:25]
	s_add_co_i32 s24, s6, s12
	s_bcnt1_i32_b32 s20, s20
	s_add_co_i32 s9, s10, s19
	s_wait_alu 0xfffe
	s_add_nc_u64 s[76:77], s[76:77], s[24:25]
	s_add_co_i32 s24, s7, s16
	v_mov_b32_e32 v8, s78
	s_wait_alu 0xfffe
	s_add_nc_u64 s[74:75], s[74:75], s[24:25]
	s_add_co_i32 s24, s9, s20
	v_mov_b32_e32 v10, s76
	s_wait_alu 0xfffe
	s_add_nc_u64 s[70:71], s[70:71], s[24:25]
	v_mov_b32_e32 v12, s74
	s_wait_alu 0xfffe
	v_dual_mov_b32 v14, s70 :: v_dual_mov_b32 v9, s79
	v_mov_b32_e32 v11, s77
	v_mov_b32_e32 v13, s75
	;; [unrolled: 1-line block ×3, first 2 shown]
	s_or_b32 s63, vcc_lo, s63
	s_wait_alu 0xfffe
	s_and_not1_b32 exec_lo, exec_lo, s63
	s_cbranch_execnz .LBB44_49
; %bb.50:                               ;   in Loop: Header=BB44_7 Depth=1
	s_or_b32 exec_lo, exec_lo, s63
.LBB44_51:                              ;   in Loop: Header=BB44_7 Depth=1
	s_wait_alu 0xfffe
	s_or_b32 exec_lo, exec_lo, s59
	v_add_co_u32 v4, s5, s66, v0
	s_wait_alu 0xf1ff
	v_add_co_ci_u32_e64 v5, null, s67, 0, s5
	s_mov_b32 s9, exec_lo
	v_cmpx_gt_i64_e64 s[36:37], v[4:5]
	s_cbranch_execz .LBB44_57
; %bb.52:                               ;   in Loop: Header=BB44_7 Depth=1
	v_mul_lo_u32 v2, v5, s42
	v_mul_lo_u32 v18, v4, s43
	v_mad_co_u64_u32 v[35:36], null, v4, s42, 0
	s_mul_u64 s[10:11], s[54:55], s[60:61]
	s_mov_b32 s12, 0
	v_add3_u32 v36, v36, v18, v2
	s_delay_alu instid0(VALU_DEP_1) | instskip(NEXT) | instid1(VALU_DEP_1)
	v_lshlrev_b64_e32 v[35:36], 3, v[35:36]
	v_add_co_u32 v35, vcc_lo, s48, v35
	s_wait_alu 0xfffd
	s_delay_alu instid0(VALU_DEP_2)
	v_add_co_ci_u32_e64 v36, null, s49, v36, vcc_lo
	v_add_co_u32 v2, vcc_lo, v48, s60
	s_wait_alu 0xfffd
	v_add_co_ci_u32_e64 v18, null, 0, v49, vcc_lo
	global_load_b64 v[39:40], v[35:36], off
	v_sub_co_u32 v2, vcc_lo, v2, s64
	s_wait_alu 0xfffd
	v_subrev_co_ci_u32_e64 v18, null, s65, v18, vcc_lo
	s_delay_alu instid0(VALU_DEP_2) | instskip(SKIP_1) | instid1(VALU_DEP_3)
	v_mul_lo_u32 v37, s55, v2
	v_mad_co_u64_u32 v[35:36], null, s54, v2, s[48:49]
	v_mul_lo_u32 v18, s54, v18
	s_delay_alu instid0(VALU_DEP_1)
	v_add3_u32 v36, v37, v36, v18
	s_branch .LBB44_54
.LBB44_53:                              ;   in Loop: Header=BB44_54 Depth=2
	s_wait_alu 0xfffe
	s_or_b32 exec_lo, exec_lo, s6
	s_wait_loadcnt 0x0
	v_cmp_o_f64_e64 s5, v[39:40], v[39:40]
	v_ashrrev_i32_e32 v2, 31, v40
	s_and_b32 s7, exec_lo, vcc_lo
	s_wait_alu 0xfffe
	s_or_b32 s12, s7, s12
	s_delay_alu instid0(VALU_DEP_1) | instskip(SKIP_1) | instid1(VALU_DEP_2)
	v_or_b32_e32 v18, 0x80000000, v2
	v_xor_b32_e32 v2, v2, v39
	v_xor_b32_e32 v18, v18, v40
	s_delay_alu instid0(VALU_DEP_1) | instskip(NEXT) | instid1(VALU_DEP_3)
	v_cndmask_b32_e64 v40, -1, v18, s5
	v_cndmask_b32_e64 v39, -1, v2, s5
	s_delay_alu instid0(VALU_DEP_1) | instskip(SKIP_2) | instid1(VALU_DEP_3)
	v_lshrrev_b64 v[52:53], s87, v[39:40]
	v_and_b32_e32 v40, v40, v32
	v_and_b32_e32 v39, v39, v31
	v_and_b32_e32 v18, 3, v52
	s_delay_alu instid0(VALU_DEP_2) | instskip(NEXT) | instid1(VALU_DEP_2)
	v_cmp_eq_u64_e64 s5, v[39:40], v[27:28]
	v_cmp_eq_u64_e64 s6, 0, v[18:19]
	v_cmp_eq_u64_e32 vcc_lo, 1, v[18:19]
	v_cmp_eq_u64_e64 s7, 2, v[18:19]
	v_cmp_eq_u64_e64 s8, 3, v[18:19]
	s_and_b32 s6, s5, s6
	s_wait_alu 0xfffe
	v_cndmask_b32_e64 v2, 0, 1, s6
	s_and_b32 s6, s5, vcc_lo
	s_wait_alu 0xfffe
	v_cndmask_b32_e64 v18, 0, 1, s6
	s_and_b32 s6, s5, s7
	s_and_b32 s5, s5, s8
	s_wait_alu 0xfffe
	v_cndmask_b32_e64 v39, 0, 1, s6
	v_cmp_ne_u32_e32 vcc_lo, 0, v2
	v_cndmask_b32_e64 v40, 0, 1, s5
	v_cmp_ne_u32_e64 s5, 0, v18
	v_add_co_u32 v35, s8, v35, s10
	v_cmp_ne_u32_e64 s6, 0, v39
	s_wait_alu 0xf1ff
	v_add_co_ci_u32_e64 v36, null, s11, v36, s8
	s_bcnt1_i32_b32 s8, vcc_lo
	v_cmp_ne_u32_e64 s7, 0, v40
	s_bcnt1_i32_b32 s5, s5
	s_wait_alu 0xfffe
	v_add_co_u32 v8, vcc_lo, v8, s8
	s_bcnt1_i32_b32 s6, s6
	s_wait_alu 0xfffd
	v_add_co_ci_u32_e64 v9, null, 0, v9, vcc_lo
	v_add_co_u32 v10, vcc_lo, v10, s5
	s_bcnt1_i32_b32 s7, s7
	s_wait_alu 0xfffd
	v_add_co_ci_u32_e64 v11, null, 0, v11, vcc_lo
	s_wait_alu 0xfffe
	v_add_co_u32 v12, vcc_lo, v12, s6
	s_wait_alu 0xfffd
	v_add_co_ci_u32_e64 v13, null, 0, v13, vcc_lo
	v_add_co_u32 v14, vcc_lo, v14, s7
	v_mov_b32_e32 v40, v38
	s_wait_alu 0xfffd
	v_add_co_ci_u32_e64 v15, null, 0, v15, vcc_lo
	v_mov_b32_e32 v39, v37
	s_and_not1_b32 exec_lo, exec_lo, s12
	s_cbranch_execz .LBB44_56
.LBB44_54:                              ;   Parent Loop BB44_7 Depth=1
                                        ; =>  This Inner Loop Header: Depth=2
	v_add_co_u32 v4, vcc_lo, v4, s60
	v_mov_b32_e32 v37, 0
	s_wait_alu 0xfffd
	v_add_co_ci_u32_e64 v5, null, 0, v5, vcc_lo
	v_mov_b32_e32 v38, 0
	s_mov_b32 s6, exec_lo
	s_delay_alu instid0(VALU_DEP_2)
	v_cmp_le_i64_e32 vcc_lo, s[36:37], v[4:5]
	v_cmpx_gt_i64_e64 s[36:37], v[4:5]
	s_cbranch_execz .LBB44_53
; %bb.55:                               ;   in Loop: Header=BB44_54 Depth=2
	global_load_b64 v[37:38], v[35:36], off
	s_branch .LBB44_53
.LBB44_56:                              ;   in Loop: Header=BB44_7 Depth=1
	s_or_b32 exec_lo, exec_lo, s12
.LBB44_57:                              ;   in Loop: Header=BB44_7 Depth=1
	s_wait_alu 0xfffe
	s_or_b32 exec_lo, exec_lo, s9
	s_branch .LBB44_36
.LBB44_58:                              ;   in Loop: Header=BB44_7 Depth=1
	global_load_u16 v2, v19, s[38:39]
	v_mov_b32_e32 v8, 0
	v_mov_b32_e32 v10, 0
	;; [unrolled: 1-line block ×3, first 2 shown]
	v_dual_mov_b32 v14, 0 :: v_dual_mov_b32 v11, 0
	v_mov_b32_e32 v13, 0
	v_mov_b32_e32 v15, 0
	s_mov_b32 s70, exec_lo
	v_mov_b32_e32 v9, 0
	s_wait_loadcnt 0x0
	v_readfirstlane_b32 s5, v2
	v_and_b32_e32 v2, 0xffff, v2
	s_and_b32 s59, 0xffff, s5
	s_wait_alu 0xfffe
	s_lshl_b32 s69, s59, 2
	s_wait_alu 0xfffe
	s_cvt_f32_u32 s5, s69
	s_sub_co_i32 s6, 0, s69
	s_wait_alu 0xfffe
	s_delay_alu instid0(SALU_CYCLE_1) | instskip(NEXT) | instid1(TRANS32_DEP_1)
	v_rcp_iflag_f32_e32 v4, s5
	v_readfirstlane_b32 s5, v4
	s_mul_f32 s5, s5, 0x4f7ffffe
	s_wait_alu 0xfffe
	s_delay_alu instid0(SALU_CYCLE_2) | instskip(SKIP_1) | instid1(SALU_CYCLE_2)
	s_cvt_u32_f32 s5, s5
	s_wait_alu 0xfffe
	s_mul_i32 s6, s6, s5
	s_wait_alu 0xfffe
	s_mul_hi_u32 s6, s5, s6
	s_wait_alu 0xfffe
	s_add_co_i32 s5, s5, s6
	s_wait_alu 0xfffe
	s_mul_hi_u32 s5, s58, s5
	s_wait_alu 0xfffe
	s_mul_i32 s6, s5, s69
	s_add_co_i32 s7, s5, 1
	s_wait_alu 0xfffe
	s_sub_co_i32 s6, s58, s6
	s_wait_alu 0xfffe
	s_sub_co_i32 s8, s6, s69
	s_cmp_ge_u32 s6, s69
	s_cselect_b32 s5, s7, s5
	s_wait_alu 0xfffe
	s_cselect_b32 s6, s8, s6
	s_add_co_i32 s7, s5, 1
	s_wait_alu 0xfffe
	s_cmp_ge_u32 s6, s69
	s_cselect_b32 s68, s7, s5
	s_wait_alu 0xfffe
	v_mul_hi_u32 v5, s68, v2
	v_mul_lo_u32 v4, s68, v2
	s_delay_alu instid0(VALU_DEP_1) | instskip(NEXT) | instid1(VALU_DEP_1)
	v_lshlrev_b64_e32 v[4:5], 2, v[4:5]
	v_cmpx_gt_u64_e64 v[4:5], v[20:21]
	s_cbranch_execz .LBB44_62
; %bb.59:                               ;   in Loop: Header=BB44_7 Depth=1
	v_dual_mov_b32 v37, v45 :: v_dual_mov_b32 v36, v21
	v_mov_b32_e32 v35, v20
	s_lshl_b32 s71, s59, 5
	s_mov_b64 s[60:61], 0
	s_mov_b32 s72, 0
	s_mov_b64 s[62:63], 0
	s_mov_b64 s[64:65], 0
	;; [unrolled: 1-line block ×3, first 2 shown]
.LBB44_60:                              ;   Parent Loop BB44_7 Depth=1
                                        ; =>  This Inner Loop Header: Depth=2
	ds_load_b128 v[8:11], v37
	ds_load_b128 v[12:15], v37 offset:16
	v_add_co_u32 v35, vcc_lo, v35, s69
	s_wait_alu 0xfffd
	v_add_co_ci_u32_e64 v36, null, 0, v36, vcc_lo
	s_delay_alu instid0(VALU_DEP_1)
	v_cmp_ge_u64_e32 vcc_lo, v[35:36], v[4:5]
	s_wait_dscnt 0x1
	v_cmp_o_f64_e64 s5, v[8:9], v[8:9]
	v_cmp_o_f64_e64 s6, v[10:11], v[10:11]
	s_wait_dscnt 0x0
	v_cmp_o_f64_e64 s7, v[12:13], v[12:13]
	v_cmp_o_f64_e64 s8, v[14:15], v[14:15]
	v_ashrrev_i32_e32 v18, 31, v9
	v_ashrrev_i32_e32 v38, 31, v11
	;; [unrolled: 1-line block ×4, first 2 shown]
	s_delay_alu instid0(VALU_DEP_4) | instskip(NEXT) | instid1(VALU_DEP_4)
	v_or_b32_e32 v54, 0x80000000, v18
	v_or_b32_e32 v56, 0x80000000, v38
	s_delay_alu instid0(VALU_DEP_4) | instskip(NEXT) | instid1(VALU_DEP_4)
	v_or_b32_e32 v57, 0x80000000, v40
	v_or_b32_e32 v58, 0x80000000, v52
	v_xor_b32_e32 v18, v18, v8
	v_xor_b32_e32 v54, v54, v9
	;; [unrolled: 1-line block ×8, first 2 shown]
	s_wait_alu 0xf1ff
	v_cndmask_b32_e64 v9, -1, v54, s5
	v_cndmask_b32_e64 v11, -1, v8, s6
	;; [unrolled: 1-line block ×7, first 2 shown]
	v_dual_mov_b32 v39, v19 :: v_dual_and_b32 v56, v8, v31
	v_and_b32_e32 v57, v9, v32
	v_lshrrev_b64 v[8:9], s87, v[8:9]
	v_cndmask_b32_e64 v14, -1, v52, s8
	v_dual_mov_b32 v53, v19 :: v_dual_and_b32 v58, v10, v31
	v_lshrrev_b64 v[9:10], s87, v[10:11]
	v_and_b32_e32 v59, v11, v32
	v_lshrrev_b64 v[10:11], s87, v[12:13]
	v_dual_mov_b32 v55, v19 :: v_dual_and_b32 v60, v12, v31
	v_lshrrev_b64 v[11:12], s87, v[14:15]
	v_and_b32_e32 v18, 3, v8
	v_and_b32_e32 v38, 3, v9
	;; [unrolled: 1-line block ×4, first 2 shown]
	v_cmp_eq_u64_e64 s5, v[56:57], v[27:28]
	v_cmp_eq_u64_e64 s9, 0, v[18:19]
	v_and_b32_e32 v63, v15, v32
	v_and_b32_e32 v62, v14, v31
	;; [unrolled: 1-line block ×3, first 2 shown]
	v_cmp_eq_u64_e64 s6, v[58:59], v[27:28]
	v_cmp_eq_u64_e64 s10, 0, v[38:39]
	;; [unrolled: 1-line block ×6, first 2 shown]
	s_and_b32 s9, s5, s9
	v_cmp_eq_u64_e64 s13, 1, v[18:19]
	s_wait_alu 0xfffe
	v_cndmask_b32_e64 v8, 0, 1, s9
	s_and_b32 s9, s6, s10
	v_cmp_eq_u64_e64 s14, 1, v[38:39]
	s_wait_alu 0xfffe
	v_cndmask_b32_e64 v9, 0, 1, s9
	;; [unrolled: 4-line block ×4, first 2 shown]
	s_and_b32 s9, s5, s13
	v_cmp_eq_u64_e64 s17, 2, v[18:19]
	v_cmp_eq_u64_e64 s21, 3, v[18:19]
	s_wait_alu 0xfffe
	v_cndmask_b32_e64 v12, 0, 1, s9
	s_and_b32 s9, s6, s14
	v_cmp_eq_u64_e64 s22, 3, v[38:39]
	s_wait_alu 0xfffe
	v_cndmask_b32_e64 v13, 0, 1, s9
	s_and_b32 s9, s7, s15
	v_cmp_eq_u64_e64 s18, 2, v[38:39]
	v_cmp_eq_u64_e64 s23, 3, v[52:53]
	s_wait_alu 0xfffe
	v_cndmask_b32_e64 v14, 0, 1, s9
	s_and_b32 s9, s8, s16
	v_cmp_eq_u64_e64 s19, 2, v[52:53]
	v_cmp_eq_u64_e64 s24, 3, v[54:55]
	s_wait_alu 0xfffe
	v_cndmask_b32_e64 v15, 0, 1, s9
	s_and_b32 s9, s5, s17
	s_and_b32 s5, s5, s21
	v_cmp_eq_u64_e64 s20, 2, v[54:55]
	s_wait_alu 0xfffe
	v_cndmask_b32_e64 v52, 0, 1, s5
	s_and_b32 s5, s6, s22
	v_cndmask_b32_e64 v18, 0, 1, s9
	s_and_b32 s9, s6, s18
	s_wait_alu 0xfffe
	v_cndmask_b32_e64 v53, 0, 1, s5
	s_and_b32 s5, s7, s23
	v_cndmask_b32_e64 v38, 0, 1, s9
	s_and_b32 s9, s7, s19
	;; [unrolled: 5-line block ×3, first 2 shown]
	s_wait_alu 0xfffe
	v_cndmask_b32_e64 v55, 0, 1, s5
	v_cmp_ne_u32_e64 s5, 0, v8
	v_cmp_ne_u32_e64 s6, 0, v9
	v_cndmask_b32_e64 v40, 0, 1, s9
	v_cmp_ne_u32_e64 s7, 0, v10
	v_cmp_ne_u32_e64 s9, 0, v12
	;; [unrolled: 1-line block ×7, first 2 shown]
	s_bcnt1_i32_b32 s5, s5
	s_bcnt1_i32_b32 s6, s6
	v_cmp_ne_u32_e64 s12, 0, v15
	v_cmp_ne_u32_e64 s15, 0, v39
	;; [unrolled: 1-line block ×4, first 2 shown]
	s_bcnt1_i32_b32 s7, s7
	s_bcnt1_i32_b32 s9, s9
	;; [unrolled: 1-line block ×3, first 2 shown]
	s_wait_alu 0xfffe
	s_add_co_i32 s5, s6, s5
	v_cmp_ne_u32_e64 s16, 0, v40
	v_cmp_ne_u32_e64 s19, 0, v54
	s_bcnt1_i32_b32 s8, s8
	s_bcnt1_i32_b32 s11, s11
	;; [unrolled: 1-line block ×4, first 2 shown]
	s_add_co_i32 s6, s10, s9
	s_wait_alu 0xfffe
	s_add_co_i32 s5, s5, s7
	v_cmp_ne_u32_e64 s20, 0, v55
	s_bcnt1_i32_b32 s12, s12
	s_bcnt1_i32_b32 s15, s15
	;; [unrolled: 1-line block ×4, first 2 shown]
	s_add_co_i32 s9, s14, s13
	s_add_co_i32 s6, s6, s11
	s_wait_alu 0xfffe
	s_add_co_i32 s24, s5, s8
	s_bcnt1_i32_b32 s16, s16
	s_bcnt1_i32_b32 s19, s19
	s_add_co_i32 s10, s18, s17
	s_add_co_i32 s7, s9, s15
	s_wait_alu 0xfffe
	s_add_nc_u64 s[66:67], s[66:67], s[24:25]
	s_add_co_i32 s24, s6, s12
	s_bcnt1_i32_b32 s20, s20
	s_add_co_i32 s9, s10, s19
	s_wait_alu 0xfffe
	s_add_nc_u64 s[64:65], s[64:65], s[24:25]
	s_add_co_i32 s24, s7, s16
	v_dual_mov_b32 v8, s66 :: v_dual_add_nc_u32 v37, s71, v37
	s_wait_alu 0xfffe
	s_add_nc_u64 s[62:63], s[62:63], s[24:25]
	s_add_co_i32 s24, s9, s20
	v_mov_b32_e32 v10, s64
	s_wait_alu 0xfffe
	s_add_nc_u64 s[60:61], s[60:61], s[24:25]
	v_mov_b32_e32 v12, s62
	s_wait_alu 0xfffe
	v_dual_mov_b32 v14, s60 :: v_dual_mov_b32 v9, s67
	v_mov_b32_e32 v11, s65
	v_mov_b32_e32 v13, s63
	;; [unrolled: 1-line block ×3, first 2 shown]
	s_or_b32 s72, vcc_lo, s72
	s_wait_alu 0xfffe
	s_and_not1_b32 exec_lo, exec_lo, s72
	s_cbranch_execnz .LBB44_60
; %bb.61:                               ;   in Loop: Header=BB44_7 Depth=1
	s_or_b32 exec_lo, exec_lo, s72
.LBB44_62:                              ;   in Loop: Header=BB44_7 Depth=1
	s_delay_alu instid0(SALU_CYCLE_1)
	s_or_b32 exec_lo, exec_lo, s70
	v_add_co_u32 v4, vcc_lo, v4, v0
	s_wait_alu 0xfffd
	v_add_co_ci_u32_e64 v5, null, 0, v5, vcc_lo
	s_and_b32 s24, s58, 0x7fffffff
	s_mov_b32 s10, exec_lo
	s_wait_alu 0xfffe
	v_cmpx_gt_u64_e64 s[24:25], v[4:5]
	s_cbranch_execz .LBB44_66
; %bb.63:                               ;   in Loop: Header=BB44_7 Depth=1
	s_mul_i32 s68, s68, s59
	s_lshl_b32 s12, s59, 3
	s_wait_alu 0xfffe
	v_lshl_add_u32 v35, s68, 5, v42
	s_mov_b32 s11, 0
.LBB44_64:                              ;   Parent Loop BB44_7 Depth=1
                                        ; =>  This Inner Loop Header: Depth=2
	ds_load_b64 v[36:37], v35
	v_add_co_u32 v4, s5, v4, v2
	s_wait_alu 0xf1ff
	v_add_co_ci_u32_e64 v5, null, 0, v5, s5
	s_delay_alu instid0(VALU_DEP_1) | instskip(SKIP_3) | instid1(VALU_DEP_1)
	v_cmp_le_u64_e64 s5, s[24:25], v[4:5]
	s_wait_dscnt 0x0
	v_cmp_o_f64_e32 vcc_lo, v[36:37], v[36:37]
	v_ashrrev_i32_e32 v18, 31, v37
	v_or_b32_e32 v38, 0x80000000, v18
	v_xor_b32_e32 v18, v18, v36
	v_add_nc_u32_e32 v35, s12, v35
	s_delay_alu instid0(VALU_DEP_3) | instskip(SKIP_1) | instid1(VALU_DEP_3)
	v_xor_b32_e32 v38, v38, v37
	s_wait_alu 0xfffd
	v_cndmask_b32_e32 v36, -1, v18, vcc_lo
	s_delay_alu instid0(VALU_DEP_1) | instskip(NEXT) | instid1(VALU_DEP_1)
	v_dual_cndmask_b32 v37, -1, v38 :: v_dual_and_b32 v38, v36, v31
	v_and_b32_e32 v39, v37, v32
	v_lshrrev_b64 v[36:37], s87, v[36:37]
	s_delay_alu instid0(VALU_DEP_2) | instskip(NEXT) | instid1(VALU_DEP_2)
	v_cmp_eq_u64_e32 vcc_lo, v[38:39], v[27:28]
	v_and_b32_e32 v18, 3, v36
	s_delay_alu instid0(VALU_DEP_1)
	v_cmp_eq_u64_e64 s6, 0, v[18:19]
	v_cmp_eq_u64_e64 s7, 1, v[18:19]
	;; [unrolled: 1-line block ×4, first 2 shown]
	s_and_b32 s6, vcc_lo, s6
	s_wait_alu 0xfffe
	v_cndmask_b32_e64 v18, 0, 1, s6
	s_and_b32 s6, vcc_lo, s7
	s_wait_alu 0xfffe
	v_cndmask_b32_e64 v36, 0, 1, s6
	s_and_b32 s6, vcc_lo, s8
	s_wait_alu 0xfffe
	v_cndmask_b32_e64 v37, 0, 1, s6
	s_and_b32 s6, vcc_lo, s9
	v_cmp_ne_u32_e32 vcc_lo, 0, v18
	s_wait_alu 0xfffe
	v_cndmask_b32_e64 v38, 0, 1, s6
	v_cmp_ne_u32_e64 s6, 0, v36
	v_cmp_ne_u32_e64 s7, 0, v37
	s_bcnt1_i32_b32 s9, vcc_lo
	v_cmp_ne_u32_e64 s8, 0, v38
	s_bcnt1_i32_b32 s6, s6
	s_wait_alu 0xfffe
	v_add_co_u32 v8, vcc_lo, v8, s9
	s_bcnt1_i32_b32 s7, s7
	s_wait_alu 0xfffd
	v_add_co_ci_u32_e64 v9, null, 0, v9, vcc_lo
	v_add_co_u32 v10, vcc_lo, v10, s6
	s_bcnt1_i32_b32 s8, s8
	s_wait_alu 0xfffd
	v_add_co_ci_u32_e64 v11, null, 0, v11, vcc_lo
	s_wait_alu 0xfffe
	v_add_co_u32 v12, vcc_lo, v12, s7
	s_wait_alu 0xfffd
	v_add_co_ci_u32_e64 v13, null, 0, v13, vcc_lo
	v_add_co_u32 v14, vcc_lo, v14, s8
	s_wait_alu 0xfffd
	v_add_co_ci_u32_e64 v15, null, 0, v15, vcc_lo
	s_or_b32 s11, s5, s11
	s_wait_alu 0xfffe
	s_and_not1_b32 exec_lo, exec_lo, s11
	s_cbranch_execnz .LBB44_64
; %bb.65:                               ;   in Loop: Header=BB44_7 Depth=1
	s_or_b32 exec_lo, exec_lo, s11
.LBB44_66:                              ;   in Loop: Header=BB44_7 Depth=1
	s_wait_alu 0xfffe
	s_or_b32 exec_lo, exec_lo, s10
	s_lshl_b32 s5, s89, 7
	s_and_saveexec_b32 s6, s1
	s_cbranch_execnz .LBB44_37
	s_branch .LBB44_38
.LBB44_67:                              ;   in Loop: Header=BB44_7 Depth=1
                                        ; implicit-def: $sgpr64_sgpr65
	s_branch .LBB44_46
.LBB44_68:                              ;   in Loop: Header=BB44_7 Depth=1
	s_wait_alu 0xfffe
	s_or_b32 exec_lo, exec_lo, s8
	s_wait_loadcnt_dscnt 0x0
	s_barrier_signal -1
	s_barrier_wait -1
	global_inv scope:SCOPE_SE
	s_and_saveexec_b32 s5, s2
	s_cbranch_execz .LBB44_70
; %bb.69:                               ;   in Loop: Header=BB44_7 Depth=1
	ds_load_b32 v4, v19 offset:5136
	s_wait_dscnt 0x0
	v_ashrrev_i32_e32 v5, 31, v4
	ds_store_b64 v19, v[4:5] offset:5120
.LBB44_70:                              ;   in Loop: Header=BB44_7 Depth=1
	s_wait_alu 0xfffe
	s_or_b32 exec_lo, exec_lo, s5
	s_wait_loadcnt_dscnt 0x0
	s_barrier_signal -1
	s_mov_b32 s5, -1
	s_barrier_wait -1
	s_and_b32 vcc_lo, exec_lo, s7
	s_wait_alu 0xfffe
	s_cbranch_vccnz .LBB44_23
	s_branch .LBB44_32
.LBB44_71:                              ;   in Loop: Header=BB44_7 Depth=1
	s_mov_b32 s7, 0
	s_and_not1_b32 vcc_lo, exec_lo, s85
	s_wait_alu 0xfffe
	s_cbranch_vccnz .LBB44_74
.LBB44_72:                              ;   in Loop: Header=BB44_7 Depth=1
	s_lshl_b32 s8, s89, 10
	s_lshl_b32 s7, s7, 5
	s_wait_alu 0xfffe
	v_add3_u32 v2, s8, s7, v50
	s_mov_b32 s7, s82
.LBB44_73:                              ;   Parent Loop BB44_7 Depth=1
                                        ; =>  This Inner Loop Header: Depth=2
	ds_load_b64 v[8:9], v2
	v_add_nc_u32_e32 v2, 32, v2
	s_wait_alu 0xfffe
	s_add_co_i32 s7, s7, -1
	s_wait_alu 0xfffe
	s_cmp_lg_u32 s7, 0
	s_wait_dscnt 0x0
	v_add_co_u32 v4, vcc_lo, v8, v4
	s_wait_alu 0xfffd
	v_add_co_ci_u32_e64 v5, null, v9, v5, vcc_lo
	s_cbranch_scc1 .LBB44_73
.LBB44_74:                              ;   in Loop: Header=BB44_7 Depth=1
	v_add_lshl_u32 v2, s5, v41, 3
	ds_store_b64 v2, v[4:5] offset:3072
.LBB44_75:                              ;   in Loop: Header=BB44_7 Depth=1
	s_wait_alu 0xfffe
	s_or_b32 exec_lo, exec_lo, s6
	s_lshl_b32 s5, s5, 3
	s_wait_loadcnt_dscnt 0x0
	s_wait_alu 0xfffe
	v_mov_b32_e32 v2, s5
	s_barrier_signal -1
	s_barrier_wait -1
	global_inv scope:SCOPE_SE
	v_cmp_eq_u64_e32 vcc_lo, 1, v[33:34]
	ds_load_b128 v[8:11], v2 offset:3072
	ds_load_b128 v[12:15], v2 offset:3088
	s_lshl_b64 s[8:9], 3, s87
	s_mov_b32 s21, -1
	s_wait_alu 0xfffe
	s_not_b64 s[12:13], s[8:9]
                                        ; implicit-def: $sgpr19
                                        ; implicit-def: $sgpr18
	s_wait_dscnt 0x1
	v_cmp_eq_u64_e64 s5, 1, v[8:9]
	s_wait_dscnt 0x0
	v_readfirstlane_b32 s10, v12
	v_readfirstlane_b32 s11, v13
	;; [unrolled: 1-line block ×4, first 2 shown]
	s_and_b32 s22, s5, vcc_lo
	s_mov_b32 s5, -1
	s_wait_alu 0xfffe
	s_and_saveexec_b32 s20, s22
	s_cbranch_execz .LBB44_109
; %bb.76:                               ;   in Loop: Header=BB44_7 Depth=1
	ds_load_b64 v[4:5], v19 offset:5120
	s_wait_loadcnt_dscnt 0x0
	s_barrier_signal -1
	s_barrier_wait -1
	global_inv scope:SCOPE_SE
	v_readfirstlane_b32 s14, v4
	v_readfirstlane_b32 s15, v5
	s_and_saveexec_b32 s5, s3
; %bb.77:                               ;   in Loop: Header=BB44_7 Depth=1
	v_mov_b32_e32 v18, v19
	ds_store_b64 v43, v[18:19]
; %bb.78:                               ;   in Loop: Header=BB44_7 Depth=1
	s_wait_alu 0xfffe
	s_or_b32 exec_lo, exec_lo, s5
	v_cmp_lt_i64_e64 s5, s[14:15], 1
	v_and_b32_e32 v28, s13, v28
	v_and_b32_e32 v27, s12, v27
	v_or_b32_e32 v32, s9, v32
	v_or_b32_e32 v31, s8, v31
	s_mov_b32 s18, -1
	s_mov_b32 s19, 0
	s_and_b32 vcc_lo, exec_lo, s5
	s_mov_b32 s5, 0
	s_mov_b32 s23, -1
	s_wait_loadcnt_dscnt 0x0
	s_barrier_signal -1
	s_barrier_wait -1
	global_inv scope:SCOPE_SE
                                        ; implicit-def: $vgpr6_vgpr7
	s_wait_alu 0xfffe
	s_cbranch_vccz .LBB44_93
; %bb.79:                               ;   in Loop: Header=BB44_7 Depth=1
	s_mov_b32 s16, s25
	s_mov_b32 s17, s53
	s_wait_alu 0xfffe
	s_cmp_lg_u64 s[16:17], 0
	s_cbranch_scc0 .LBB44_136
; %bb.80:                               ;   in Loop: Header=BB44_7 Depth=1
	s_add_nc_u64 s[16:17], s[44:45], 0
	s_wait_alu 0xfffe
	s_xor_b64 s[16:17], s[16:17], 0
	s_wait_alu 0xfffe
	s_cvt_f32_u32 s5, s16
	s_cvt_f32_u32 s23, s17
	s_sub_nc_u64 s[60:61], 0, s[16:17]
	s_wait_alu 0xfffe
	s_delay_alu instid0(SALU_CYCLE_1) | instskip(SKIP_1) | instid1(SALU_CYCLE_2)
	s_fmamk_f32 s5, s23, 0x4f800000, s5
	s_wait_alu 0xfffe
	v_s_rcp_f32 s5, s5
	s_delay_alu instid0(TRANS32_DEP_1) | instskip(SKIP_1) | instid1(SALU_CYCLE_2)
	s_mul_f32 s5, s5, 0x5f7ffffc
	s_wait_alu 0xfffe
	s_mul_f32 s23, s5, 0x2f800000
	s_wait_alu 0xfffe
	s_delay_alu instid0(SALU_CYCLE_2) | instskip(SKIP_1) | instid1(SALU_CYCLE_2)
	s_trunc_f32 s23, s23
	s_wait_alu 0xfffe
	s_fmamk_f32 s5, s23, 0xcf800000, s5
	s_cvt_u32_f32 s59, s23
	s_wait_alu 0xfffe
	s_delay_alu instid0(SALU_CYCLE_1) | instskip(SKIP_1) | instid1(SALU_CYCLE_2)
	s_cvt_u32_f32 s58, s5
	s_wait_alu 0xfffe
	s_mul_u64 s[62:63], s[60:61], s[58:59]
	s_wait_alu 0xfffe
	s_mul_hi_u32 s65, s58, s63
	s_mul_i32 s64, s58, s63
	s_mul_hi_u32 s24, s58, s62
	s_mul_i32 s23, s59, s62
	s_wait_alu 0xfffe
	s_add_nc_u64 s[64:65], s[24:25], s[64:65]
	s_mul_hi_u32 s5, s59, s62
	s_mul_hi_u32 s66, s59, s63
	s_wait_alu 0xfffe
	s_add_co_u32 s23, s64, s23
	s_add_co_ci_u32 s24, s65, s5
	s_mul_i32 s62, s59, s63
	s_add_co_ci_u32 s63, s66, 0
	s_wait_alu 0xfffe
	s_add_nc_u64 s[62:63], s[24:25], s[62:63]
	s_wait_alu 0xfffe
	s_add_co_u32 s58, s58, s62
	s_cselect_b32 s5, -1, 0
	s_wait_alu 0xfffe
	s_cmp_lg_u32 s5, 0
	s_add_co_ci_u32 s59, s59, s63
	s_wait_alu 0xfffe
	s_mul_u64 s[60:61], s[60:61], s[58:59]
	s_wait_alu 0xfffe
	s_mul_hi_u32 s63, s58, s61
	s_mul_i32 s62, s58, s61
	s_mul_hi_u32 s24, s58, s60
	s_mul_i32 s23, s59, s60
	s_wait_alu 0xfffe
	s_add_nc_u64 s[62:63], s[24:25], s[62:63]
	s_mul_hi_u32 s5, s59, s60
	s_mul_hi_u32 s64, s59, s61
	s_wait_alu 0xfffe
	s_add_co_u32 s23, s62, s23
	s_add_co_ci_u32 s24, s63, s5
	s_mul_i32 s60, s59, s61
	s_add_co_ci_u32 s61, s64, 0
	s_wait_alu 0xfffe
	s_add_nc_u64 s[60:61], s[24:25], s[60:61]
	s_wait_alu 0xfffe
	s_add_co_u32 s5, s58, s60
	s_cselect_b32 s23, -1, 0
	s_wait_alu 0xfffe
	s_cmp_lg_u32 s23, 0
	s_add_co_ci_u32 s23, s59, s61
	s_ashr_i32 s58, s53, 31
	s_wait_alu 0xfffe
	s_mov_b32 s59, s58
	s_wait_alu 0xfffe
	s_add_nc_u64 s[60:61], s[52:53], s[58:59]
	s_wait_alu 0xfffe
	s_xor_b64 s[60:61], s[60:61], s[58:59]
	s_wait_alu 0xfffe
	s_mul_hi_u32 s63, s60, s23
	s_mul_i32 s62, s60, s23
	s_mul_hi_u32 s24, s60, s5
	s_mul_hi_u32 s66, s61, s5
	s_mul_i32 s5, s61, s5
	s_wait_alu 0xfffe
	s_add_nc_u64 s[62:63], s[24:25], s[62:63]
	s_mul_hi_u32 s65, s61, s23
	s_wait_alu 0xfffe
	s_add_co_u32 s5, s62, s5
	s_add_co_ci_u32 s24, s63, s66
	s_mul_i32 s64, s61, s23
	s_add_co_ci_u32 s65, s65, 0
	s_wait_alu 0xfffe
	s_add_nc_u64 s[62:63], s[24:25], s[64:65]
	s_wait_alu 0xfffe
	s_mul_u64 s[62:63], s[16:17], s[62:63]
	s_wait_alu 0xfffe
	s_sub_co_u32 s5, s60, s62
	s_cselect_b32 s23, -1, 0
	s_sub_co_i32 s24, s61, s63
	s_wait_alu 0xfffe
	s_cmp_lg_u32 s23, 0
	s_sub_co_ci_u32 s24, s24, s17
	s_sub_co_u32 s60, s5, s16
	s_cselect_b32 s62, -1, 0
	s_wait_alu 0xfffe
	s_cmp_lg_u32 s62, 0
	s_sub_co_ci_u32 s64, s24, 0
	s_wait_alu 0xfffe
	s_cmp_ge_u32 s64, s17
	s_cselect_b32 s65, -1, 0
	s_cmp_ge_u32 s60, s16
	s_cselect_b32 s66, -1, 0
	s_cmp_eq_u32 s64, s17
	s_wait_alu 0xfffe
	s_cselect_b32 s65, s66, s65
	s_cmp_lg_u32 s62, 0
	s_sub_co_ci_u32 s24, s24, s17
	s_sub_co_u32 s62, s60, s16
	s_cselect_b32 s66, -1, 0
	s_wait_alu 0xfffe
	s_cmp_lg_u32 s66, 0
	s_sub_co_ci_u32 s24, s24, 0
	s_cmp_lg_u32 s65, 0
	s_cselect_b32 s60, s62, s60
	s_wait_alu 0xfffe
	s_cselect_b32 s24, s24, s64
	s_cmp_lg_u32 s23, 0
	s_sub_co_ci_u32 s23, s61, s63
	s_wait_alu 0xfffe
	s_cmp_ge_u32 s23, s17
	s_cselect_b32 s61, -1, 0
	s_cmp_ge_u32 s5, s16
	s_cselect_b32 s16, -1, 0
	s_cmp_eq_u32 s23, s17
	s_wait_alu 0xfffe
	s_cselect_b32 s16, s16, s61
	s_wait_alu 0xfffe
	s_cmp_lg_u32 s16, 0
	s_cselect_b32 s17, s24, s23
	s_cselect_b32 s16, s60, s5
	s_wait_alu 0xfffe
	s_xor_b64 s[16:17], s[16:17], s[58:59]
	s_wait_alu 0xfffe
	s_sub_nc_u64 s[16:17], s[16:17], s[58:59]
	s_cbranch_execnz .LBB44_82
.LBB44_81:                              ;   in Loop: Header=BB44_7 Depth=1
	v_cvt_f32_u32_e32 v2, s44
	s_sub_co_i32 s16, 0, s44
	s_delay_alu instid0(VALU_DEP_1) | instskip(NEXT) | instid1(TRANS32_DEP_1)
	v_rcp_iflag_f32_e32 v2, v2
	v_mul_f32_e32 v2, 0x4f7ffffe, v2
	s_delay_alu instid0(VALU_DEP_1) | instskip(NEXT) | instid1(VALU_DEP_1)
	v_cvt_u32_f32_e32 v2, v2
	v_readfirstlane_b32 s5, v2
	s_wait_alu 0xfffe
	s_mul_i32 s16, s16, s5
	s_wait_alu 0xfffe
	s_mul_hi_u32 s16, s5, s16
	s_wait_alu 0xfffe
	s_add_co_i32 s5, s5, s16
	s_wait_alu 0xfffe
	s_mul_hi_u32 s5, s52, s5
	s_wait_alu 0xfffe
	s_mul_i32 s5, s5, s44
	s_wait_alu 0xfffe
	s_sub_co_i32 s5, s52, s5
	s_wait_alu 0xfffe
	s_sub_co_i32 s16, s5, s44
	s_cmp_ge_u32 s5, s44
	s_wait_alu 0xfffe
	s_cselect_b32 s5, s16, s5
	s_wait_alu 0xfffe
	s_sub_co_i32 s16, s5, s44
	s_cmp_ge_u32 s5, s44
	s_wait_alu 0xfffe
	s_cselect_b32 s24, s16, s5
	s_wait_alu 0xfffe
	s_mov_b64 s[16:17], s[24:25]
.LBB44_82:                              ;   in Loop: Header=BB44_7 Depth=1
	s_wait_alu 0xfffe
	s_sub_nc_u64 s[16:17], s[52:53], s[16:17]
	s_mov_b32 s23, 0
	s_mov_b32 s5, 0
	s_mov_b32 s24, exec_lo
                                        ; implicit-def: $vgpr6_vgpr7
	s_wait_alu 0xfffe
	v_cmpx_gt_i64_e64 s[16:17], v[0:1]
	s_cbranch_execz .LBB44_92
; %bb.83:                               ;   in Loop: Header=BB44_7 Depth=1
	v_dual_mov_b32 v12, v16 :: v_dual_mov_b32 v13, v17
	v_dual_mov_b32 v15, v1 :: v_dual_mov_b32 v14, v0
	s_mov_b32 s58, 0
                                        ; implicit-def: $sgpr59
	s_branch .LBB44_87
.LBB44_84:                              ;   in Loop: Header=BB44_87 Depth=2
	s_wait_alu 0xfffe
	s_or_b32 exec_lo, exec_lo, s5
	s_wait_loadcnt_dscnt 0x0
	s_barrier_signal -1
	s_barrier_wait -1
	global_inv scope:SCOPE_SE
	ds_load_b128 v[4:7], v19 offset:3072
	s_wait_loadcnt_dscnt 0x0
	s_barrier_signal -1
	s_barrier_wait -1
	global_inv scope:SCOPE_SE
	v_cmp_neq_f64_e32 vcc_lo, 0, v[4:5]
	s_cbranch_vccnz .LBB44_90
; %bb.85:                               ;   in Loop: Header=BB44_87 Depth=2
	v_add_co_u32 v14, vcc_lo, v14, s44
	s_wait_alu 0xfffd
	v_add_co_ci_u32_e64 v15, null, 0, v15, vcc_lo
	v_add_co_u32 v12, s5, v12, s46
	s_wait_alu 0xf1ff
	v_add_co_ci_u32_e64 v13, null, s47, v13, s5
	s_delay_alu instid0(VALU_DEP_3)
	v_cmp_le_i64_e32 vcc_lo, s[16:17], v[14:15]
	s_mov_b32 s5, 0
	s_or_not1_b32 s60, vcc_lo, exec_lo
.LBB44_86:                              ;   in Loop: Header=BB44_87 Depth=2
	s_wait_alu 0xfffe
	s_and_b32 s60, exec_lo, s60
	s_wait_alu 0xfffe
	s_or_b32 s58, s60, s58
	s_and_not1_b32 s59, s59, exec_lo
	s_and_b32 s5, s5, exec_lo
	s_wait_alu 0xfffe
	s_or_b32 s59, s59, s5
	s_and_not1_b32 exec_lo, exec_lo, s58
	s_cbranch_execz .LBB44_91
.LBB44_87:                              ;   Parent Loop BB44_7 Depth=1
                                        ; =>  This Inner Loop Header: Depth=2
	s_mov_b32 s5, exec_lo
	s_delay_alu instid0(VALU_DEP_1)
	v_cmpx_gt_i64_e64 s[36:37], v[14:15]
	s_cbranch_execz .LBB44_84
; %bb.88:                               ;   in Loop: Header=BB44_87 Depth=2
	global_load_b64 v[4:5], v[12:13], off
	s_wait_loadcnt 0x0
	v_cmp_o_f64_e32 vcc_lo, v[4:5], v[4:5]
	v_ashrrev_i32_e32 v2, 31, v5
	s_delay_alu instid0(VALU_DEP_1) | instskip(SKIP_1) | instid1(VALU_DEP_2)
	v_or_b32_e32 v6, 0x80000000, v2
	v_xor_b32_e32 v2, v2, v4
	v_xor_b32_e32 v6, v6, v5
	s_wait_alu 0xfffd
	s_delay_alu instid0(VALU_DEP_1) | instskip(NEXT) | instid1(VALU_DEP_1)
	v_cndmask_b32_e32 v6, -1, v6, vcc_lo
	v_dual_cndmask_b32 v2, -1, v2 :: v_dual_and_b32 v7, v6, v32
	s_delay_alu instid0(VALU_DEP_1) | instskip(NEXT) | instid1(VALU_DEP_1)
	v_and_b32_e32 v6, v2, v31
	v_cmp_eq_u64_e32 vcc_lo, v[6:7], v[27:28]
	s_and_b32 exec_lo, exec_lo, vcc_lo
	s_cbranch_execz .LBB44_84
; %bb.89:                               ;   in Loop: Header=BB44_87 Depth=2
	v_mov_b32_e32 v2, v19
	ds_store_b128 v19, v[2:5] offset:3072
	s_branch .LBB44_84
.LBB44_90:                              ;   in Loop: Header=BB44_87 Depth=2
	s_mov_b32 s60, -1
	s_mov_b32 s5, -1
                                        ; implicit-def: $vgpr14_vgpr15
                                        ; implicit-def: $vgpr12_vgpr13
	s_branch .LBB44_86
.LBB44_91:                              ;   in Loop: Header=BB44_7 Depth=1
	s_or_b32 exec_lo, exec_lo, s58
	s_wait_alu 0xfffe
	s_and_b32 s5, s59, exec_lo
.LBB44_92:                              ;   in Loop: Header=BB44_7 Depth=1
	s_wait_alu 0xfffe
	s_or_b32 exec_lo, exec_lo, s24
.LBB44_93:                              ;   in Loop: Header=BB44_7 Depth=1
	s_delay_alu instid0(SALU_CYCLE_1)
	s_and_b32 vcc_lo, exec_lo, s23
	s_wait_alu 0xfffe
	s_cbranch_vccz .LBB44_108
; %bb.94:                               ;   in Loop: Header=BB44_7 Depth=1
	s_add_nc_u64 s[16:17], s[14:15], s[50:51]
	s_mov_b32 s18, s25
	s_wait_alu 0xfffe
	s_mov_b32 s19, s17
	s_delay_alu instid0(SALU_CYCLE_1)
	s_cmp_lg_u64 s[18:19], 0
	s_cbranch_scc0 .LBB44_137
; %bb.95:                               ;   in Loop: Header=BB44_7 Depth=1
	s_add_nc_u64 s[18:19], s[44:45], 0
	s_delay_alu instid0(SALU_CYCLE_1) | instskip(NEXT) | instid1(SALU_CYCLE_1)
	s_xor_b64 s[18:19], s[18:19], 0
	s_cvt_f32_u32 s23, s18
	s_cvt_f32_u32 s24, s19
	s_sub_nc_u64 s[60:61], 0, s[18:19]
	s_wait_alu 0xfffe
	s_delay_alu instid0(SALU_CYCLE_1) | instskip(SKIP_1) | instid1(SALU_CYCLE_2)
	s_fmamk_f32 s23, s24, 0x4f800000, s23
	s_wait_alu 0xfffe
	v_s_rcp_f32 s23, s23
	s_delay_alu instid0(TRANS32_DEP_1) | instskip(SKIP_1) | instid1(SALU_CYCLE_2)
	s_mul_f32 s23, s23, 0x5f7ffffc
	s_wait_alu 0xfffe
	s_mul_f32 s24, s23, 0x2f800000
	s_wait_alu 0xfffe
	s_delay_alu instid0(SALU_CYCLE_2) | instskip(SKIP_1) | instid1(SALU_CYCLE_2)
	s_trunc_f32 s24, s24
	s_wait_alu 0xfffe
	s_fmamk_f32 s23, s24, 0xcf800000, s23
	s_cvt_u32_f32 s59, s24
	s_wait_alu 0xfffe
	s_delay_alu instid0(SALU_CYCLE_1) | instskip(SKIP_1) | instid1(SALU_CYCLE_2)
	s_cvt_u32_f32 s58, s23
	s_wait_alu 0xfffe
	s_mul_u64 s[62:63], s[60:61], s[58:59]
	s_wait_alu 0xfffe
	s_mul_hi_u32 s65, s58, s63
	s_mul_i32 s64, s58, s63
	s_mul_hi_u32 s24, s58, s62
	s_mul_i32 s66, s59, s62
	s_wait_alu 0xfffe
	s_add_nc_u64 s[64:65], s[24:25], s[64:65]
	s_mul_hi_u32 s23, s59, s62
	s_mul_hi_u32 s67, s59, s63
	s_wait_alu 0xfffe
	s_add_co_u32 s24, s64, s66
	s_add_co_ci_u32 s24, s65, s23
	s_mul_i32 s62, s59, s63
	s_add_co_ci_u32 s63, s67, 0
	s_wait_alu 0xfffe
	s_add_nc_u64 s[62:63], s[24:25], s[62:63]
	s_wait_alu 0xfffe
	s_add_co_u32 s58, s58, s62
	s_cselect_b32 s23, -1, 0
	s_wait_alu 0xfffe
	s_cmp_lg_u32 s23, 0
	s_add_co_ci_u32 s59, s59, s63
	s_wait_alu 0xfffe
	s_mul_u64 s[60:61], s[60:61], s[58:59]
	s_wait_alu 0xfffe
	s_mul_hi_u32 s63, s58, s61
	s_mul_i32 s62, s58, s61
	s_mul_hi_u32 s24, s58, s60
	s_mul_i32 s64, s59, s60
	s_wait_alu 0xfffe
	s_add_nc_u64 s[62:63], s[24:25], s[62:63]
	s_mul_hi_u32 s23, s59, s60
	s_mul_hi_u32 s65, s59, s61
	s_wait_alu 0xfffe
	s_add_co_u32 s24, s62, s64
	s_add_co_ci_u32 s24, s63, s23
	s_mul_i32 s60, s59, s61
	s_add_co_ci_u32 s61, s65, 0
	s_wait_alu 0xfffe
	s_add_nc_u64 s[60:61], s[24:25], s[60:61]
	s_wait_alu 0xfffe
	s_add_co_u32 s23, s58, s60
	s_cselect_b32 s24, -1, 0
	s_wait_alu 0xfffe
	s_cmp_lg_u32 s24, 0
	s_add_co_ci_u32 s64, s59, s61
	s_ashr_i32 s58, s17, 31
	s_wait_alu 0xfffe
	s_mov_b32 s59, s58
	s_wait_alu 0xfffe
	s_add_nc_u64 s[60:61], s[16:17], s[58:59]
	s_wait_alu 0xfffe
	s_xor_b64 s[60:61], s[60:61], s[58:59]
	s_wait_alu 0xfffe
	s_mul_hi_u32 s63, s60, s64
	s_mul_i32 s62, s60, s64
	s_mul_hi_u32 s24, s60, s23
	s_mul_hi_u32 s66, s61, s23
	s_mul_i32 s23, s61, s23
	s_wait_alu 0xfffe
	s_add_nc_u64 s[62:63], s[24:25], s[62:63]
	s_mul_hi_u32 s65, s61, s64
	s_wait_alu 0xfffe
	s_add_co_u32 s23, s62, s23
	s_add_co_ci_u32 s24, s63, s66
	s_mul_i32 s64, s61, s64
	s_add_co_ci_u32 s65, s65, 0
	s_wait_alu 0xfffe
	s_add_nc_u64 s[62:63], s[24:25], s[64:65]
	s_wait_alu 0xfffe
	s_mul_u64 s[62:63], s[18:19], s[62:63]
	s_wait_alu 0xfffe
	s_sub_co_u32 s23, s60, s62
	s_cselect_b32 s24, -1, 0
	s_sub_co_i32 s60, s61, s63
	s_wait_alu 0xfffe
	s_cmp_lg_u32 s24, 0
	s_sub_co_ci_u32 s60, s60, s19
	s_sub_co_u32 s62, s23, s18
	s_cselect_b32 s64, -1, 0
	s_wait_alu 0xfffe
	s_cmp_lg_u32 s64, 0
	s_sub_co_ci_u32 s65, s60, 0
	s_wait_alu 0xfffe
	s_cmp_ge_u32 s65, s19
	s_cselect_b32 s66, -1, 0
	s_cmp_ge_u32 s62, s18
	s_cselect_b32 s67, -1, 0
	s_cmp_eq_u32 s65, s19
	s_wait_alu 0xfffe
	s_cselect_b32 s66, s67, s66
	s_cmp_lg_u32 s64, 0
	s_sub_co_ci_u32 s60, s60, s19
	s_sub_co_u32 s64, s62, s18
	s_cselect_b32 s67, -1, 0
	s_wait_alu 0xfffe
	s_cmp_lg_u32 s67, 0
	s_sub_co_ci_u32 s60, s60, 0
	s_cmp_lg_u32 s66, 0
	s_cselect_b32 s62, s64, s62
	s_wait_alu 0xfffe
	s_cselect_b32 s60, s60, s65
	s_cmp_lg_u32 s24, 0
	s_sub_co_ci_u32 s24, s61, s63
	s_wait_alu 0xfffe
	s_cmp_ge_u32 s24, s19
	s_cselect_b32 s61, -1, 0
	s_cmp_ge_u32 s23, s18
	s_cselect_b32 s18, -1, 0
	s_cmp_eq_u32 s24, s19
	s_wait_alu 0xfffe
	s_cselect_b32 s18, s18, s61
	s_delay_alu instid0(SALU_CYCLE_1) | instskip(SKIP_2) | instid1(SALU_CYCLE_1)
	s_cmp_lg_u32 s18, 0
	s_cselect_b32 s19, s60, s24
	s_cselect_b32 s18, s62, s23
	s_xor_b64 s[18:19], s[18:19], s[58:59]
	s_delay_alu instid0(SALU_CYCLE_1)
	s_sub_nc_u64 s[18:19], s[18:19], s[58:59]
	s_cbranch_execnz .LBB44_97
.LBB44_96:                              ;   in Loop: Header=BB44_7 Depth=1
	v_cvt_f32_u32_e32 v2, s44
	s_sub_co_i32 s19, 0, s44
	s_delay_alu instid0(VALU_DEP_1) | instskip(NEXT) | instid1(TRANS32_DEP_1)
	v_rcp_iflag_f32_e32 v2, v2
	v_mul_f32_e32 v2, 0x4f7ffffe, v2
	s_delay_alu instid0(VALU_DEP_1) | instskip(NEXT) | instid1(VALU_DEP_1)
	v_cvt_u32_f32_e32 v2, v2
	v_readfirstlane_b32 s18, v2
	s_mul_i32 s19, s19, s18
	s_delay_alu instid0(SALU_CYCLE_1) | instskip(NEXT) | instid1(SALU_CYCLE_1)
	s_mul_hi_u32 s19, s18, s19
	s_add_co_i32 s18, s18, s19
	s_delay_alu instid0(SALU_CYCLE_1) | instskip(NEXT) | instid1(SALU_CYCLE_1)
	s_mul_hi_u32 s18, s16, s18
	s_mul_i32 s18, s18, s44
	s_delay_alu instid0(SALU_CYCLE_1) | instskip(NEXT) | instid1(SALU_CYCLE_1)
	s_sub_co_i32 s18, s16, s18
	s_sub_co_i32 s19, s18, s44
	s_cmp_ge_u32 s18, s44
	s_cselect_b32 s18, s19, s18
	s_delay_alu instid0(SALU_CYCLE_1)
	s_sub_co_i32 s19, s18, s44
	s_cmp_ge_u32 s18, s44
	s_cselect_b32 s24, s19, s18
	s_wait_alu 0xfffe
	s_mov_b64 s[18:19], s[24:25]
.LBB44_97:                              ;   in Loop: Header=BB44_7 Depth=1
	s_delay_alu instid0(SALU_CYCLE_1)
	s_sub_nc_u64 s[16:17], s[16:17], s[18:19]
	s_mov_b32 s18, exec_lo
                                        ; implicit-def: $vgpr6_vgpr7
	s_wait_alu 0xfffe
	v_cmpx_gt_i64_e64 s[16:17], v[0:1]
	s_cbranch_execz .LBB44_107
; %bb.98:                               ;   in Loop: Header=BB44_7 Depth=1
	v_dual_mov_b32 v14, v42 :: v_dual_mov_b32 v13, v1
	v_mov_b32_e32 v12, v0
	s_mov_b32 s23, 0
                                        ; implicit-def: $sgpr19
	s_branch .LBB44_102
.LBB44_99:                              ;   in Loop: Header=BB44_102 Depth=2
	s_wait_alu 0xfffe
	s_or_b32 exec_lo, exec_lo, s24
	s_wait_loadcnt_dscnt 0x0
	s_barrier_signal -1
	s_barrier_wait -1
	global_inv scope:SCOPE_SE
	ds_load_b128 v[4:7], v19 offset:3072
	s_wait_loadcnt_dscnt 0x0
	s_barrier_signal -1
	s_barrier_wait -1
	global_inv scope:SCOPE_SE
	v_cmp_neq_f64_e32 vcc_lo, 0, v[4:5]
	s_cbranch_vccnz .LBB44_105
; %bb.100:                              ;   in Loop: Header=BB44_102 Depth=2
	v_add_co_u32 v12, vcc_lo, v12, s44
	s_wait_alu 0xfffd
	v_add_co_ci_u32_e64 v13, null, 0, v13, vcc_lo
	v_add_nc_u32_e32 v14, s86, v14
	s_mov_b32 s24, 0
	s_delay_alu instid0(VALU_DEP_2)
	v_cmp_le_i64_e32 vcc_lo, s[16:17], v[12:13]
	s_or_not1_b32 s58, vcc_lo, exec_lo
.LBB44_101:                             ;   in Loop: Header=BB44_102 Depth=2
	s_wait_alu 0xfffe
	s_and_b32 s58, exec_lo, s58
	s_wait_alu 0xfffe
	s_or_b32 s23, s58, s23
	s_and_not1_b32 s19, s19, exec_lo
	s_and_b32 s24, s24, exec_lo
	s_wait_alu 0xfffe
	s_or_b32 s19, s19, s24
	s_and_not1_b32 exec_lo, exec_lo, s23
	s_cbranch_execz .LBB44_106
.LBB44_102:                             ;   Parent Loop BB44_7 Depth=1
                                        ; =>  This Inner Loop Header: Depth=2
	s_mov_b32 s24, exec_lo
	s_delay_alu instid0(VALU_DEP_1)
	v_cmpx_gt_u64_e64 s[14:15], v[12:13]
	s_cbranch_execz .LBB44_99
; %bb.103:                              ;   in Loop: Header=BB44_102 Depth=2
	ds_load_b64 v[4:5], v14
	s_wait_dscnt 0x0
	v_cmp_o_f64_e32 vcc_lo, v[4:5], v[4:5]
	v_ashrrev_i32_e32 v2, 31, v5
	s_delay_alu instid0(VALU_DEP_1) | instskip(SKIP_1) | instid1(VALU_DEP_2)
	v_or_b32_e32 v6, 0x80000000, v2
	v_xor_b32_e32 v2, v2, v4
	v_xor_b32_e32 v6, v6, v5
	s_wait_alu 0xfffd
	s_delay_alu instid0(VALU_DEP_1) | instskip(NEXT) | instid1(VALU_DEP_1)
	v_cndmask_b32_e32 v6, -1, v6, vcc_lo
	v_dual_cndmask_b32 v2, -1, v2 :: v_dual_and_b32 v7, v6, v32
	s_delay_alu instid0(VALU_DEP_1) | instskip(NEXT) | instid1(VALU_DEP_1)
	v_and_b32_e32 v6, v2, v31
	v_cmp_eq_u64_e32 vcc_lo, v[6:7], v[27:28]
	s_and_b32 exec_lo, exec_lo, vcc_lo
	s_cbranch_execz .LBB44_99
; %bb.104:                              ;   in Loop: Header=BB44_102 Depth=2
	v_mov_b32_e32 v2, v19
	ds_store_b128 v19, v[2:5] offset:3072
	s_branch .LBB44_99
.LBB44_105:                             ;   in Loop: Header=BB44_102 Depth=2
	s_mov_b32 s58, -1
	s_mov_b32 s24, -1
                                        ; implicit-def: $vgpr12_vgpr13
                                        ; implicit-def: $vgpr14
	s_branch .LBB44_101
.LBB44_106:                             ;   in Loop: Header=BB44_7 Depth=1
	s_or_b32 exec_lo, exec_lo, s23
	s_delay_alu instid0(SALU_CYCLE_1)
	s_and_not1_b32 s5, s5, exec_lo
	s_and_b32 s14, s19, exec_lo
	s_wait_alu 0xfffe
	s_or_b32 s5, s5, s14
.LBB44_107:                             ;   in Loop: Header=BB44_7 Depth=1
	s_or_b32 exec_lo, exec_lo, s18
	s_mov_b32 s18, 0
	s_mov_b32 s19, -1
.LBB44_108:                             ;   in Loop: Header=BB44_7 Depth=1
	s_wait_alu 0xfffe
	s_or_not1_b32 s5, s5, exec_lo
.LBB44_109:                             ;   in Loop: Header=BB44_7 Depth=1
	s_or_b32 exec_lo, exec_lo, s20
	s_delay_alu instid0(SALU_CYCLE_1)
	s_and_not1_b32 s14, s94, exec_lo
	s_and_b32 s15, s19, exec_lo
	s_and_not1_b32 s16, s92, exec_lo
	s_and_b32 s17, s18, exec_lo
	s_and_not1_b32 s91, s91, exec_lo
	s_wait_alu 0xfffe
	s_or_b32 s94, s14, s15
	s_or_b32 s92, s16, s17
                                        ; implicit-def: $vgpr12_vgpr13
	s_and_saveexec_b32 s20, s5
	s_cbranch_execz .LBB44_6
; %bb.110:                              ;   in Loop: Header=BB44_7 Depth=1
	v_dual_mov_b32 v12, 1 :: v_dual_mov_b32 v35, 1
	v_mov_b32_e32 v13, 0
	s_xor_b32 s15, s22, -1
	s_mov_b32 s14, 0
	s_wait_alu 0xfffe
	s_and_saveexec_b32 s5, s15
	s_cbranch_execz .LBB44_119
; %bb.111:                              ;   in Loop: Header=BB44_7 Depth=1
	s_mov_b32 s14, exec_lo
	v_cmpx_le_i64_e64 v[33:34], v[8:9]
	s_wait_alu 0xfffe
	s_xor_b32 s14, exec_lo, s14
	s_cbranch_execz .LBB44_116
; %bb.112:                              ;   in Loop: Header=BB44_7 Depth=1
	ds_load_b64 v[4:5], v19 offset:5120
	v_and_b32_e32 v28, s13, v28
	v_and_b32_e32 v27, s12, v27
	v_or_b32_e32 v32, s9, v32
	v_or_b32_e32 v31, s8, v31
	s_wait_dscnt 0x0
	v_cmp_ne_u64_e32 vcc_lo, 0, v[4:5]
	s_cbranch_vccnz .LBB44_116
; %bb.113:                              ;   in Loop: Header=BB44_7 Depth=1
	s_and_saveexec_b32 s15, s2
; %bb.114:                              ;   in Loop: Header=BB44_7 Depth=1
	ds_store_b64 v19, v[8:9] offset:5128
; %bb.115:                              ;   in Loop: Header=BB44_7 Depth=1
	s_wait_alu 0xfffe
	s_or_b32 exec_lo, exec_lo, s15
	s_wait_loadcnt_dscnt 0x0
	s_barrier_signal -1
	s_barrier_wait -1
	global_inv scope:SCOPE_SE
.LBB44_116:                             ;   in Loop: Header=BB44_7 Depth=1
	s_wait_alu 0xfffe
	s_or_saveexec_b32 s14, s14
	v_mov_b32_e32 v35, 8
	s_mov_b32 s15, 0
	s_wait_alu 0xfffe
	s_xor_b32 exec_lo, exec_lo, s14
; %bb.117:                              ;   in Loop: Header=BB44_7 Depth=1
	v_sub_co_u32 v33, vcc_lo, v33, v8
	s_wait_alu 0xfffd
	v_sub_co_ci_u32_e64 v34, null, v34, v9, vcc_lo
	v_mov_b32_e32 v35, 0
	s_mov_b32 s15, exec_lo
; %bb.118:                              ;   in Loop: Header=BB44_7 Depth=1
	s_or_b32 exec_lo, exec_lo, s14
	s_delay_alu instid0(VALU_DEP_2)
	v_dual_mov_b32 v12, v33 :: v_dual_mov_b32 v13, v34
	s_wait_alu 0xfffe
	s_and_b32 s14, s15, exec_lo
.LBB44_119:                             ;   in Loop: Header=BB44_7 Depth=1
	s_wait_alu 0xfffe
	s_or_b32 exec_lo, exec_lo, s5
	s_mov_b32 s21, -1
	s_mov_b32 s5, -1
                                        ; implicit-def: $sgpr23
                                        ; implicit-def: $sgpr58
	s_and_saveexec_b32 s15, s14
	s_wait_alu 0xfffe
	s_xor_b32 s22, exec_lo, s15
	s_cbranch_execz .LBB44_267
; %bb.120:                              ;   in Loop: Header=BB44_7 Depth=1
	v_cmp_eq_u64_e32 vcc_lo, 1, v[10:11]
	v_cmp_eq_u64_e64 s5, 1, v[12:13]
                                        ; implicit-def: $sgpr58
                                        ; implicit-def: $sgpr23
	s_and_b32 s60, vcc_lo, s5
	s_mov_b32 s5, -1
	s_wait_alu 0xfffe
	s_and_saveexec_b32 s59, s60
	s_cbranch_execz .LBB44_156
; %bb.121:                              ;   in Loop: Header=BB44_7 Depth=1
	ds_load_b64 v[4:5], v19 offset:5120
	s_wait_loadcnt_dscnt 0x0
	s_barrier_signal -1
	s_barrier_wait -1
	global_inv scope:SCOPE_SE
	v_readfirstlane_b32 s14, v4
	v_readfirstlane_b32 s15, v5
	s_and_saveexec_b32 s5, s3
; %bb.122:                              ;   in Loop: Header=BB44_7 Depth=1
	v_mov_b32_e32 v18, v19
	ds_store_b64 v43, v[18:19]
; %bb.123:                              ;   in Loop: Header=BB44_7 Depth=1
	s_wait_alu 0xfffe
	s_or_b32 exec_lo, exec_lo, s5
	v_and_b32_e32 v2, s13, v28
	v_and_b32_e32 v4, s12, v27
	v_cmp_gt_i64_e64 s5, s[14:15], 0
	s_lshl_b64 s[16:17], 1, s87
	v_or_b32_e32 v32, s9, v32
	s_wait_alu 0xfffe
	v_or_b32_e32 v28, s17, v2
	v_or_b32_e32 v27, s16, v4
	v_or_b32_e32 v31, s8, v31
	s_mov_b32 s23, -1
	s_mov_b32 s58, 0
	s_and_b32 vcc_lo, exec_lo, s5
	s_mov_b32 s5, 0
	s_mov_b32 s18, -1
	s_wait_loadcnt_dscnt 0x0
	s_barrier_signal -1
	s_barrier_wait -1
	global_inv scope:SCOPE_SE
                                        ; implicit-def: $vgpr6_vgpr7
	s_wait_alu 0xfffe
	s_cbranch_vccnz .LBB44_140
; %bb.124:                              ;   in Loop: Header=BB44_7 Depth=1
	s_mov_b32 s16, s25
	s_mov_b32 s17, s53
	s_wait_alu 0xfffe
	s_cmp_lg_u64 s[16:17], 0
	s_cbranch_scc0 .LBB44_184
; %bb.125:                              ;   in Loop: Header=BB44_7 Depth=1
	s_add_nc_u64 s[16:17], s[44:45], 0
	s_wait_alu 0xfffe
	s_xor_b64 s[16:17], s[16:17], 0
	s_wait_alu 0xfffe
	s_cvt_f32_u32 s5, s16
	s_cvt_f32_u32 s18, s17
	s_sub_nc_u64 s[62:63], 0, s[16:17]
	s_wait_alu 0xfffe
	s_delay_alu instid0(SALU_CYCLE_1) | instskip(SKIP_1) | instid1(SALU_CYCLE_2)
	s_fmamk_f32 s5, s18, 0x4f800000, s5
	s_wait_alu 0xfffe
	v_s_rcp_f32 s5, s5
	s_delay_alu instid0(TRANS32_DEP_1) | instskip(SKIP_1) | instid1(SALU_CYCLE_2)
	s_mul_f32 s5, s5, 0x5f7ffffc
	s_wait_alu 0xfffe
	s_mul_f32 s18, s5, 0x2f800000
	s_delay_alu instid0(SALU_CYCLE_3) | instskip(NEXT) | instid1(SALU_CYCLE_3)
	s_trunc_f32 s18, s18
	s_fmamk_f32 s5, s18, 0xcf800000, s5
	s_cvt_u32_f32 s19, s18
	s_wait_alu 0xfffe
	s_delay_alu instid0(SALU_CYCLE_1) | instskip(NEXT) | instid1(SALU_CYCLE_3)
	s_cvt_u32_f32 s18, s5
	s_mul_u64 s[64:65], s[62:63], s[18:19]
	s_wait_alu 0xfffe
	s_mul_hi_u32 s67, s18, s65
	s_mul_i32 s66, s18, s65
	s_mul_hi_u32 s24, s18, s64
	s_mul_i32 s61, s19, s64
	s_wait_alu 0xfffe
	s_add_nc_u64 s[66:67], s[24:25], s[66:67]
	s_mul_hi_u32 s5, s19, s64
	s_mul_hi_u32 s68, s19, s65
	s_wait_alu 0xfffe
	s_add_co_u32 s24, s66, s61
	s_add_co_ci_u32 s24, s67, s5
	s_mul_i32 s64, s19, s65
	s_add_co_ci_u32 s65, s68, 0
	s_wait_alu 0xfffe
	s_add_nc_u64 s[64:65], s[24:25], s[64:65]
	s_wait_alu 0xfffe
	s_add_co_u32 s18, s18, s64
	s_cselect_b32 s5, -1, 0
	s_wait_alu 0xfffe
	s_cmp_lg_u32 s5, 0
	s_add_co_ci_u32 s19, s19, s65
	s_delay_alu instid0(SALU_CYCLE_1)
	s_mul_u64 s[62:63], s[62:63], s[18:19]
	s_wait_alu 0xfffe
	s_mul_hi_u32 s65, s18, s63
	s_mul_i32 s64, s18, s63
	s_mul_hi_u32 s24, s18, s62
	s_mul_i32 s61, s19, s62
	s_wait_alu 0xfffe
	s_add_nc_u64 s[64:65], s[24:25], s[64:65]
	s_mul_hi_u32 s5, s19, s62
	s_mul_hi_u32 s66, s19, s63
	s_wait_alu 0xfffe
	s_add_co_u32 s24, s64, s61
	s_add_co_ci_u32 s24, s65, s5
	s_mul_i32 s62, s19, s63
	s_add_co_ci_u32 s63, s66, 0
	s_wait_alu 0xfffe
	s_add_nc_u64 s[62:63], s[24:25], s[62:63]
	s_wait_alu 0xfffe
	s_add_co_u32 s5, s18, s62
	s_cselect_b32 s18, -1, 0
	s_delay_alu instid0(SALU_CYCLE_1) | instskip(SKIP_2) | instid1(SALU_CYCLE_1)
	s_cmp_lg_u32 s18, 0
	s_add_co_ci_u32 s61, s19, s63
	s_ashr_i32 s18, s53, 31
	s_mov_b32 s19, s18
	s_delay_alu instid0(SALU_CYCLE_1)
	s_add_nc_u64 s[62:63], s[52:53], s[18:19]
	s_wait_alu 0xfffe
	s_xor_b64 s[62:63], s[62:63], s[18:19]
	s_wait_alu 0xfffe
	s_mul_hi_u32 s65, s62, s61
	s_mul_i32 s64, s62, s61
	s_mul_hi_u32 s24, s62, s5
	s_mul_hi_u32 s68, s63, s5
	s_mul_i32 s5, s63, s5
	s_wait_alu 0xfffe
	s_add_nc_u64 s[64:65], s[24:25], s[64:65]
	s_mul_hi_u32 s67, s63, s61
	s_wait_alu 0xfffe
	s_add_co_u32 s5, s64, s5
	s_add_co_ci_u32 s24, s65, s68
	s_mul_i32 s66, s63, s61
	s_add_co_ci_u32 s67, s67, 0
	s_wait_alu 0xfffe
	s_add_nc_u64 s[64:65], s[24:25], s[66:67]
	s_wait_alu 0xfffe
	s_mul_u64 s[64:65], s[16:17], s[64:65]
	s_wait_alu 0xfffe
	s_sub_co_u32 s5, s62, s64
	s_cselect_b32 s24, -1, 0
	s_sub_co_i32 s61, s63, s65
	s_wait_alu 0xfffe
	s_cmp_lg_u32 s24, 0
	s_sub_co_ci_u32 s61, s61, s17
	s_sub_co_u32 s62, s5, s16
	s_cselect_b32 s64, -1, 0
	s_wait_alu 0xfffe
	s_cmp_lg_u32 s64, 0
	s_sub_co_ci_u32 s66, s61, 0
	s_wait_alu 0xfffe
	s_cmp_ge_u32 s66, s17
	s_cselect_b32 s67, -1, 0
	s_cmp_ge_u32 s62, s16
	s_cselect_b32 s68, -1, 0
	s_cmp_eq_u32 s66, s17
	s_wait_alu 0xfffe
	s_cselect_b32 s67, s68, s67
	s_cmp_lg_u32 s64, 0
	s_sub_co_ci_u32 s61, s61, s17
	s_sub_co_u32 s64, s62, s16
	s_cselect_b32 s68, -1, 0
	s_wait_alu 0xfffe
	s_cmp_lg_u32 s68, 0
	s_sub_co_ci_u32 s61, s61, 0
	s_cmp_lg_u32 s67, 0
	s_cselect_b32 s62, s64, s62
	s_wait_alu 0xfffe
	s_cselect_b32 s61, s61, s66
	s_cmp_lg_u32 s24, 0
	s_sub_co_ci_u32 s24, s63, s65
	s_wait_alu 0xfffe
	s_cmp_ge_u32 s24, s17
	s_cselect_b32 s63, -1, 0
	s_cmp_ge_u32 s5, s16
	s_cselect_b32 s16, -1, 0
	s_cmp_eq_u32 s24, s17
	s_wait_alu 0xfffe
	s_cselect_b32 s16, s16, s63
	s_wait_alu 0xfffe
	s_cmp_lg_u32 s16, 0
	s_cselect_b32 s17, s61, s24
	s_cselect_b32 s16, s62, s5
	s_wait_alu 0xfffe
	s_xor_b64 s[16:17], s[16:17], s[18:19]
	s_wait_alu 0xfffe
	s_sub_nc_u64 s[16:17], s[16:17], s[18:19]
	s_cbranch_execnz .LBB44_127
.LBB44_126:                             ;   in Loop: Header=BB44_7 Depth=1
	v_cvt_f32_u32_e32 v2, s44
	s_sub_co_i32 s16, 0, s44
	s_delay_alu instid0(VALU_DEP_1) | instskip(NEXT) | instid1(TRANS32_DEP_1)
	v_rcp_iflag_f32_e32 v2, v2
	v_mul_f32_e32 v2, 0x4f7ffffe, v2
	s_delay_alu instid0(VALU_DEP_1) | instskip(NEXT) | instid1(VALU_DEP_1)
	v_cvt_u32_f32_e32 v2, v2
	v_readfirstlane_b32 s5, v2
	s_wait_alu 0xfffe
	s_mul_i32 s16, s16, s5
	s_wait_alu 0xfffe
	s_mul_hi_u32 s16, s5, s16
	s_wait_alu 0xfffe
	s_add_co_i32 s5, s5, s16
	s_wait_alu 0xfffe
	s_mul_hi_u32 s5, s52, s5
	s_wait_alu 0xfffe
	s_mul_i32 s5, s5, s44
	s_wait_alu 0xfffe
	s_sub_co_i32 s5, s52, s5
	s_wait_alu 0xfffe
	s_sub_co_i32 s16, s5, s44
	s_cmp_ge_u32 s5, s44
	s_wait_alu 0xfffe
	s_cselect_b32 s5, s16, s5
	s_wait_alu 0xfffe
	s_sub_co_i32 s16, s5, s44
	s_cmp_ge_u32 s5, s44
	s_wait_alu 0xfffe
	s_cselect_b32 s24, s16, s5
	s_wait_alu 0xfffe
	s_mov_b64 s[16:17], s[24:25]
.LBB44_127:                             ;   in Loop: Header=BB44_7 Depth=1
	s_wait_alu 0xfffe
	s_sub_nc_u64 s[16:17], s[52:53], s[16:17]
	s_mov_b32 s18, 0
	s_mov_b32 s5, 0
	s_mov_b32 s19, exec_lo
                                        ; implicit-def: $vgpr6_vgpr7
	s_wait_alu 0xfffe
	v_cmpx_gt_i64_e64 s[16:17], v[0:1]
	s_cbranch_execz .LBB44_139
; %bb.128:                              ;   in Loop: Header=BB44_7 Depth=1
	v_dual_mov_b32 v8, v16 :: v_dual_mov_b32 v9, v17
	v_dual_mov_b32 v15, v1 :: v_dual_mov_b32 v14, v0
	s_mov_b32 s24, 0
                                        ; implicit-def: $sgpr61
	s_branch .LBB44_132
.LBB44_129:                             ;   in Loop: Header=BB44_132 Depth=2
	s_wait_alu 0xfffe
	s_or_b32 exec_lo, exec_lo, s5
	s_wait_loadcnt_dscnt 0x0
	s_barrier_signal -1
	s_barrier_wait -1
	global_inv scope:SCOPE_SE
	ds_load_b128 v[4:7], v19 offset:3072
	s_wait_loadcnt_dscnt 0x0
	s_barrier_signal -1
	s_barrier_wait -1
	global_inv scope:SCOPE_SE
	v_cmp_neq_f64_e32 vcc_lo, 0, v[4:5]
	s_cbranch_vccnz .LBB44_135
; %bb.130:                              ;   in Loop: Header=BB44_132 Depth=2
	v_add_co_u32 v14, vcc_lo, v14, s44
	s_wait_alu 0xfffd
	v_add_co_ci_u32_e64 v15, null, 0, v15, vcc_lo
	v_add_co_u32 v8, s5, v8, s46
	s_wait_alu 0xf1ff
	v_add_co_ci_u32_e64 v9, null, s47, v9, s5
	s_delay_alu instid0(VALU_DEP_3)
	v_cmp_le_i64_e32 vcc_lo, s[16:17], v[14:15]
	s_mov_b32 s5, 0
	s_or_not1_b32 s62, vcc_lo, exec_lo
.LBB44_131:                             ;   in Loop: Header=BB44_132 Depth=2
	s_wait_alu 0xfffe
	s_and_b32 s62, exec_lo, s62
	s_wait_alu 0xfffe
	s_or_b32 s24, s62, s24
	s_and_not1_b32 s61, s61, exec_lo
	s_and_b32 s5, s5, exec_lo
	s_wait_alu 0xfffe
	s_or_b32 s61, s61, s5
	s_and_not1_b32 exec_lo, exec_lo, s24
	s_cbranch_execz .LBB44_138
.LBB44_132:                             ;   Parent Loop BB44_7 Depth=1
                                        ; =>  This Inner Loop Header: Depth=2
	s_mov_b32 s5, exec_lo
	s_delay_alu instid0(VALU_DEP_1)
	v_cmpx_gt_i64_e64 s[36:37], v[14:15]
	s_cbranch_execz .LBB44_129
; %bb.133:                              ;   in Loop: Header=BB44_132 Depth=2
	global_load_b64 v[4:5], v[8:9], off
	s_wait_loadcnt 0x0
	v_cmp_o_f64_e32 vcc_lo, v[4:5], v[4:5]
	v_ashrrev_i32_e32 v2, 31, v5
	s_delay_alu instid0(VALU_DEP_1) | instskip(SKIP_1) | instid1(VALU_DEP_2)
	v_or_b32_e32 v6, 0x80000000, v2
	v_xor_b32_e32 v2, v2, v4
	v_xor_b32_e32 v6, v6, v5
	s_wait_alu 0xfffd
	s_delay_alu instid0(VALU_DEP_1) | instskip(NEXT) | instid1(VALU_DEP_1)
	v_cndmask_b32_e32 v6, -1, v6, vcc_lo
	v_dual_cndmask_b32 v2, -1, v2 :: v_dual_and_b32 v7, v6, v32
	s_delay_alu instid0(VALU_DEP_1) | instskip(NEXT) | instid1(VALU_DEP_1)
	v_and_b32_e32 v6, v2, v31
	v_cmp_eq_u64_e32 vcc_lo, v[6:7], v[27:28]
	s_and_b32 exec_lo, exec_lo, vcc_lo
	s_cbranch_execz .LBB44_129
; %bb.134:                              ;   in Loop: Header=BB44_132 Depth=2
	v_mov_b32_e32 v2, v19
	ds_store_b128 v19, v[2:5] offset:3072
	s_branch .LBB44_129
.LBB44_135:                             ;   in Loop: Header=BB44_132 Depth=2
	s_mov_b32 s62, -1
	s_mov_b32 s5, -1
                                        ; implicit-def: $vgpr14_vgpr15
                                        ; implicit-def: $vgpr8_vgpr9
	s_branch .LBB44_131
.LBB44_136:                             ;   in Loop: Header=BB44_7 Depth=1
                                        ; implicit-def: $sgpr16_sgpr17
	s_branch .LBB44_81
.LBB44_137:                             ;   in Loop: Header=BB44_7 Depth=1
                                        ; implicit-def: $sgpr18_sgpr19
	s_branch .LBB44_96
.LBB44_138:                             ;   in Loop: Header=BB44_7 Depth=1
	s_or_b32 exec_lo, exec_lo, s24
	s_wait_alu 0xfffe
	s_and_b32 s5, s61, exec_lo
.LBB44_139:                             ;   in Loop: Header=BB44_7 Depth=1
	s_or_b32 exec_lo, exec_lo, s19
.LBB44_140:                             ;   in Loop: Header=BB44_7 Depth=1
	s_delay_alu instid0(SALU_CYCLE_1)
	s_and_b32 vcc_lo, exec_lo, s18
	s_wait_alu 0xfffe
	s_cbranch_vccz .LBB44_155
; %bb.141:                              ;   in Loop: Header=BB44_7 Depth=1
	s_add_nc_u64 s[16:17], s[14:15], s[50:51]
	s_mov_b32 s18, s25
	s_wait_alu 0xfffe
	s_mov_b32 s19, s17
	s_delay_alu instid0(SALU_CYCLE_1)
	s_cmp_lg_u64 s[18:19], 0
	s_cbranch_scc0 .LBB44_185
; %bb.142:                              ;   in Loop: Header=BB44_7 Depth=1
	s_add_nc_u64 s[18:19], s[44:45], 0
	s_delay_alu instid0(SALU_CYCLE_1) | instskip(NEXT) | instid1(SALU_CYCLE_1)
	s_xor_b64 s[18:19], s[18:19], 0
	s_cvt_f32_u32 s23, s18
	s_cvt_f32_u32 s24, s19
	s_sub_nc_u64 s[64:65], 0, s[18:19]
	s_wait_alu 0xfffe
	s_delay_alu instid0(SALU_CYCLE_1) | instskip(SKIP_1) | instid1(SALU_CYCLE_2)
	s_fmamk_f32 s23, s24, 0x4f800000, s23
	s_wait_alu 0xfffe
	v_s_rcp_f32 s23, s23
	s_delay_alu instid0(TRANS32_DEP_1) | instskip(SKIP_1) | instid1(SALU_CYCLE_2)
	s_mul_f32 s23, s23, 0x5f7ffffc
	s_wait_alu 0xfffe
	s_mul_f32 s24, s23, 0x2f800000
	s_wait_alu 0xfffe
	s_delay_alu instid0(SALU_CYCLE_2) | instskip(SKIP_1) | instid1(SALU_CYCLE_2)
	s_trunc_f32 s24, s24
	s_wait_alu 0xfffe
	s_fmamk_f32 s23, s24, 0xcf800000, s23
	s_cvt_u32_f32 s63, s24
	s_wait_alu 0xfffe
	s_delay_alu instid0(SALU_CYCLE_1) | instskip(SKIP_1) | instid1(SALU_CYCLE_2)
	s_cvt_u32_f32 s62, s23
	s_wait_alu 0xfffe
	s_mul_u64 s[66:67], s[64:65], s[62:63]
	s_wait_alu 0xfffe
	s_mul_hi_u32 s69, s62, s67
	s_mul_i32 s68, s62, s67
	s_mul_hi_u32 s24, s62, s66
	s_mul_i32 s58, s63, s66
	s_wait_alu 0xfffe
	s_add_nc_u64 s[68:69], s[24:25], s[68:69]
	s_mul_hi_u32 s23, s63, s66
	s_mul_hi_u32 s61, s63, s67
	s_wait_alu 0xfffe
	s_add_co_u32 s24, s68, s58
	s_add_co_ci_u32 s24, s69, s23
	s_mul_i32 s66, s63, s67
	s_add_co_ci_u32 s67, s61, 0
	s_wait_alu 0xfffe
	s_add_nc_u64 s[66:67], s[24:25], s[66:67]
	s_wait_alu 0xfffe
	s_add_co_u32 s62, s62, s66
	s_cselect_b32 s23, -1, 0
	s_wait_alu 0xfffe
	s_cmp_lg_u32 s23, 0
	s_add_co_ci_u32 s63, s63, s67
	s_wait_alu 0xfffe
	s_mul_u64 s[64:65], s[64:65], s[62:63]
	s_wait_alu 0xfffe
	s_mul_hi_u32 s67, s62, s65
	s_mul_i32 s66, s62, s65
	s_mul_hi_u32 s24, s62, s64
	s_mul_i32 s58, s63, s64
	s_wait_alu 0xfffe
	s_add_nc_u64 s[66:67], s[24:25], s[66:67]
	s_mul_hi_u32 s23, s63, s64
	s_mul_hi_u32 s61, s63, s65
	s_wait_alu 0xfffe
	s_add_co_u32 s24, s66, s58
	s_add_co_ci_u32 s24, s67, s23
	s_mul_i32 s64, s63, s65
	s_add_co_ci_u32 s65, s61, 0
	s_wait_alu 0xfffe
	s_add_nc_u64 s[64:65], s[24:25], s[64:65]
	s_wait_alu 0xfffe
	s_add_co_u32 s23, s62, s64
	s_cselect_b32 s24, -1, 0
	s_wait_alu 0xfffe
	s_cmp_lg_u32 s24, 0
	s_add_co_ci_u32 s58, s63, s65
	s_ashr_i32 s62, s17, 31
	s_wait_alu 0xfffe
	s_mov_b32 s63, s62
	s_wait_alu 0xfffe
	s_add_nc_u64 s[64:65], s[16:17], s[62:63]
	s_wait_alu 0xfffe
	s_xor_b64 s[64:65], s[64:65], s[62:63]
	s_wait_alu 0xfffe
	s_mul_hi_u32 s67, s64, s58
	s_mul_i32 s66, s64, s58
	s_mul_hi_u32 s24, s64, s23
	s_mul_hi_u32 s69, s65, s23
	s_mul_i32 s23, s65, s23
	s_wait_alu 0xfffe
	s_add_nc_u64 s[66:67], s[24:25], s[66:67]
	s_mul_hi_u32 s61, s65, s58
	s_wait_alu 0xfffe
	s_add_co_u32 s23, s66, s23
	s_add_co_ci_u32 s24, s67, s69
	s_mul_i32 s68, s65, s58
	s_add_co_ci_u32 s69, s61, 0
	s_wait_alu 0xfffe
	s_add_nc_u64 s[66:67], s[24:25], s[68:69]
	s_wait_alu 0xfffe
	s_mul_u64 s[66:67], s[18:19], s[66:67]
	s_wait_alu 0xfffe
	s_sub_co_u32 s23, s64, s66
	s_cselect_b32 s24, -1, 0
	s_sub_co_i32 s58, s65, s67
	s_wait_alu 0xfffe
	s_cmp_lg_u32 s24, 0
	s_sub_co_ci_u32 s58, s58, s19
	s_sub_co_u32 s61, s23, s18
	s_cselect_b32 s64, -1, 0
	s_wait_alu 0xfffe
	s_cmp_lg_u32 s64, 0
	s_sub_co_ci_u32 s66, s58, 0
	s_wait_alu 0xfffe
	s_cmp_ge_u32 s66, s19
	s_cselect_b32 s68, -1, 0
	s_cmp_ge_u32 s61, s18
	s_cselect_b32 s69, -1, 0
	s_cmp_eq_u32 s66, s19
	s_wait_alu 0xfffe
	s_cselect_b32 s68, s69, s68
	s_cmp_lg_u32 s64, 0
	s_sub_co_ci_u32 s58, s58, s19
	s_sub_co_u32 s64, s61, s18
	s_cselect_b32 s69, -1, 0
	s_wait_alu 0xfffe
	s_cmp_lg_u32 s69, 0
	s_sub_co_ci_u32 s58, s58, 0
	s_cmp_lg_u32 s68, 0
	s_cselect_b32 s61, s64, s61
	s_wait_alu 0xfffe
	s_cselect_b32 s58, s58, s66
	s_cmp_lg_u32 s24, 0
	s_sub_co_ci_u32 s24, s65, s67
	s_wait_alu 0xfffe
	s_cmp_ge_u32 s24, s19
	s_cselect_b32 s64, -1, 0
	s_cmp_ge_u32 s23, s18
	s_cselect_b32 s18, -1, 0
	s_cmp_eq_u32 s24, s19
	s_wait_alu 0xfffe
	s_cselect_b32 s18, s18, s64
	s_delay_alu instid0(SALU_CYCLE_1) | instskip(SKIP_2) | instid1(SALU_CYCLE_1)
	s_cmp_lg_u32 s18, 0
	s_cselect_b32 s19, s58, s24
	s_cselect_b32 s18, s61, s23
	s_xor_b64 s[18:19], s[18:19], s[62:63]
	s_delay_alu instid0(SALU_CYCLE_1)
	s_sub_nc_u64 s[18:19], s[18:19], s[62:63]
	s_cbranch_execnz .LBB44_144
.LBB44_143:                             ;   in Loop: Header=BB44_7 Depth=1
	v_cvt_f32_u32_e32 v2, s44
	s_sub_co_i32 s19, 0, s44
	s_delay_alu instid0(VALU_DEP_1) | instskip(NEXT) | instid1(TRANS32_DEP_1)
	v_rcp_iflag_f32_e32 v2, v2
	v_mul_f32_e32 v2, 0x4f7ffffe, v2
	s_delay_alu instid0(VALU_DEP_1) | instskip(NEXT) | instid1(VALU_DEP_1)
	v_cvt_u32_f32_e32 v2, v2
	v_readfirstlane_b32 s18, v2
	s_mul_i32 s19, s19, s18
	s_delay_alu instid0(SALU_CYCLE_1) | instskip(NEXT) | instid1(SALU_CYCLE_1)
	s_mul_hi_u32 s19, s18, s19
	s_add_co_i32 s18, s18, s19
	s_delay_alu instid0(SALU_CYCLE_1) | instskip(NEXT) | instid1(SALU_CYCLE_1)
	s_mul_hi_u32 s18, s16, s18
	s_mul_i32 s18, s18, s44
	s_delay_alu instid0(SALU_CYCLE_1) | instskip(NEXT) | instid1(SALU_CYCLE_1)
	s_sub_co_i32 s18, s16, s18
	s_sub_co_i32 s19, s18, s44
	s_cmp_ge_u32 s18, s44
	s_cselect_b32 s18, s19, s18
	s_delay_alu instid0(SALU_CYCLE_1)
	s_sub_co_i32 s19, s18, s44
	s_cmp_ge_u32 s18, s44
	s_cselect_b32 s24, s19, s18
	s_wait_alu 0xfffe
	s_mov_b64 s[18:19], s[24:25]
.LBB44_144:                             ;   in Loop: Header=BB44_7 Depth=1
	s_delay_alu instid0(SALU_CYCLE_1)
	s_sub_nc_u64 s[16:17], s[16:17], s[18:19]
	s_mov_b32 s18, exec_lo
                                        ; implicit-def: $vgpr6_vgpr7
	s_wait_alu 0xfffe
	v_cmpx_gt_i64_e64 s[16:17], v[0:1]
	s_cbranch_execz .LBB44_154
; %bb.145:                              ;   in Loop: Header=BB44_7 Depth=1
	v_dual_mov_b32 v14, v42 :: v_dual_mov_b32 v9, v1
	v_mov_b32_e32 v8, v0
	s_mov_b32 s19, 0
                                        ; implicit-def: $sgpr23
	s_branch .LBB44_149
.LBB44_146:                             ;   in Loop: Header=BB44_149 Depth=2
	s_wait_alu 0xfffe
	s_or_b32 exec_lo, exec_lo, s24
	s_wait_loadcnt_dscnt 0x0
	s_barrier_signal -1
	s_barrier_wait -1
	global_inv scope:SCOPE_SE
	ds_load_b128 v[4:7], v19 offset:3072
	s_wait_loadcnt_dscnt 0x0
	s_barrier_signal -1
	s_barrier_wait -1
	global_inv scope:SCOPE_SE
	v_cmp_eq_f64_e32 vcc_lo, 0, v[4:5]
	s_cbranch_vccz .LBB44_152
; %bb.147:                              ;   in Loop: Header=BB44_149 Depth=2
	v_add_co_u32 v8, vcc_lo, v8, s44
	s_wait_alu 0xfffd
	v_add_co_ci_u32_e64 v9, null, 0, v9, vcc_lo
	v_add_nc_u32_e32 v14, s86, v14
	s_mov_b32 s24, 0
	s_delay_alu instid0(VALU_DEP_2)
	v_cmp_le_i64_e32 vcc_lo, s[16:17], v[8:9]
	s_or_not1_b32 s58, vcc_lo, exec_lo
.LBB44_148:                             ;   in Loop: Header=BB44_149 Depth=2
	s_wait_alu 0xfffe
	s_and_b32 s58, exec_lo, s58
	s_wait_alu 0xfffe
	s_or_b32 s19, s58, s19
	s_and_not1_b32 s23, s23, exec_lo
	s_and_b32 s24, s24, exec_lo
	s_wait_alu 0xfffe
	s_or_b32 s23, s23, s24
	s_and_not1_b32 exec_lo, exec_lo, s19
	s_cbranch_execz .LBB44_153
.LBB44_149:                             ;   Parent Loop BB44_7 Depth=1
                                        ; =>  This Inner Loop Header: Depth=2
	s_mov_b32 s24, exec_lo
	s_delay_alu instid0(VALU_DEP_1)
	v_cmpx_gt_u64_e64 s[14:15], v[8:9]
	s_cbranch_execz .LBB44_146
; %bb.150:                              ;   in Loop: Header=BB44_149 Depth=2
	ds_load_b64 v[4:5], v14
	s_wait_dscnt 0x0
	v_cmp_o_f64_e32 vcc_lo, v[4:5], v[4:5]
	v_ashrrev_i32_e32 v2, 31, v5
	s_delay_alu instid0(VALU_DEP_1) | instskip(SKIP_1) | instid1(VALU_DEP_2)
	v_or_b32_e32 v6, 0x80000000, v2
	v_xor_b32_e32 v2, v2, v4
	v_xor_b32_e32 v6, v6, v5
	s_wait_alu 0xfffd
	s_delay_alu instid0(VALU_DEP_1) | instskip(NEXT) | instid1(VALU_DEP_1)
	v_cndmask_b32_e32 v6, -1, v6, vcc_lo
	v_dual_cndmask_b32 v2, -1, v2 :: v_dual_and_b32 v7, v6, v32
	s_delay_alu instid0(VALU_DEP_1) | instskip(NEXT) | instid1(VALU_DEP_1)
	v_and_b32_e32 v6, v2, v31
	v_cmp_eq_u64_e32 vcc_lo, v[6:7], v[27:28]
	s_and_b32 exec_lo, exec_lo, vcc_lo
	s_cbranch_execz .LBB44_146
; %bb.151:                              ;   in Loop: Header=BB44_149 Depth=2
	v_mov_b32_e32 v2, v19
	ds_store_b128 v19, v[2:5] offset:3072
	s_branch .LBB44_146
.LBB44_152:                             ;   in Loop: Header=BB44_149 Depth=2
	s_mov_b32 s58, -1
	s_mov_b32 s24, -1
                                        ; implicit-def: $vgpr8_vgpr9
                                        ; implicit-def: $vgpr14
	s_branch .LBB44_148
.LBB44_153:                             ;   in Loop: Header=BB44_7 Depth=1
	s_or_b32 exec_lo, exec_lo, s19
	s_delay_alu instid0(SALU_CYCLE_1)
	s_and_not1_b32 s5, s5, exec_lo
	s_wait_alu 0xfffe
	s_and_b32 s14, s23, exec_lo
	s_wait_alu 0xfffe
	s_or_b32 s5, s5, s14
.LBB44_154:                             ;   in Loop: Header=BB44_7 Depth=1
	s_or_b32 exec_lo, exec_lo, s18
	s_mov_b32 s23, 0
	s_mov_b32 s58, -1
.LBB44_155:                             ;   in Loop: Header=BB44_7 Depth=1
	s_wait_alu 0xfffe
	s_or_not1_b32 s5, s5, exec_lo
.LBB44_156:                             ;   in Loop: Header=BB44_7 Depth=1
	s_wait_alu 0xfffe
	s_or_b32 exec_lo, exec_lo, s59
	s_mov_b32 s14, 0
	s_and_saveexec_b32 s59, s5
	s_cbranch_execz .LBB44_266
; %bb.157:                              ;   in Loop: Header=BB44_7 Depth=1
	v_dual_mov_b32 v8, 1 :: v_dual_mov_b32 v35, 1
	v_mov_b32_e32 v9, 0
	s_xor_b32 s15, s60, -1
	s_wait_alu 0xfffe
	s_and_saveexec_b32 s5, s15
	s_cbranch_execz .LBB44_167
; %bb.158:                              ;   in Loop: Header=BB44_7 Depth=1
	s_mov_b32 s14, exec_lo
	v_cmpx_le_i64_e64 v[12:13], v[10:11]
	s_wait_alu 0xfffe
	s_xor_b32 s14, exec_lo, s14
	s_cbranch_execz .LBB44_164
; %bb.159:                              ;   in Loop: Header=BB44_7 Depth=1
	ds_load_b64 v[4:5], v19 offset:5120
	v_and_b32_e32 v2, s13, v28
	v_and_b32_e32 v8, s12, v27
	s_lshl_b64 s[16:17], 1, s87
	v_or_b32_e32 v32, s9, v32
	v_or_b32_e32 v31, s8, v31
	s_wait_alu 0xfffe
	v_or_b32_e32 v28, s17, v2
	v_or_b32_e32 v27, s16, v8
	s_wait_dscnt 0x0
	v_cmp_ne_u64_e32 vcc_lo, 0, v[4:5]
	s_cbranch_vccnz .LBB44_163
; %bb.160:                              ;   in Loop: Header=BB44_7 Depth=1
	s_and_saveexec_b32 s15, s2
; %bb.161:                              ;   in Loop: Header=BB44_7 Depth=1
	ds_store_b64 v19, v[10:11] offset:5128
; %bb.162:                              ;   in Loop: Header=BB44_7 Depth=1
	s_wait_alu 0xfffe
	s_or_b32 exec_lo, exec_lo, s15
	s_wait_loadcnt_dscnt 0x0
	s_barrier_signal -1
	s_barrier_wait -1
	global_inv scope:SCOPE_SE
.LBB44_163:                             ;   in Loop: Header=BB44_7 Depth=1
                                        ; implicit-def: $vgpr8_vgpr9_vgpr10_vgpr11
.LBB44_164:                             ;   in Loop: Header=BB44_7 Depth=1
	s_wait_alu 0xfffe
	s_or_saveexec_b32 s14, s14
	v_mov_b32_e32 v35, 8
	s_mov_b32 s15, 0
	s_wait_alu 0xfffe
	s_xor_b32 exec_lo, exec_lo, s14
; %bb.165:                              ;   in Loop: Header=BB44_7 Depth=1
	v_sub_co_u32 v12, vcc_lo, v12, v10
	s_wait_alu 0xfffd
	v_sub_co_ci_u32_e64 v13, null, v13, v11, vcc_lo
	v_mov_b32_e32 v35, 0
	s_mov_b32 s15, exec_lo
; %bb.166:                              ;   in Loop: Header=BB44_7 Depth=1
	s_or_b32 exec_lo, exec_lo, s14
	s_delay_alu instid0(VALU_DEP_2)
	v_dual_mov_b32 v8, v12 :: v_dual_mov_b32 v9, v13
	s_wait_alu 0xfffe
	s_and_b32 s14, s15, exec_lo
.LBB44_167:                             ;   in Loop: Header=BB44_7 Depth=1
	s_wait_alu 0xfffe
	s_or_b32 exec_lo, exec_lo, s5
	s_mov_b32 s5, -1
                                        ; implicit-def: $sgpr18
                                        ; implicit-def: $sgpr19
	s_and_saveexec_b32 s60, s14
	s_cbranch_execz .LBB44_265
; %bb.168:                              ;   in Loop: Header=BB44_7 Depth=1
	v_cmp_eq_u64_e32 vcc_lo, 1, v[8:9]
	s_cmp_eq_u64 s[10:11], 1
                                        ; implicit-def: $sgpr19
                                        ; implicit-def: $sgpr18
	s_cselect_b32 s5, -1, 0
	s_wait_alu 0xfffe
	s_and_b32 s61, s5, vcc_lo
	s_mov_b32 s5, -1
	s_wait_alu 0xfffe
	s_and_saveexec_b32 s62, s61
	s_cbranch_execz .LBB44_204
; %bb.169:                              ;   in Loop: Header=BB44_7 Depth=1
	ds_load_b64 v[4:5], v19 offset:5120
	s_wait_loadcnt_dscnt 0x0
	s_barrier_signal -1
	s_barrier_wait -1
	global_inv scope:SCOPE_SE
	v_readfirstlane_b32 s14, v4
	v_readfirstlane_b32 s15, v5
	s_and_saveexec_b32 s5, s3
; %bb.170:                              ;   in Loop: Header=BB44_7 Depth=1
	v_mov_b32_e32 v18, v19
	ds_store_b64 v43, v[18:19]
; %bb.171:                              ;   in Loop: Header=BB44_7 Depth=1
	s_wait_alu 0xfffe
	s_or_b32 exec_lo, exec_lo, s5
	v_and_b32_e32 v2, s13, v28
	v_and_b32_e32 v4, s12, v27
	v_cmp_gt_i64_e64 s5, s[14:15], 0
	s_lshl_b64 s[16:17], 2, s87
	v_or_b32_e32 v32, s9, v32
	s_wait_alu 0xfffe
	v_or_b32_e32 v28, s17, v2
	v_or_b32_e32 v27, s16, v4
	;; [unrolled: 1-line block ×3, first 2 shown]
	s_mov_b32 s18, -1
	s_mov_b32 s19, 0
	s_and_b32 vcc_lo, exec_lo, s5
	s_mov_b32 s5, 0
	s_mov_b32 s24, -1
	s_wait_loadcnt_dscnt 0x0
	s_barrier_signal -1
	s_barrier_wait -1
	global_inv scope:SCOPE_SE
                                        ; implicit-def: $vgpr6_vgpr7
	s_wait_alu 0xfffe
	s_cbranch_vccnz .LBB44_188
; %bb.172:                              ;   in Loop: Header=BB44_7 Depth=1
	s_mov_b32 s16, s25
	s_mov_b32 s17, s53
	s_wait_alu 0xfffe
	s_cmp_lg_u64 s[16:17], 0
	s_cbranch_scc0 .LBB44_231
; %bb.173:                              ;   in Loop: Header=BB44_7 Depth=1
	s_add_nc_u64 s[16:17], s[44:45], 0
	s_wait_alu 0xfffe
	s_xor_b64 s[16:17], s[16:17], 0
	s_wait_alu 0xfffe
	s_cvt_f32_u32 s5, s16
	s_cvt_f32_u32 s24, s17
	s_sub_nc_u64 s[66:67], 0, s[16:17]
	s_wait_alu 0xfffe
	s_delay_alu instid0(SALU_CYCLE_1) | instskip(SKIP_1) | instid1(SALU_CYCLE_2)
	s_fmamk_f32 s5, s24, 0x4f800000, s5
	s_wait_alu 0xfffe
	v_s_rcp_f32 s5, s5
	s_delay_alu instid0(TRANS32_DEP_1) | instskip(SKIP_1) | instid1(SALU_CYCLE_2)
	s_mul_f32 s5, s5, 0x5f7ffffc
	s_wait_alu 0xfffe
	s_mul_f32 s24, s5, 0x2f800000
	s_wait_alu 0xfffe
	s_delay_alu instid0(SALU_CYCLE_2) | instskip(SKIP_1) | instid1(SALU_CYCLE_2)
	s_trunc_f32 s24, s24
	s_wait_alu 0xfffe
	s_fmamk_f32 s5, s24, 0xcf800000, s5
	s_cvt_u32_f32 s65, s24
	s_wait_alu 0xfffe
	s_delay_alu instid0(SALU_CYCLE_1) | instskip(SKIP_1) | instid1(SALU_CYCLE_2)
	s_cvt_u32_f32 s64, s5
	s_wait_alu 0xfffe
	s_mul_u64 s[68:69], s[66:67], s[64:65]
	s_wait_alu 0xfffe
	s_mul_hi_u32 s71, s64, s69
	s_mul_i32 s70, s64, s69
	s_mul_hi_u32 s24, s64, s68
	s_mul_i32 s63, s65, s68
	s_wait_alu 0xfffe
	s_add_nc_u64 s[70:71], s[24:25], s[70:71]
	s_mul_hi_u32 s5, s65, s68
	s_mul_hi_u32 s72, s65, s69
	s_wait_alu 0xfffe
	s_add_co_u32 s24, s70, s63
	s_add_co_ci_u32 s24, s71, s5
	s_mul_i32 s68, s65, s69
	s_add_co_ci_u32 s69, s72, 0
	s_wait_alu 0xfffe
	s_add_nc_u64 s[68:69], s[24:25], s[68:69]
	s_wait_alu 0xfffe
	s_add_co_u32 s64, s64, s68
	s_cselect_b32 s5, -1, 0
	s_wait_alu 0xfffe
	s_cmp_lg_u32 s5, 0
	s_add_co_ci_u32 s65, s65, s69
	s_wait_alu 0xfffe
	s_mul_u64 s[66:67], s[66:67], s[64:65]
	s_wait_alu 0xfffe
	s_mul_hi_u32 s69, s64, s67
	s_mul_i32 s68, s64, s67
	s_mul_hi_u32 s24, s64, s66
	s_mul_i32 s63, s65, s66
	s_wait_alu 0xfffe
	s_add_nc_u64 s[68:69], s[24:25], s[68:69]
	s_mul_hi_u32 s5, s65, s66
	s_mul_hi_u32 s70, s65, s67
	s_wait_alu 0xfffe
	s_add_co_u32 s24, s68, s63
	s_add_co_ci_u32 s24, s69, s5
	s_mul_i32 s66, s65, s67
	s_add_co_ci_u32 s67, s70, 0
	s_wait_alu 0xfffe
	s_add_nc_u64 s[66:67], s[24:25], s[66:67]
	s_wait_alu 0xfffe
	s_add_co_u32 s5, s64, s66
	s_cselect_b32 s24, -1, 0
	s_wait_alu 0xfffe
	s_cmp_lg_u32 s24, 0
	s_add_co_ci_u32 s63, s65, s67
	s_ashr_i32 s64, s53, 31
	s_wait_alu 0xfffe
	s_mov_b32 s65, s64
	s_wait_alu 0xfffe
	s_add_nc_u64 s[66:67], s[52:53], s[64:65]
	s_wait_alu 0xfffe
	s_xor_b64 s[66:67], s[66:67], s[64:65]
	s_wait_alu 0xfffe
	s_mul_hi_u32 s69, s66, s63
	s_mul_i32 s68, s66, s63
	s_mul_hi_u32 s24, s66, s5
	s_mul_hi_u32 s72, s67, s5
	s_mul_i32 s5, s67, s5
	s_wait_alu 0xfffe
	s_add_nc_u64 s[68:69], s[24:25], s[68:69]
	s_mul_hi_u32 s71, s67, s63
	s_wait_alu 0xfffe
	s_add_co_u32 s5, s68, s5
	s_add_co_ci_u32 s24, s69, s72
	s_mul_i32 s70, s67, s63
	s_add_co_ci_u32 s71, s71, 0
	s_wait_alu 0xfffe
	s_add_nc_u64 s[68:69], s[24:25], s[70:71]
	s_wait_alu 0xfffe
	s_mul_u64 s[68:69], s[16:17], s[68:69]
	s_wait_alu 0xfffe
	s_sub_co_u32 s5, s66, s68
	s_cselect_b32 s24, -1, 0
	s_sub_co_i32 s63, s67, s69
	s_wait_alu 0xfffe
	s_cmp_lg_u32 s24, 0
	s_sub_co_ci_u32 s63, s63, s17
	s_sub_co_u32 s66, s5, s16
	s_cselect_b32 s68, -1, 0
	s_wait_alu 0xfffe
	s_cmp_lg_u32 s68, 0
	s_sub_co_ci_u32 s70, s63, 0
	s_wait_alu 0xfffe
	s_cmp_ge_u32 s70, s17
	s_cselect_b32 s71, -1, 0
	s_cmp_ge_u32 s66, s16
	s_cselect_b32 s72, -1, 0
	s_cmp_eq_u32 s70, s17
	s_wait_alu 0xfffe
	s_cselect_b32 s71, s72, s71
	s_cmp_lg_u32 s68, 0
	s_sub_co_ci_u32 s63, s63, s17
	s_sub_co_u32 s68, s66, s16
	s_cselect_b32 s72, -1, 0
	s_wait_alu 0xfffe
	s_cmp_lg_u32 s72, 0
	s_sub_co_ci_u32 s63, s63, 0
	s_cmp_lg_u32 s71, 0
	s_cselect_b32 s66, s68, s66
	s_wait_alu 0xfffe
	s_cselect_b32 s63, s63, s70
	s_cmp_lg_u32 s24, 0
	s_sub_co_ci_u32 s24, s67, s69
	s_wait_alu 0xfffe
	s_cmp_ge_u32 s24, s17
	s_cselect_b32 s67, -1, 0
	s_cmp_ge_u32 s5, s16
	s_cselect_b32 s16, -1, 0
	s_cmp_eq_u32 s24, s17
	s_wait_alu 0xfffe
	s_cselect_b32 s16, s16, s67
	s_wait_alu 0xfffe
	s_cmp_lg_u32 s16, 0
	s_cselect_b32 s17, s63, s24
	s_cselect_b32 s16, s66, s5
	s_wait_alu 0xfffe
	s_xor_b64 s[16:17], s[16:17], s[64:65]
	s_wait_alu 0xfffe
	s_sub_nc_u64 s[16:17], s[16:17], s[64:65]
	s_cbranch_execnz .LBB44_175
.LBB44_174:                             ;   in Loop: Header=BB44_7 Depth=1
	v_cvt_f32_u32_e32 v2, s44
	s_sub_co_i32 s16, 0, s44
	s_delay_alu instid0(VALU_DEP_1) | instskip(NEXT) | instid1(TRANS32_DEP_1)
	v_rcp_iflag_f32_e32 v2, v2
	v_mul_f32_e32 v2, 0x4f7ffffe, v2
	s_delay_alu instid0(VALU_DEP_1) | instskip(NEXT) | instid1(VALU_DEP_1)
	v_cvt_u32_f32_e32 v2, v2
	v_readfirstlane_b32 s5, v2
	s_wait_alu 0xfffe
	s_mul_i32 s16, s16, s5
	s_wait_alu 0xfffe
	s_mul_hi_u32 s16, s5, s16
	s_wait_alu 0xfffe
	s_add_co_i32 s5, s5, s16
	s_wait_alu 0xfffe
	s_mul_hi_u32 s5, s52, s5
	s_wait_alu 0xfffe
	s_mul_i32 s5, s5, s44
	s_wait_alu 0xfffe
	s_sub_co_i32 s5, s52, s5
	s_wait_alu 0xfffe
	s_sub_co_i32 s16, s5, s44
	s_cmp_ge_u32 s5, s44
	s_wait_alu 0xfffe
	s_cselect_b32 s5, s16, s5
	s_wait_alu 0xfffe
	s_sub_co_i32 s16, s5, s44
	s_cmp_ge_u32 s5, s44
	s_wait_alu 0xfffe
	s_cselect_b32 s24, s16, s5
	s_wait_alu 0xfffe
	s_mov_b64 s[16:17], s[24:25]
.LBB44_175:                             ;   in Loop: Header=BB44_7 Depth=1
	s_wait_alu 0xfffe
	s_sub_nc_u64 s[16:17], s[52:53], s[16:17]
	s_mov_b32 s24, 0
	s_mov_b32 s5, 0
	s_mov_b32 s63, exec_lo
                                        ; implicit-def: $vgpr6_vgpr7
	s_wait_alu 0xfffe
	v_cmpx_gt_i64_e64 s[16:17], v[0:1]
	s_cbranch_execz .LBB44_187
; %bb.176:                              ;   in Loop: Header=BB44_7 Depth=1
	v_dual_mov_b32 v10, v16 :: v_dual_mov_b32 v11, v17
	v_dual_mov_b32 v13, v1 :: v_dual_mov_b32 v12, v0
	s_mov_b32 s64, 0
                                        ; implicit-def: $sgpr65
	s_branch .LBB44_180
.LBB44_177:                             ;   in Loop: Header=BB44_180 Depth=2
	s_wait_alu 0xfffe
	s_or_b32 exec_lo, exec_lo, s5
	s_wait_loadcnt_dscnt 0x0
	s_barrier_signal -1
	s_barrier_wait -1
	global_inv scope:SCOPE_SE
	ds_load_b128 v[4:7], v19 offset:3072
	s_wait_loadcnt_dscnt 0x0
	s_barrier_signal -1
	s_barrier_wait -1
	global_inv scope:SCOPE_SE
	v_cmp_neq_f64_e32 vcc_lo, 0, v[4:5]
	s_cbranch_vccnz .LBB44_183
; %bb.178:                              ;   in Loop: Header=BB44_180 Depth=2
	v_add_co_u32 v12, vcc_lo, v12, s44
	s_wait_alu 0xfffd
	v_add_co_ci_u32_e64 v13, null, 0, v13, vcc_lo
	v_add_co_u32 v10, s5, v10, s46
	s_wait_alu 0xf1ff
	v_add_co_ci_u32_e64 v11, null, s47, v11, s5
	s_delay_alu instid0(VALU_DEP_3)
	v_cmp_le_i64_e32 vcc_lo, s[16:17], v[12:13]
	s_mov_b32 s5, 0
	s_or_not1_b32 s66, vcc_lo, exec_lo
.LBB44_179:                             ;   in Loop: Header=BB44_180 Depth=2
	s_wait_alu 0xfffe
	s_and_b32 s66, exec_lo, s66
	s_wait_alu 0xfffe
	s_or_b32 s64, s66, s64
	s_and_not1_b32 s65, s65, exec_lo
	s_and_b32 s5, s5, exec_lo
	s_wait_alu 0xfffe
	s_or_b32 s65, s65, s5
	s_and_not1_b32 exec_lo, exec_lo, s64
	s_cbranch_execz .LBB44_186
.LBB44_180:                             ;   Parent Loop BB44_7 Depth=1
                                        ; =>  This Inner Loop Header: Depth=2
	s_mov_b32 s5, exec_lo
	s_delay_alu instid0(VALU_DEP_1)
	v_cmpx_gt_i64_e64 s[36:37], v[12:13]
	s_cbranch_execz .LBB44_177
; %bb.181:                              ;   in Loop: Header=BB44_180 Depth=2
	global_load_b64 v[4:5], v[10:11], off
	s_wait_loadcnt 0x0
	v_cmp_o_f64_e32 vcc_lo, v[4:5], v[4:5]
	v_ashrrev_i32_e32 v2, 31, v5
	s_delay_alu instid0(VALU_DEP_1) | instskip(SKIP_1) | instid1(VALU_DEP_2)
	v_or_b32_e32 v6, 0x80000000, v2
	v_xor_b32_e32 v2, v2, v4
	v_xor_b32_e32 v6, v6, v5
	s_wait_alu 0xfffd
	s_delay_alu instid0(VALU_DEP_1) | instskip(NEXT) | instid1(VALU_DEP_1)
	v_cndmask_b32_e32 v6, -1, v6, vcc_lo
	v_dual_cndmask_b32 v2, -1, v2 :: v_dual_and_b32 v7, v6, v32
	s_delay_alu instid0(VALU_DEP_1) | instskip(NEXT) | instid1(VALU_DEP_1)
	v_and_b32_e32 v6, v2, v31
	v_cmp_eq_u64_e32 vcc_lo, v[6:7], v[27:28]
	s_and_b32 exec_lo, exec_lo, vcc_lo
	s_cbranch_execz .LBB44_177
; %bb.182:                              ;   in Loop: Header=BB44_180 Depth=2
	v_mov_b32_e32 v2, v19
	ds_store_b128 v19, v[2:5] offset:3072
	s_branch .LBB44_177
.LBB44_183:                             ;   in Loop: Header=BB44_180 Depth=2
	s_mov_b32 s66, -1
	s_mov_b32 s5, -1
                                        ; implicit-def: $vgpr12_vgpr13
                                        ; implicit-def: $vgpr10_vgpr11
	s_branch .LBB44_179
.LBB44_184:                             ;   in Loop: Header=BB44_7 Depth=1
                                        ; implicit-def: $sgpr16_sgpr17
	s_branch .LBB44_126
.LBB44_185:                             ;   in Loop: Header=BB44_7 Depth=1
                                        ; implicit-def: $sgpr18_sgpr19
	s_branch .LBB44_143
.LBB44_186:                             ;   in Loop: Header=BB44_7 Depth=1
	s_or_b32 exec_lo, exec_lo, s64
	s_wait_alu 0xfffe
	s_and_b32 s5, s65, exec_lo
.LBB44_187:                             ;   in Loop: Header=BB44_7 Depth=1
	s_or_b32 exec_lo, exec_lo, s63
.LBB44_188:                             ;   in Loop: Header=BB44_7 Depth=1
	s_delay_alu instid0(SALU_CYCLE_1)
	s_and_b32 vcc_lo, exec_lo, s24
	s_wait_alu 0xfffe
	s_cbranch_vccz .LBB44_203
; %bb.189:                              ;   in Loop: Header=BB44_7 Depth=1
	s_add_nc_u64 s[16:17], s[14:15], s[50:51]
	s_mov_b32 s18, s25
	s_wait_alu 0xfffe
	s_mov_b32 s19, s17
	s_delay_alu instid0(SALU_CYCLE_1)
	s_cmp_lg_u64 s[18:19], 0
	s_cbranch_scc0 .LBB44_232
; %bb.190:                              ;   in Loop: Header=BB44_7 Depth=1
	s_add_nc_u64 s[18:19], s[44:45], 0
	s_delay_alu instid0(SALU_CYCLE_1) | instskip(NEXT) | instid1(SALU_CYCLE_1)
	s_xor_b64 s[18:19], s[18:19], 0
	s_cvt_f32_u32 s24, s18
	s_cvt_f32_u32 s63, s19
	s_sub_nc_u64 s[66:67], 0, s[18:19]
	s_wait_alu 0xfffe
	s_delay_alu instid0(SALU_CYCLE_1) | instskip(SKIP_1) | instid1(SALU_CYCLE_2)
	s_fmamk_f32 s24, s63, 0x4f800000, s24
	s_wait_alu 0xfffe
	v_s_rcp_f32 s24, s24
	s_delay_alu instid0(TRANS32_DEP_1) | instskip(SKIP_1) | instid1(SALU_CYCLE_2)
	s_mul_f32 s24, s24, 0x5f7ffffc
	s_wait_alu 0xfffe
	s_mul_f32 s63, s24, 0x2f800000
	s_wait_alu 0xfffe
	s_delay_alu instid0(SALU_CYCLE_2) | instskip(SKIP_1) | instid1(SALU_CYCLE_2)
	s_trunc_f32 s63, s63
	s_wait_alu 0xfffe
	s_fmamk_f32 s24, s63, 0xcf800000, s24
	s_cvt_u32_f32 s65, s63
	s_wait_alu 0xfffe
	s_delay_alu instid0(SALU_CYCLE_1) | instskip(SKIP_1) | instid1(SALU_CYCLE_2)
	s_cvt_u32_f32 s64, s24
	s_wait_alu 0xfffe
	s_mul_u64 s[68:69], s[66:67], s[64:65]
	s_wait_alu 0xfffe
	s_mul_hi_u32 s71, s64, s69
	s_mul_i32 s70, s64, s69
	s_mul_hi_u32 s24, s64, s68
	s_mul_i32 s72, s65, s68
	s_wait_alu 0xfffe
	s_add_nc_u64 s[70:71], s[24:25], s[70:71]
	s_mul_hi_u32 s63, s65, s68
	s_mul_hi_u32 s73, s65, s69
	s_wait_alu 0xfffe
	s_add_co_u32 s24, s70, s72
	s_add_co_ci_u32 s24, s71, s63
	s_mul_i32 s68, s65, s69
	s_add_co_ci_u32 s69, s73, 0
	s_wait_alu 0xfffe
	s_add_nc_u64 s[68:69], s[24:25], s[68:69]
	s_wait_alu 0xfffe
	s_add_co_u32 s64, s64, s68
	s_cselect_b32 s24, -1, 0
	s_wait_alu 0xfffe
	s_cmp_lg_u32 s24, 0
	s_add_co_ci_u32 s65, s65, s69
	s_wait_alu 0xfffe
	s_mul_u64 s[66:67], s[66:67], s[64:65]
	s_wait_alu 0xfffe
	s_mul_hi_u32 s69, s64, s67
	s_mul_i32 s68, s64, s67
	s_mul_hi_u32 s24, s64, s66
	s_mul_i32 s70, s65, s66
	s_wait_alu 0xfffe
	s_add_nc_u64 s[68:69], s[24:25], s[68:69]
	s_mul_hi_u32 s63, s65, s66
	s_mul_hi_u32 s71, s65, s67
	s_wait_alu 0xfffe
	s_add_co_u32 s24, s68, s70
	s_add_co_ci_u32 s24, s69, s63
	s_mul_i32 s66, s65, s67
	s_add_co_ci_u32 s67, s71, 0
	s_wait_alu 0xfffe
	s_add_nc_u64 s[66:67], s[24:25], s[66:67]
	s_wait_alu 0xfffe
	s_add_co_u32 s63, s64, s66
	s_cselect_b32 s24, -1, 0
	s_wait_alu 0xfffe
	s_cmp_lg_u32 s24, 0
	s_add_co_ci_u32 s70, s65, s67
	s_ashr_i32 s64, s17, 31
	s_wait_alu 0xfffe
	s_mov_b32 s65, s64
	s_wait_alu 0xfffe
	s_add_nc_u64 s[66:67], s[16:17], s[64:65]
	s_wait_alu 0xfffe
	s_xor_b64 s[66:67], s[66:67], s[64:65]
	s_wait_alu 0xfffe
	s_mul_hi_u32 s69, s66, s70
	s_mul_i32 s68, s66, s70
	s_mul_hi_u32 s24, s66, s63
	s_mul_hi_u32 s72, s67, s63
	s_mul_i32 s63, s67, s63
	s_wait_alu 0xfffe
	s_add_nc_u64 s[68:69], s[24:25], s[68:69]
	s_mul_hi_u32 s71, s67, s70
	s_wait_alu 0xfffe
	s_add_co_u32 s24, s68, s63
	s_add_co_ci_u32 s24, s69, s72
	s_mul_i32 s70, s67, s70
	s_add_co_ci_u32 s71, s71, 0
	s_wait_alu 0xfffe
	s_add_nc_u64 s[68:69], s[24:25], s[70:71]
	s_wait_alu 0xfffe
	s_mul_u64 s[68:69], s[18:19], s[68:69]
	s_wait_alu 0xfffe
	s_sub_co_u32 s24, s66, s68
	s_cselect_b32 s63, -1, 0
	s_sub_co_i32 s66, s67, s69
	s_wait_alu 0xfffe
	s_cmp_lg_u32 s63, 0
	s_sub_co_ci_u32 s66, s66, s19
	s_sub_co_u32 s68, s24, s18
	s_cselect_b32 s70, -1, 0
	s_wait_alu 0xfffe
	s_cmp_lg_u32 s70, 0
	s_sub_co_ci_u32 s71, s66, 0
	s_wait_alu 0xfffe
	s_cmp_ge_u32 s71, s19
	s_cselect_b32 s72, -1, 0
	s_cmp_ge_u32 s68, s18
	s_cselect_b32 s73, -1, 0
	s_cmp_eq_u32 s71, s19
	s_wait_alu 0xfffe
	s_cselect_b32 s72, s73, s72
	s_cmp_lg_u32 s70, 0
	s_sub_co_ci_u32 s66, s66, s19
	s_sub_co_u32 s70, s68, s18
	s_cselect_b32 s73, -1, 0
	s_wait_alu 0xfffe
	s_cmp_lg_u32 s73, 0
	s_sub_co_ci_u32 s66, s66, 0
	s_cmp_lg_u32 s72, 0
	s_cselect_b32 s68, s70, s68
	s_wait_alu 0xfffe
	s_cselect_b32 s66, s66, s71
	s_cmp_lg_u32 s63, 0
	s_sub_co_ci_u32 s63, s67, s69
	s_wait_alu 0xfffe
	s_cmp_ge_u32 s63, s19
	s_cselect_b32 s67, -1, 0
	s_cmp_ge_u32 s24, s18
	s_cselect_b32 s18, -1, 0
	s_cmp_eq_u32 s63, s19
	s_wait_alu 0xfffe
	s_cselect_b32 s18, s18, s67
	s_delay_alu instid0(SALU_CYCLE_1) | instskip(SKIP_2) | instid1(SALU_CYCLE_1)
	s_cmp_lg_u32 s18, 0
	s_cselect_b32 s19, s66, s63
	s_cselect_b32 s18, s68, s24
	s_xor_b64 s[18:19], s[18:19], s[64:65]
	s_delay_alu instid0(SALU_CYCLE_1)
	s_sub_nc_u64 s[18:19], s[18:19], s[64:65]
	s_cbranch_execnz .LBB44_192
.LBB44_191:                             ;   in Loop: Header=BB44_7 Depth=1
	v_cvt_f32_u32_e32 v2, s44
	s_sub_co_i32 s19, 0, s44
	s_delay_alu instid0(VALU_DEP_1) | instskip(NEXT) | instid1(TRANS32_DEP_1)
	v_rcp_iflag_f32_e32 v2, v2
	v_mul_f32_e32 v2, 0x4f7ffffe, v2
	s_delay_alu instid0(VALU_DEP_1) | instskip(NEXT) | instid1(VALU_DEP_1)
	v_cvt_u32_f32_e32 v2, v2
	v_readfirstlane_b32 s18, v2
	s_mul_i32 s19, s19, s18
	s_delay_alu instid0(SALU_CYCLE_1) | instskip(NEXT) | instid1(SALU_CYCLE_1)
	s_mul_hi_u32 s19, s18, s19
	s_add_co_i32 s18, s18, s19
	s_delay_alu instid0(SALU_CYCLE_1) | instskip(NEXT) | instid1(SALU_CYCLE_1)
	s_mul_hi_u32 s18, s16, s18
	s_mul_i32 s18, s18, s44
	s_delay_alu instid0(SALU_CYCLE_1) | instskip(NEXT) | instid1(SALU_CYCLE_1)
	s_sub_co_i32 s18, s16, s18
	s_sub_co_i32 s19, s18, s44
	s_cmp_ge_u32 s18, s44
	s_cselect_b32 s18, s19, s18
	s_delay_alu instid0(SALU_CYCLE_1)
	s_sub_co_i32 s19, s18, s44
	s_cmp_ge_u32 s18, s44
	s_cselect_b32 s24, s19, s18
	s_wait_alu 0xfffe
	s_mov_b64 s[18:19], s[24:25]
.LBB44_192:                             ;   in Loop: Header=BB44_7 Depth=1
	s_delay_alu instid0(SALU_CYCLE_1)
	s_sub_nc_u64 s[16:17], s[16:17], s[18:19]
	s_mov_b32 s18, exec_lo
                                        ; implicit-def: $vgpr6_vgpr7
	s_wait_alu 0xfffe
	v_cmpx_gt_i64_e64 s[16:17], v[0:1]
	s_cbranch_execz .LBB44_202
; %bb.193:                              ;   in Loop: Header=BB44_7 Depth=1
	v_dual_mov_b32 v12, v42 :: v_dual_mov_b32 v11, v1
	v_mov_b32_e32 v10, v0
	s_mov_b32 s19, 0
                                        ; implicit-def: $sgpr24
	s_branch .LBB44_197
.LBB44_194:                             ;   in Loop: Header=BB44_197 Depth=2
	s_wait_alu 0xfffe
	s_or_b32 exec_lo, exec_lo, s63
	s_wait_loadcnt_dscnt 0x0
	s_barrier_signal -1
	s_barrier_wait -1
	global_inv scope:SCOPE_SE
	ds_load_b128 v[4:7], v19 offset:3072
	s_wait_loadcnt_dscnt 0x0
	s_barrier_signal -1
	s_barrier_wait -1
	global_inv scope:SCOPE_SE
	v_cmp_eq_f64_e32 vcc_lo, 0, v[4:5]
	s_cbranch_vccz .LBB44_200
; %bb.195:                              ;   in Loop: Header=BB44_197 Depth=2
	v_add_co_u32 v10, vcc_lo, v10, s44
	s_wait_alu 0xfffd
	v_add_co_ci_u32_e64 v11, null, 0, v11, vcc_lo
	v_add_nc_u32_e32 v12, s86, v12
	s_mov_b32 s63, 0
	s_delay_alu instid0(VALU_DEP_2)
	v_cmp_le_i64_e32 vcc_lo, s[16:17], v[10:11]
	s_or_not1_b32 s64, vcc_lo, exec_lo
.LBB44_196:                             ;   in Loop: Header=BB44_197 Depth=2
	s_wait_alu 0xfffe
	s_and_b32 s64, exec_lo, s64
	s_wait_alu 0xfffe
	s_or_b32 s19, s64, s19
	s_and_not1_b32 s24, s24, exec_lo
	s_and_b32 s63, s63, exec_lo
	s_wait_alu 0xfffe
	s_or_b32 s24, s24, s63
	s_and_not1_b32 exec_lo, exec_lo, s19
	s_cbranch_execz .LBB44_201
.LBB44_197:                             ;   Parent Loop BB44_7 Depth=1
                                        ; =>  This Inner Loop Header: Depth=2
	s_mov_b32 s63, exec_lo
	s_delay_alu instid0(VALU_DEP_1)
	v_cmpx_gt_u64_e64 s[14:15], v[10:11]
	s_cbranch_execz .LBB44_194
; %bb.198:                              ;   in Loop: Header=BB44_197 Depth=2
	ds_load_b64 v[4:5], v12
	s_wait_dscnt 0x0
	v_cmp_o_f64_e32 vcc_lo, v[4:5], v[4:5]
	v_ashrrev_i32_e32 v2, 31, v5
	s_delay_alu instid0(VALU_DEP_1) | instskip(SKIP_1) | instid1(VALU_DEP_2)
	v_or_b32_e32 v6, 0x80000000, v2
	v_xor_b32_e32 v2, v2, v4
	v_xor_b32_e32 v6, v6, v5
	s_wait_alu 0xfffd
	s_delay_alu instid0(VALU_DEP_1) | instskip(NEXT) | instid1(VALU_DEP_1)
	v_cndmask_b32_e32 v6, -1, v6, vcc_lo
	v_dual_cndmask_b32 v2, -1, v2 :: v_dual_and_b32 v7, v6, v32
	s_delay_alu instid0(VALU_DEP_1) | instskip(NEXT) | instid1(VALU_DEP_1)
	v_and_b32_e32 v6, v2, v31
	v_cmp_eq_u64_e32 vcc_lo, v[6:7], v[27:28]
	s_and_b32 exec_lo, exec_lo, vcc_lo
	s_cbranch_execz .LBB44_194
; %bb.199:                              ;   in Loop: Header=BB44_197 Depth=2
	v_mov_b32_e32 v2, v19
	ds_store_b128 v19, v[2:5] offset:3072
	s_branch .LBB44_194
.LBB44_200:                             ;   in Loop: Header=BB44_197 Depth=2
	s_mov_b32 s64, -1
	s_mov_b32 s63, -1
                                        ; implicit-def: $vgpr10_vgpr11
                                        ; implicit-def: $vgpr12
	s_branch .LBB44_196
.LBB44_201:                             ;   in Loop: Header=BB44_7 Depth=1
	s_or_b32 exec_lo, exec_lo, s19
	s_delay_alu instid0(SALU_CYCLE_1)
	s_and_not1_b32 s5, s5, exec_lo
	s_wait_alu 0xfffe
	s_and_b32 s14, s24, exec_lo
	s_wait_alu 0xfffe
	s_or_b32 s5, s5, s14
.LBB44_202:                             ;   in Loop: Header=BB44_7 Depth=1
	s_or_b32 exec_lo, exec_lo, s18
	s_mov_b32 s18, 0
	s_mov_b32 s19, -1
.LBB44_203:                             ;   in Loop: Header=BB44_7 Depth=1
	s_wait_alu 0xfffe
	s_or_not1_b32 s5, s5, exec_lo
.LBB44_204:                             ;   in Loop: Header=BB44_7 Depth=1
	s_wait_alu 0xfffe
	s_or_b32 exec_lo, exec_lo, s62
	s_mov_b32 s14, 0
	s_and_saveexec_b32 s16, s5
	s_cbranch_execz .LBB44_264
; %bb.205:                              ;   in Loop: Header=BB44_7 Depth=1
	v_dual_mov_b32 v10, 1 :: v_dual_mov_b32 v35, 1
	v_mov_b32_e32 v11, 0
	s_xor_b32 s14, s61, -1
	s_mov_b32 s24, 0
	s_wait_alu 0xfffe
	s_and_saveexec_b32 s5, s14
	s_cbranch_execz .LBB44_214
; %bb.206:                              ;   in Loop: Header=BB44_7 Depth=1
	s_mov_b32 s14, exec_lo
	v_cmpx_ge_i64_e64 s[10:11], v[8:9]
	s_wait_alu 0xfffe
	s_xor_b32 s14, exec_lo, s14
	s_cbranch_execz .LBB44_211
; %bb.207:                              ;   in Loop: Header=BB44_7 Depth=1
	ds_load_b64 v[4:5], v19 offset:5120
	v_and_b32_e32 v2, s13, v28
	v_and_b32_e32 v10, s12, v27
	s_lshl_b64 s[12:13], 2, s87
	v_or_b32_e32 v32, s9, v32
	v_or_b32_e32 v31, s8, v31
	s_wait_alu 0xfffe
	v_or_b32_e32 v28, s13, v2
	v_or_b32_e32 v27, s12, v10
	s_wait_dscnt 0x0
	v_cmp_ne_u64_e32 vcc_lo, 0, v[4:5]
	s_cbranch_vccnz .LBB44_211
; %bb.208:                              ;   in Loop: Header=BB44_7 Depth=1
	s_and_saveexec_b32 s12, s2
; %bb.209:                              ;   in Loop: Header=BB44_7 Depth=1
	v_dual_mov_b32 v4, s10 :: v_dual_mov_b32 v5, s11
	ds_store_b64 v19, v[4:5] offset:5128
; %bb.210:                              ;   in Loop: Header=BB44_7 Depth=1
	s_wait_alu 0xfffe
	s_or_b32 exec_lo, exec_lo, s12
	s_wait_loadcnt_dscnt 0x0
	s_barrier_signal -1
	s_barrier_wait -1
	global_inv scope:SCOPE_SE
.LBB44_211:                             ;   in Loop: Header=BB44_7 Depth=1
	s_wait_alu 0xfffe
	s_or_saveexec_b32 s12, s14
	v_mov_b32_e32 v35, 8
	s_mov_b32 s13, 0
	s_wait_alu 0xfffe
	s_xor_b32 exec_lo, exec_lo, s12
; %bb.212:                              ;   in Loop: Header=BB44_7 Depth=1
	v_sub_co_u32 v8, vcc_lo, v8, s10
	s_wait_alu 0xfffd
	v_subrev_co_ci_u32_e64 v9, null, s11, v9, vcc_lo
	v_mov_b32_e32 v35, 0
	s_mov_b32 s13, exec_lo
; %bb.213:                              ;   in Loop: Header=BB44_7 Depth=1
	s_or_b32 exec_lo, exec_lo, s12
	s_delay_alu instid0(VALU_DEP_2)
	v_dual_mov_b32 v11, v9 :: v_dual_mov_b32 v10, v8
	s_wait_alu 0xfffe
	s_and_b32 s24, s13, exec_lo
.LBB44_214:                             ;   in Loop: Header=BB44_7 Depth=1
	s_wait_alu 0xfffe
	s_or_b32 exec_lo, exec_lo, s5
	s_mov_b32 s5, -1
                                        ; implicit-def: $sgpr15
                                        ; implicit-def: $sgpr14
	s_and_saveexec_b32 s17, s24
	s_cbranch_execz .LBB44_263
; %bb.215:                              ;   in Loop: Header=BB44_7 Depth=1
	v_cmp_eq_u64_e32 vcc_lo, 1, v[10:11]
	s_cmp_eq_u64 s[6:7], 1
	s_mov_b32 s10, -1
	s_cselect_b32 s5, -1, 0
                                        ; implicit-def: $sgpr15
                                        ; implicit-def: $sgpr14
	s_wait_alu 0xfffe
	s_and_b32 s61, s5, vcc_lo
	s_wait_alu 0xfffe
	s_and_saveexec_b32 s62, s61
	s_cbranch_execz .LBB44_251
; %bb.216:                              ;   in Loop: Header=BB44_7 Depth=1
	ds_load_b64 v[4:5], v19 offset:5120
	s_wait_loadcnt_dscnt 0x0
	s_barrier_signal -1
	s_barrier_wait -1
	global_inv scope:SCOPE_SE
	v_readfirstlane_b32 s10, v4
	v_readfirstlane_b32 s11, v5
	s_and_saveexec_b32 s5, s3
; %bb.217:                              ;   in Loop: Header=BB44_7 Depth=1
	v_mov_b32_e32 v18, v19
	ds_store_b64 v43, v[18:19]
; %bb.218:                              ;   in Loop: Header=BB44_7 Depth=1
	s_wait_alu 0xfffe
	s_or_b32 exec_lo, exec_lo, s5
	v_cmp_gt_i64_e64 s5, s[10:11], 0
	v_or_b32_e32 v28, s9, v28
	v_or_b32_e32 v27, s8, v27
	;; [unrolled: 1-line block ×4, first 2 shown]
	s_mov_b32 s14, -1
	s_mov_b32 s15, 0
	s_and_b32 vcc_lo, exec_lo, s5
	s_mov_b32 s5, 0
	s_mov_b32 s24, -1
	s_wait_loadcnt_dscnt 0x0
	s_barrier_signal -1
	s_barrier_wait -1
	global_inv scope:SCOPE_SE
                                        ; implicit-def: $vgpr6_vgpr7
	s_wait_alu 0xfffe
	s_cbranch_vccnz .LBB44_235
; %bb.219:                              ;   in Loop: Header=BB44_7 Depth=1
	s_mov_b32 s12, s25
	s_mov_b32 s13, s53
	s_wait_alu 0xfffe
	s_cmp_lg_u64 s[12:13], 0
	s_cbranch_scc0 .LBB44_270
; %bb.220:                              ;   in Loop: Header=BB44_7 Depth=1
	s_add_nc_u64 s[12:13], s[44:45], 0
	s_wait_alu 0xfffe
	s_xor_b64 s[12:13], s[12:13], 0
	s_wait_alu 0xfffe
	s_cvt_f32_u32 s5, s12
	s_cvt_f32_u32 s24, s13
	s_sub_nc_u64 s[66:67], 0, s[12:13]
	s_wait_alu 0xfffe
	s_delay_alu instid0(SALU_CYCLE_1) | instskip(SKIP_1) | instid1(SALU_CYCLE_2)
	s_fmamk_f32 s5, s24, 0x4f800000, s5
	s_wait_alu 0xfffe
	v_s_rcp_f32 s5, s5
	s_delay_alu instid0(TRANS32_DEP_1) | instskip(SKIP_1) | instid1(SALU_CYCLE_2)
	s_mul_f32 s5, s5, 0x5f7ffffc
	s_wait_alu 0xfffe
	s_mul_f32 s24, s5, 0x2f800000
	s_wait_alu 0xfffe
	s_delay_alu instid0(SALU_CYCLE_2) | instskip(SKIP_1) | instid1(SALU_CYCLE_2)
	s_trunc_f32 s24, s24
	s_wait_alu 0xfffe
	s_fmamk_f32 s5, s24, 0xcf800000, s5
	s_cvt_u32_f32 s65, s24
	s_wait_alu 0xfffe
	s_delay_alu instid0(SALU_CYCLE_1) | instskip(SKIP_1) | instid1(SALU_CYCLE_2)
	s_cvt_u32_f32 s64, s5
	s_wait_alu 0xfffe
	s_mul_u64 s[68:69], s[66:67], s[64:65]
	s_wait_alu 0xfffe
	s_mul_hi_u32 s71, s64, s69
	s_mul_i32 s70, s64, s69
	s_mul_hi_u32 s24, s64, s68
	s_mul_i32 s63, s65, s68
	s_wait_alu 0xfffe
	s_add_nc_u64 s[70:71], s[24:25], s[70:71]
	s_mul_hi_u32 s5, s65, s68
	s_mul_hi_u32 s72, s65, s69
	s_wait_alu 0xfffe
	s_add_co_u32 s24, s70, s63
	s_add_co_ci_u32 s24, s71, s5
	s_mul_i32 s68, s65, s69
	s_add_co_ci_u32 s69, s72, 0
	s_wait_alu 0xfffe
	s_add_nc_u64 s[68:69], s[24:25], s[68:69]
	s_wait_alu 0xfffe
	s_add_co_u32 s64, s64, s68
	s_cselect_b32 s5, -1, 0
	s_wait_alu 0xfffe
	s_cmp_lg_u32 s5, 0
	s_add_co_ci_u32 s65, s65, s69
	s_wait_alu 0xfffe
	s_mul_u64 s[66:67], s[66:67], s[64:65]
	s_wait_alu 0xfffe
	s_mul_hi_u32 s69, s64, s67
	s_mul_i32 s68, s64, s67
	s_mul_hi_u32 s24, s64, s66
	s_mul_i32 s63, s65, s66
	s_wait_alu 0xfffe
	s_add_nc_u64 s[68:69], s[24:25], s[68:69]
	s_mul_hi_u32 s5, s65, s66
	s_mul_hi_u32 s70, s65, s67
	s_wait_alu 0xfffe
	s_add_co_u32 s24, s68, s63
	s_add_co_ci_u32 s24, s69, s5
	s_mul_i32 s66, s65, s67
	s_add_co_ci_u32 s67, s70, 0
	s_wait_alu 0xfffe
	s_add_nc_u64 s[66:67], s[24:25], s[66:67]
	s_wait_alu 0xfffe
	s_add_co_u32 s5, s64, s66
	s_cselect_b32 s24, -1, 0
	s_wait_alu 0xfffe
	s_cmp_lg_u32 s24, 0
	s_add_co_ci_u32 s63, s65, s67
	s_ashr_i32 s64, s53, 31
	s_wait_alu 0xfffe
	s_mov_b32 s65, s64
	s_wait_alu 0xfffe
	s_add_nc_u64 s[66:67], s[52:53], s[64:65]
	s_wait_alu 0xfffe
	s_xor_b64 s[66:67], s[66:67], s[64:65]
	s_wait_alu 0xfffe
	s_mul_hi_u32 s69, s66, s63
	s_mul_i32 s68, s66, s63
	s_mul_hi_u32 s24, s66, s5
	s_mul_hi_u32 s72, s67, s5
	s_mul_i32 s5, s67, s5
	s_wait_alu 0xfffe
	s_add_nc_u64 s[68:69], s[24:25], s[68:69]
	s_mul_hi_u32 s71, s67, s63
	s_wait_alu 0xfffe
	s_add_co_u32 s5, s68, s5
	s_add_co_ci_u32 s24, s69, s72
	s_mul_i32 s70, s67, s63
	s_add_co_ci_u32 s71, s71, 0
	s_wait_alu 0xfffe
	s_add_nc_u64 s[68:69], s[24:25], s[70:71]
	s_wait_alu 0xfffe
	s_mul_u64 s[68:69], s[12:13], s[68:69]
	s_wait_alu 0xfffe
	s_sub_co_u32 s5, s66, s68
	s_cselect_b32 s24, -1, 0
	s_sub_co_i32 s63, s67, s69
	s_wait_alu 0xfffe
	s_cmp_lg_u32 s24, 0
	s_sub_co_ci_u32 s63, s63, s13
	s_sub_co_u32 s66, s5, s12
	s_cselect_b32 s68, -1, 0
	s_wait_alu 0xfffe
	s_cmp_lg_u32 s68, 0
	s_sub_co_ci_u32 s70, s63, 0
	s_wait_alu 0xfffe
	s_cmp_ge_u32 s70, s13
	s_cselect_b32 s71, -1, 0
	s_cmp_ge_u32 s66, s12
	s_cselect_b32 s72, -1, 0
	s_cmp_eq_u32 s70, s13
	s_wait_alu 0xfffe
	s_cselect_b32 s71, s72, s71
	s_cmp_lg_u32 s68, 0
	s_sub_co_ci_u32 s63, s63, s13
	s_sub_co_u32 s68, s66, s12
	s_cselect_b32 s72, -1, 0
	s_wait_alu 0xfffe
	s_cmp_lg_u32 s72, 0
	s_sub_co_ci_u32 s63, s63, 0
	s_cmp_lg_u32 s71, 0
	s_cselect_b32 s66, s68, s66
	s_wait_alu 0xfffe
	s_cselect_b32 s63, s63, s70
	s_cmp_lg_u32 s24, 0
	s_sub_co_ci_u32 s24, s67, s69
	s_wait_alu 0xfffe
	s_cmp_ge_u32 s24, s13
	s_cselect_b32 s67, -1, 0
	s_cmp_ge_u32 s5, s12
	s_cselect_b32 s12, -1, 0
	s_cmp_eq_u32 s24, s13
	s_wait_alu 0xfffe
	s_cselect_b32 s12, s12, s67
	s_wait_alu 0xfffe
	s_cmp_lg_u32 s12, 0
	s_cselect_b32 s13, s63, s24
	s_cselect_b32 s12, s66, s5
	s_wait_alu 0xfffe
	s_xor_b64 s[12:13], s[12:13], s[64:65]
	s_wait_alu 0xfffe
	s_sub_nc_u64 s[12:13], s[12:13], s[64:65]
	s_cbranch_execnz .LBB44_222
.LBB44_221:                             ;   in Loop: Header=BB44_7 Depth=1
	v_cvt_f32_u32_e32 v2, s44
	s_sub_co_i32 s12, 0, s44
	s_delay_alu instid0(VALU_DEP_1) | instskip(NEXT) | instid1(TRANS32_DEP_1)
	v_rcp_iflag_f32_e32 v2, v2
	v_mul_f32_e32 v2, 0x4f7ffffe, v2
	s_delay_alu instid0(VALU_DEP_1) | instskip(NEXT) | instid1(VALU_DEP_1)
	v_cvt_u32_f32_e32 v2, v2
	v_readfirstlane_b32 s5, v2
	s_wait_alu 0xfffe
	s_mul_i32 s12, s12, s5
	s_wait_alu 0xfffe
	s_mul_hi_u32 s12, s5, s12
	s_wait_alu 0xfffe
	s_add_co_i32 s5, s5, s12
	s_wait_alu 0xfffe
	s_mul_hi_u32 s5, s52, s5
	s_wait_alu 0xfffe
	s_mul_i32 s5, s5, s44
	s_wait_alu 0xfffe
	s_sub_co_i32 s5, s52, s5
	s_wait_alu 0xfffe
	s_sub_co_i32 s12, s5, s44
	s_cmp_ge_u32 s5, s44
	s_wait_alu 0xfffe
	s_cselect_b32 s5, s12, s5
	s_wait_alu 0xfffe
	s_sub_co_i32 s12, s5, s44
	s_cmp_ge_u32 s5, s44
	s_wait_alu 0xfffe
	s_cselect_b32 s24, s12, s5
	s_wait_alu 0xfffe
	s_mov_b64 s[12:13], s[24:25]
.LBB44_222:                             ;   in Loop: Header=BB44_7 Depth=1
	s_wait_alu 0xfffe
	s_sub_nc_u64 s[12:13], s[52:53], s[12:13]
	s_mov_b32 s24, 0
	s_mov_b32 s5, 0
	s_mov_b32 s63, exec_lo
                                        ; implicit-def: $vgpr6_vgpr7
	s_wait_alu 0xfffe
	v_cmpx_gt_i64_e64 s[12:13], v[0:1]
	s_cbranch_execz .LBB44_234
; %bb.223:                              ;   in Loop: Header=BB44_7 Depth=1
	v_dual_mov_b32 v8, v16 :: v_dual_mov_b32 v9, v17
	v_dual_mov_b32 v13, v1 :: v_dual_mov_b32 v12, v0
	s_mov_b32 s64, 0
                                        ; implicit-def: $sgpr65
	s_branch .LBB44_227
.LBB44_224:                             ;   in Loop: Header=BB44_227 Depth=2
	s_wait_alu 0xfffe
	s_or_b32 exec_lo, exec_lo, s5
	s_wait_loadcnt_dscnt 0x0
	s_barrier_signal -1
	s_barrier_wait -1
	global_inv scope:SCOPE_SE
	ds_load_b128 v[4:7], v19 offset:3072
	s_wait_loadcnt_dscnt 0x0
	s_barrier_signal -1
	s_barrier_wait -1
	global_inv scope:SCOPE_SE
	v_cmp_neq_f64_e32 vcc_lo, 0, v[4:5]
	s_cbranch_vccnz .LBB44_230
; %bb.225:                              ;   in Loop: Header=BB44_227 Depth=2
	v_add_co_u32 v12, vcc_lo, v12, s44
	s_wait_alu 0xfffd
	v_add_co_ci_u32_e64 v13, null, 0, v13, vcc_lo
	v_add_co_u32 v8, s5, v8, s46
	s_wait_alu 0xf1ff
	v_add_co_ci_u32_e64 v9, null, s47, v9, s5
	s_delay_alu instid0(VALU_DEP_3)
	v_cmp_le_i64_e32 vcc_lo, s[12:13], v[12:13]
	s_mov_b32 s5, 0
	s_or_not1_b32 s66, vcc_lo, exec_lo
.LBB44_226:                             ;   in Loop: Header=BB44_227 Depth=2
	s_wait_alu 0xfffe
	s_and_b32 s66, exec_lo, s66
	s_wait_alu 0xfffe
	s_or_b32 s64, s66, s64
	s_and_not1_b32 s65, s65, exec_lo
	s_and_b32 s5, s5, exec_lo
	s_wait_alu 0xfffe
	s_or_b32 s65, s65, s5
	s_and_not1_b32 exec_lo, exec_lo, s64
	s_cbranch_execz .LBB44_233
.LBB44_227:                             ;   Parent Loop BB44_7 Depth=1
                                        ; =>  This Inner Loop Header: Depth=2
	s_mov_b32 s5, exec_lo
	s_delay_alu instid0(VALU_DEP_1)
	v_cmpx_gt_i64_e64 s[36:37], v[12:13]
	s_cbranch_execz .LBB44_224
; %bb.228:                              ;   in Loop: Header=BB44_227 Depth=2
	global_load_b64 v[4:5], v[8:9], off
	s_wait_loadcnt 0x0
	v_cmp_o_f64_e32 vcc_lo, v[4:5], v[4:5]
	v_ashrrev_i32_e32 v2, 31, v5
	s_delay_alu instid0(VALU_DEP_1) | instskip(SKIP_1) | instid1(VALU_DEP_2)
	v_or_b32_e32 v6, 0x80000000, v2
	v_xor_b32_e32 v2, v2, v4
	v_xor_b32_e32 v6, v6, v5
	s_wait_alu 0xfffd
	s_delay_alu instid0(VALU_DEP_1) | instskip(NEXT) | instid1(VALU_DEP_1)
	v_cndmask_b32_e32 v6, -1, v6, vcc_lo
	v_dual_cndmask_b32 v2, -1, v2 :: v_dual_and_b32 v7, v6, v32
	s_delay_alu instid0(VALU_DEP_1) | instskip(NEXT) | instid1(VALU_DEP_1)
	v_and_b32_e32 v6, v2, v31
	v_cmp_eq_u64_e32 vcc_lo, v[6:7], v[27:28]
	s_and_b32 exec_lo, exec_lo, vcc_lo
	s_cbranch_execz .LBB44_224
; %bb.229:                              ;   in Loop: Header=BB44_227 Depth=2
	v_mov_b32_e32 v2, v19
	ds_store_b128 v19, v[2:5] offset:3072
	s_branch .LBB44_224
.LBB44_230:                             ;   in Loop: Header=BB44_227 Depth=2
	s_mov_b32 s66, -1
	s_mov_b32 s5, -1
                                        ; implicit-def: $vgpr12_vgpr13
                                        ; implicit-def: $vgpr8_vgpr9
	s_branch .LBB44_226
.LBB44_231:                             ;   in Loop: Header=BB44_7 Depth=1
                                        ; implicit-def: $sgpr16_sgpr17
	s_branch .LBB44_174
.LBB44_232:                             ;   in Loop: Header=BB44_7 Depth=1
                                        ; implicit-def: $sgpr18_sgpr19
	s_branch .LBB44_191
.LBB44_233:                             ;   in Loop: Header=BB44_7 Depth=1
	s_or_b32 exec_lo, exec_lo, s64
	s_wait_alu 0xfffe
	s_and_b32 s5, s65, exec_lo
.LBB44_234:                             ;   in Loop: Header=BB44_7 Depth=1
	s_or_b32 exec_lo, exec_lo, s63
.LBB44_235:                             ;   in Loop: Header=BB44_7 Depth=1
	s_delay_alu instid0(SALU_CYCLE_1)
	s_and_b32 vcc_lo, exec_lo, s24
	s_wait_alu 0xfffe
	s_cbranch_vccz .LBB44_250
; %bb.236:                              ;   in Loop: Header=BB44_7 Depth=1
	s_add_nc_u64 s[12:13], s[10:11], s[50:51]
	s_mov_b32 s14, s25
	s_wait_alu 0xfffe
	s_mov_b32 s15, s13
	s_wait_alu 0xfffe
	s_cmp_lg_u64 s[14:15], 0
	s_cbranch_scc0 .LBB44_271
; %bb.237:                              ;   in Loop: Header=BB44_7 Depth=1
	s_add_nc_u64 s[14:15], s[44:45], 0
	s_wait_alu 0xfffe
	s_xor_b64 s[14:15], s[14:15], 0
	s_wait_alu 0xfffe
	s_cvt_f32_u32 s24, s14
	s_cvt_f32_u32 s63, s15
	s_sub_nc_u64 s[66:67], 0, s[14:15]
	s_wait_alu 0xfffe
	s_delay_alu instid0(SALU_CYCLE_1) | instskip(SKIP_1) | instid1(SALU_CYCLE_2)
	s_fmamk_f32 s24, s63, 0x4f800000, s24
	s_wait_alu 0xfffe
	v_s_rcp_f32 s24, s24
	s_delay_alu instid0(TRANS32_DEP_1) | instskip(SKIP_1) | instid1(SALU_CYCLE_2)
	s_mul_f32 s24, s24, 0x5f7ffffc
	s_wait_alu 0xfffe
	s_mul_f32 s63, s24, 0x2f800000
	s_wait_alu 0xfffe
	s_delay_alu instid0(SALU_CYCLE_2) | instskip(SKIP_1) | instid1(SALU_CYCLE_2)
	s_trunc_f32 s63, s63
	s_wait_alu 0xfffe
	s_fmamk_f32 s24, s63, 0xcf800000, s24
	s_cvt_u32_f32 s65, s63
	s_wait_alu 0xfffe
	s_delay_alu instid0(SALU_CYCLE_1) | instskip(SKIP_1) | instid1(SALU_CYCLE_2)
	s_cvt_u32_f32 s64, s24
	s_wait_alu 0xfffe
	s_mul_u64 s[68:69], s[66:67], s[64:65]
	s_wait_alu 0xfffe
	s_mul_hi_u32 s71, s64, s69
	s_mul_i32 s70, s64, s69
	s_mul_hi_u32 s24, s64, s68
	s_mul_i32 s72, s65, s68
	s_wait_alu 0xfffe
	s_add_nc_u64 s[70:71], s[24:25], s[70:71]
	s_mul_hi_u32 s63, s65, s68
	s_mul_hi_u32 s73, s65, s69
	s_wait_alu 0xfffe
	s_add_co_u32 s24, s70, s72
	s_add_co_ci_u32 s24, s71, s63
	s_mul_i32 s68, s65, s69
	s_add_co_ci_u32 s69, s73, 0
	s_wait_alu 0xfffe
	s_add_nc_u64 s[68:69], s[24:25], s[68:69]
	s_wait_alu 0xfffe
	s_add_co_u32 s64, s64, s68
	s_cselect_b32 s24, -1, 0
	s_wait_alu 0xfffe
	s_cmp_lg_u32 s24, 0
	s_add_co_ci_u32 s65, s65, s69
	s_wait_alu 0xfffe
	s_mul_u64 s[66:67], s[66:67], s[64:65]
	s_wait_alu 0xfffe
	s_mul_hi_u32 s69, s64, s67
	s_mul_i32 s68, s64, s67
	s_mul_hi_u32 s24, s64, s66
	s_mul_i32 s70, s65, s66
	s_wait_alu 0xfffe
	s_add_nc_u64 s[68:69], s[24:25], s[68:69]
	s_mul_hi_u32 s63, s65, s66
	s_mul_hi_u32 s71, s65, s67
	s_wait_alu 0xfffe
	s_add_co_u32 s24, s68, s70
	s_add_co_ci_u32 s24, s69, s63
	s_mul_i32 s66, s65, s67
	s_add_co_ci_u32 s67, s71, 0
	s_wait_alu 0xfffe
	s_add_nc_u64 s[66:67], s[24:25], s[66:67]
	s_wait_alu 0xfffe
	s_add_co_u32 s63, s64, s66
	s_cselect_b32 s24, -1, 0
	s_wait_alu 0xfffe
	s_cmp_lg_u32 s24, 0
	s_add_co_ci_u32 s70, s65, s67
	s_ashr_i32 s64, s13, 31
	s_wait_alu 0xfffe
	s_mov_b32 s65, s64
	s_wait_alu 0xfffe
	s_add_nc_u64 s[66:67], s[12:13], s[64:65]
	s_wait_alu 0xfffe
	s_xor_b64 s[66:67], s[66:67], s[64:65]
	s_wait_alu 0xfffe
	s_mul_hi_u32 s69, s66, s70
	s_mul_i32 s68, s66, s70
	s_mul_hi_u32 s24, s66, s63
	s_mul_hi_u32 s72, s67, s63
	s_mul_i32 s63, s67, s63
	s_wait_alu 0xfffe
	s_add_nc_u64 s[68:69], s[24:25], s[68:69]
	s_mul_hi_u32 s71, s67, s70
	s_wait_alu 0xfffe
	s_add_co_u32 s24, s68, s63
	s_add_co_ci_u32 s24, s69, s72
	s_mul_i32 s70, s67, s70
	s_add_co_ci_u32 s71, s71, 0
	s_wait_alu 0xfffe
	s_add_nc_u64 s[68:69], s[24:25], s[70:71]
	s_wait_alu 0xfffe
	s_mul_u64 s[68:69], s[14:15], s[68:69]
	s_wait_alu 0xfffe
	s_sub_co_u32 s24, s66, s68
	s_cselect_b32 s63, -1, 0
	s_sub_co_i32 s66, s67, s69
	s_wait_alu 0xfffe
	s_cmp_lg_u32 s63, 0
	s_sub_co_ci_u32 s66, s66, s15
	s_sub_co_u32 s68, s24, s14
	s_cselect_b32 s70, -1, 0
	s_wait_alu 0xfffe
	s_cmp_lg_u32 s70, 0
	s_sub_co_ci_u32 s71, s66, 0
	s_wait_alu 0xfffe
	s_cmp_ge_u32 s71, s15
	s_cselect_b32 s72, -1, 0
	s_cmp_ge_u32 s68, s14
	s_cselect_b32 s73, -1, 0
	s_cmp_eq_u32 s71, s15
	s_wait_alu 0xfffe
	s_cselect_b32 s72, s73, s72
	s_cmp_lg_u32 s70, 0
	s_sub_co_ci_u32 s66, s66, s15
	s_sub_co_u32 s70, s68, s14
	s_cselect_b32 s73, -1, 0
	s_wait_alu 0xfffe
	s_cmp_lg_u32 s73, 0
	s_sub_co_ci_u32 s66, s66, 0
	s_cmp_lg_u32 s72, 0
	s_cselect_b32 s68, s70, s68
	s_wait_alu 0xfffe
	s_cselect_b32 s66, s66, s71
	s_cmp_lg_u32 s63, 0
	s_sub_co_ci_u32 s63, s67, s69
	s_wait_alu 0xfffe
	s_cmp_ge_u32 s63, s15
	s_cselect_b32 s67, -1, 0
	s_cmp_ge_u32 s24, s14
	s_cselect_b32 s14, -1, 0
	s_cmp_eq_u32 s63, s15
	s_wait_alu 0xfffe
	s_cselect_b32 s14, s14, s67
	s_wait_alu 0xfffe
	s_cmp_lg_u32 s14, 0
	s_cselect_b32 s15, s66, s63
	s_cselect_b32 s14, s68, s24
	s_wait_alu 0xfffe
	s_xor_b64 s[14:15], s[14:15], s[64:65]
	s_wait_alu 0xfffe
	s_sub_nc_u64 s[14:15], s[14:15], s[64:65]
	s_cbranch_execnz .LBB44_239
.LBB44_238:                             ;   in Loop: Header=BB44_7 Depth=1
	v_cvt_f32_u32_e32 v2, s44
	s_sub_co_i32 s15, 0, s44
	s_delay_alu instid0(VALU_DEP_1) | instskip(NEXT) | instid1(TRANS32_DEP_1)
	v_rcp_iflag_f32_e32 v2, v2
	v_mul_f32_e32 v2, 0x4f7ffffe, v2
	s_delay_alu instid0(VALU_DEP_1) | instskip(NEXT) | instid1(VALU_DEP_1)
	v_cvt_u32_f32_e32 v2, v2
	v_readfirstlane_b32 s14, v2
	s_wait_alu 0xfffe
	s_mul_i32 s15, s15, s14
	s_wait_alu 0xfffe
	s_mul_hi_u32 s15, s14, s15
	s_wait_alu 0xfffe
	s_add_co_i32 s14, s14, s15
	s_wait_alu 0xfffe
	s_mul_hi_u32 s14, s12, s14
	s_wait_alu 0xfffe
	s_mul_i32 s14, s14, s44
	s_wait_alu 0xfffe
	s_sub_co_i32 s14, s12, s14
	s_wait_alu 0xfffe
	s_sub_co_i32 s15, s14, s44
	s_cmp_ge_u32 s14, s44
	s_wait_alu 0xfffe
	s_cselect_b32 s14, s15, s14
	s_wait_alu 0xfffe
	s_sub_co_i32 s15, s14, s44
	s_cmp_ge_u32 s14, s44
	s_wait_alu 0xfffe
	s_cselect_b32 s24, s15, s14
	s_wait_alu 0xfffe
	s_mov_b64 s[14:15], s[24:25]
.LBB44_239:                             ;   in Loop: Header=BB44_7 Depth=1
	s_wait_alu 0xfffe
	s_sub_nc_u64 s[12:13], s[12:13], s[14:15]
	s_mov_b32 s14, exec_lo
                                        ; implicit-def: $vgpr6_vgpr7
	s_wait_alu 0xfffe
	v_cmpx_gt_i64_e64 s[12:13], v[0:1]
	s_cbranch_execz .LBB44_249
; %bb.240:                              ;   in Loop: Header=BB44_7 Depth=1
	v_dual_mov_b32 v12, v42 :: v_dual_mov_b32 v9, v1
	v_mov_b32_e32 v8, v0
	s_mov_b32 s15, 0
                                        ; implicit-def: $sgpr24
	s_branch .LBB44_244
.LBB44_241:                             ;   in Loop: Header=BB44_244 Depth=2
	s_wait_alu 0xfffe
	s_or_b32 exec_lo, exec_lo, s63
	s_wait_loadcnt_dscnt 0x0
	s_barrier_signal -1
	s_barrier_wait -1
	global_inv scope:SCOPE_SE
	ds_load_b128 v[4:7], v19 offset:3072
	s_wait_loadcnt_dscnt 0x0
	s_barrier_signal -1
	s_barrier_wait -1
	global_inv scope:SCOPE_SE
	v_cmp_eq_f64_e32 vcc_lo, 0, v[4:5]
	s_cbranch_vccz .LBB44_247
; %bb.242:                              ;   in Loop: Header=BB44_244 Depth=2
	v_add_co_u32 v8, vcc_lo, v8, s44
	s_wait_alu 0xfffd
	v_add_co_ci_u32_e64 v9, null, 0, v9, vcc_lo
	v_add_nc_u32_e32 v12, s86, v12
	s_mov_b32 s63, 0
	s_delay_alu instid0(VALU_DEP_2)
	v_cmp_le_i64_e32 vcc_lo, s[12:13], v[8:9]
	s_or_not1_b32 s64, vcc_lo, exec_lo
.LBB44_243:                             ;   in Loop: Header=BB44_244 Depth=2
	s_wait_alu 0xfffe
	s_and_b32 s64, exec_lo, s64
	s_wait_alu 0xfffe
	s_or_b32 s15, s64, s15
	s_and_not1_b32 s24, s24, exec_lo
	s_and_b32 s63, s63, exec_lo
	s_wait_alu 0xfffe
	s_or_b32 s24, s24, s63
	s_and_not1_b32 exec_lo, exec_lo, s15
	s_cbranch_execz .LBB44_248
.LBB44_244:                             ;   Parent Loop BB44_7 Depth=1
                                        ; =>  This Inner Loop Header: Depth=2
	s_mov_b32 s63, exec_lo
	s_delay_alu instid0(VALU_DEP_1)
	v_cmpx_gt_u64_e64 s[10:11], v[8:9]
	s_cbranch_execz .LBB44_241
; %bb.245:                              ;   in Loop: Header=BB44_244 Depth=2
	ds_load_b64 v[4:5], v12
	s_wait_dscnt 0x0
	v_cmp_o_f64_e32 vcc_lo, v[4:5], v[4:5]
	v_ashrrev_i32_e32 v2, 31, v5
	s_delay_alu instid0(VALU_DEP_1) | instskip(SKIP_1) | instid1(VALU_DEP_2)
	v_or_b32_e32 v6, 0x80000000, v2
	v_xor_b32_e32 v2, v2, v4
	v_xor_b32_e32 v6, v6, v5
	s_wait_alu 0xfffd
	s_delay_alu instid0(VALU_DEP_1) | instskip(NEXT) | instid1(VALU_DEP_1)
	v_cndmask_b32_e32 v6, -1, v6, vcc_lo
	v_dual_cndmask_b32 v2, -1, v2 :: v_dual_and_b32 v7, v6, v32
	s_delay_alu instid0(VALU_DEP_1) | instskip(NEXT) | instid1(VALU_DEP_1)
	v_and_b32_e32 v6, v2, v31
	v_cmp_eq_u64_e32 vcc_lo, v[6:7], v[27:28]
	s_and_b32 exec_lo, exec_lo, vcc_lo
	s_cbranch_execz .LBB44_241
; %bb.246:                              ;   in Loop: Header=BB44_244 Depth=2
	v_mov_b32_e32 v2, v19
	ds_store_b128 v19, v[2:5] offset:3072
	s_branch .LBB44_241
.LBB44_247:                             ;   in Loop: Header=BB44_244 Depth=2
	s_mov_b32 s64, -1
	s_mov_b32 s63, -1
                                        ; implicit-def: $vgpr8_vgpr9
                                        ; implicit-def: $vgpr12
	s_branch .LBB44_243
.LBB44_248:                             ;   in Loop: Header=BB44_7 Depth=1
	s_or_b32 exec_lo, exec_lo, s15
	s_delay_alu instid0(SALU_CYCLE_1)
	s_and_not1_b32 s5, s5, exec_lo
	s_wait_alu 0xfffe
	s_and_b32 s10, s24, exec_lo
	s_wait_alu 0xfffe
	s_or_b32 s5, s5, s10
.LBB44_249:                             ;   in Loop: Header=BB44_7 Depth=1
	s_or_b32 exec_lo, exec_lo, s14
	s_mov_b32 s14, 0
	s_mov_b32 s15, -1
.LBB44_250:                             ;   in Loop: Header=BB44_7 Depth=1
	s_wait_alu 0xfffe
	s_or_not1_b32 s10, s5, exec_lo
.LBB44_251:                             ;   in Loop: Header=BB44_7 Depth=1
	s_wait_alu 0xfffe
	s_or_b32 exec_lo, exec_lo, s62
	s_mov_b32 s11, 0
	s_and_saveexec_b32 s5, s10
	s_cbranch_execz .LBB44_262
; %bb.252:                              ;   in Loop: Header=BB44_7 Depth=1
	v_dual_mov_b32 v4, 1 :: v_dual_mov_b32 v35, 1
	v_mov_b32_e32 v5, 0
	s_xor_b32 s11, s61, -1
	s_wait_alu 0xfffe
	s_and_saveexec_b32 s10, s11
	s_cbranch_execz .LBB44_261
; %bb.253:                              ;   in Loop: Header=BB44_7 Depth=1
	s_mov_b32 s11, exec_lo
	v_cmpx_ge_i64_e64 s[6:7], v[10:11]
	s_wait_alu 0xfffe
	s_xor_b32 s11, exec_lo, s11
	s_cbranch_execz .LBB44_258
; %bb.254:                              ;   in Loop: Header=BB44_7 Depth=1
	ds_load_b64 v[4:5], v19 offset:5120
	v_or_b32_e32 v28, s9, v28
	v_or_b32_e32 v27, s8, v27
	;; [unrolled: 1-line block ×4, first 2 shown]
	s_wait_dscnt 0x0
	v_cmp_ne_u64_e32 vcc_lo, 0, v[4:5]
	s_cbranch_vccnz .LBB44_258
; %bb.255:                              ;   in Loop: Header=BB44_7 Depth=1
	s_and_saveexec_b32 s8, s2
; %bb.256:                              ;   in Loop: Header=BB44_7 Depth=1
	v_dual_mov_b32 v4, s6 :: v_dual_mov_b32 v5, s7
	ds_store_b64 v19, v[4:5] offset:5128
; %bb.257:                              ;   in Loop: Header=BB44_7 Depth=1
	s_wait_alu 0xfffe
	s_or_b32 exec_lo, exec_lo, s8
	s_wait_loadcnt_dscnt 0x0
	s_barrier_signal -1
	s_barrier_wait -1
	global_inv scope:SCOPE_SE
.LBB44_258:                             ;   in Loop: Header=BB44_7 Depth=1
	s_wait_alu 0xfffe
	s_and_not1_saveexec_b32 s8, s11
; %bb.259:                              ;   in Loop: Header=BB44_7 Depth=1
	v_sub_co_u32 v10, vcc_lo, v10, s6
	s_wait_alu 0xfffd
	v_subrev_co_ci_u32_e64 v11, null, s7, v11, vcc_lo
; %bb.260:                              ;   in Loop: Header=BB44_7 Depth=1
	s_wait_alu 0xfffe
	s_or_b32 exec_lo, exec_lo, s8
	v_dual_mov_b32 v35, 8 :: v_dual_mov_b32 v4, v10
	s_delay_alu instid0(VALU_DEP_2)
	v_mov_b32_e32 v5, v11
.LBB44_261:                             ;   in Loop: Header=BB44_7 Depth=1
	s_wait_alu 0xfffe
	s_or_b32 exec_lo, exec_lo, s10
	s_delay_alu instid0(VALU_DEP_1)
	v_dual_mov_b32 v11, v5 :: v_dual_mov_b32 v10, v4
	s_mov_b32 s11, exec_lo
.LBB44_262:                             ;   in Loop: Header=BB44_7 Depth=1
	s_wait_alu 0xfffe
	s_or_b32 exec_lo, exec_lo, s5
	s_delay_alu instid0(SALU_CYCLE_1)
	s_or_not1_b32 s5, s11, exec_lo
.LBB44_263:                             ;   in Loop: Header=BB44_7 Depth=1
	s_wait_alu 0xfffe
	s_or_b32 exec_lo, exec_lo, s17
	v_dual_mov_b32 v8, v10 :: v_dual_mov_b32 v9, v11
	s_and_not1_b32 s6, s19, exec_lo
	s_and_b32 s7, s15, exec_lo
	s_and_not1_b32 s8, s18, exec_lo
	s_and_b32 s9, s14, exec_lo
	s_wait_alu 0xfffe
	s_or_b32 s19, s6, s7
	s_or_b32 s18, s8, s9
	s_and_b32 s14, s5, exec_lo
.LBB44_264:                             ;   in Loop: Header=BB44_7 Depth=1
	s_wait_alu 0xfffe
	s_or_b32 exec_lo, exec_lo, s16
	s_delay_alu instid0(SALU_CYCLE_1)
	s_or_not1_b32 s5, s14, exec_lo
.LBB44_265:                             ;   in Loop: Header=BB44_7 Depth=1
	s_wait_alu 0xfffe
	s_or_b32 exec_lo, exec_lo, s60
	v_dual_mov_b32 v13, v9 :: v_dual_mov_b32 v12, v8
	s_and_not1_b32 s6, s58, exec_lo
	s_and_b32 s7, s19, exec_lo
	s_and_not1_b32 s8, s23, exec_lo
	s_and_b32 s9, s18, exec_lo
	s_wait_alu 0xfffe
	s_or_b32 s58, s6, s7
	s_or_b32 s23, s8, s9
	s_and_b32 s14, s5, exec_lo
.LBB44_266:                             ;   in Loop: Header=BB44_7 Depth=1
	s_wait_alu 0xfffe
	s_or_b32 exec_lo, exec_lo, s59
	s_delay_alu instid0(SALU_CYCLE_1)
	s_or_not1_b32 s5, s14, exec_lo
.LBB44_267:                             ;   in Loop: Header=BB44_7 Depth=1
	s_wait_alu 0xfffe
	s_or_b32 exec_lo, exec_lo, s22
	s_mov_b32 s6, 0
	s_and_saveexec_b32 s7, s5
	s_wait_alu 0xfffe
	s_xor_b32 s5, exec_lo, s7
	s_cbranch_execz .LBB44_5
; %bb.268:                              ;   in Loop: Header=BB44_7 Depth=1
	v_and_b32_e32 v2, 7, v35
	s_mov_b32 s7, -1
	s_mov_b32 s6, -1
	s_mov_b32 s8, exec_lo
	s_delay_alu instid0(VALU_DEP_1)
	v_cmpx_eq_u32_e32 0, v2
	s_cbranch_execz .LBB44_4
; %bb.269:                              ;   in Loop: Header=BB44_7 Depth=1
	s_xor_b32 s89, s89, 1
	s_add_co_i32 s9, s87, -2
	s_cmp_eq_u32 s87, 0
	s_wait_alu 0xfffe
	s_mov_b32 s87, s9
	s_cselect_b32 s7, -1, 0
	s_xor_b32 s6, exec_lo, -1
	s_wait_alu 0xfffe
	s_or_not1_b32 s7, s7, exec_lo
	s_branch .LBB44_4
.LBB44_270:                             ;   in Loop: Header=BB44_7 Depth=1
                                        ; implicit-def: $sgpr12_sgpr13
	s_branch .LBB44_221
.LBB44_271:                             ;   in Loop: Header=BB44_7 Depth=1
                                        ; implicit-def: $sgpr14_sgpr15
	s_branch .LBB44_238
.LBB44_272:
	s_or_b32 exec_lo, exec_lo, s88
	s_xor_b32 s5, s95, -1
	s_xor_b32 s1, s93, -1
	;; [unrolled: 1-line block ×3, first 2 shown]
	s_mov_b32 s3, 0
	s_and_saveexec_b32 s6, s1
	s_wait_alu 0xfffe
	s_xor_b32 s1, exec_lo, s6
	s_cbranch_execnz .LBB44_277
; %bb.273:
	s_and_not1_saveexec_b32 s0, s1
	s_cbranch_execnz .LBB44_299
.LBB44_274:
	s_wait_alu 0xfffe
	s_or_b32 exec_lo, exec_lo, s0
	s_and_saveexec_b32 s0, s3
.LBB44_275:
	; divergent unreachable
.LBB44_276:
	s_endpgm
.LBB44_277:
	s_and_saveexec_b32 s3, s5
	s_delay_alu instid0(SALU_CYCLE_1)
	s_xor_b32 s3, exec_lo, s3
	s_cbranch_execz .LBB44_297
; %bb.278:
	s_and_saveexec_b32 s5, s4
	s_wait_alu 0xfffe
	s_xor_b32 s4, exec_lo, s5
; %bb.279:
	v_lshrrev_b32_e32 v2, 31, v28
	s_delay_alu instid0(VALU_DEP_1) | instskip(SKIP_2) | instid1(VALU_DEP_2)
	v_add_co_u32 v2, s5, v2, -1
	s_wait_alu 0xf1ff
	v_add_co_ci_u32_e64 v3, null, 0, -1, s5
	v_xor_b32_e32 v6, v2, v27
	s_delay_alu instid0(VALU_DEP_2) | instskip(NEXT) | instid1(VALU_DEP_1)
	v_or_b32_e32 v3, 0x80000000, v3
	v_xor_b32_e32 v7, v3, v28
; %bb.280:
	s_wait_alu 0xfffe
	s_or_b32 exec_lo, exec_lo, s4
	s_and_saveexec_b32 s4, s2
; %bb.281:
	v_dual_mov_b32 v2, 0 :: v_dual_mov_b32 v3, s36
	ds_store_b32 v2, v3 offset:5140
; %bb.282:
	s_wait_alu 0xfffe
	s_or_b32 exec_lo, exec_lo, s4
	s_wait_loadcnt_dscnt 0x0
	s_barrier_signal -1
	s_barrier_wait -1
	global_inv scope:SCOPE_SE
	s_and_saveexec_b32 s4, s0
	s_cbranch_execz .LBB44_294
; %bb.283:
	v_cmp_u_f64_e32 vcc_lo, v[6:7], v[6:7]
	v_mov_b32_e32 v2, 0
	s_mov_b32 s5, 0
                                        ; implicit-def: $sgpr7
                                        ; implicit-def: $sgpr8
                                        ; implicit-def: $sgpr9
	ds_load_b32 v4, v2 offset:5140
	s_wait_dscnt 0x0
	v_ashrrev_i32_e32 v5, 31, v4
	s_xor_b32 s6, vcc_lo, -1
	s_branch .LBB44_286
.LBB44_284:                             ;   in Loop: Header=BB44_286 Depth=1
	s_wait_alu 0xfffe
	s_or_b32 exec_lo, exec_lo, s13
	s_delay_alu instid0(SALU_CYCLE_1)
	s_and_not1_b32 s0, s9, exec_lo
	s_and_b32 s9, s11, exec_lo
	s_and_not1_b32 s8, s8, exec_lo
	s_and_b32 s11, s12, exec_lo
	s_wait_alu 0xfffe
	s_or_b32 s9, s0, s9
	s_or_b32 s8, s8, s11
.LBB44_285:                             ;   in Loop: Header=BB44_286 Depth=1
	s_wait_alu 0xfffe
	s_or_b32 exec_lo, exec_lo, s10
	s_delay_alu instid0(SALU_CYCLE_1)
	s_and_b32 s0, exec_lo, s8
	s_wait_alu 0xfffe
	s_or_b32 s5, s0, s5
	s_and_not1_b32 s0, s7, exec_lo
	s_and_b32 s7, s9, exec_lo
	s_wait_alu 0xfffe
	s_or_b32 s7, s0, s7
	s_and_not1_b32 exec_lo, exec_lo, s5
	s_cbranch_execz .LBB44_289
.LBB44_286:                             ; =>This Inner Loop Header: Depth=1
	v_dual_mov_b32 v3, v1 :: v_dual_mov_b32 v2, v0
	s_or_b32 s9, s9, exec_lo
	s_or_b32 s8, s8, exec_lo
	s_mov_b32 s10, exec_lo
                                        ; implicit-def: $vgpr0_vgpr1
	s_delay_alu instid0(VALU_DEP_1)
	v_cmpx_lt_i64_e64 v[2:3], v[4:5]
	s_cbranch_execz .LBB44_285
; %bb.287:                              ;   in Loop: Header=BB44_286 Depth=1
	global_load_b64 v[0:1], v[16:17], off
	s_mov_b32 s12, -1
	s_wait_loadcnt 0x0
	v_cmp_o_f64_e32 vcc_lo, v[0:1], v[0:1]
	v_cmp_neq_f64_e64 s0, v[0:1], v[6:7]
                                        ; implicit-def: $vgpr0_vgpr1
	s_wait_alu 0xfffe
	s_or_b32 s11, vcc_lo, s6
	s_wait_alu 0xfffe
	s_and_b32 s0, s0, s11
	s_mov_b32 s11, 0
	s_wait_alu 0xfffe
	s_and_saveexec_b32 s13, s0
	s_cbranch_execz .LBB44_284
; %bb.288:                              ;   in Loop: Header=BB44_286 Depth=1
	v_add_co_u32 v0, vcc_lo, v2, s44
	s_wait_alu 0xfffd
	v_add_co_ci_u32_e64 v1, null, 0, v3, vcc_lo
	v_add_co_u32 v16, s0, v16, s46
	s_wait_alu 0xf1ff
	v_add_co_ci_u32_e64 v17, null, s47, v17, s0
	s_delay_alu instid0(VALU_DEP_3)
	v_cmp_le_i64_e32 vcc_lo, s[36:37], v[0:1]
	s_mov_b32 s11, exec_lo
	s_or_not1_b32 s12, vcc_lo, exec_lo
	s_branch .LBB44_284
.LBB44_289:
	s_or_b32 exec_lo, exec_lo, s5
	s_wait_alu 0xfffe
	s_xor_b32 s0, s7, -1
	s_wait_alu 0xfffe
	s_and_saveexec_b32 s5, s0
	s_wait_alu 0xfffe
	s_xor_b32 s5, exec_lo, s5
	s_cbranch_execz .LBB44_294
; %bb.290:
	s_mov_b32 s5, exec_lo
	s_brev_b32 s0, -2
.LBB44_291:                             ; =>This Inner Loop Header: Depth=1
	s_wait_alu 0xfffe
	s_ctz_i32_b32 s6, s5
	s_wait_alu 0xfffe
	v_readlane_b32 s7, v2, s6
	s_lshl_b32 s6, 1, s6
	s_wait_alu 0xfffe
	s_and_not1_b32 s5, s5, s6
	s_min_i32 s0, s0, s7
	s_wait_alu 0xfffe
	s_cmp_lg_u32 s5, 0
	s_cbranch_scc1 .LBB44_291
; %bb.292:
	v_mbcnt_lo_u32_b32 v0, exec_lo, 0
	s_mov_b32 s5, exec_lo
	s_delay_alu instid0(VALU_DEP_1)
	v_cmpx_eq_u32_e32 0, v0
	s_wait_alu 0xfffe
	s_xor_b32 s5, exec_lo, s5
; %bb.293:
	v_dual_mov_b32 v0, 0 :: v_dual_mov_b32 v1, s0
	ds_min_i32 v0, v1 offset:5140
.LBB44_294:
	s_wait_alu 0xfffe
	s_or_b32 exec_lo, exec_lo, s4
	s_wait_loadcnt_dscnt 0x0
	s_barrier_signal -1
	s_barrier_wait -1
	global_inv scope:SCOPE_SE
	s_and_saveexec_b32 s0, s2
	s_cbranch_execz .LBB44_296
; %bb.295:
	v_mov_b32_e32 v2, 0
	s_mul_u64 s[6:7], s[34:35], s[26:27]
	s_mul_u64 s[4:5], s[40:41], s[26:27]
	s_wait_alu 0xfffe
	s_lshl_b64 s[6:7], s[6:7], 3
	s_lshl_b64 s[4:5], s[4:5], 3
	ds_load_b32 v0, v2 offset:5140
	s_wait_alu 0xfffe
	s_add_nc_u64 s[6:7], s[28:29], s[6:7]
	s_add_nc_u64 s[4:5], s[30:31], s[4:5]
	s_wait_dscnt 0x0
	v_ashrrev_i32_e32 v1, 31, v0
	s_clause 0x1
	global_store_b64 v2, v[0:1], s[6:7]
	global_store_b64 v2, v[6:7], s[4:5]
.LBB44_296:
	s_wait_alu 0xfffe
	s_or_b32 exec_lo, exec_lo, s0
.LBB44_297:
	s_or_saveexec_b32 s0, s3
	s_mov_b32 s2, 0
	s_wait_alu 0xfffe
	s_xor_b32 exec_lo, exec_lo, s0
	s_cbranch_execnz .LBB44_300
.LBB44_298:
	s_or_b32 exec_lo, exec_lo, s0
	s_delay_alu instid0(SALU_CYCLE_1)
	s_and_b32 s3, s2, exec_lo
	s_and_not1_saveexec_b32 s0, s1
	s_cbranch_execz .LBB44_274
.LBB44_299:
	s_or_b32 s3, s3, exec_lo
	s_trap 2
	s_wait_alu 0xfffe
	s_or_b32 exec_lo, exec_lo, s0
	s_and_saveexec_b32 s0, s3
	s_cbranch_execnz .LBB44_275
	s_branch .LBB44_276
.LBB44_300:
	s_mov_b32 s2, exec_lo
	s_trap 2
	s_branch .LBB44_298
	.section	.rodata,"a",@progbits
	.p2align	6, 0x0
	.amdhsa_kernel _ZN2at6native12_GLOBAL__N_114gatherKthValueIdlLi1EEEvNS_4cuda6detail10TensorInfoIKT_T0_EES8_S8_S8_S8_NS5_IS6_S8_EENS5_IlS8_EE
		.amdhsa_group_segment_fixed_size 5144
		.amdhsa_private_segment_fixed_size 0
		.amdhsa_kernarg_size 1536
		.amdhsa_user_sgpr_count 2
		.amdhsa_user_sgpr_dispatch_ptr 0
		.amdhsa_user_sgpr_queue_ptr 0
		.amdhsa_user_sgpr_kernarg_segment_ptr 1
		.amdhsa_user_sgpr_dispatch_id 0
		.amdhsa_user_sgpr_private_segment_size 0
		.amdhsa_wavefront_size32 1
		.amdhsa_uses_dynamic_stack 0
		.amdhsa_enable_private_segment 0
		.amdhsa_system_sgpr_workgroup_id_x 1
		.amdhsa_system_sgpr_workgroup_id_y 1
		.amdhsa_system_sgpr_workgroup_id_z 1
		.amdhsa_system_sgpr_workgroup_info 0
		.amdhsa_system_vgpr_workitem_id 0
		.amdhsa_next_free_vgpr 64
		.amdhsa_next_free_sgpr 96
		.amdhsa_reserve_vcc 1
		.amdhsa_float_round_mode_32 0
		.amdhsa_float_round_mode_16_64 0
		.amdhsa_float_denorm_mode_32 3
		.amdhsa_float_denorm_mode_16_64 3
		.amdhsa_fp16_overflow 0
		.amdhsa_workgroup_processor_mode 1
		.amdhsa_memory_ordered 1
		.amdhsa_forward_progress 1
		.amdhsa_inst_pref_size 152
		.amdhsa_round_robin_scheduling 0
		.amdhsa_exception_fp_ieee_invalid_op 0
		.amdhsa_exception_fp_denorm_src 0
		.amdhsa_exception_fp_ieee_div_zero 0
		.amdhsa_exception_fp_ieee_overflow 0
		.amdhsa_exception_fp_ieee_underflow 0
		.amdhsa_exception_fp_ieee_inexact 0
		.amdhsa_exception_int_div_zero 0
	.end_amdhsa_kernel
	.section	.text._ZN2at6native12_GLOBAL__N_114gatherKthValueIdlLi1EEEvNS_4cuda6detail10TensorInfoIKT_T0_EES8_S8_S8_S8_NS5_IS6_S8_EENS5_IlS8_EE,"axG",@progbits,_ZN2at6native12_GLOBAL__N_114gatherKthValueIdlLi1EEEvNS_4cuda6detail10TensorInfoIKT_T0_EES8_S8_S8_S8_NS5_IS6_S8_EENS5_IlS8_EE,comdat
.Lfunc_end44:
	.size	_ZN2at6native12_GLOBAL__N_114gatherKthValueIdlLi1EEEvNS_4cuda6detail10TensorInfoIKT_T0_EES8_S8_S8_S8_NS5_IS6_S8_EENS5_IlS8_EE, .Lfunc_end44-_ZN2at6native12_GLOBAL__N_114gatherKthValueIdlLi1EEEvNS_4cuda6detail10TensorInfoIKT_T0_EES8_S8_S8_S8_NS5_IS6_S8_EENS5_IlS8_EE
                                        ; -- End function
	.set _ZN2at6native12_GLOBAL__N_114gatherKthValueIdlLi1EEEvNS_4cuda6detail10TensorInfoIKT_T0_EES8_S8_S8_S8_NS5_IS6_S8_EENS5_IlS8_EE.num_vgpr, 64
	.set _ZN2at6native12_GLOBAL__N_114gatherKthValueIdlLi1EEEvNS_4cuda6detail10TensorInfoIKT_T0_EES8_S8_S8_S8_NS5_IS6_S8_EENS5_IlS8_EE.num_agpr, 0
	.set _ZN2at6native12_GLOBAL__N_114gatherKthValueIdlLi1EEEvNS_4cuda6detail10TensorInfoIKT_T0_EES8_S8_S8_S8_NS5_IS6_S8_EENS5_IlS8_EE.numbered_sgpr, 96
	.set _ZN2at6native12_GLOBAL__N_114gatherKthValueIdlLi1EEEvNS_4cuda6detail10TensorInfoIKT_T0_EES8_S8_S8_S8_NS5_IS6_S8_EENS5_IlS8_EE.num_named_barrier, 0
	.set _ZN2at6native12_GLOBAL__N_114gatherKthValueIdlLi1EEEvNS_4cuda6detail10TensorInfoIKT_T0_EES8_S8_S8_S8_NS5_IS6_S8_EENS5_IlS8_EE.private_seg_size, 0
	.set _ZN2at6native12_GLOBAL__N_114gatherKthValueIdlLi1EEEvNS_4cuda6detail10TensorInfoIKT_T0_EES8_S8_S8_S8_NS5_IS6_S8_EENS5_IlS8_EE.uses_vcc, 1
	.set _ZN2at6native12_GLOBAL__N_114gatherKthValueIdlLi1EEEvNS_4cuda6detail10TensorInfoIKT_T0_EES8_S8_S8_S8_NS5_IS6_S8_EENS5_IlS8_EE.uses_flat_scratch, 0
	.set _ZN2at6native12_GLOBAL__N_114gatherKthValueIdlLi1EEEvNS_4cuda6detail10TensorInfoIKT_T0_EES8_S8_S8_S8_NS5_IS6_S8_EENS5_IlS8_EE.has_dyn_sized_stack, 0
	.set _ZN2at6native12_GLOBAL__N_114gatherKthValueIdlLi1EEEvNS_4cuda6detail10TensorInfoIKT_T0_EES8_S8_S8_S8_NS5_IS6_S8_EENS5_IlS8_EE.has_recursion, 0
	.set _ZN2at6native12_GLOBAL__N_114gatherKthValueIdlLi1EEEvNS_4cuda6detail10TensorInfoIKT_T0_EES8_S8_S8_S8_NS5_IS6_S8_EENS5_IlS8_EE.has_indirect_call, 0
	.section	.AMDGPU.csdata,"",@progbits
; Kernel info:
; codeLenInByte = 19372
; TotalNumSgprs: 98
; NumVgprs: 64
; ScratchSize: 0
; MemoryBound: 0
; FloatMode: 240
; IeeeMode: 1
; LDSByteSize: 5144 bytes/workgroup (compile time only)
; SGPRBlocks: 0
; VGPRBlocks: 7
; NumSGPRsForWavesPerEU: 98
; NumVGPRsForWavesPerEU: 64
; Occupancy: 16
; WaveLimiterHint : 1
; COMPUTE_PGM_RSRC2:SCRATCH_EN: 0
; COMPUTE_PGM_RSRC2:USER_SGPR: 2
; COMPUTE_PGM_RSRC2:TRAP_HANDLER: 0
; COMPUTE_PGM_RSRC2:TGID_X_EN: 1
; COMPUTE_PGM_RSRC2:TGID_Y_EN: 1
; COMPUTE_PGM_RSRC2:TGID_Z_EN: 1
; COMPUTE_PGM_RSRC2:TIDIG_COMP_CNT: 0
	.section	.text._ZN2at6native12_GLOBAL__N_114gatherKthValueIdlLi2EEEvNS_4cuda6detail10TensorInfoIKT_T0_EES8_S8_S8_S8_NS5_IS6_S8_EENS5_IlS8_EE,"axG",@progbits,_ZN2at6native12_GLOBAL__N_114gatherKthValueIdlLi2EEEvNS_4cuda6detail10TensorInfoIKT_T0_EES8_S8_S8_S8_NS5_IS6_S8_EENS5_IlS8_EE,comdat
	.globl	_ZN2at6native12_GLOBAL__N_114gatherKthValueIdlLi2EEEvNS_4cuda6detail10TensorInfoIKT_T0_EES8_S8_S8_S8_NS5_IS6_S8_EENS5_IlS8_EE ; -- Begin function _ZN2at6native12_GLOBAL__N_114gatherKthValueIdlLi2EEEvNS_4cuda6detail10TensorInfoIKT_T0_EES8_S8_S8_S8_NS5_IS6_S8_EENS5_IlS8_EE
	.p2align	8
	.type	_ZN2at6native12_GLOBAL__N_114gatherKthValueIdlLi2EEEvNS_4cuda6detail10TensorInfoIKT_T0_EES8_S8_S8_S8_NS5_IS6_S8_EENS5_IlS8_EE,@function
_ZN2at6native12_GLOBAL__N_114gatherKthValueIdlLi2EEEvNS_4cuda6detail10TensorInfoIKT_T0_EES8_S8_S8_S8_NS5_IS6_S8_EENS5_IlS8_EE: ; @_ZN2at6native12_GLOBAL__N_114gatherKthValueIdlLi2EEEvNS_4cuda6detail10TensorInfoIKT_T0_EES8_S8_S8_S8_NS5_IS6_S8_EENS5_IlS8_EE
; %bb.0:
	s_clause 0x1
	s_load_b64 s[8:9], s[0:1], 0x500
	s_load_b256 s[36:43], s[0:1], 0x1a0
	s_lshr_b32 s2, ttmp7, 16
	s_and_b32 s3, ttmp7, 0xffff
	s_mov_b32 s27, 0
	s_wait_kmcnt 0x0
	s_mul_i32 s2, s9, s2
	s_delay_alu instid0(SALU_CYCLE_1) | instskip(NEXT) | instid1(SALU_CYCLE_1)
	s_add_co_i32 s2, s2, s3
	s_mul_i32 s2, s2, s8
	s_delay_alu instid0(SALU_CYCLE_1) | instskip(NEXT) | instid1(SALU_CYCLE_1)
	s_add_co_i32 s26, s2, ttmp9
	v_cmp_le_i64_e64 s2, s[40:41], s[26:27]
	s_and_b32 vcc_lo, exec_lo, s2
	s_cbranch_vccnz .LBB45_285
; %bb.1:
	s_clause 0x1
	s_load_b64 s[10:11], s[0:1], 0x10
	s_load_b64 s[34:35], s[0:1], 0x1d0
	s_mov_b32 s2, s27
	s_wait_kmcnt 0x0
	s_mov_b32 s3, s11
	s_delay_alu instid0(SALU_CYCLE_1)
	s_cmp_lg_u64 s[2:3], 0
	s_add_nc_u64 s[2:3], s[26:27], 0
	s_cbranch_scc0 .LBB45_298
; %bb.2:
	s_ashr_i32 s4, s11, 31
	s_mov_b32 s15, 0
	s_mov_b32 s5, s4
	s_delay_alu instid0(SALU_CYCLE_1) | instskip(NEXT) | instid1(SALU_CYCLE_1)
	s_add_nc_u64 s[6:7], s[10:11], s[4:5]
	s_xor_b64 s[6:7], s[6:7], s[4:5]
	s_delay_alu instid0(SALU_CYCLE_1) | instskip(SKIP_2) | instid1(SALU_CYCLE_2)
	s_cvt_f32_u32 s9, s6
	s_cvt_f32_u32 s12, s7
	s_sub_nc_u64 s[16:17], 0, s[6:7]
	s_fmamk_f32 s9, s12, 0x4f800000, s9
	s_delay_alu instid0(SALU_CYCLE_3) | instskip(NEXT) | instid1(TRANS32_DEP_1)
	v_s_rcp_f32 s9, s9
	s_mul_f32 s9, s9, 0x5f7ffffc
	s_wait_alu 0xfffe
	s_delay_alu instid0(SALU_CYCLE_2) | instskip(NEXT) | instid1(SALU_CYCLE_3)
	s_mul_f32 s12, s9, 0x2f800000
	s_trunc_f32 s12, s12
	s_delay_alu instid0(SALU_CYCLE_3) | instskip(SKIP_2) | instid1(SALU_CYCLE_1)
	s_fmamk_f32 s9, s12, 0xcf800000, s9
	s_cvt_u32_f32 s13, s12
	s_wait_alu 0xfffe
	s_cvt_u32_f32 s12, s9
	s_delay_alu instid0(SALU_CYCLE_3) | instskip(NEXT) | instid1(SALU_CYCLE_1)
	s_mul_u64 s[18:19], s[16:17], s[12:13]
	s_mul_hi_u32 s21, s12, s19
	s_mul_i32 s20, s12, s19
	s_mul_hi_u32 s14, s12, s18
	s_mul_i32 s22, s13, s18
	s_add_nc_u64 s[20:21], s[14:15], s[20:21]
	s_mul_hi_u32 s9, s13, s18
	s_mul_hi_u32 s23, s13, s19
	s_add_co_u32 s14, s20, s22
	s_wait_alu 0xfffe
	s_add_co_ci_u32 s14, s21, s9
	s_mul_i32 s18, s13, s19
	s_add_co_ci_u32 s19, s23, 0
	s_delay_alu instid0(SALU_CYCLE_1) | instskip(NEXT) | instid1(SALU_CYCLE_1)
	s_add_nc_u64 s[18:19], s[14:15], s[18:19]
	s_add_co_u32 s12, s12, s18
	s_cselect_b32 s9, -1, 0
	s_wait_alu 0xfffe
	s_cmp_lg_u32 s9, 0
	s_add_co_ci_u32 s13, s13, s19
	s_delay_alu instid0(SALU_CYCLE_1) | instskip(NEXT) | instid1(SALU_CYCLE_1)
	s_mul_u64 s[16:17], s[16:17], s[12:13]
	s_mul_hi_u32 s19, s12, s17
	s_mul_i32 s18, s12, s17
	s_mul_hi_u32 s14, s12, s16
	s_mul_i32 s20, s13, s16
	s_add_nc_u64 s[18:19], s[14:15], s[18:19]
	s_mul_hi_u32 s9, s13, s16
	s_mul_hi_u32 s21, s13, s17
	s_add_co_u32 s14, s18, s20
	s_wait_alu 0xfffe
	s_add_co_ci_u32 s14, s19, s9
	s_mul_i32 s16, s13, s17
	s_add_co_ci_u32 s17, s21, 0
	s_delay_alu instid0(SALU_CYCLE_1) | instskip(NEXT) | instid1(SALU_CYCLE_1)
	s_add_nc_u64 s[16:17], s[14:15], s[16:17]
	s_add_co_u32 s9, s12, s16
	s_cselect_b32 s12, -1, 0
	s_delay_alu instid0(SALU_CYCLE_1) | instskip(SKIP_2) | instid1(SALU_CYCLE_1)
	s_cmp_lg_u32 s12, 0
	s_add_co_ci_u32 s18, s13, s17
	s_xor_b64 s[12:13], s[2:3], 0
	s_mul_hi_u32 s17, s12, s18
	s_mul_i32 s16, s12, s18
	s_wait_alu 0xfffe
	s_mul_hi_u32 s14, s12, s9
	s_mul_hi_u32 s20, s13, s9
	s_mul_i32 s9, s13, s9
	s_add_nc_u64 s[16:17], s[14:15], s[16:17]
	s_mul_hi_u32 s19, s13, s18
	s_wait_alu 0xfffe
	s_add_co_u32 s9, s16, s9
	s_add_co_ci_u32 s14, s17, s20
	s_mul_i32 s18, s13, s18
	s_add_co_ci_u32 s19, s19, 0
	s_delay_alu instid0(SALU_CYCLE_1) | instskip(NEXT) | instid1(SALU_CYCLE_1)
	s_add_nc_u64 s[16:17], s[14:15], s[18:19]
	s_mul_u64 s[18:19], s[6:7], s[16:17]
	s_delay_alu instid0(SALU_CYCLE_1)
	s_sub_co_u32 s9, s12, s18
	s_cselect_b32 s12, -1, 0
	s_sub_co_i32 s14, s13, s19
	s_cmp_lg_u32 s12, 0
	s_sub_co_ci_u32 s14, s14, s7
	s_wait_alu 0xfffe
	s_sub_co_u32 s18, s9, s6
	s_cselect_b32 s20, -1, 0
	s_delay_alu instid0(SALU_CYCLE_1) | instskip(SKIP_2) | instid1(SALU_CYCLE_1)
	s_cmp_lg_u32 s20, 0
	s_add_nc_u64 s[20:21], s[16:17], 1
	s_sub_co_ci_u32 s14, s14, 0
	s_cmp_ge_u32 s14, s7
	s_cselect_b32 s22, -1, 0
	s_cmp_ge_u32 s18, s6
	s_cselect_b32 s18, -1, 0
	s_cmp_eq_u32 s14, s7
	s_cselect_b32 s14, s18, s22
	s_add_nc_u64 s[22:23], s[16:17], 2
	s_cmp_lg_u32 s14, 0
	s_cselect_b32 s14, s22, s20
	s_cselect_b32 s18, s23, s21
	s_cmp_lg_u32 s12, 0
	s_sub_co_ci_u32 s12, s13, s19
	s_delay_alu instid0(SALU_CYCLE_1)
	s_cmp_ge_u32 s12, s7
	s_cselect_b32 s13, -1, 0
	s_cmp_ge_u32 s9, s6
	s_cselect_b32 s6, -1, 0
	s_cmp_eq_u32 s12, s7
	s_cselect_b32 s6, s6, s13
	s_delay_alu instid0(SALU_CYCLE_1) | instskip(SKIP_3) | instid1(SALU_CYCLE_1)
	s_cmp_lg_u32 s6, 0
	s_cselect_b32 s7, s18, s17
	s_cselect_b32 s6, s14, s16
	s_xor_b64 s[4:5], 0, s[4:5]
	s_xor_b64 s[6:7], s[6:7], s[4:5]
	s_delay_alu instid0(SALU_CYCLE_1)
	s_sub_nc_u64 s[12:13], s[6:7], s[4:5]
	s_cbranch_execnz .LBB45_4
.LBB45_3:
	v_cvt_f32_u32_e32 v1, s10
	s_sub_co_i32 s5, 0, s10
	s_mov_b32 s13, 0
	s_delay_alu instid0(VALU_DEP_1) | instskip(NEXT) | instid1(TRANS32_DEP_1)
	v_rcp_iflag_f32_e32 v1, v1
	v_mul_f32_e32 v1, 0x4f7ffffe, v1
	s_delay_alu instid0(VALU_DEP_1) | instskip(NEXT) | instid1(VALU_DEP_1)
	v_cvt_u32_f32_e32 v1, v1
	v_readfirstlane_b32 s4, v1
	s_mul_i32 s5, s5, s4
	s_delay_alu instid0(SALU_CYCLE_1) | instskip(NEXT) | instid1(SALU_CYCLE_1)
	s_mul_hi_u32 s5, s4, s5
	s_add_co_i32 s4, s4, s5
	s_delay_alu instid0(SALU_CYCLE_1) | instskip(NEXT) | instid1(SALU_CYCLE_1)
	s_mul_hi_u32 s4, s26, s4
	s_mul_i32 s5, s4, s10
	s_add_co_i32 s6, s4, 1
	s_sub_co_i32 s5, s26, s5
	s_delay_alu instid0(SALU_CYCLE_1)
	s_sub_co_i32 s7, s5, s10
	s_cmp_ge_u32 s5, s10
	s_cselect_b32 s4, s6, s4
	s_cselect_b32 s5, s7, s5
	s_add_co_i32 s6, s4, 1
	s_cmp_ge_u32 s5, s10
	s_cselect_b32 s12, s6, s4
.LBB45_4:
	s_load_b64 s[40:41], s[0:1], 0x370
	s_mov_b32 s4, 0
	s_mov_b32 s5, s35
	s_delay_alu instid0(SALU_CYCLE_1)
	s_cmp_lg_u64 s[4:5], 0
	s_cbranch_scc0 .LBB45_299
; %bb.5:
	s_ashr_i32 s6, s35, 31
	s_mov_b32 s21, s4
	s_mov_b32 s7, s6
	;; [unrolled: 1-line block ×3, first 2 shown]
	s_add_nc_u64 s[14:15], s[34:35], s[6:7]
	s_delay_alu instid0(SALU_CYCLE_1) | instskip(NEXT) | instid1(SALU_CYCLE_1)
	s_xor_b64 s[14:15], s[14:15], s[6:7]
	s_cvt_f32_u32 s5, s14
	s_cvt_f32_u32 s9, s15
	s_sub_nc_u64 s[18:19], 0, s[14:15]
	s_wait_alu 0xfffe
	s_delay_alu instid0(SALU_CYCLE_1) | instskip(NEXT) | instid1(SALU_CYCLE_3)
	s_fmamk_f32 s5, s9, 0x4f800000, s5
	v_s_rcp_f32 s5, s5
	s_delay_alu instid0(TRANS32_DEP_1) | instskip(SKIP_1) | instid1(SALU_CYCLE_2)
	s_mul_f32 s5, s5, 0x5f7ffffc
	s_wait_alu 0xfffe
	s_mul_f32 s9, s5, 0x2f800000
	s_wait_alu 0xfffe
	s_delay_alu instid0(SALU_CYCLE_2) | instskip(SKIP_1) | instid1(SALU_CYCLE_2)
	s_trunc_f32 s9, s9
	s_wait_alu 0xfffe
	s_fmamk_f32 s5, s9, 0xcf800000, s5
	s_cvt_u32_f32 s17, s9
	s_wait_alu 0xfffe
	s_delay_alu instid0(SALU_CYCLE_1) | instskip(NEXT) | instid1(SALU_CYCLE_3)
	s_cvt_u32_f32 s16, s5
	s_mul_u64 s[22:23], s[18:19], s[16:17]
	s_delay_alu instid0(SALU_CYCLE_1)
	s_mul_hi_u32 s29, s16, s23
	s_mul_i32 s28, s16, s23
	s_mul_hi_u32 s20, s16, s22
	s_mul_i32 s9, s17, s22
	s_add_nc_u64 s[20:21], s[20:21], s[28:29]
	s_mul_hi_u32 s5, s17, s22
	s_mul_hi_u32 s30, s17, s23
	s_wait_alu 0xfffe
	s_add_co_u32 s9, s20, s9
	s_add_co_ci_u32 s24, s21, s5
	s_mul_i32 s22, s17, s23
	s_add_co_ci_u32 s23, s30, 0
	s_delay_alu instid0(SALU_CYCLE_1)
	s_add_nc_u64 s[20:21], s[24:25], s[22:23]
	s_mov_b32 s23, s4
	s_add_co_u32 s16, s16, s20
	s_cselect_b32 s5, -1, 0
	s_wait_alu 0xfffe
	s_cmp_lg_u32 s5, 0
	s_add_co_ci_u32 s17, s17, s21
	s_mov_b32 s21, s4
	s_mul_u64 s[18:19], s[18:19], s[16:17]
	s_delay_alu instid0(SALU_CYCLE_1)
	s_mul_hi_u32 s25, s16, s19
	s_mul_i32 s24, s16, s19
	s_mul_hi_u32 s20, s16, s18
	s_mul_i32 s9, s17, s18
	s_add_nc_u64 s[20:21], s[20:21], s[24:25]
	s_mul_hi_u32 s5, s17, s18
	s_mul_hi_u32 s28, s17, s19
	s_wait_alu 0xfffe
	s_add_co_u32 s9, s20, s9
	s_add_co_ci_u32 s22, s21, s5
	s_mul_i32 s18, s17, s19
	s_add_co_ci_u32 s19, s28, 0
	s_mov_b32 s21, s4
	s_add_nc_u64 s[18:19], s[22:23], s[18:19]
	s_delay_alu instid0(SALU_CYCLE_1)
	s_add_co_u32 s5, s16, s18
	s_cselect_b32 s9, -1, 0
	s_wait_alu 0xfffe
	s_cmp_lg_u32 s9, 0
	s_add_co_ci_u32 s9, s17, s19
	s_xor_b64 s[16:17], s[2:3], 0
	s_mov_b32 s19, s4
	s_wait_alu 0xfffe
	s_mul_hi_u32 s23, s16, s9
	s_mul_i32 s22, s16, s9
	s_mul_hi_u32 s20, s16, s5
	s_mul_hi_u32 s18, s17, s5
	s_mul_i32 s5, s17, s5
	s_add_nc_u64 s[20:21], s[20:21], s[22:23]
	s_mul_hi_u32 s24, s17, s9
	s_wait_alu 0xfffe
	s_add_co_u32 s5, s20, s5
	s_add_co_ci_u32 s18, s21, s18
	s_mul_i32 s22, s17, s9
	s_add_co_ci_u32 s23, s24, 0
	s_delay_alu instid0(SALU_CYCLE_1) | instskip(NEXT) | instid1(SALU_CYCLE_1)
	s_add_nc_u64 s[18:19], s[18:19], s[22:23]
	s_mul_u64 s[20:21], s[14:15], s[18:19]
	s_delay_alu instid0(SALU_CYCLE_1)
	s_sub_co_u32 s5, s16, s20
	s_cselect_b32 s9, -1, 0
	s_sub_co_i32 s16, s17, s21
	s_wait_alu 0xfffe
	s_cmp_lg_u32 s9, 0
	s_sub_co_ci_u32 s16, s16, s15
	s_sub_co_u32 s20, s5, s14
	s_cselect_b32 s22, -1, 0
	s_delay_alu instid0(SALU_CYCLE_1) | instskip(SKIP_2) | instid1(SALU_CYCLE_1)
	s_cmp_lg_u32 s22, 0
	s_add_nc_u64 s[22:23], s[18:19], 1
	s_sub_co_ci_u32 s16, s16, 0
	s_cmp_ge_u32 s16, s15
	s_cselect_b32 s24, -1, 0
	s_cmp_ge_u32 s20, s14
	s_cselect_b32 s20, -1, 0
	s_cmp_eq_u32 s16, s15
	s_cselect_b32 s16, s20, s24
	s_add_nc_u64 s[24:25], s[18:19], 2
	s_cmp_lg_u32 s16, 0
	s_cselect_b32 s16, s24, s22
	s_cselect_b32 s20, s25, s23
	s_cmp_lg_u32 s9, 0
	s_sub_co_ci_u32 s9, s17, s21
	s_wait_alu 0xfffe
	s_cmp_ge_u32 s9, s15
	s_cselect_b32 s17, -1, 0
	s_cmp_ge_u32 s5, s14
	s_cselect_b32 s5, -1, 0
	s_cmp_eq_u32 s9, s15
	s_wait_alu 0xfffe
	s_cselect_b32 s5, s5, s17
	s_wait_alu 0xfffe
	s_cmp_lg_u32 s5, 0
	s_cselect_b32 s15, s20, s19
	s_cselect_b32 s14, s16, s18
	s_xor_b64 s[6:7], 0, s[6:7]
	s_delay_alu instid0(SALU_CYCLE_1) | instskip(NEXT) | instid1(SALU_CYCLE_1)
	s_xor_b64 s[14:15], s[14:15], s[6:7]
	s_sub_nc_u64 s[48:49], s[14:15], s[6:7]
	s_and_not1_b32 vcc_lo, exec_lo, s4
	s_cbranch_vccnz .LBB45_7
.LBB45_6:
	v_cvt_f32_u32_e32 v1, s34
	s_sub_co_i32 s5, 0, s34
	s_mov_b32 s49, 0
	s_delay_alu instid0(VALU_DEP_1) | instskip(NEXT) | instid1(TRANS32_DEP_1)
	v_rcp_iflag_f32_e32 v1, v1
	v_mul_f32_e32 v1, 0x4f7ffffe, v1
	s_delay_alu instid0(VALU_DEP_1) | instskip(NEXT) | instid1(VALU_DEP_1)
	v_cvt_u32_f32_e32 v1, v1
	v_readfirstlane_b32 s4, v1
	s_wait_alu 0xfffe
	s_mul_i32 s5, s5, s4
	s_wait_alu 0xfffe
	s_mul_hi_u32 s5, s4, s5
	s_wait_alu 0xfffe
	s_add_co_i32 s4, s4, s5
	s_wait_alu 0xfffe
	s_mul_hi_u32 s4, s26, s4
	s_wait_alu 0xfffe
	s_mul_i32 s5, s4, s34
	s_add_co_i32 s6, s4, 1
	s_wait_alu 0xfffe
	s_sub_co_i32 s5, s26, s5
	s_wait_alu 0xfffe
	s_sub_co_i32 s7, s5, s34
	s_cmp_ge_u32 s5, s34
	s_cselect_b32 s4, s6, s4
	s_cselect_b32 s5, s7, s5
	s_wait_alu 0xfffe
	s_add_co_i32 s6, s4, 1
	s_cmp_ge_u32 s5, s34
	s_cselect_b32 s48, s6, s4
.LBB45_7:
	s_mov_b32 s4, 0
	s_wait_kmcnt 0x0
	s_mov_b32 s5, s41
	s_wait_alu 0xfffe
	s_cmp_lg_u64 s[4:5], 0
	s_cbranch_scc0 .LBB45_300
; %bb.8:
	s_ashr_i32 s6, s41, 31
	s_mov_b32 s21, s4
	s_mov_b32 s7, s6
	;; [unrolled: 1-line block ×3, first 2 shown]
	s_add_nc_u64 s[14:15], s[40:41], s[6:7]
	s_delay_alu instid0(SALU_CYCLE_1) | instskip(NEXT) | instid1(SALU_CYCLE_1)
	s_xor_b64 s[14:15], s[14:15], s[6:7]
	s_cvt_f32_u32 s5, s14
	s_cvt_f32_u32 s9, s15
	s_sub_nc_u64 s[18:19], 0, s[14:15]
	s_wait_alu 0xfffe
	s_delay_alu instid0(SALU_CYCLE_1) | instskip(SKIP_1) | instid1(SALU_CYCLE_2)
	s_fmamk_f32 s5, s9, 0x4f800000, s5
	s_wait_alu 0xfffe
	v_s_rcp_f32 s5, s5
	s_delay_alu instid0(TRANS32_DEP_1) | instskip(SKIP_1) | instid1(SALU_CYCLE_2)
	s_mul_f32 s5, s5, 0x5f7ffffc
	s_wait_alu 0xfffe
	s_mul_f32 s9, s5, 0x2f800000
	s_wait_alu 0xfffe
	s_delay_alu instid0(SALU_CYCLE_2) | instskip(SKIP_1) | instid1(SALU_CYCLE_2)
	s_trunc_f32 s9, s9
	s_wait_alu 0xfffe
	s_fmamk_f32 s5, s9, 0xcf800000, s5
	s_cvt_u32_f32 s17, s9
	s_wait_alu 0xfffe
	s_delay_alu instid0(SALU_CYCLE_1) | instskip(NEXT) | instid1(SALU_CYCLE_3)
	s_cvt_u32_f32 s16, s5
	s_mul_u64 s[22:23], s[18:19], s[16:17]
	s_delay_alu instid0(SALU_CYCLE_1)
	s_mul_hi_u32 s29, s16, s23
	s_mul_i32 s28, s16, s23
	s_mul_hi_u32 s20, s16, s22
	s_mul_i32 s9, s17, s22
	s_add_nc_u64 s[20:21], s[20:21], s[28:29]
	s_mul_hi_u32 s5, s17, s22
	s_mul_hi_u32 s30, s17, s23
	s_wait_alu 0xfffe
	s_add_co_u32 s9, s20, s9
	s_add_co_ci_u32 s24, s21, s5
	s_mul_i32 s22, s17, s23
	s_add_co_ci_u32 s23, s30, 0
	s_delay_alu instid0(SALU_CYCLE_1)
	s_add_nc_u64 s[20:21], s[24:25], s[22:23]
	s_mov_b32 s23, s4
	s_add_co_u32 s16, s16, s20
	s_cselect_b32 s5, -1, 0
	s_wait_alu 0xfffe
	s_cmp_lg_u32 s5, 0
	s_add_co_ci_u32 s17, s17, s21
	s_mov_b32 s21, s4
	s_mul_u64 s[18:19], s[18:19], s[16:17]
	s_delay_alu instid0(SALU_CYCLE_1)
	s_mul_hi_u32 s25, s16, s19
	s_mul_i32 s24, s16, s19
	s_mul_hi_u32 s20, s16, s18
	s_mul_i32 s9, s17, s18
	s_add_nc_u64 s[20:21], s[20:21], s[24:25]
	s_mul_hi_u32 s5, s17, s18
	s_mul_hi_u32 s28, s17, s19
	s_wait_alu 0xfffe
	s_add_co_u32 s9, s20, s9
	s_add_co_ci_u32 s22, s21, s5
	s_mul_i32 s18, s17, s19
	s_add_co_ci_u32 s19, s28, 0
	s_mov_b32 s21, s4
	s_add_nc_u64 s[18:19], s[22:23], s[18:19]
	s_delay_alu instid0(SALU_CYCLE_1)
	s_add_co_u32 s5, s16, s18
	s_cselect_b32 s9, -1, 0
	s_wait_alu 0xfffe
	s_cmp_lg_u32 s9, 0
	s_add_co_ci_u32 s9, s17, s19
	s_xor_b64 s[2:3], s[2:3], 0
	s_mov_b32 s17, s4
	s_wait_alu 0xfffe
	s_mul_hi_u32 s19, s2, s9
	s_mul_i32 s18, s2, s9
	s_mul_hi_u32 s20, s2, s5
	s_mul_hi_u32 s16, s3, s5
	s_mul_i32 s5, s3, s5
	s_add_nc_u64 s[18:19], s[20:21], s[18:19]
	s_mul_hi_u32 s22, s3, s9
	s_wait_alu 0xfffe
	s_add_co_u32 s5, s18, s5
	s_add_co_ci_u32 s16, s19, s16
	s_mul_i32 s20, s3, s9
	s_add_co_ci_u32 s21, s22, 0
	s_delay_alu instid0(SALU_CYCLE_1) | instskip(NEXT) | instid1(SALU_CYCLE_1)
	s_add_nc_u64 s[16:17], s[16:17], s[20:21]
	s_mul_u64 s[18:19], s[14:15], s[16:17]
	s_delay_alu instid0(SALU_CYCLE_1)
	s_sub_co_u32 s2, s2, s18
	s_cselect_b32 s5, -1, 0
	s_sub_co_i32 s9, s3, s19
	s_wait_alu 0xfffe
	s_cmp_lg_u32 s5, 0
	s_sub_co_ci_u32 s9, s9, s15
	s_sub_co_u32 s18, s2, s14
	s_cselect_b32 s20, -1, 0
	s_delay_alu instid0(SALU_CYCLE_1)
	s_cmp_lg_u32 s20, 0
	s_add_nc_u64 s[20:21], s[16:17], 1
	s_wait_alu 0xfffe
	s_sub_co_ci_u32 s9, s9, 0
	s_wait_alu 0xfffe
	s_cmp_ge_u32 s9, s15
	s_cselect_b32 s22, -1, 0
	s_cmp_ge_u32 s18, s14
	s_cselect_b32 s18, -1, 0
	s_cmp_eq_u32 s9, s15
	s_cselect_b32 s9, s18, s22
	s_add_nc_u64 s[22:23], s[16:17], 2
	s_wait_alu 0xfffe
	s_cmp_lg_u32 s9, 0
	s_cselect_b32 s9, s22, s20
	s_cselect_b32 s18, s23, s21
	s_cmp_lg_u32 s5, 0
	s_sub_co_ci_u32 s3, s3, s19
	s_delay_alu instid0(SALU_CYCLE_1)
	s_cmp_ge_u32 s3, s15
	s_cselect_b32 s5, -1, 0
	s_cmp_ge_u32 s2, s14
	s_cselect_b32 s2, -1, 0
	s_cmp_eq_u32 s3, s15
	s_wait_alu 0xfffe
	s_cselect_b32 s2, s2, s5
	s_delay_alu instid0(SALU_CYCLE_1) | instskip(SKIP_3) | instid1(SALU_CYCLE_1)
	s_cmp_lg_u32 s2, 0
	s_cselect_b32 s3, s18, s17
	s_cselect_b32 s2, s9, s16
	s_xor_b64 s[6:7], 0, s[6:7]
	s_xor_b64 s[2:3], s[2:3], s[6:7]
	s_delay_alu instid0(SALU_CYCLE_1)
	s_sub_nc_u64 s[50:51], s[2:3], s[6:7]
	s_and_not1_b32 vcc_lo, exec_lo, s4
	s_cbranch_vccnz .LBB45_10
.LBB45_9:
	v_cvt_f32_u32_e32 v1, s40
	s_sub_co_i32 s3, 0, s40
	s_mov_b32 s51, 0
	s_delay_alu instid0(VALU_DEP_1) | instskip(NEXT) | instid1(TRANS32_DEP_1)
	v_rcp_iflag_f32_e32 v1, v1
	v_mul_f32_e32 v1, 0x4f7ffffe, v1
	s_delay_alu instid0(VALU_DEP_1) | instskip(NEXT) | instid1(VALU_DEP_1)
	v_cvt_u32_f32_e32 v1, v1
	v_readfirstlane_b32 s2, v1
	s_mul_i32 s3, s3, s2
	s_delay_alu instid0(SALU_CYCLE_1) | instskip(NEXT) | instid1(SALU_CYCLE_1)
	s_mul_hi_u32 s3, s2, s3
	s_add_co_i32 s2, s2, s3
	s_delay_alu instid0(SALU_CYCLE_1) | instskip(NEXT) | instid1(SALU_CYCLE_1)
	s_mul_hi_u32 s2, s26, s2
	s_mul_i32 s3, s2, s40
	s_add_co_i32 s4, s2, 1
	s_sub_co_i32 s3, s26, s3
	s_delay_alu instid0(SALU_CYCLE_1)
	s_sub_co_i32 s5, s3, s40
	s_cmp_ge_u32 s3, s40
	s_wait_alu 0xfffe
	s_cselect_b32 s2, s4, s2
	s_cselect_b32 s3, s5, s3
	s_add_co_i32 s4, s2, 1
	s_cmp_ge_u32 s3, s40
	s_wait_alu 0xfffe
	s_cselect_b32 s50, s4, s2
.LBB45_10:
	s_clause 0x1
	s_load_b128 s[4:7], s[0:1], 0xd0
	s_load_b64 s[16:17], s[0:1], 0x0
	v_cmp_eq_u32_e64 s2, 0, v0
	s_add_nc_u64 s[14:15], s[0:1], 0x500
	s_mov_b32 s25, 0
	s_and_saveexec_b32 s3, s2
	s_cbranch_execz .LBB45_12
; %bb.11:
	v_dual_mov_b32 v1, 0 :: v_dual_mov_b32 v4, s37
	s_delay_alu instid0(VALU_DEP_1)
	v_dual_mov_b32 v3, s36 :: v_dual_mov_b32 v2, v1
	ds_store_b32 v1, v1 offset:5136
	ds_store_b128 v1, v[1:4] offset:5120
.LBB45_12:
	s_or_b32 exec_lo, exec_lo, s3
	s_mul_u64 s[10:11], s[12:13], s[10:11]
	s_wait_kmcnt 0x0
	s_mul_u64 s[4:5], s[12:13], s[4:5]
	s_wait_alu 0xfffe
	s_sub_nc_u64 s[18:19], s[26:27], s[10:11]
	s_lshl_b64 s[10:11], s[4:5], 3
	s_mul_u64 s[4:5], s[18:19], s[6:7]
	s_clause 0x1
	s_load_b128 s[28:31], s[0:1], 0x430
	s_load_b64 s[52:53], s[0:1], 0x360
	s_lshl_b64 s[6:7], s[4:5], 3
	s_clause 0x1
	s_load_b128 s[44:47], s[0:1], 0x290
	s_load_b64 s[54:55], s[0:1], 0x1c0
	s_wait_dscnt 0x0
	s_barrier_signal -1
	s_barrier_wait -1
	global_inv scope:SCOPE_SE
	s_load_b32 s5, s[14:15], 0xc
	v_lshlrev_b32_e32 v47, 5, v0
	v_mad_co_u64_u32 v[2:3], null, s42, v0, 0
	v_mbcnt_lo_u32_b32 v43, -1, 0
	v_dual_mov_b32 v19, 0 :: v_dual_lshlrev_b32 v22, 2, v0
	s_delay_alu instid0(VALU_DEP_4) | instskip(SKIP_1) | instid1(VALU_DEP_4)
	v_or_b32_e32 v9, 24, v47
	v_or_b32_e32 v11, 16, v47
	v_lshlrev_b64_e64 v[6:7], v43, -1
	v_or_b32_e32 v12, 8, v47
	v_dual_mov_b32 v1, v3 :: v_dual_lshlrev_b32 v44, 3, v0
	v_mad_co_u64_u32 v[24:25], null, s42, v9, 0
	v_mad_co_u64_u32 v[26:27], null, s42, v11, 0
	v_cmp_gt_u32_e32 vcc_lo, 32, v0
	v_cmp_gt_i32_e64 s0, 4, v43
	v_mad_co_u64_u32 v[28:29], null, s42, v12, 0
	v_mad_co_u64_u32 v[3:4], null, s43, v0, v[1:2]
	v_mov_b32_e32 v1, v19
	v_not_b32_e32 v46, v6
	v_dual_mov_b32 v6, v25 :: v_dual_mov_b32 v7, v27
	s_wait_kmcnt 0x0
	s_and_b32 s56, s5, 0xffff
	s_and_b32 s33, vcc_lo, s0
	s_bfe_u32 s5, s5, 0xb0005
	s_cmp_gt_u32 s56, 31
	v_dual_mov_b32 v35, s38 :: v_dual_mov_b32 v36, s39
	v_mad_co_u64_u32 v[9:10], null, s43, v9, v[6:7]
	s_cselect_b32 s89, -1, 0
	s_cmp_lt_u32 ttmp9, s8
	v_dual_mov_b32 v8, v29 :: v_dual_add_nc_u32 v45, 0xc00, v44
	s_cselect_b32 s24, 12, 18
	s_wait_alu 0xfffe
	s_add_co_i32 s9, s5, -1
	s_bfe_u32 s90, s56, 0x30005
	s_wait_alu 0xfffe
	s_and_b32 s9, s9, 0xffff
	v_lshlrev_b64_e32 v[4:5], 3, v[2:3]
	s_wait_alu 0xfffe
	s_cmp_gt_u32 s9, 6
	v_mad_co_u64_u32 v[6:7], null, s43, v11, v[7:8]
	v_mad_co_u64_u32 v[7:8], null, s43, v12, v[8:9]
	s_add_nc_u64 s[12:13], s[16:17], s[10:11]
	s_cselect_b32 s91, -1, 0
	s_and_b32 s92, s5, 0x7f8
	s_cmp_lg_u32 s90, 0
	s_add_nc_u64 s[60:61], s[12:13], s[6:7]
	s_add_nc_u64 s[6:7], s[10:11], s[6:7]
	s_cselect_b32 s93, -1, 0
	s_lshl_b64 s[68:69], s[42:43], 3
	s_lshl_b64 s[70:71], s[42:43], 5
	v_add_co_u32 v20, vcc_lo, s60, v4
	s_add_nc_u64 s[66:67], s[16:17], s[6:7]
	v_mul_lo_u32 v53, 0, s68
	v_mul_lo_u32 v54, 0, s70
	v_add_co_ci_u32_e64 v21, null, s61, v5, vcc_lo
	s_movk_i32 s8, 0x3e0
	v_add_co_u32 v50, s5, s36, v0
	v_add_co_u32 v16, vcc_lo, s66, v4
	v_cmp_lt_i64_e64 s88, 0x180, s[36:37]
	v_cmp_gt_u64_e64 s4, s[36:37], v[0:1]
	v_cmp_gt_i64_e64 s0, s[36:37], v[0:1]
	s_mov_b32 s57, s25
	v_mov_b32_e32 v27, v6
	v_mov_b32_e32 v49, v7
	v_lshlrev_b64_e32 v[31:32], 5, v[2:3]
	v_dual_mov_b32 v29, 0 :: v_dual_mov_b32 v6, 0
	v_mov_b32_e32 v33, 0
	v_cmp_eq_u32_e64 s1, 0, v43
	v_cmp_gt_u32_e64 s3, 2, v0
	v_dual_mov_b32 v23, v19 :: v_dual_mov_b32 v30, 0
	s_wait_alu 0xfffe
	v_and_or_b32 v48, v0, s8, 0xc00
	v_dual_mov_b32 v25, v9 :: v_dual_mov_b32 v34, 0
	s_wait_alu 0xf1ff
	v_add_co_ci_u32_e64 v51, null, s37, 0, s5
	v_lshl_or_b32 v52, v43, 3, 0xc00
	s_wait_alu 0xfffd
	v_add_co_ci_u32_e64 v17, null, s67, v5, vcc_lo
	v_mov_b32_e32 v7, 0
	v_mov_b32_e32 v3, 0x3ff00000
	s_add_nc_u64 s[62:63], s[56:57], -1
	s_mul_u64 s[6:7], s[42:43], s[56:57]
	s_add_nc_u64 s[64:65], s[62:63], s[36:37]
	s_lshl_b64 s[58:59], s[6:7], 3
	s_lshl_b32 s94, s56, 3
	s_mov_b32 s95, 62
	s_add_nc_u64 s[38:39], s[14:15], s[24:25]
	s_mov_b32 s96, 0
	s_mov_b32 s97, 0
                                        ; implicit-def: $sgpr101
                                        ; implicit-def: $sgpr103
                                        ; implicit-def: $sgpr98
                                        ; implicit-def: $sgpr100
                                        ; implicit-def: $sgpr102
                                        ; implicit-def: $sgpr99
	s_branch .LBB45_16
.LBB45_13:                              ;   in Loop: Header=BB45_16 Depth=1
	s_wait_alu 0xfffe
	s_or_b32 exec_lo, exec_lo, s8
	s_delay_alu instid0(SALU_CYCLE_1)
	s_and_b32 s6, s6, exec_lo
	s_and_not1_b32 s72, s72, exec_lo
	s_and_not1_b32 s23, s23, exec_lo
	s_or_not1_b32 s21, s7, exec_lo
.LBB45_14:                              ;   in Loop: Header=BB45_16 Depth=1
	s_wait_alu 0xfffe
	s_or_b32 exec_lo, exec_lo, s5
	s_delay_alu instid0(SALU_CYCLE_1)
	s_and_not1_b32 s5, s99, exec_lo
	s_and_b32 s6, s6, exec_lo
	s_and_not1_b32 s7, s100, exec_lo
	s_wait_alu 0xfffe
	s_or_b32 s99, s5, s6
	s_and_not1_b32 s5, s102, exec_lo
	s_and_b32 s6, s72, exec_lo
	s_and_b32 s8, s23, exec_lo
	s_wait_alu 0xfffe
	s_or_b32 s102, s5, s6
	s_or_b32 s100, s7, s8
	s_or_not1_b32 s21, s21, exec_lo
.LBB45_15:                              ;   in Loop: Header=BB45_16 Depth=1
	s_or_b32 exec_lo, exec_lo, s20
	s_delay_alu instid0(SALU_CYCLE_1)
	s_and_b32 s5, exec_lo, s21
	v_dual_mov_b32 v36, v13 :: v_dual_mov_b32 v35, v12
	s_wait_alu 0xfffe
	s_or_b32 s96, s5, s96
	s_and_not1_b32 s5, s98, exec_lo
	s_and_b32 s6, s99, exec_lo
	s_and_not1_b32 s7, s103, exec_lo
	s_wait_alu 0xfffe
	s_or_b32 s98, s5, s6
	s_and_b32 s5, s102, exec_lo
	s_and_not1_b32 s6, s101, exec_lo
	s_and_b32 s8, s100, exec_lo
	s_wait_alu 0xfffe
	s_or_b32 s103, s7, s5
	s_or_b32 s101, s6, s8
	s_and_not1_b32 exec_lo, exec_lo, s96
	s_cbranch_execz .LBB45_281
.LBB45_16:                              ; =>This Loop Header: Depth=1
                                        ;     Child Loop BB45_22 Depth 2
                                        ;     Child Loop BB45_35 Depth 2
	;; [unrolled: 1-line block ×16, first 2 shown]
	ds_load_b128 v[8:11], v19 offset:5120
	s_wait_dscnt 0x0
	v_readfirstlane_b32 s73, v9
	v_readfirstlane_b32 s72, v8
	s_wait_alu 0xf1ff
	s_delay_alu instid0(VALU_DEP_1)
	v_cmp_gt_i64_e64 s5, s[72:73], 0
	s_and_b32 vcc_lo, exec_lo, s5
	s_wait_alu 0xfffe
	s_cbranch_vccnz .LBB45_43
; %bb.17:                               ;   in Loop: Header=BB45_16 Depth=1
	s_and_b32 vcc_lo, exec_lo, s88
	s_wait_alu 0xfffe
	s_cbranch_vccz .LBB45_30
; %bb.18:                               ;   in Loop: Header=BB45_16 Depth=1
	v_cmp_gt_i64_e32 vcc_lo, 0x181, v[10:11]
	s_mov_b32 s7, 0
	s_mov_b32 s5, 0
	s_cbranch_vccz .LBB45_31
; %bb.19:                               ;   in Loop: Header=BB45_16 Depth=1
	s_and_saveexec_b32 s8, s4
	s_cbranch_execz .LBB45_77
; %bb.20:                               ;   in Loop: Header=BB45_16 Depth=1
	global_load_u16 v2, v19, s[38:39]
	global_load_b64 v[8:9], v[20:21], off
	s_mov_b32 s9, 0
	s_wait_loadcnt 0x1
	v_and_b32_e32 v2, 0xffff, v2
	s_delay_alu instid0(VALU_DEP_1) | instskip(SKIP_2) | instid1(VALU_DEP_3)
	v_add_nc_u32_e32 v10, v0, v2
	v_mul_lo_u32 v12, v2, s69
	v_mul_hi_u32 v13, v2, s68
	v_mad_co_u64_u32 v[4:5], null, s68, v10, s[66:67]
	s_delay_alu instid0(VALU_DEP_1) | instskip(NEXT) | instid1(VALU_DEP_4)
	v_mad_co_u64_u32 v[10:11], null, s69, v10, v[5:6]
	v_add_nc_u32_e32 v5, v12, v53
	s_delay_alu instid0(VALU_DEP_1) | instskip(NEXT) | instid1(VALU_DEP_3)
	v_add_nc_u32_e32 v15, v5, v13
	v_mov_b32_e32 v5, v10
	v_mul_lo_u32 v14, v2, s68
	v_dual_mov_b32 v11, v1 :: v_dual_mov_b32 v10, v0
	s_branch .LBB45_22
.LBB45_21:                              ;   in Loop: Header=BB45_22 Depth=2
	s_wait_alu 0xfffe
	s_or_b32 exec_lo, exec_lo, s6
	v_add_co_u32 v4, vcc_lo, v4, v14
	s_wait_alu 0xfffd
	v_add_co_ci_u32_e64 v5, null, v5, v15, vcc_lo
	v_dual_mov_b32 v8, v12 :: v_dual_mov_b32 v9, v13
	s_and_not1_b32 exec_lo, exec_lo, s9
	s_cbranch_execz .LBB45_77
.LBB45_22:                              ;   Parent Loop BB45_16 Depth=1
                                        ; =>  This Inner Loop Header: Depth=2
	s_delay_alu instid0(VALU_DEP_1)
	v_add_co_u32 v10, vcc_lo, v10, v2
	v_mov_b32_e32 v12, 0
	s_wait_alu 0xfffd
	v_add_co_ci_u32_e64 v11, null, 0, v11, vcc_lo
	v_mov_b32_e32 v13, 0
	s_mov_b32 s6, exec_lo
	s_delay_alu instid0(VALU_DEP_2)
	v_cmp_le_i64_e32 vcc_lo, s[36:37], v[10:11]
	v_cmpx_gt_i64_e64 s[36:37], v[10:11]
	s_cbranch_execz .LBB45_24
; %bb.23:                               ;   in Loop: Header=BB45_22 Depth=2
	global_load_b64 v[12:13], v[4:5], off
.LBB45_24:                              ;   in Loop: Header=BB45_22 Depth=2
	s_wait_alu 0xfffe
	s_or_b32 exec_lo, exec_lo, s6
	s_wait_loadcnt 0x0
	v_cmp_o_f64_e64 s5, v[8:9], v[8:9]
	s_wait_dscnt 0x0
	v_ashrrev_i32_e32 v18, 31, v9
	s_delay_alu instid0(VALU_DEP_1) | instskip(SKIP_1) | instid1(VALU_DEP_2)
	v_or_b32_e32 v37, 0x80000000, v18
	v_xor_b32_e32 v18, v18, v8
	v_xor_b32_e32 v37, v37, v9
	s_wait_alu 0xf1ff
	s_delay_alu instid0(VALU_DEP_1) | instskip(NEXT) | instid1(VALU_DEP_3)
	v_cndmask_b32_e64 v37, -1, v37, s5
	v_cndmask_b32_e64 v18, -1, v18, s5
	s_delay_alu instid0(VALU_DEP_2) | instskip(NEXT) | instid1(VALU_DEP_2)
	v_and_b32_e32 v38, v37, v34
	v_dual_mov_b32 v18, 0 :: v_dual_and_b32 v37, v18, v33
	s_delay_alu instid0(VALU_DEP_1)
	v_cmp_eq_u64_e64 s5, v[37:38], v[29:30]
	s_cmp_lg_u32 s5, 0
	s_cselect_b32 s6, -1, 0
	s_wait_alu 0xfffe
	s_and_b32 s6, s1, s6
	s_wait_alu 0xfffe
	s_and_saveexec_b32 s10, s6
	s_cbranch_execz .LBB45_28
; %bb.25:                               ;   in Loop: Header=BB45_22 Depth=2
	s_mov_b32 s13, exec_lo
	s_bcnt1_i32_b32 s11, s5
	s_wait_alu 0xfffe
	v_mbcnt_lo_u32_b32 v18, s13, 0
	s_mov_b32 s12, exec_lo
                                        ; implicit-def: $vgpr37
	s_delay_alu instid0(VALU_DEP_1)
	v_cmpx_eq_u32_e32 0, v18
; %bb.26:                               ;   in Loop: Header=BB45_22 Depth=2
	s_bcnt1_i32_b32 s6, s13
	s_wait_alu 0xfffe
	s_mul_i32 s6, s11, s6
	s_wait_alu 0xfffe
	v_mov_b32_e32 v37, s6
	ds_add_rtn_u32 v37, v19, v37 offset:5136
; %bb.27:                               ;   in Loop: Header=BB45_22 Depth=2
	s_or_b32 exec_lo, exec_lo, s12
	s_wait_dscnt 0x0
	v_readfirstlane_b32 s6, v37
	s_wait_alu 0xf1ff
	s_delay_alu instid0(VALU_DEP_1)
	v_mad_u32_u24 v18, s11, v18, s6
.LBB45_28:                              ;   in Loop: Header=BB45_22 Depth=2
	s_wait_alu 0xfffe
	s_or_b32 exec_lo, exec_lo, s10
	ds_bpermute_b32 v18, v19, v18
	s_and_b32 s6, exec_lo, vcc_lo
	s_wait_alu 0xfffe
	s_or_b32 s9, s6, s9
	s_and_saveexec_b32 s6, s5
	s_cbranch_execz .LBB45_21
; %bb.29:                               ;   in Loop: Header=BB45_22 Depth=2
	v_and_b32_e32 v37, s5, v46
	s_delay_alu instid0(VALU_DEP_1) | instskip(NEXT) | instid1(VALU_DEP_1)
	v_bcnt_u32_b32 v37, v37, 0
	v_lshlrev_b32_e32 v37, 3, v37
	s_wait_dscnt 0x0
	s_delay_alu instid0(VALU_DEP_1)
	v_lshl_add_u32 v18, v18, 3, v37
	ds_store_b64 v18, v[8:9]
	s_branch .LBB45_21
.LBB45_30:                              ;   in Loop: Header=BB45_16 Depth=1
	s_mov_b32 s7, -1
	s_mov_b32 s5, 0
.LBB45_31:                              ;   in Loop: Header=BB45_16 Depth=1
	s_wait_alu 0xfffe
	s_and_b32 vcc_lo, exec_lo, s7
	s_wait_alu 0xfffe
	s_cbranch_vccz .LBB45_41
.LBB45_32:                              ;   in Loop: Header=BB45_16 Depth=1
	s_and_saveexec_b32 s6, s0
	s_cbranch_execz .LBB45_38
; %bb.33:                               ;   in Loop: Header=BB45_16 Depth=1
	global_load_u16 v2, v19, s[38:39]
	global_load_b64 v[4:5], v[20:21], off
	v_mov_b32_e32 v8, v0
	s_mov_b32 s7, exec_lo
	s_wait_loadcnt 0x1
	v_and_b32_e32 v2, 0xffff, v2
	s_delay_alu instid0(VALU_DEP_1) | instskip(NEXT) | instid1(VALU_DEP_1)
	v_add_nc_u32_e32 v18, v2, v0
	v_cmpx_gt_i64_e64 s[36:37], v[18:19]
	s_cbranch_execz .LBB45_37
; %bb.34:                               ;   in Loop: Header=BB45_16 Depth=1
	v_mul_lo_u32 v11, v2, s69
	v_mad_co_u64_u32 v[8:9], null, s68, v18, s[66:67]
	v_mul_hi_u32 v12, v2, s68
	v_mul_lo_u32 v37, v2, s68
	v_dual_mov_b32 v15, v1 :: v_dual_mov_b32 v14, v0
	s_mov_b32 s8, 0
	v_add_nc_u32_e32 v13, v11, v53
	v_mad_co_u64_u32 v[9:10], null, s69, v18, v[9:10]
	v_dual_mov_b32 v10, v18 :: v_dual_mov_b32 v11, v19
	s_delay_alu instid0(VALU_DEP_3)
	v_add_nc_u32_e32 v18, v13, v12
.LBB45_35:                              ;   Parent Loop BB45_16 Depth=1
                                        ; =>  This Inner Loop Header: Depth=2
	global_load_b64 v[12:13], v[8:9], off
	v_dual_mov_b32 v39, v11 :: v_dual_mov_b32 v38, v10
	v_lshlrev_b32_e32 v14, 3, v14
	s_delay_alu instid0(VALU_DEP_2) | instskip(SKIP_1) | instid1(VALU_DEP_3)
	v_add_co_u32 v10, vcc_lo, v38, v2
	s_wait_alu 0xfffd
	v_add_co_ci_u32_e64 v11, null, 0, v39, vcc_lo
	v_add_co_u32 v8, vcc_lo, v8, v37
	s_wait_loadcnt 0x1
	ds_store_b64 v14, v[4:5]
	v_cmp_le_i64_e64 s5, s[36:37], v[10:11]
	s_wait_alu 0xfffd
	v_add_co_ci_u32_e64 v9, null, v9, v18, vcc_lo
	v_dual_mov_b32 v14, v38 :: v_dual_mov_b32 v15, v39
	s_wait_alu 0xfffe
	s_delay_alu instid0(VALU_DEP_3)
	s_or_b32 s8, s5, s8
	s_wait_loadcnt 0x0
	v_dual_mov_b32 v4, v12 :: v_dual_mov_b32 v5, v13
	s_wait_alu 0xfffe
	s_and_not1_b32 exec_lo, exec_lo, s8
	s_cbranch_execnz .LBB45_35
; %bb.36:                               ;   in Loop: Header=BB45_16 Depth=1
	s_or_b32 exec_lo, exec_lo, s8
	v_sub_nc_u32_e32 v8, v10, v2
	v_dual_mov_b32 v4, v12 :: v_dual_mov_b32 v5, v13
.LBB45_37:                              ;   in Loop: Header=BB45_16 Depth=1
	s_wait_alu 0xfffe
	s_or_b32 exec_lo, exec_lo, s7
	s_delay_alu instid0(VALU_DEP_2)
	v_lshlrev_b32_e32 v2, 3, v8
	s_wait_loadcnt 0x0
	ds_store_b64 v2, v[4:5]
.LBB45_38:                              ;   in Loop: Header=BB45_16 Depth=1
	s_wait_alu 0xfffe
	s_or_b32 exec_lo, exec_lo, s6
	s_wait_loadcnt_dscnt 0x0
	s_barrier_signal -1
	s_barrier_wait -1
	global_inv scope:SCOPE_SE
	s_and_saveexec_b32 s5, s2
; %bb.39:                               ;   in Loop: Header=BB45_16 Depth=1
	v_dual_mov_b32 v4, s36 :: v_dual_mov_b32 v5, s37
	ds_store_b64 v19, v[4:5] offset:5120
; %bb.40:                               ;   in Loop: Header=BB45_16 Depth=1
	s_wait_alu 0xfffe
	s_or_b32 exec_lo, exec_lo, s5
	s_mov_b32 s5, -1
	s_wait_loadcnt_dscnt 0x0
	s_barrier_signal -1
	s_barrier_wait -1
.LBB45_41:                              ;   in Loop: Header=BB45_16 Depth=1
	s_wait_alu 0xfffe
	s_and_b32 vcc_lo, exec_lo, s5
	s_wait_alu 0xfffe
	s_cbranch_vccz .LBB45_43
; %bb.42:                               ;   in Loop: Header=BB45_16 Depth=1
	s_wait_loadcnt 0x0
	global_inv scope:SCOPE_SE
	ds_load_b64 v[4:5], v19 offset:5120
	s_wait_dscnt 0x0
	v_readfirstlane_b32 s72, v4
.LBB45_43:                              ;   in Loop: Header=BB45_16 Depth=1
	s_delay_alu instid0(VALU_DEP_1)
	s_cmp_lt_i32 s72, 1
	s_mov_b32 s5, -1
                                        ; implicit-def: $vgpr8_vgpr9
                                        ; implicit-def: $vgpr12_vgpr13
	s_cbranch_scc1 .LBB45_53
; %bb.44:                               ;   in Loop: Header=BB45_16 Depth=1
	s_wait_alu 0xfffe
	s_and_b32 vcc_lo, exec_lo, s5
	s_wait_alu 0xfffe
	s_cbranch_vccnz .LBB45_67
.LBB45_45:                              ;   in Loop: Header=BB45_16 Depth=1
	s_lshl_b32 s5, s97, 7
	s_and_saveexec_b32 s6, s1
	s_cbranch_execz .LBB45_47
.LBB45_46:                              ;   in Loop: Header=BB45_16 Depth=1
	s_wait_alu 0xfffe
	v_lshl_add_u32 v2, s5, 3, v48
	ds_store_b128 v2, v[8:11]
	ds_store_b128 v2, v[12:15] offset:16
.LBB45_47:                              ;   in Loop: Header=BB45_16 Depth=1
	s_wait_alu 0xfffe
	s_or_b32 exec_lo, exec_lo, s6
	s_wait_loadcnt_dscnt 0x0
	s_barrier_signal -1
	s_barrier_wait -1
	global_inv scope:SCOPE_SE
	s_and_saveexec_b32 s6, s33
	s_cbranch_execz .LBB45_84
; %bb.48:                               ;   in Loop: Header=BB45_16 Depth=1
	v_mov_b32_e32 v4, 0
	v_mov_b32_e32 v5, 0
	s_and_not1_b32 vcc_lo, exec_lo, s89
	s_wait_alu 0xfffe
	s_cbranch_vccnz .LBB45_83
; %bb.49:                               ;   in Loop: Header=BB45_16 Depth=1
	v_mov_b32_e32 v4, 0
	v_mov_b32_e32 v5, 0
	s_and_not1_b32 vcc_lo, exec_lo, s91
	s_wait_alu 0xfffe
	s_cbranch_vccnz .LBB45_80
; %bb.50:                               ;   in Loop: Header=BB45_16 Depth=1
	v_lshl_add_u32 v2, s97, 10, v52
	s_mov_b32 s7, 0
.LBB45_51:                              ;   Parent Loop BB45_16 Depth=1
                                        ; =>  This Inner Loop Header: Depth=2
	ds_load_2addr_b64 v[8:11], v2 offset1:4
	ds_load_2addr_b64 v[12:15], v2 offset0:8 offset1:12
	ds_load_2addr_b64 v[37:40], v2 offset0:16 offset1:20
	s_wait_alu 0xfffe
	s_add_co_i32 s7, s7, 8
	s_wait_alu 0xfffe
	s_cmp_eq_u32 s92, s7
	s_wait_dscnt 0x2
	v_add_co_u32 v4, vcc_lo, v8, v4
	s_wait_alu 0xfffd
	v_add_co_ci_u32_e64 v5, null, v9, v5, vcc_lo
	s_delay_alu instid0(VALU_DEP_2) | instskip(SKIP_1) | instid1(VALU_DEP_2)
	v_add_co_u32 v4, vcc_lo, v10, v4
	s_wait_alu 0xfffd
	v_add_co_ci_u32_e64 v5, null, v11, v5, vcc_lo
	ds_load_2addr_b64 v[8:11], v2 offset0:24 offset1:28
	s_wait_dscnt 0x2
	v_add_co_u32 v4, vcc_lo, v12, v4
	s_wait_alu 0xfffd
	v_add_co_ci_u32_e64 v5, null, v13, v5, vcc_lo
	v_add_nc_u32_e32 v2, 0x100, v2
	s_delay_alu instid0(VALU_DEP_3) | instskip(SKIP_1) | instid1(VALU_DEP_3)
	v_add_co_u32 v4, vcc_lo, v14, v4
	s_wait_alu 0xfffd
	v_add_co_ci_u32_e64 v5, null, v15, v5, vcc_lo
	s_wait_dscnt 0x1
	s_delay_alu instid0(VALU_DEP_2) | instskip(SKIP_1) | instid1(VALU_DEP_2)
	v_add_co_u32 v4, vcc_lo, v37, v4
	s_wait_alu 0xfffd
	v_add_co_ci_u32_e64 v5, null, v38, v5, vcc_lo
	s_delay_alu instid0(VALU_DEP_2) | instskip(SKIP_1) | instid1(VALU_DEP_2)
	v_add_co_u32 v4, vcc_lo, v39, v4
	s_wait_alu 0xfffd
	v_add_co_ci_u32_e64 v5, null, v40, v5, vcc_lo
	s_wait_dscnt 0x0
	s_delay_alu instid0(VALU_DEP_2) | instskip(SKIP_1) | instid1(VALU_DEP_2)
	v_add_co_u32 v4, vcc_lo, v8, v4
	s_wait_alu 0xfffd
	v_add_co_ci_u32_e64 v5, null, v9, v5, vcc_lo
	s_delay_alu instid0(VALU_DEP_2) | instskip(SKIP_1) | instid1(VALU_DEP_2)
	v_add_co_u32 v4, vcc_lo, v10, v4
	s_wait_alu 0xfffd
	v_add_co_ci_u32_e64 v5, null, v11, v5, vcc_lo
	s_cbranch_scc0 .LBB45_51
; %bb.52:                               ;   in Loop: Header=BB45_16 Depth=1
	s_mov_b32 s7, s92
	s_and_not1_b32 vcc_lo, exec_lo, s93
	s_wait_alu 0xfffe
	s_cbranch_vccz .LBB45_81
	s_branch .LBB45_83
.LBB45_53:                              ;   in Loop: Header=BB45_16 Depth=1
	global_load_u16 v2, v19, s[38:39]
	s_mov_b32 s6, s25
	s_mov_b32 s7, s37
	s_wait_loadcnt 0x0
	v_readfirstlane_b32 s5, v2
	s_wait_alu 0xfffe
	s_and_b32 s5, 0xffff, s5
	s_wait_alu 0xfffe
	s_lshl_b32 s74, s5, 2
	s_cmp_lg_u64 s[6:7], 0
	s_cbranch_scc0 .LBB45_76
; %bb.54:                               ;   in Loop: Header=BB45_16 Depth=1
	s_mov_b32 s75, s25
	s_wait_alu 0xfffe
	s_add_nc_u64 s[6:7], s[74:75], 0
	s_wait_alu 0xfffe
	s_xor_b64 s[6:7], s[6:7], 0
	s_wait_alu 0xfffe
	s_cvt_f32_u32 s5, s6
	s_cvt_f32_u32 s8, s7
	s_sub_nc_u64 s[10:11], 0, s[6:7]
	s_wait_alu 0xfffe
	s_delay_alu instid0(SALU_CYCLE_1) | instskip(SKIP_1) | instid1(SALU_CYCLE_2)
	s_fmamk_f32 s5, s8, 0x4f800000, s5
	s_wait_alu 0xfffe
	v_s_rcp_f32 s5, s5
	s_delay_alu instid0(TRANS32_DEP_1) | instskip(SKIP_1) | instid1(SALU_CYCLE_2)
	s_mul_f32 s5, s5, 0x5f7ffffc
	s_wait_alu 0xfffe
	s_mul_f32 s8, s5, 0x2f800000
	s_wait_alu 0xfffe
	s_delay_alu instid0(SALU_CYCLE_2) | instskip(SKIP_1) | instid1(SALU_CYCLE_2)
	s_trunc_f32 s8, s8
	s_wait_alu 0xfffe
	s_fmamk_f32 s5, s8, 0xcf800000, s5
	s_cvt_u32_f32 s9, s8
	s_wait_alu 0xfffe
	s_delay_alu instid0(SALU_CYCLE_1) | instskip(SKIP_1) | instid1(SALU_CYCLE_2)
	s_cvt_u32_f32 s8, s5
	s_wait_alu 0xfffe
	s_mul_u64 s[12:13], s[10:11], s[8:9]
	s_wait_alu 0xfffe
	s_mul_hi_u32 s15, s8, s13
	s_mul_i32 s14, s8, s13
	s_mul_hi_u32 s24, s8, s12
	s_mul_i32 s16, s9, s12
	s_wait_alu 0xfffe
	s_add_nc_u64 s[14:15], s[24:25], s[14:15]
	s_mul_hi_u32 s5, s9, s12
	s_mul_hi_u32 s17, s9, s13
	s_mul_i32 s12, s9, s13
	s_wait_alu 0xfffe
	s_add_co_u32 s13, s14, s16
	s_add_co_ci_u32 s24, s15, s5
	s_add_co_ci_u32 s13, s17, 0
	s_wait_alu 0xfffe
	s_add_nc_u64 s[12:13], s[24:25], s[12:13]
	s_wait_alu 0xfffe
	s_add_co_u32 s8, s8, s12
	s_cselect_b32 s5, -1, 0
	s_wait_alu 0xfffe
	s_cmp_lg_u32 s5, 0
	s_add_co_ci_u32 s9, s9, s13
	s_wait_alu 0xfffe
	s_mul_u64 s[10:11], s[10:11], s[8:9]
	s_wait_alu 0xfffe
	s_mul_hi_u32 s13, s8, s11
	s_mul_i32 s12, s8, s11
	s_mul_hi_u32 s24, s8, s10
	s_mul_i32 s14, s9, s10
	s_wait_alu 0xfffe
	s_add_nc_u64 s[12:13], s[24:25], s[12:13]
	s_mul_hi_u32 s5, s9, s10
	s_mul_hi_u32 s15, s9, s11
	s_mul_i32 s10, s9, s11
	s_wait_alu 0xfffe
	s_add_co_u32 s11, s12, s14
	s_add_co_ci_u32 s24, s13, s5
	s_add_co_ci_u32 s11, s15, 0
	s_wait_alu 0xfffe
	s_add_nc_u64 s[10:11], s[24:25], s[10:11]
	s_wait_alu 0xfffe
	s_add_co_u32 s5, s8, s10
	s_cselect_b32 s8, -1, 0
	s_wait_alu 0xfffe
	s_cmp_lg_u32 s8, 0
	s_add_co_ci_u32 s14, s9, s11
	s_ashr_i32 s8, s37, 31
	s_wait_alu 0xfffe
	s_mov_b32 s9, s8
	s_wait_alu 0xfffe
	s_add_nc_u64 s[10:11], s[36:37], s[8:9]
	s_wait_alu 0xfffe
	s_xor_b64 s[10:11], s[10:11], s[8:9]
	s_wait_alu 0xfffe
	s_mul_hi_u32 s13, s10, s14
	s_mul_i32 s12, s10, s14
	s_mul_hi_u32 s24, s10, s5
	s_mul_hi_u32 s16, s11, s5
	s_mul_i32 s5, s11, s5
	s_wait_alu 0xfffe
	s_add_nc_u64 s[12:13], s[24:25], s[12:13]
	s_mul_hi_u32 s15, s11, s14
	s_wait_alu 0xfffe
	s_add_co_u32 s5, s12, s5
	s_add_co_ci_u32 s24, s13, s16
	s_mul_i32 s14, s11, s14
	s_add_co_ci_u32 s15, s15, 0
	s_wait_alu 0xfffe
	s_add_nc_u64 s[12:13], s[24:25], s[14:15]
	s_wait_alu 0xfffe
	s_mul_u64 s[12:13], s[6:7], s[12:13]
	s_wait_alu 0xfffe
	s_sub_co_u32 s5, s10, s12
	s_cselect_b32 s10, -1, 0
	s_sub_co_i32 s12, s11, s13
	s_wait_alu 0xfffe
	s_cmp_lg_u32 s10, 0
	s_sub_co_ci_u32 s12, s12, s7
	s_sub_co_u32 s14, s5, s6
	s_cselect_b32 s15, -1, 0
	s_wait_alu 0xfffe
	s_cmp_lg_u32 s15, 0
	s_sub_co_ci_u32 s16, s12, 0
	s_wait_alu 0xfffe
	s_cmp_ge_u32 s16, s7
	s_cselect_b32 s17, -1, 0
	s_cmp_ge_u32 s14, s6
	s_cselect_b32 s18, -1, 0
	s_cmp_eq_u32 s16, s7
	s_wait_alu 0xfffe
	s_cselect_b32 s17, s18, s17
	s_cmp_lg_u32 s15, 0
	s_sub_co_ci_u32 s12, s12, s7
	s_sub_co_u32 s15, s14, s6
	s_cselect_b32 s18, -1, 0
	s_delay_alu instid0(SALU_CYCLE_1)
	s_cmp_lg_u32 s18, 0
	s_wait_alu 0xfffe
	s_sub_co_ci_u32 s12, s12, 0
	s_cmp_lg_u32 s17, 0
	s_cselect_b32 s14, s15, s14
	s_wait_alu 0xfffe
	s_cselect_b32 s12, s12, s16
	s_cmp_lg_u32 s10, 0
	s_sub_co_ci_u32 s10, s11, s13
	s_wait_alu 0xfffe
	s_cmp_ge_u32 s10, s7
	s_cselect_b32 s11, -1, 0
	s_cmp_ge_u32 s5, s6
	s_cselect_b32 s6, -1, 0
	s_cmp_eq_u32 s10, s7
	s_wait_alu 0xfffe
	s_cselect_b32 s6, s6, s11
	s_wait_alu 0xfffe
	s_cmp_lg_u32 s6, 0
	s_cselect_b32 s7, s12, s10
	s_cselect_b32 s6, s14, s5
	s_wait_alu 0xfffe
	s_xor_b64 s[6:7], s[6:7], s[8:9]
	s_wait_alu 0xfffe
	s_sub_nc_u64 s[76:77], s[6:7], s[8:9]
	s_cbranch_execnz .LBB45_56
.LBB45_55:                              ;   in Loop: Header=BB45_16 Depth=1
	s_wait_alu 0xfffe
	v_cvt_f32_u32_e32 v4, s74
	s_sub_co_i32 s6, 0, s74
	s_delay_alu instid0(VALU_DEP_1) | instskip(NEXT) | instid1(TRANS32_DEP_1)
	v_rcp_iflag_f32_e32 v4, v4
	v_mul_f32_e32 v4, 0x4f7ffffe, v4
	s_delay_alu instid0(VALU_DEP_1) | instskip(NEXT) | instid1(VALU_DEP_1)
	v_cvt_u32_f32_e32 v4, v4
	v_readfirstlane_b32 s5, v4
	s_wait_alu 0xfffe
	s_mul_i32 s6, s6, s5
	s_wait_alu 0xfffe
	s_mul_hi_u32 s6, s5, s6
	s_wait_alu 0xfffe
	s_add_co_i32 s5, s5, s6
	s_wait_alu 0xfffe
	s_mul_hi_u32 s5, s36, s5
	s_wait_alu 0xfffe
	s_mul_i32 s5, s5, s74
	s_wait_alu 0xfffe
	s_sub_co_i32 s5, s36, s5
	s_wait_alu 0xfffe
	s_sub_co_i32 s6, s5, s74
	s_cmp_ge_u32 s5, s74
	s_wait_alu 0xfffe
	s_cselect_b32 s5, s6, s5
	s_wait_alu 0xfffe
	s_sub_co_i32 s6, s5, s74
	s_cmp_ge_u32 s5, s74
	s_wait_alu 0xfffe
	s_cselect_b32 s24, s6, s5
	s_wait_alu 0xfffe
	s_mov_b64 s[76:77], s[24:25]
.LBB45_56:                              ;   in Loop: Header=BB45_16 Depth=1
	v_mov_b32_e32 v8, 0
	v_dual_mov_b32 v12, 0 :: v_dual_mov_b32 v9, 0
	v_dual_mov_b32 v10, 0 :: v_dual_mov_b32 v13, 0
	;; [unrolled: 1-line block ×3, first 2 shown]
	v_dual_mov_b32 v15, 0 :: v_dual_and_b32 v2, 0xffff, v2
	s_wait_alu 0xfffe
	s_sub_nc_u64 s[78:79], s[36:37], s[76:77]
	s_mov_b32 s73, exec_lo
	s_wait_alu 0xfffe
	v_cmpx_gt_i64_e64 s[78:79], v[22:23]
	s_cbranch_execz .LBB45_60
; %bb.57:                               ;   in Loop: Header=BB45_16 Depth=1
	v_mul_lo_u32 v4, v2, s71
	v_mul_hi_u32 v8, v2, s70
	v_mul_lo_u32 v39, v2, s70
	v_dual_mov_b32 v38, v23 :: v_dual_mov_b32 v37, v22
	s_mov_b64 s[80:81], 0
	s_mov_b32 s75, 0
	s_mov_b64 s[82:83], 0
	s_delay_alu instid0(VALU_DEP_4) | instskip(SKIP_3) | instid1(VALU_DEP_2)
	v_dual_mov_b32 v4, s60 :: v_dual_add_nc_u32 v9, v4, v54
	v_mov_b32_e32 v5, s61
	s_mov_b64 s[84:85], 0
	s_mov_b64 s[86:87], 0
	v_add_nc_u32_e32 v40, v9, v8
.LBB45_58:                              ;   Parent Loop BB45_16 Depth=1
                                        ; =>  This Inner Loop Header: Depth=2
	v_add_co_u32 v8, vcc_lo, v4, v31
	s_wait_alu 0xfffd
	v_add_co_ci_u32_e64 v9, null, v5, v32, vcc_lo
	v_add_co_u32 v10, vcc_lo, v4, v28
	s_wait_alu 0xfffd
	v_add_co_ci_u32_e64 v11, null, v5, v49, vcc_lo
	;; [unrolled: 3-line block ×4, first 2 shown]
	s_clause 0x3
	global_load_b64 v[8:9], v[8:9], off
	global_load_b64 v[10:11], v[10:11], off
	;; [unrolled: 1-line block ×4, first 2 shown]
	v_add_co_u32 v37, vcc_lo, v37, s74
	s_wait_alu 0xfffd
	v_add_co_ci_u32_e64 v38, null, 0, v38, vcc_lo
	v_add_co_u32 v4, vcc_lo, v4, v39
	s_wait_alu 0xfffd
	v_add_co_ci_u32_e64 v5, null, v5, v40, vcc_lo
	s_delay_alu instid0(VALU_DEP_3)
	v_cmp_le_i64_e32 vcc_lo, s[78:79], v[37:38]
	s_wait_loadcnt 0x3
	v_cmp_o_f64_e64 s5, v[8:9], v[8:9]
	s_wait_loadcnt 0x2
	v_cmp_o_f64_e64 s6, v[10:11], v[10:11]
	;; [unrolled: 2-line block ×4, first 2 shown]
	v_ashrrev_i32_e32 v18, 31, v9
	v_ashrrev_i32_e32 v41, 31, v11
	;; [unrolled: 1-line block ×4, first 2 shown]
	s_delay_alu instid0(VALU_DEP_4) | instskip(NEXT) | instid1(VALU_DEP_4)
	v_or_b32_e32 v59, 0x80000000, v18
	v_or_b32_e32 v60, 0x80000000, v41
	s_delay_alu instid0(VALU_DEP_4) | instskip(NEXT) | instid1(VALU_DEP_4)
	v_or_b32_e32 v61, 0x80000000, v55
	v_or_b32_e32 v62, 0x80000000, v57
	v_xor_b32_e32 v18, v18, v8
	v_xor_b32_e32 v59, v59, v9
	;; [unrolled: 1-line block ×8, first 2 shown]
	s_wait_alu 0xf1ff
	v_cndmask_b32_e64 v9, -1, v59, s5
	v_cndmask_b32_e64 v11, -1, v8, s6
	;; [unrolled: 1-line block ×7, first 2 shown]
	v_dual_mov_b32 v42, v19 :: v_dual_and_b32 v59, v8, v33
	v_and_b32_e32 v60, v9, v34
	v_lshrrev_b64 v[8:9], s95, v[8:9]
	v_cndmask_b32_e64 v14, -1, v57, s8
	v_dual_mov_b32 v56, v19 :: v_dual_and_b32 v61, v10, v33
	v_lshrrev_b64 v[9:10], s95, v[10:11]
	v_and_b32_e32 v62, v11, v34
	v_lshrrev_b64 v[10:11], s95, v[12:13]
	v_dual_mov_b32 v58, v19 :: v_dual_and_b32 v63, v12, v33
	v_lshrrev_b64 v[11:12], s95, v[14:15]
	v_and_b32_e32 v18, 3, v8
	v_and_b32_e32 v41, 3, v9
	;; [unrolled: 1-line block ×4, first 2 shown]
	v_cmp_eq_u64_e64 s5, v[59:60], v[29:30]
	v_cmp_eq_u64_e64 s9, 0, v[18:19]
	v_and_b32_e32 v66, v15, v34
	v_and_b32_e32 v65, v14, v33
	;; [unrolled: 1-line block ×3, first 2 shown]
	v_cmp_eq_u64_e64 s6, v[61:62], v[29:30]
	v_cmp_eq_u64_e64 s10, 0, v[41:42]
	;; [unrolled: 1-line block ×6, first 2 shown]
	s_and_b32 s9, s5, s9
	v_cmp_eq_u64_e64 s13, 1, v[18:19]
	s_wait_alu 0xfffe
	v_cndmask_b32_e64 v8, 0, 1, s9
	s_and_b32 s9, s6, s10
	v_cmp_eq_u64_e64 s14, 1, v[41:42]
	s_wait_alu 0xfffe
	v_cndmask_b32_e64 v9, 0, 1, s9
	;; [unrolled: 4-line block ×4, first 2 shown]
	s_and_b32 s9, s5, s13
	v_cmp_eq_u64_e64 s17, 2, v[18:19]
	v_cmp_eq_u64_e64 s21, 3, v[18:19]
	s_wait_alu 0xfffe
	v_cndmask_b32_e64 v12, 0, 1, s9
	s_and_b32 s9, s6, s14
	v_cmp_eq_u64_e64 s22, 3, v[41:42]
	s_wait_alu 0xfffe
	v_cndmask_b32_e64 v13, 0, 1, s9
	s_and_b32 s9, s7, s15
	v_cmp_eq_u64_e64 s18, 2, v[41:42]
	v_cmp_eq_u64_e64 s23, 3, v[55:56]
	s_wait_alu 0xfffe
	v_cndmask_b32_e64 v14, 0, 1, s9
	s_and_b32 s9, s8, s16
	v_cmp_eq_u64_e64 s19, 2, v[55:56]
	v_cmp_eq_u64_e64 s24, 3, v[57:58]
	s_wait_alu 0xfffe
	v_cndmask_b32_e64 v15, 0, 1, s9
	s_and_b32 s9, s5, s17
	s_and_b32 s5, s5, s21
	v_cmp_eq_u64_e64 s20, 2, v[57:58]
	s_wait_alu 0xfffe
	v_cndmask_b32_e64 v56, 0, 1, s5
	s_and_b32 s5, s6, s22
	v_cndmask_b32_e64 v18, 0, 1, s9
	s_and_b32 s9, s6, s18
	s_wait_alu 0xfffe
	v_cndmask_b32_e64 v57, 0, 1, s5
	s_and_b32 s5, s7, s23
	v_cndmask_b32_e64 v41, 0, 1, s9
	s_and_b32 s9, s7, s19
	;; [unrolled: 5-line block ×3, first 2 shown]
	s_wait_alu 0xfffe
	v_cndmask_b32_e64 v59, 0, 1, s5
	v_cmp_ne_u32_e64 s5, 0, v8
	v_cmp_ne_u32_e64 s6, 0, v9
	v_cndmask_b32_e64 v55, 0, 1, s9
	v_cmp_ne_u32_e64 s7, 0, v10
	v_cmp_ne_u32_e64 s9, 0, v12
	;; [unrolled: 1-line block ×7, first 2 shown]
	s_bcnt1_i32_b32 s5, s5
	s_bcnt1_i32_b32 s6, s6
	v_cmp_ne_u32_e64 s12, 0, v15
	v_cmp_ne_u32_e64 s15, 0, v42
	v_cmp_ne_u32_e64 s17, 0, v56
	v_cmp_ne_u32_e64 s18, 0, v57
	s_bcnt1_i32_b32 s7, s7
	s_bcnt1_i32_b32 s9, s9
	;; [unrolled: 1-line block ×3, first 2 shown]
	s_wait_alu 0xfffe
	s_add_co_i32 s5, s6, s5
	v_cmp_ne_u32_e64 s16, 0, v55
	v_cmp_ne_u32_e64 s19, 0, v58
	s_bcnt1_i32_b32 s8, s8
	s_bcnt1_i32_b32 s11, s11
	;; [unrolled: 1-line block ×4, first 2 shown]
	s_add_co_i32 s6, s10, s9
	s_wait_alu 0xfffe
	s_add_co_i32 s5, s5, s7
	v_cmp_ne_u32_e64 s20, 0, v59
	s_bcnt1_i32_b32 s12, s12
	s_bcnt1_i32_b32 s15, s15
	;; [unrolled: 1-line block ×4, first 2 shown]
	s_add_co_i32 s9, s14, s13
	s_add_co_i32 s6, s6, s11
	s_wait_alu 0xfffe
	s_add_co_i32 s24, s5, s8
	s_bcnt1_i32_b32 s16, s16
	s_bcnt1_i32_b32 s19, s19
	s_add_co_i32 s10, s18, s17
	s_add_co_i32 s7, s9, s15
	s_wait_alu 0xfffe
	s_add_nc_u64 s[86:87], s[86:87], s[24:25]
	s_add_co_i32 s24, s6, s12
	s_bcnt1_i32_b32 s20, s20
	s_add_co_i32 s9, s10, s19
	s_wait_alu 0xfffe
	s_add_nc_u64 s[84:85], s[84:85], s[24:25]
	s_add_co_i32 s24, s7, s16
	v_mov_b32_e32 v8, s86
	s_wait_alu 0xfffe
	s_add_nc_u64 s[82:83], s[82:83], s[24:25]
	s_add_co_i32 s24, s9, s20
	v_mov_b32_e32 v10, s84
	s_wait_alu 0xfffe
	s_add_nc_u64 s[80:81], s[80:81], s[24:25]
	v_mov_b32_e32 v12, s82
	s_wait_alu 0xfffe
	v_dual_mov_b32 v14, s80 :: v_dual_mov_b32 v9, s87
	v_mov_b32_e32 v11, s85
	v_mov_b32_e32 v13, s83
	;; [unrolled: 1-line block ×3, first 2 shown]
	s_or_b32 s75, vcc_lo, s75
	s_wait_alu 0xfffe
	s_and_not1_b32 exec_lo, exec_lo, s75
	s_cbranch_execnz .LBB45_58
; %bb.59:                               ;   in Loop: Header=BB45_16 Depth=1
	s_or_b32 exec_lo, exec_lo, s75
.LBB45_60:                              ;   in Loop: Header=BB45_16 Depth=1
	s_wait_alu 0xfffe
	s_or_b32 exec_lo, exec_lo, s73
	v_add_co_u32 v4, s5, s78, v0
	s_wait_alu 0xf1ff
	v_add_co_ci_u32_e64 v5, null, s79, 0, s5
	s_mov_b32 s9, exec_lo
	v_cmpx_gt_i64_e64 s[36:37], v[4:5]
	s_cbranch_execz .LBB45_66
; %bb.61:                               ;   in Loop: Header=BB45_16 Depth=1
	v_mul_lo_u32 v18, v5, s42
	v_mul_lo_u32 v39, v4, s43
	v_mad_co_u64_u32 v[37:38], null, v4, s42, 0
	v_mul_lo_u32 v55, v2, s68
	s_mov_b32 s10, 0
	s_delay_alu instid0(VALU_DEP_2) | instskip(SKIP_1) | instid1(VALU_DEP_2)
	v_add3_u32 v38, v38, v39, v18
	v_mul_lo_u32 v39, v2, s69
	v_lshlrev_b64_e32 v[37:38], 3, v[37:38]
	s_delay_alu instid0(VALU_DEP_2) | instskip(NEXT) | instid1(VALU_DEP_2)
	v_add_nc_u32_e32 v39, v39, v53
	v_add_co_u32 v37, vcc_lo, s60, v37
	s_wait_alu 0xfffd
	s_delay_alu instid0(VALU_DEP_3)
	v_add_co_ci_u32_e64 v38, null, s61, v38, vcc_lo
	v_add_co_u32 v18, vcc_lo, v50, v2
	global_load_b64 v[41:42], v[37:38], off
	s_wait_alu 0xfffd
	v_add_co_ci_u32_e64 v37, null, 0, v51, vcc_lo
	v_sub_co_u32 v18, vcc_lo, v18, s76
	s_wait_alu 0xfffd
	s_delay_alu instid0(VALU_DEP_2) | instskip(NEXT) | instid1(VALU_DEP_2)
	v_subrev_co_ci_u32_e64 v37, null, s77, v37, vcc_lo
	v_mul_lo_u32 v56, s69, v18
	s_delay_alu instid0(VALU_DEP_2) | instskip(SKIP_2) | instid1(VALU_DEP_2)
	v_mul_lo_u32 v40, s68, v37
	v_mad_co_u64_u32 v[37:38], null, s68, v18, s[66:67]
	v_mul_hi_u32 v18, v2, s68
	v_add3_u32 v38, v56, v38, v40
	s_delay_alu instid0(VALU_DEP_2)
	v_add_nc_u32_e32 v56, v39, v18
	s_branch .LBB45_63
.LBB45_62:                              ;   in Loop: Header=BB45_63 Depth=2
	s_wait_alu 0xfffe
	s_or_b32 exec_lo, exec_lo, s6
	s_wait_loadcnt 0x0
	v_cmp_o_f64_e64 s5, v[41:42], v[41:42]
	v_ashrrev_i32_e32 v18, 31, v42
	s_and_b32 s7, exec_lo, vcc_lo
	s_wait_alu 0xfffe
	s_or_b32 s10, s7, s10
	s_delay_alu instid0(VALU_DEP_1) | instskip(SKIP_1) | instid1(VALU_DEP_2)
	v_or_b32_e32 v57, 0x80000000, v18
	v_xor_b32_e32 v18, v18, v41
	v_xor_b32_e32 v57, v57, v42
	s_delay_alu instid0(VALU_DEP_1) | instskip(NEXT) | instid1(VALU_DEP_3)
	v_cndmask_b32_e64 v42, -1, v57, s5
	v_cndmask_b32_e64 v41, -1, v18, s5
	s_delay_alu instid0(VALU_DEP_1) | instskip(SKIP_2) | instid1(VALU_DEP_3)
	v_lshrrev_b64 v[57:58], s95, v[41:42]
	v_and_b32_e32 v42, v42, v34
	v_and_b32_e32 v41, v41, v33
	;; [unrolled: 1-line block ×3, first 2 shown]
	s_delay_alu instid0(VALU_DEP_2) | instskip(NEXT) | instid1(VALU_DEP_2)
	v_cmp_eq_u64_e64 s5, v[41:42], v[29:30]
	v_cmp_eq_u64_e64 s6, 0, v[18:19]
	v_cmp_eq_u64_e32 vcc_lo, 1, v[18:19]
	v_cmp_eq_u64_e64 s7, 2, v[18:19]
	v_cmp_eq_u64_e64 s8, 3, v[18:19]
	s_and_b32 s6, s5, s6
	s_wait_alu 0xfffe
	v_cndmask_b32_e64 v18, 0, 1, s6
	s_and_b32 s6, s5, vcc_lo
	s_wait_alu 0xfffe
	v_cndmask_b32_e64 v41, 0, 1, s6
	s_and_b32 s6, s5, s7
	s_and_b32 s5, s5, s8
	s_wait_alu 0xfffe
	v_cndmask_b32_e64 v42, 0, 1, s6
	v_cmp_ne_u32_e32 vcc_lo, 0, v18
	v_cndmask_b32_e64 v57, 0, 1, s5
	v_cmp_ne_u32_e64 s5, 0, v41
	v_add_co_u32 v37, s8, v37, v55
	v_cmp_ne_u32_e64 s6, 0, v42
	s_wait_alu 0xf1ff
	v_add_co_ci_u32_e64 v38, null, v38, v56, s8
	s_bcnt1_i32_b32 s8, vcc_lo
	v_cmp_ne_u32_e64 s7, 0, v57
	s_bcnt1_i32_b32 s5, s5
	s_wait_alu 0xfffe
	v_add_co_u32 v8, vcc_lo, v8, s8
	s_bcnt1_i32_b32 s6, s6
	s_wait_alu 0xfffd
	v_add_co_ci_u32_e64 v9, null, 0, v9, vcc_lo
	v_add_co_u32 v10, vcc_lo, v10, s5
	s_bcnt1_i32_b32 s7, s7
	s_wait_alu 0xfffd
	v_add_co_ci_u32_e64 v11, null, 0, v11, vcc_lo
	s_wait_alu 0xfffe
	v_add_co_u32 v12, vcc_lo, v12, s6
	s_wait_alu 0xfffd
	v_add_co_ci_u32_e64 v13, null, 0, v13, vcc_lo
	v_add_co_u32 v14, vcc_lo, v14, s7
	v_mov_b32_e32 v42, v40
	s_wait_alu 0xfffd
	v_add_co_ci_u32_e64 v15, null, 0, v15, vcc_lo
	v_mov_b32_e32 v41, v39
	s_and_not1_b32 exec_lo, exec_lo, s10
	s_cbranch_execz .LBB45_65
.LBB45_63:                              ;   Parent Loop BB45_16 Depth=1
                                        ; =>  This Inner Loop Header: Depth=2
	v_add_co_u32 v4, vcc_lo, v4, v2
	v_mov_b32_e32 v39, 0
	s_wait_alu 0xfffd
	v_add_co_ci_u32_e64 v5, null, 0, v5, vcc_lo
	v_mov_b32_e32 v40, 0
	s_mov_b32 s6, exec_lo
	s_delay_alu instid0(VALU_DEP_2)
	v_cmp_le_i64_e32 vcc_lo, s[36:37], v[4:5]
	v_cmpx_gt_i64_e64 s[36:37], v[4:5]
	s_cbranch_execz .LBB45_62
; %bb.64:                               ;   in Loop: Header=BB45_63 Depth=2
	global_load_b64 v[39:40], v[37:38], off
	s_branch .LBB45_62
.LBB45_65:                              ;   in Loop: Header=BB45_16 Depth=1
	s_or_b32 exec_lo, exec_lo, s10
.LBB45_66:                              ;   in Loop: Header=BB45_16 Depth=1
	s_wait_alu 0xfffe
	s_or_b32 exec_lo, exec_lo, s9
	s_branch .LBB45_45
.LBB45_67:                              ;   in Loop: Header=BB45_16 Depth=1
	global_load_u16 v2, v19, s[38:39]
	v_mov_b32_e32 v8, 0
	v_mov_b32_e32 v10, 0
	v_mov_b32_e32 v12, 0
	v_dual_mov_b32 v14, 0 :: v_dual_mov_b32 v11, 0
	v_mov_b32_e32 v13, 0
	v_mov_b32_e32 v15, 0
	s_mov_b32 s84, exec_lo
	v_mov_b32_e32 v9, 0
	s_wait_loadcnt 0x0
	v_readfirstlane_b32 s5, v2
	v_and_b32_e32 v2, 0xffff, v2
	s_and_b32 s73, 0xffff, s5
	s_wait_alu 0xfffe
	s_lshl_b32 s83, s73, 2
	s_wait_alu 0xfffe
	s_cvt_f32_u32 s5, s83
	s_sub_co_i32 s6, 0, s83
	s_wait_alu 0xfffe
	s_delay_alu instid0(SALU_CYCLE_1) | instskip(NEXT) | instid1(TRANS32_DEP_1)
	v_rcp_iflag_f32_e32 v4, s5
	v_readfirstlane_b32 s5, v4
	s_mul_f32 s5, s5, 0x4f7ffffe
	s_wait_alu 0xfffe
	s_delay_alu instid0(SALU_CYCLE_2) | instskip(SKIP_1) | instid1(SALU_CYCLE_2)
	s_cvt_u32_f32 s5, s5
	s_wait_alu 0xfffe
	s_mul_i32 s6, s6, s5
	s_wait_alu 0xfffe
	s_mul_hi_u32 s6, s5, s6
	s_wait_alu 0xfffe
	s_add_co_i32 s5, s5, s6
	s_wait_alu 0xfffe
	s_mul_hi_u32 s5, s72, s5
	s_wait_alu 0xfffe
	s_mul_i32 s6, s5, s83
	s_add_co_i32 s7, s5, 1
	s_wait_alu 0xfffe
	s_sub_co_i32 s6, s72, s6
	s_wait_alu 0xfffe
	s_sub_co_i32 s8, s6, s83
	s_cmp_ge_u32 s6, s83
	s_cselect_b32 s5, s7, s5
	s_wait_alu 0xfffe
	s_cselect_b32 s6, s8, s6
	s_add_co_i32 s7, s5, 1
	s_wait_alu 0xfffe
	s_cmp_ge_u32 s6, s83
	s_cselect_b32 s82, s7, s5
	s_wait_alu 0xfffe
	v_mul_hi_u32 v5, s82, v2
	v_mul_lo_u32 v4, s82, v2
	s_delay_alu instid0(VALU_DEP_1) | instskip(NEXT) | instid1(VALU_DEP_1)
	v_lshlrev_b64_e32 v[4:5], 2, v[4:5]
	v_cmpx_gt_u64_e64 v[4:5], v[22:23]
	s_cbranch_execz .LBB45_71
; %bb.68:                               ;   in Loop: Header=BB45_16 Depth=1
	v_dual_mov_b32 v39, v47 :: v_dual_mov_b32 v38, v23
	v_mov_b32_e32 v37, v22
	s_lshl_b32 s85, s73, 5
	s_mov_b64 s[74:75], 0
	s_mov_b32 s86, 0
	s_mov_b64 s[76:77], 0
	s_mov_b64 s[78:79], 0
	;; [unrolled: 1-line block ×3, first 2 shown]
.LBB45_69:                              ;   Parent Loop BB45_16 Depth=1
                                        ; =>  This Inner Loop Header: Depth=2
	ds_load_b128 v[8:11], v39
	ds_load_b128 v[12:15], v39 offset:16
	v_dual_mov_b32 v41, v19 :: v_dual_mov_b32 v56, v19
	s_wait_alu 0xfffe
	v_dual_mov_b32 v58, v19 :: v_dual_add_nc_u32 v39, s85, v39
	v_add_co_u32 v37, vcc_lo, v37, s83
	s_wait_alu 0xfffd
	v_add_co_ci_u32_e64 v38, null, 0, v38, vcc_lo
	s_delay_alu instid0(VALU_DEP_1)
	v_cmp_ge_u64_e32 vcc_lo, v[37:38], v[4:5]
	s_wait_dscnt 0x1
	v_cmp_o_f64_e64 s5, v[8:9], v[8:9]
	v_cmp_o_f64_e64 s6, v[10:11], v[10:11]
	s_wait_dscnt 0x0
	v_cmp_o_f64_e64 s7, v[12:13], v[12:13]
	v_cmp_o_f64_e64 s8, v[14:15], v[14:15]
	v_ashrrev_i32_e32 v18, 31, v9
	v_ashrrev_i32_e32 v40, 31, v11
	v_ashrrev_i32_e32 v42, 31, v13
	v_ashrrev_i32_e32 v55, 31, v15
	s_delay_alu instid0(VALU_DEP_4) | instskip(NEXT) | instid1(VALU_DEP_4)
	v_or_b32_e32 v57, 0x80000000, v18
	v_or_b32_e32 v59, 0x80000000, v40
	s_delay_alu instid0(VALU_DEP_4) | instskip(NEXT) | instid1(VALU_DEP_4)
	v_or_b32_e32 v60, 0x80000000, v42
	v_or_b32_e32 v61, 0x80000000, v55
	v_xor_b32_e32 v18, v18, v8
	v_xor_b32_e32 v57, v57, v9
	;; [unrolled: 1-line block ×8, first 2 shown]
	s_wait_alu 0xf1ff
	v_cndmask_b32_e64 v9, -1, v57, s5
	v_cndmask_b32_e64 v11, -1, v8, s6
	;; [unrolled: 1-line block ×7, first 2 shown]
	v_and_b32_e32 v60, v9, v34
	v_and_b32_e32 v59, v8, v33
	v_lshrrev_b64 v[8:9], s95, v[8:9]
	v_cndmask_b32_e64 v14, -1, v55, s8
	v_and_b32_e32 v61, v10, v33
	v_lshrrev_b64 v[9:10], s95, v[10:11]
	v_and_b32_e32 v62, v11, v34
	v_lshrrev_b64 v[10:11], s95, v[12:13]
	v_and_b32_e32 v63, v12, v33
	v_lshrrev_b64 v[11:12], s95, v[14:15]
	v_and_b32_e32 v18, 3, v8
	v_and_b32_e32 v40, 3, v9
	v_and_b32_e32 v64, v13, v34
	v_and_b32_e32 v55, 3, v10
	v_cmp_eq_u64_e64 s5, v[59:60], v[29:30]
	v_cmp_eq_u64_e64 s9, 0, v[18:19]
	v_and_b32_e32 v66, v15, v34
	v_and_b32_e32 v65, v14, v33
	;; [unrolled: 1-line block ×3, first 2 shown]
	v_cmp_eq_u64_e64 s6, v[61:62], v[29:30]
	v_cmp_eq_u64_e64 s10, 0, v[40:41]
	;; [unrolled: 1-line block ×6, first 2 shown]
	s_and_b32 s9, s5, s9
	v_cmp_eq_u64_e64 s13, 1, v[18:19]
	s_wait_alu 0xfffe
	v_cndmask_b32_e64 v8, 0, 1, s9
	s_and_b32 s9, s6, s10
	v_cmp_eq_u64_e64 s14, 1, v[40:41]
	s_wait_alu 0xfffe
	v_cndmask_b32_e64 v9, 0, 1, s9
	;; [unrolled: 4-line block ×4, first 2 shown]
	s_and_b32 s9, s5, s13
	v_cmp_eq_u64_e64 s17, 2, v[18:19]
	v_cmp_eq_u64_e64 s21, 3, v[18:19]
	s_wait_alu 0xfffe
	v_cndmask_b32_e64 v12, 0, 1, s9
	s_and_b32 s9, s6, s14
	v_cmp_eq_u64_e64 s22, 3, v[40:41]
	s_wait_alu 0xfffe
	v_cndmask_b32_e64 v13, 0, 1, s9
	s_and_b32 s9, s7, s15
	v_cmp_eq_u64_e64 s18, 2, v[40:41]
	v_cmp_eq_u64_e64 s23, 3, v[55:56]
	s_wait_alu 0xfffe
	v_cndmask_b32_e64 v14, 0, 1, s9
	s_and_b32 s9, s8, s16
	v_cmp_eq_u64_e64 s19, 2, v[55:56]
	v_cmp_eq_u64_e64 s24, 3, v[57:58]
	s_wait_alu 0xfffe
	v_cndmask_b32_e64 v15, 0, 1, s9
	s_and_b32 s9, s5, s17
	s_and_b32 s5, s5, s21
	v_cmp_eq_u64_e64 s20, 2, v[57:58]
	s_wait_alu 0xfffe
	v_cndmask_b32_e64 v55, 0, 1, s5
	s_and_b32 s5, s6, s22
	v_cndmask_b32_e64 v18, 0, 1, s9
	s_and_b32 s9, s6, s18
	s_wait_alu 0xfffe
	v_cndmask_b32_e64 v56, 0, 1, s5
	s_and_b32 s5, s7, s23
	v_cndmask_b32_e64 v40, 0, 1, s9
	s_and_b32 s9, s7, s19
	;; [unrolled: 5-line block ×3, first 2 shown]
	s_wait_alu 0xfffe
	v_cndmask_b32_e64 v58, 0, 1, s5
	v_cmp_ne_u32_e64 s5, 0, v8
	v_cmp_ne_u32_e64 s6, 0, v9
	v_cndmask_b32_e64 v42, 0, 1, s9
	v_cmp_ne_u32_e64 s7, 0, v10
	v_cmp_ne_u32_e64 s9, 0, v12
	;; [unrolled: 1-line block ×7, first 2 shown]
	s_bcnt1_i32_b32 s5, s5
	s_bcnt1_i32_b32 s6, s6
	v_cmp_ne_u32_e64 s12, 0, v15
	v_cmp_ne_u32_e64 s15, 0, v41
	;; [unrolled: 1-line block ×4, first 2 shown]
	s_bcnt1_i32_b32 s7, s7
	s_bcnt1_i32_b32 s9, s9
	;; [unrolled: 1-line block ×3, first 2 shown]
	s_wait_alu 0xfffe
	s_add_co_i32 s5, s6, s5
	v_cmp_ne_u32_e64 s16, 0, v42
	v_cmp_ne_u32_e64 s19, 0, v57
	s_bcnt1_i32_b32 s8, s8
	s_bcnt1_i32_b32 s11, s11
	s_bcnt1_i32_b32 s13, s13
	s_bcnt1_i32_b32 s14, s14
	s_add_co_i32 s6, s10, s9
	s_wait_alu 0xfffe
	s_add_co_i32 s5, s5, s7
	v_cmp_ne_u32_e64 s20, 0, v58
	s_bcnt1_i32_b32 s12, s12
	s_bcnt1_i32_b32 s15, s15
	;; [unrolled: 1-line block ×4, first 2 shown]
	s_add_co_i32 s9, s14, s13
	s_add_co_i32 s6, s6, s11
	s_wait_alu 0xfffe
	s_add_co_i32 s24, s5, s8
	s_bcnt1_i32_b32 s16, s16
	s_bcnt1_i32_b32 s19, s19
	s_add_co_i32 s10, s18, s17
	s_add_co_i32 s7, s9, s15
	s_wait_alu 0xfffe
	s_add_nc_u64 s[80:81], s[80:81], s[24:25]
	s_add_co_i32 s24, s6, s12
	s_bcnt1_i32_b32 s20, s20
	s_add_co_i32 s9, s10, s19
	s_wait_alu 0xfffe
	s_add_nc_u64 s[78:79], s[78:79], s[24:25]
	s_add_co_i32 s24, s7, s16
	v_mov_b32_e32 v8, s80
	s_wait_alu 0xfffe
	s_add_nc_u64 s[76:77], s[76:77], s[24:25]
	s_add_co_i32 s24, s9, s20
	v_mov_b32_e32 v10, s78
	s_wait_alu 0xfffe
	s_add_nc_u64 s[74:75], s[74:75], s[24:25]
	v_mov_b32_e32 v12, s76
	s_wait_alu 0xfffe
	v_dual_mov_b32 v14, s74 :: v_dual_mov_b32 v9, s81
	v_mov_b32_e32 v11, s79
	v_mov_b32_e32 v13, s77
	;; [unrolled: 1-line block ×3, first 2 shown]
	s_or_b32 s86, vcc_lo, s86
	s_wait_alu 0xfffe
	s_and_not1_b32 exec_lo, exec_lo, s86
	s_cbranch_execnz .LBB45_69
; %bb.70:                               ;   in Loop: Header=BB45_16 Depth=1
	s_or_b32 exec_lo, exec_lo, s86
.LBB45_71:                              ;   in Loop: Header=BB45_16 Depth=1
	s_delay_alu instid0(SALU_CYCLE_1)
	s_or_b32 exec_lo, exec_lo, s84
	v_add_co_u32 v4, vcc_lo, v4, v0
	s_wait_alu 0xfffd
	v_add_co_ci_u32_e64 v5, null, 0, v5, vcc_lo
	s_and_b32 s24, s72, 0x7fffffff
	s_mov_b32 s10, exec_lo
	s_wait_alu 0xfffe
	v_cmpx_gt_u64_e64 s[24:25], v[4:5]
	s_cbranch_execz .LBB45_75
; %bb.72:                               ;   in Loop: Header=BB45_16 Depth=1
	s_mul_i32 s82, s82, s73
	s_lshl_b32 s12, s73, 3
	s_wait_alu 0xfffe
	v_lshl_add_u32 v37, s82, 5, v44
	s_mov_b32 s11, 0
.LBB45_73:                              ;   Parent Loop BB45_16 Depth=1
                                        ; =>  This Inner Loop Header: Depth=2
	ds_load_b64 v[38:39], v37
	v_add_co_u32 v4, s5, v4, v2
	s_wait_alu 0xf1ff
	v_add_co_ci_u32_e64 v5, null, 0, v5, s5
	s_delay_alu instid0(VALU_DEP_1) | instskip(SKIP_3) | instid1(VALU_DEP_1)
	v_cmp_le_u64_e64 s5, s[24:25], v[4:5]
	s_wait_dscnt 0x0
	v_cmp_o_f64_e32 vcc_lo, v[38:39], v[38:39]
	v_ashrrev_i32_e32 v18, 31, v39
	v_or_b32_e32 v40, 0x80000000, v18
	v_xor_b32_e32 v18, v18, v38
	v_add_nc_u32_e32 v37, s12, v37
	s_delay_alu instid0(VALU_DEP_3) | instskip(SKIP_1) | instid1(VALU_DEP_1)
	v_xor_b32_e32 v40, v40, v39
	s_wait_alu 0xfffd
	v_dual_cndmask_b32 v38, -1, v18 :: v_dual_cndmask_b32 v39, -1, v40
	s_delay_alu instid0(VALU_DEP_1) | instskip(NEXT) | instid1(VALU_DEP_2)
	v_and_b32_e32 v40, v38, v33
	v_and_b32_e32 v41, v39, v34
	v_lshrrev_b64 v[38:39], s95, v[38:39]
	s_delay_alu instid0(VALU_DEP_2) | instskip(NEXT) | instid1(VALU_DEP_2)
	v_cmp_eq_u64_e32 vcc_lo, v[40:41], v[29:30]
	v_and_b32_e32 v18, 3, v38
	s_delay_alu instid0(VALU_DEP_1)
	v_cmp_eq_u64_e64 s6, 0, v[18:19]
	v_cmp_eq_u64_e64 s7, 1, v[18:19]
	;; [unrolled: 1-line block ×4, first 2 shown]
	s_and_b32 s6, vcc_lo, s6
	s_wait_alu 0xfffe
	v_cndmask_b32_e64 v18, 0, 1, s6
	s_and_b32 s6, vcc_lo, s7
	s_wait_alu 0xfffe
	v_cndmask_b32_e64 v38, 0, 1, s6
	;; [unrolled: 3-line block ×3, first 2 shown]
	s_and_b32 s6, vcc_lo, s9
	v_cmp_ne_u32_e32 vcc_lo, 0, v18
	s_wait_alu 0xfffe
	v_cndmask_b32_e64 v40, 0, 1, s6
	v_cmp_ne_u32_e64 s6, 0, v38
	v_cmp_ne_u32_e64 s7, 0, v39
	s_bcnt1_i32_b32 s9, vcc_lo
	v_cmp_ne_u32_e64 s8, 0, v40
	s_bcnt1_i32_b32 s6, s6
	s_wait_alu 0xfffe
	v_add_co_u32 v8, vcc_lo, v8, s9
	s_bcnt1_i32_b32 s7, s7
	s_wait_alu 0xfffd
	v_add_co_ci_u32_e64 v9, null, 0, v9, vcc_lo
	v_add_co_u32 v10, vcc_lo, v10, s6
	s_bcnt1_i32_b32 s8, s8
	s_wait_alu 0xfffd
	v_add_co_ci_u32_e64 v11, null, 0, v11, vcc_lo
	s_wait_alu 0xfffe
	v_add_co_u32 v12, vcc_lo, v12, s7
	s_wait_alu 0xfffd
	v_add_co_ci_u32_e64 v13, null, 0, v13, vcc_lo
	v_add_co_u32 v14, vcc_lo, v14, s8
	s_wait_alu 0xfffd
	v_add_co_ci_u32_e64 v15, null, 0, v15, vcc_lo
	s_or_b32 s11, s5, s11
	s_wait_alu 0xfffe
	s_and_not1_b32 exec_lo, exec_lo, s11
	s_cbranch_execnz .LBB45_73
; %bb.74:                               ;   in Loop: Header=BB45_16 Depth=1
	s_or_b32 exec_lo, exec_lo, s11
.LBB45_75:                              ;   in Loop: Header=BB45_16 Depth=1
	s_wait_alu 0xfffe
	s_or_b32 exec_lo, exec_lo, s10
	s_lshl_b32 s5, s97, 7
	s_and_saveexec_b32 s6, s1
	s_cbranch_execnz .LBB45_46
	s_branch .LBB45_47
.LBB45_76:                              ;   in Loop: Header=BB45_16 Depth=1
                                        ; implicit-def: $sgpr76_sgpr77
	s_branch .LBB45_55
.LBB45_77:                              ;   in Loop: Header=BB45_16 Depth=1
	s_wait_alu 0xfffe
	s_or_b32 exec_lo, exec_lo, s8
	s_wait_loadcnt_dscnt 0x0
	s_barrier_signal -1
	s_barrier_wait -1
	global_inv scope:SCOPE_SE
	s_and_saveexec_b32 s5, s2
	s_cbranch_execz .LBB45_79
; %bb.78:                               ;   in Loop: Header=BB45_16 Depth=1
	ds_load_b32 v4, v19 offset:5136
	s_wait_dscnt 0x0
	v_ashrrev_i32_e32 v5, 31, v4
	ds_store_b64 v19, v[4:5] offset:5120
.LBB45_79:                              ;   in Loop: Header=BB45_16 Depth=1
	s_wait_alu 0xfffe
	s_or_b32 exec_lo, exec_lo, s5
	s_wait_loadcnt_dscnt 0x0
	s_barrier_signal -1
	s_mov_b32 s5, -1
	s_barrier_wait -1
	s_and_b32 vcc_lo, exec_lo, s7
	s_wait_alu 0xfffe
	s_cbranch_vccnz .LBB45_32
	s_branch .LBB45_41
.LBB45_80:                              ;   in Loop: Header=BB45_16 Depth=1
	s_mov_b32 s7, 0
	s_and_not1_b32 vcc_lo, exec_lo, s93
	s_wait_alu 0xfffe
	s_cbranch_vccnz .LBB45_83
.LBB45_81:                              ;   in Loop: Header=BB45_16 Depth=1
	s_lshl_b32 s8, s97, 10
	s_lshl_b32 s7, s7, 5
	s_wait_alu 0xfffe
	v_add3_u32 v2, s8, s7, v52
	s_mov_b32 s7, s90
.LBB45_82:                              ;   Parent Loop BB45_16 Depth=1
                                        ; =>  This Inner Loop Header: Depth=2
	ds_load_b64 v[8:9], v2
	v_add_nc_u32_e32 v2, 32, v2
	s_wait_alu 0xfffe
	s_add_co_i32 s7, s7, -1
	s_wait_alu 0xfffe
	s_cmp_lg_u32 s7, 0
	s_wait_dscnt 0x0
	v_add_co_u32 v4, vcc_lo, v8, v4
	s_wait_alu 0xfffd
	v_add_co_ci_u32_e64 v5, null, v9, v5, vcc_lo
	s_cbranch_scc1 .LBB45_82
.LBB45_83:                              ;   in Loop: Header=BB45_16 Depth=1
	v_add_lshl_u32 v2, s5, v43, 3
	ds_store_b64 v2, v[4:5] offset:3072
.LBB45_84:                              ;   in Loop: Header=BB45_16 Depth=1
	s_wait_alu 0xfffe
	s_or_b32 exec_lo, exec_lo, s6
	s_lshl_b32 s5, s5, 3
	s_wait_loadcnt_dscnt 0x0
	s_wait_alu 0xfffe
	v_mov_b32_e32 v2, s5
	s_barrier_signal -1
	s_barrier_wait -1
	global_inv scope:SCOPE_SE
	v_cmp_eq_u64_e32 vcc_lo, 1, v[35:36]
	ds_load_b128 v[8:11], v2 offset:3072
	ds_load_b128 v[12:15], v2 offset:3088
	s_lshl_b64 s[8:9], 3, s95
	s_mov_b32 s21, -1
	s_wait_alu 0xfffe
	s_not_b64 s[12:13], s[8:9]
                                        ; implicit-def: $sgpr19
                                        ; implicit-def: $sgpr18
	s_wait_dscnt 0x1
	v_cmp_eq_u64_e64 s5, 1, v[8:9]
	s_wait_dscnt 0x0
	v_readfirstlane_b32 s10, v12
	v_readfirstlane_b32 s11, v13
	;; [unrolled: 1-line block ×4, first 2 shown]
	s_and_b32 s22, s5, vcc_lo
	s_mov_b32 s5, -1
	s_wait_alu 0xfffe
	s_and_saveexec_b32 s20, s22
	s_cbranch_execz .LBB45_118
; %bb.85:                               ;   in Loop: Header=BB45_16 Depth=1
	ds_load_b64 v[4:5], v19 offset:5120
	s_wait_loadcnt_dscnt 0x0
	s_barrier_signal -1
	s_barrier_wait -1
	global_inv scope:SCOPE_SE
	v_readfirstlane_b32 s14, v4
	v_readfirstlane_b32 s15, v5
	s_and_saveexec_b32 s5, s3
; %bb.86:                               ;   in Loop: Header=BB45_16 Depth=1
	v_mov_b32_e32 v18, v19
	ds_store_b64 v45, v[18:19]
; %bb.87:                               ;   in Loop: Header=BB45_16 Depth=1
	s_wait_alu 0xfffe
	s_or_b32 exec_lo, exec_lo, s5
	v_cmp_lt_i64_e64 s5, s[14:15], 1
	v_and_b32_e32 v30, s13, v30
	v_and_b32_e32 v29, s12, v29
	v_or_b32_e32 v34, s9, v34
	v_or_b32_e32 v33, s8, v33
	s_mov_b32 s18, -1
	s_mov_b32 s19, 0
	s_and_b32 vcc_lo, exec_lo, s5
	s_mov_b32 s5, 0
	s_mov_b32 s23, -1
	s_wait_loadcnt_dscnt 0x0
	s_barrier_signal -1
	s_barrier_wait -1
	global_inv scope:SCOPE_SE
                                        ; implicit-def: $vgpr6_vgpr7
	s_wait_alu 0xfffe
	s_cbranch_vccz .LBB45_102
; %bb.88:                               ;   in Loop: Header=BB45_16 Depth=1
	s_mov_b32 s16, s25
	s_mov_b32 s17, s65
	s_wait_alu 0xfffe
	s_cmp_lg_u64 s[16:17], 0
	s_cbranch_scc0 .LBB45_145
; %bb.89:                               ;   in Loop: Header=BB45_16 Depth=1
	s_add_nc_u64 s[16:17], s[56:57], 0
	s_wait_alu 0xfffe
	s_xor_b64 s[16:17], s[16:17], 0
	s_wait_alu 0xfffe
	s_cvt_f32_u32 s5, s16
	s_cvt_f32_u32 s23, s17
	s_sub_nc_u64 s[74:75], 0, s[16:17]
	s_wait_alu 0xfffe
	s_delay_alu instid0(SALU_CYCLE_1) | instskip(SKIP_1) | instid1(SALU_CYCLE_2)
	s_fmamk_f32 s5, s23, 0x4f800000, s5
	s_wait_alu 0xfffe
	v_s_rcp_f32 s5, s5
	s_delay_alu instid0(TRANS32_DEP_1) | instskip(SKIP_1) | instid1(SALU_CYCLE_2)
	s_mul_f32 s5, s5, 0x5f7ffffc
	s_wait_alu 0xfffe
	s_mul_f32 s23, s5, 0x2f800000
	s_wait_alu 0xfffe
	s_delay_alu instid0(SALU_CYCLE_2) | instskip(SKIP_1) | instid1(SALU_CYCLE_2)
	s_trunc_f32 s23, s23
	s_wait_alu 0xfffe
	s_fmamk_f32 s5, s23, 0xcf800000, s5
	s_cvt_u32_f32 s73, s23
	s_wait_alu 0xfffe
	s_delay_alu instid0(SALU_CYCLE_1) | instskip(SKIP_1) | instid1(SALU_CYCLE_2)
	s_cvt_u32_f32 s72, s5
	s_wait_alu 0xfffe
	s_mul_u64 s[76:77], s[74:75], s[72:73]
	s_wait_alu 0xfffe
	s_mul_hi_u32 s79, s72, s77
	s_mul_i32 s78, s72, s77
	s_mul_hi_u32 s24, s72, s76
	s_mul_i32 s23, s73, s76
	s_wait_alu 0xfffe
	s_add_nc_u64 s[78:79], s[24:25], s[78:79]
	s_mul_hi_u32 s5, s73, s76
	s_mul_hi_u32 s80, s73, s77
	s_wait_alu 0xfffe
	s_add_co_u32 s23, s78, s23
	s_add_co_ci_u32 s24, s79, s5
	s_mul_i32 s76, s73, s77
	s_add_co_ci_u32 s77, s80, 0
	s_wait_alu 0xfffe
	s_add_nc_u64 s[76:77], s[24:25], s[76:77]
	s_wait_alu 0xfffe
	s_add_co_u32 s72, s72, s76
	s_cselect_b32 s5, -1, 0
	s_wait_alu 0xfffe
	s_cmp_lg_u32 s5, 0
	s_add_co_ci_u32 s73, s73, s77
	s_wait_alu 0xfffe
	s_mul_u64 s[74:75], s[74:75], s[72:73]
	s_wait_alu 0xfffe
	s_mul_hi_u32 s77, s72, s75
	s_mul_i32 s76, s72, s75
	s_mul_hi_u32 s24, s72, s74
	s_mul_i32 s23, s73, s74
	s_wait_alu 0xfffe
	s_add_nc_u64 s[76:77], s[24:25], s[76:77]
	s_mul_hi_u32 s5, s73, s74
	s_mul_hi_u32 s78, s73, s75
	s_wait_alu 0xfffe
	s_add_co_u32 s23, s76, s23
	s_add_co_ci_u32 s24, s77, s5
	s_mul_i32 s74, s73, s75
	s_add_co_ci_u32 s75, s78, 0
	s_wait_alu 0xfffe
	s_add_nc_u64 s[74:75], s[24:25], s[74:75]
	s_wait_alu 0xfffe
	s_add_co_u32 s5, s72, s74
	s_cselect_b32 s23, -1, 0
	s_wait_alu 0xfffe
	s_cmp_lg_u32 s23, 0
	s_add_co_ci_u32 s23, s73, s75
	s_ashr_i32 s72, s65, 31
	s_wait_alu 0xfffe
	s_mov_b32 s73, s72
	s_wait_alu 0xfffe
	s_add_nc_u64 s[74:75], s[64:65], s[72:73]
	s_wait_alu 0xfffe
	s_xor_b64 s[74:75], s[74:75], s[72:73]
	s_wait_alu 0xfffe
	s_mul_hi_u32 s77, s74, s23
	s_mul_i32 s76, s74, s23
	s_mul_hi_u32 s24, s74, s5
	s_mul_hi_u32 s80, s75, s5
	s_mul_i32 s5, s75, s5
	s_wait_alu 0xfffe
	s_add_nc_u64 s[76:77], s[24:25], s[76:77]
	s_mul_hi_u32 s79, s75, s23
	s_wait_alu 0xfffe
	s_add_co_u32 s5, s76, s5
	s_add_co_ci_u32 s24, s77, s80
	s_mul_i32 s78, s75, s23
	s_add_co_ci_u32 s79, s79, 0
	s_wait_alu 0xfffe
	s_add_nc_u64 s[76:77], s[24:25], s[78:79]
	s_wait_alu 0xfffe
	s_mul_u64 s[76:77], s[16:17], s[76:77]
	s_wait_alu 0xfffe
	s_sub_co_u32 s5, s74, s76
	s_cselect_b32 s23, -1, 0
	s_sub_co_i32 s24, s75, s77
	s_wait_alu 0xfffe
	s_cmp_lg_u32 s23, 0
	s_sub_co_ci_u32 s24, s24, s17
	s_sub_co_u32 s74, s5, s16
	s_cselect_b32 s76, -1, 0
	s_wait_alu 0xfffe
	s_cmp_lg_u32 s76, 0
	s_sub_co_ci_u32 s78, s24, 0
	s_wait_alu 0xfffe
	s_cmp_ge_u32 s78, s17
	s_cselect_b32 s79, -1, 0
	s_cmp_ge_u32 s74, s16
	s_cselect_b32 s80, -1, 0
	s_cmp_eq_u32 s78, s17
	s_wait_alu 0xfffe
	s_cselect_b32 s79, s80, s79
	s_cmp_lg_u32 s76, 0
	s_sub_co_ci_u32 s24, s24, s17
	s_sub_co_u32 s76, s74, s16
	s_cselect_b32 s80, -1, 0
	s_wait_alu 0xfffe
	s_cmp_lg_u32 s80, 0
	s_sub_co_ci_u32 s24, s24, 0
	s_cmp_lg_u32 s79, 0
	s_cselect_b32 s74, s76, s74
	s_wait_alu 0xfffe
	s_cselect_b32 s24, s24, s78
	s_cmp_lg_u32 s23, 0
	s_sub_co_ci_u32 s23, s75, s77
	s_wait_alu 0xfffe
	s_cmp_ge_u32 s23, s17
	s_cselect_b32 s75, -1, 0
	s_cmp_ge_u32 s5, s16
	s_cselect_b32 s16, -1, 0
	s_cmp_eq_u32 s23, s17
	s_wait_alu 0xfffe
	s_cselect_b32 s16, s16, s75
	s_wait_alu 0xfffe
	s_cmp_lg_u32 s16, 0
	s_cselect_b32 s17, s24, s23
	s_cselect_b32 s16, s74, s5
	s_wait_alu 0xfffe
	s_xor_b64 s[16:17], s[16:17], s[72:73]
	s_wait_alu 0xfffe
	s_sub_nc_u64 s[16:17], s[16:17], s[72:73]
	s_cbranch_execnz .LBB45_91
.LBB45_90:                              ;   in Loop: Header=BB45_16 Depth=1
	v_cvt_f32_u32_e32 v2, s56
	s_sub_co_i32 s16, 0, s56
	s_delay_alu instid0(VALU_DEP_1) | instskip(NEXT) | instid1(TRANS32_DEP_1)
	v_rcp_iflag_f32_e32 v2, v2
	v_mul_f32_e32 v2, 0x4f7ffffe, v2
	s_delay_alu instid0(VALU_DEP_1) | instskip(NEXT) | instid1(VALU_DEP_1)
	v_cvt_u32_f32_e32 v2, v2
	v_readfirstlane_b32 s5, v2
	s_wait_alu 0xfffe
	s_mul_i32 s16, s16, s5
	s_wait_alu 0xfffe
	s_mul_hi_u32 s16, s5, s16
	s_wait_alu 0xfffe
	s_add_co_i32 s5, s5, s16
	s_wait_alu 0xfffe
	s_mul_hi_u32 s5, s64, s5
	s_wait_alu 0xfffe
	s_mul_i32 s5, s5, s56
	s_wait_alu 0xfffe
	s_sub_co_i32 s5, s64, s5
	s_wait_alu 0xfffe
	s_sub_co_i32 s16, s5, s56
	s_cmp_ge_u32 s5, s56
	s_wait_alu 0xfffe
	s_cselect_b32 s5, s16, s5
	s_wait_alu 0xfffe
	s_sub_co_i32 s16, s5, s56
	s_cmp_ge_u32 s5, s56
	s_wait_alu 0xfffe
	s_cselect_b32 s24, s16, s5
	s_wait_alu 0xfffe
	s_mov_b64 s[16:17], s[24:25]
.LBB45_91:                              ;   in Loop: Header=BB45_16 Depth=1
	s_wait_alu 0xfffe
	s_sub_nc_u64 s[16:17], s[64:65], s[16:17]
	s_mov_b32 s23, 0
	s_mov_b32 s5, 0
	s_mov_b32 s24, exec_lo
                                        ; implicit-def: $vgpr6_vgpr7
	s_wait_alu 0xfffe
	v_cmpx_gt_i64_e64 s[16:17], v[0:1]
	s_cbranch_execz .LBB45_101
; %bb.92:                               ;   in Loop: Header=BB45_16 Depth=1
	v_dual_mov_b32 v12, v16 :: v_dual_mov_b32 v13, v17
	v_dual_mov_b32 v15, v1 :: v_dual_mov_b32 v14, v0
	s_mov_b32 s72, 0
                                        ; implicit-def: $sgpr73
	s_branch .LBB45_96
.LBB45_93:                              ;   in Loop: Header=BB45_96 Depth=2
	s_wait_alu 0xfffe
	s_or_b32 exec_lo, exec_lo, s5
	s_wait_loadcnt_dscnt 0x0
	s_barrier_signal -1
	s_barrier_wait -1
	global_inv scope:SCOPE_SE
	ds_load_b128 v[4:7], v19 offset:3072
	s_wait_loadcnt_dscnt 0x0
	s_barrier_signal -1
	s_barrier_wait -1
	global_inv scope:SCOPE_SE
	v_cmp_neq_f64_e32 vcc_lo, 0, v[4:5]
	s_cbranch_vccnz .LBB45_99
; %bb.94:                               ;   in Loop: Header=BB45_96 Depth=2
	v_add_co_u32 v14, vcc_lo, v14, s56
	s_wait_alu 0xfffd
	v_add_co_ci_u32_e64 v15, null, 0, v15, vcc_lo
	v_add_co_u32 v12, s5, v12, s58
	s_wait_alu 0xf1ff
	v_add_co_ci_u32_e64 v13, null, s59, v13, s5
	s_delay_alu instid0(VALU_DEP_3)
	v_cmp_le_i64_e32 vcc_lo, s[16:17], v[14:15]
	s_mov_b32 s5, 0
	s_or_not1_b32 s74, vcc_lo, exec_lo
.LBB45_95:                              ;   in Loop: Header=BB45_96 Depth=2
	s_wait_alu 0xfffe
	s_and_b32 s74, exec_lo, s74
	s_wait_alu 0xfffe
	s_or_b32 s72, s74, s72
	s_and_not1_b32 s73, s73, exec_lo
	s_and_b32 s5, s5, exec_lo
	s_wait_alu 0xfffe
	s_or_b32 s73, s73, s5
	s_and_not1_b32 exec_lo, exec_lo, s72
	s_cbranch_execz .LBB45_100
.LBB45_96:                              ;   Parent Loop BB45_16 Depth=1
                                        ; =>  This Inner Loop Header: Depth=2
	s_mov_b32 s5, exec_lo
	s_delay_alu instid0(VALU_DEP_1)
	v_cmpx_gt_i64_e64 s[36:37], v[14:15]
	s_cbranch_execz .LBB45_93
; %bb.97:                               ;   in Loop: Header=BB45_96 Depth=2
	global_load_b64 v[4:5], v[12:13], off
	s_wait_loadcnt 0x0
	v_cmp_o_f64_e32 vcc_lo, v[4:5], v[4:5]
	v_ashrrev_i32_e32 v2, 31, v5
	s_delay_alu instid0(VALU_DEP_1) | instskip(SKIP_1) | instid1(VALU_DEP_2)
	v_or_b32_e32 v6, 0x80000000, v2
	v_xor_b32_e32 v2, v2, v4
	v_xor_b32_e32 v6, v6, v5
	s_wait_alu 0xfffd
	s_delay_alu instid0(VALU_DEP_1) | instskip(NEXT) | instid1(VALU_DEP_3)
	v_cndmask_b32_e32 v6, -1, v6, vcc_lo
	v_cndmask_b32_e32 v2, -1, v2, vcc_lo
	s_delay_alu instid0(VALU_DEP_2) | instskip(NEXT) | instid1(VALU_DEP_2)
	v_and_b32_e32 v7, v6, v34
	v_and_b32_e32 v6, v2, v33
	s_delay_alu instid0(VALU_DEP_1)
	v_cmp_eq_u64_e32 vcc_lo, v[6:7], v[29:30]
	s_and_b32 exec_lo, exec_lo, vcc_lo
	s_cbranch_execz .LBB45_93
; %bb.98:                               ;   in Loop: Header=BB45_96 Depth=2
	v_mov_b32_e32 v2, v19
	ds_store_b128 v19, v[2:5] offset:3072
	s_branch .LBB45_93
.LBB45_99:                              ;   in Loop: Header=BB45_96 Depth=2
	s_mov_b32 s74, -1
	s_mov_b32 s5, -1
                                        ; implicit-def: $vgpr14_vgpr15
                                        ; implicit-def: $vgpr12_vgpr13
	s_branch .LBB45_95
.LBB45_100:                             ;   in Loop: Header=BB45_16 Depth=1
	s_or_b32 exec_lo, exec_lo, s72
	s_wait_alu 0xfffe
	s_and_b32 s5, s73, exec_lo
.LBB45_101:                             ;   in Loop: Header=BB45_16 Depth=1
	s_wait_alu 0xfffe
	s_or_b32 exec_lo, exec_lo, s24
.LBB45_102:                             ;   in Loop: Header=BB45_16 Depth=1
	s_delay_alu instid0(SALU_CYCLE_1)
	s_and_b32 vcc_lo, exec_lo, s23
	s_wait_alu 0xfffe
	s_cbranch_vccz .LBB45_117
; %bb.103:                              ;   in Loop: Header=BB45_16 Depth=1
	s_add_nc_u64 s[16:17], s[14:15], s[62:63]
	s_mov_b32 s18, s25
	s_wait_alu 0xfffe
	s_mov_b32 s19, s17
	s_delay_alu instid0(SALU_CYCLE_1)
	s_cmp_lg_u64 s[18:19], 0
	s_cbranch_scc0 .LBB45_146
; %bb.104:                              ;   in Loop: Header=BB45_16 Depth=1
	s_add_nc_u64 s[18:19], s[56:57], 0
	s_delay_alu instid0(SALU_CYCLE_1) | instskip(NEXT) | instid1(SALU_CYCLE_1)
	s_xor_b64 s[18:19], s[18:19], 0
	s_cvt_f32_u32 s23, s18
	s_cvt_f32_u32 s24, s19
	s_sub_nc_u64 s[74:75], 0, s[18:19]
	s_wait_alu 0xfffe
	s_delay_alu instid0(SALU_CYCLE_1) | instskip(SKIP_1) | instid1(SALU_CYCLE_2)
	s_fmamk_f32 s23, s24, 0x4f800000, s23
	s_wait_alu 0xfffe
	v_s_rcp_f32 s23, s23
	s_delay_alu instid0(TRANS32_DEP_1) | instskip(SKIP_1) | instid1(SALU_CYCLE_2)
	s_mul_f32 s23, s23, 0x5f7ffffc
	s_wait_alu 0xfffe
	s_mul_f32 s24, s23, 0x2f800000
	s_wait_alu 0xfffe
	s_delay_alu instid0(SALU_CYCLE_2) | instskip(SKIP_1) | instid1(SALU_CYCLE_2)
	s_trunc_f32 s24, s24
	s_wait_alu 0xfffe
	s_fmamk_f32 s23, s24, 0xcf800000, s23
	s_cvt_u32_f32 s73, s24
	s_wait_alu 0xfffe
	s_delay_alu instid0(SALU_CYCLE_1) | instskip(SKIP_1) | instid1(SALU_CYCLE_2)
	s_cvt_u32_f32 s72, s23
	s_wait_alu 0xfffe
	s_mul_u64 s[76:77], s[74:75], s[72:73]
	s_wait_alu 0xfffe
	s_mul_hi_u32 s79, s72, s77
	s_mul_i32 s78, s72, s77
	s_mul_hi_u32 s24, s72, s76
	s_mul_i32 s80, s73, s76
	s_wait_alu 0xfffe
	s_add_nc_u64 s[78:79], s[24:25], s[78:79]
	s_mul_hi_u32 s23, s73, s76
	s_mul_hi_u32 s81, s73, s77
	s_wait_alu 0xfffe
	s_add_co_u32 s24, s78, s80
	s_add_co_ci_u32 s24, s79, s23
	s_mul_i32 s76, s73, s77
	s_add_co_ci_u32 s77, s81, 0
	s_wait_alu 0xfffe
	s_add_nc_u64 s[76:77], s[24:25], s[76:77]
	s_wait_alu 0xfffe
	s_add_co_u32 s72, s72, s76
	s_cselect_b32 s23, -1, 0
	s_wait_alu 0xfffe
	s_cmp_lg_u32 s23, 0
	s_add_co_ci_u32 s73, s73, s77
	s_wait_alu 0xfffe
	s_mul_u64 s[74:75], s[74:75], s[72:73]
	s_wait_alu 0xfffe
	s_mul_hi_u32 s77, s72, s75
	s_mul_i32 s76, s72, s75
	s_mul_hi_u32 s24, s72, s74
	s_mul_i32 s78, s73, s74
	s_wait_alu 0xfffe
	s_add_nc_u64 s[76:77], s[24:25], s[76:77]
	s_mul_hi_u32 s23, s73, s74
	s_mul_hi_u32 s79, s73, s75
	s_wait_alu 0xfffe
	s_add_co_u32 s24, s76, s78
	s_add_co_ci_u32 s24, s77, s23
	s_mul_i32 s74, s73, s75
	s_add_co_ci_u32 s75, s79, 0
	s_wait_alu 0xfffe
	s_add_nc_u64 s[74:75], s[24:25], s[74:75]
	s_wait_alu 0xfffe
	s_add_co_u32 s23, s72, s74
	s_cselect_b32 s24, -1, 0
	s_wait_alu 0xfffe
	s_cmp_lg_u32 s24, 0
	s_add_co_ci_u32 s78, s73, s75
	s_ashr_i32 s72, s17, 31
	s_wait_alu 0xfffe
	s_mov_b32 s73, s72
	s_wait_alu 0xfffe
	s_add_nc_u64 s[74:75], s[16:17], s[72:73]
	s_wait_alu 0xfffe
	s_xor_b64 s[74:75], s[74:75], s[72:73]
	s_wait_alu 0xfffe
	s_mul_hi_u32 s77, s74, s78
	s_mul_i32 s76, s74, s78
	s_mul_hi_u32 s24, s74, s23
	s_mul_hi_u32 s80, s75, s23
	s_mul_i32 s23, s75, s23
	s_wait_alu 0xfffe
	s_add_nc_u64 s[76:77], s[24:25], s[76:77]
	s_mul_hi_u32 s79, s75, s78
	s_wait_alu 0xfffe
	s_add_co_u32 s23, s76, s23
	s_add_co_ci_u32 s24, s77, s80
	s_mul_i32 s78, s75, s78
	s_add_co_ci_u32 s79, s79, 0
	s_wait_alu 0xfffe
	s_add_nc_u64 s[76:77], s[24:25], s[78:79]
	s_wait_alu 0xfffe
	s_mul_u64 s[76:77], s[18:19], s[76:77]
	s_wait_alu 0xfffe
	s_sub_co_u32 s23, s74, s76
	s_cselect_b32 s24, -1, 0
	s_sub_co_i32 s74, s75, s77
	s_wait_alu 0xfffe
	s_cmp_lg_u32 s24, 0
	s_sub_co_ci_u32 s74, s74, s19
	s_sub_co_u32 s76, s23, s18
	s_cselect_b32 s78, -1, 0
	s_wait_alu 0xfffe
	s_cmp_lg_u32 s78, 0
	s_sub_co_ci_u32 s79, s74, 0
	s_wait_alu 0xfffe
	s_cmp_ge_u32 s79, s19
	s_cselect_b32 s80, -1, 0
	s_cmp_ge_u32 s76, s18
	s_cselect_b32 s81, -1, 0
	s_cmp_eq_u32 s79, s19
	s_wait_alu 0xfffe
	s_cselect_b32 s80, s81, s80
	s_cmp_lg_u32 s78, 0
	s_sub_co_ci_u32 s74, s74, s19
	s_sub_co_u32 s78, s76, s18
	s_cselect_b32 s81, -1, 0
	s_wait_alu 0xfffe
	s_cmp_lg_u32 s81, 0
	s_sub_co_ci_u32 s74, s74, 0
	s_cmp_lg_u32 s80, 0
	s_cselect_b32 s76, s78, s76
	s_wait_alu 0xfffe
	s_cselect_b32 s74, s74, s79
	s_cmp_lg_u32 s24, 0
	s_sub_co_ci_u32 s24, s75, s77
	s_wait_alu 0xfffe
	s_cmp_ge_u32 s24, s19
	s_cselect_b32 s75, -1, 0
	s_cmp_ge_u32 s23, s18
	s_cselect_b32 s18, -1, 0
	s_cmp_eq_u32 s24, s19
	s_wait_alu 0xfffe
	s_cselect_b32 s18, s18, s75
	s_delay_alu instid0(SALU_CYCLE_1) | instskip(SKIP_2) | instid1(SALU_CYCLE_1)
	s_cmp_lg_u32 s18, 0
	s_cselect_b32 s19, s74, s24
	s_cselect_b32 s18, s76, s23
	s_xor_b64 s[18:19], s[18:19], s[72:73]
	s_delay_alu instid0(SALU_CYCLE_1)
	s_sub_nc_u64 s[18:19], s[18:19], s[72:73]
	s_cbranch_execnz .LBB45_106
.LBB45_105:                             ;   in Loop: Header=BB45_16 Depth=1
	v_cvt_f32_u32_e32 v2, s56
	s_sub_co_i32 s19, 0, s56
	s_delay_alu instid0(VALU_DEP_1) | instskip(NEXT) | instid1(TRANS32_DEP_1)
	v_rcp_iflag_f32_e32 v2, v2
	v_mul_f32_e32 v2, 0x4f7ffffe, v2
	s_delay_alu instid0(VALU_DEP_1) | instskip(NEXT) | instid1(VALU_DEP_1)
	v_cvt_u32_f32_e32 v2, v2
	v_readfirstlane_b32 s18, v2
	s_mul_i32 s19, s19, s18
	s_delay_alu instid0(SALU_CYCLE_1) | instskip(NEXT) | instid1(SALU_CYCLE_1)
	s_mul_hi_u32 s19, s18, s19
	s_add_co_i32 s18, s18, s19
	s_delay_alu instid0(SALU_CYCLE_1) | instskip(NEXT) | instid1(SALU_CYCLE_1)
	s_mul_hi_u32 s18, s16, s18
	s_mul_i32 s18, s18, s56
	s_delay_alu instid0(SALU_CYCLE_1) | instskip(NEXT) | instid1(SALU_CYCLE_1)
	s_sub_co_i32 s18, s16, s18
	s_sub_co_i32 s19, s18, s56
	s_cmp_ge_u32 s18, s56
	s_cselect_b32 s18, s19, s18
	s_delay_alu instid0(SALU_CYCLE_1)
	s_sub_co_i32 s19, s18, s56
	s_cmp_ge_u32 s18, s56
	s_cselect_b32 s24, s19, s18
	s_wait_alu 0xfffe
	s_mov_b64 s[18:19], s[24:25]
.LBB45_106:                             ;   in Loop: Header=BB45_16 Depth=1
	s_delay_alu instid0(SALU_CYCLE_1)
	s_sub_nc_u64 s[16:17], s[16:17], s[18:19]
	s_mov_b32 s18, exec_lo
                                        ; implicit-def: $vgpr6_vgpr7
	s_wait_alu 0xfffe
	v_cmpx_gt_i64_e64 s[16:17], v[0:1]
	s_cbranch_execz .LBB45_116
; %bb.107:                              ;   in Loop: Header=BB45_16 Depth=1
	v_dual_mov_b32 v14, v44 :: v_dual_mov_b32 v13, v1
	v_mov_b32_e32 v12, v0
	s_mov_b32 s23, 0
                                        ; implicit-def: $sgpr19
	s_branch .LBB45_111
.LBB45_108:                             ;   in Loop: Header=BB45_111 Depth=2
	s_wait_alu 0xfffe
	s_or_b32 exec_lo, exec_lo, s24
	s_wait_loadcnt_dscnt 0x0
	s_barrier_signal -1
	s_barrier_wait -1
	global_inv scope:SCOPE_SE
	ds_load_b128 v[4:7], v19 offset:3072
	s_wait_loadcnt_dscnt 0x0
	s_barrier_signal -1
	s_barrier_wait -1
	global_inv scope:SCOPE_SE
	v_cmp_neq_f64_e32 vcc_lo, 0, v[4:5]
	s_cbranch_vccnz .LBB45_114
; %bb.109:                              ;   in Loop: Header=BB45_111 Depth=2
	v_add_co_u32 v12, vcc_lo, v12, s56
	s_wait_alu 0xfffd
	v_add_co_ci_u32_e64 v13, null, 0, v13, vcc_lo
	v_add_nc_u32_e32 v14, s94, v14
	s_mov_b32 s24, 0
	s_delay_alu instid0(VALU_DEP_2)
	v_cmp_le_i64_e32 vcc_lo, s[16:17], v[12:13]
	s_or_not1_b32 s72, vcc_lo, exec_lo
.LBB45_110:                             ;   in Loop: Header=BB45_111 Depth=2
	s_wait_alu 0xfffe
	s_and_b32 s72, exec_lo, s72
	s_wait_alu 0xfffe
	s_or_b32 s23, s72, s23
	s_and_not1_b32 s19, s19, exec_lo
	s_and_b32 s24, s24, exec_lo
	s_wait_alu 0xfffe
	s_or_b32 s19, s19, s24
	s_and_not1_b32 exec_lo, exec_lo, s23
	s_cbranch_execz .LBB45_115
.LBB45_111:                             ;   Parent Loop BB45_16 Depth=1
                                        ; =>  This Inner Loop Header: Depth=2
	s_mov_b32 s24, exec_lo
	s_delay_alu instid0(VALU_DEP_1)
	v_cmpx_gt_u64_e64 s[14:15], v[12:13]
	s_cbranch_execz .LBB45_108
; %bb.112:                              ;   in Loop: Header=BB45_111 Depth=2
	ds_load_b64 v[4:5], v14
	s_wait_dscnt 0x0
	v_cmp_o_f64_e32 vcc_lo, v[4:5], v[4:5]
	v_ashrrev_i32_e32 v2, 31, v5
	s_delay_alu instid0(VALU_DEP_1) | instskip(SKIP_1) | instid1(VALU_DEP_2)
	v_or_b32_e32 v6, 0x80000000, v2
	v_xor_b32_e32 v2, v2, v4
	v_xor_b32_e32 v6, v6, v5
	s_wait_alu 0xfffd
	s_delay_alu instid0(VALU_DEP_1) | instskip(NEXT) | instid1(VALU_DEP_3)
	v_cndmask_b32_e32 v6, -1, v6, vcc_lo
	v_cndmask_b32_e32 v2, -1, v2, vcc_lo
	s_delay_alu instid0(VALU_DEP_2) | instskip(NEXT) | instid1(VALU_DEP_2)
	v_and_b32_e32 v7, v6, v34
	v_and_b32_e32 v6, v2, v33
	s_delay_alu instid0(VALU_DEP_1)
	v_cmp_eq_u64_e32 vcc_lo, v[6:7], v[29:30]
	s_and_b32 exec_lo, exec_lo, vcc_lo
	s_cbranch_execz .LBB45_108
; %bb.113:                              ;   in Loop: Header=BB45_111 Depth=2
	v_mov_b32_e32 v2, v19
	ds_store_b128 v19, v[2:5] offset:3072
	s_branch .LBB45_108
.LBB45_114:                             ;   in Loop: Header=BB45_111 Depth=2
	s_mov_b32 s72, -1
	s_mov_b32 s24, -1
                                        ; implicit-def: $vgpr12_vgpr13
                                        ; implicit-def: $vgpr14
	s_branch .LBB45_110
.LBB45_115:                             ;   in Loop: Header=BB45_16 Depth=1
	s_or_b32 exec_lo, exec_lo, s23
	s_delay_alu instid0(SALU_CYCLE_1)
	s_and_not1_b32 s5, s5, exec_lo
	s_and_b32 s14, s19, exec_lo
	s_wait_alu 0xfffe
	s_or_b32 s5, s5, s14
.LBB45_116:                             ;   in Loop: Header=BB45_16 Depth=1
	s_or_b32 exec_lo, exec_lo, s18
	s_mov_b32 s18, 0
	s_mov_b32 s19, -1
.LBB45_117:                             ;   in Loop: Header=BB45_16 Depth=1
	s_wait_alu 0xfffe
	s_or_not1_b32 s5, s5, exec_lo
.LBB45_118:                             ;   in Loop: Header=BB45_16 Depth=1
	s_or_b32 exec_lo, exec_lo, s20
	s_delay_alu instid0(SALU_CYCLE_1)
	s_and_not1_b32 s14, s102, exec_lo
	s_and_b32 s15, s19, exec_lo
	s_and_not1_b32 s16, s100, exec_lo
	s_and_b32 s17, s18, exec_lo
	s_and_not1_b32 s99, s99, exec_lo
	s_wait_alu 0xfffe
	s_or_b32 s102, s14, s15
	s_or_b32 s100, s16, s17
                                        ; implicit-def: $vgpr12_vgpr13
	s_and_saveexec_b32 s20, s5
	s_cbranch_execz .LBB45_15
; %bb.119:                              ;   in Loop: Header=BB45_16 Depth=1
	v_dual_mov_b32 v12, 1 :: v_dual_mov_b32 v37, 1
	v_mov_b32_e32 v13, 0
	s_xor_b32 s15, s22, -1
	s_mov_b32 s14, 0
	s_wait_alu 0xfffe
	s_and_saveexec_b32 s5, s15
	s_cbranch_execz .LBB45_128
; %bb.120:                              ;   in Loop: Header=BB45_16 Depth=1
	s_mov_b32 s14, exec_lo
	v_cmpx_le_i64_e64 v[35:36], v[8:9]
	s_wait_alu 0xfffe
	s_xor_b32 s14, exec_lo, s14
	s_cbranch_execz .LBB45_125
; %bb.121:                              ;   in Loop: Header=BB45_16 Depth=1
	ds_load_b64 v[4:5], v19 offset:5120
	v_and_b32_e32 v30, s13, v30
	v_and_b32_e32 v29, s12, v29
	v_or_b32_e32 v34, s9, v34
	v_or_b32_e32 v33, s8, v33
	s_wait_dscnt 0x0
	v_cmp_ne_u64_e32 vcc_lo, 0, v[4:5]
	s_cbranch_vccnz .LBB45_125
; %bb.122:                              ;   in Loop: Header=BB45_16 Depth=1
	s_and_saveexec_b32 s15, s2
; %bb.123:                              ;   in Loop: Header=BB45_16 Depth=1
	ds_store_b64 v19, v[8:9] offset:5128
; %bb.124:                              ;   in Loop: Header=BB45_16 Depth=1
	s_wait_alu 0xfffe
	s_or_b32 exec_lo, exec_lo, s15
	s_wait_loadcnt_dscnt 0x0
	s_barrier_signal -1
	s_barrier_wait -1
	global_inv scope:SCOPE_SE
.LBB45_125:                             ;   in Loop: Header=BB45_16 Depth=1
	s_wait_alu 0xfffe
	s_or_saveexec_b32 s14, s14
	v_mov_b32_e32 v37, 8
	s_mov_b32 s15, 0
	s_wait_alu 0xfffe
	s_xor_b32 exec_lo, exec_lo, s14
; %bb.126:                              ;   in Loop: Header=BB45_16 Depth=1
	v_sub_co_u32 v35, vcc_lo, v35, v8
	s_wait_alu 0xfffd
	v_sub_co_ci_u32_e64 v36, null, v36, v9, vcc_lo
	v_mov_b32_e32 v37, 0
	s_mov_b32 s15, exec_lo
; %bb.127:                              ;   in Loop: Header=BB45_16 Depth=1
	s_or_b32 exec_lo, exec_lo, s14
	s_delay_alu instid0(VALU_DEP_2)
	v_dual_mov_b32 v12, v35 :: v_dual_mov_b32 v13, v36
	s_wait_alu 0xfffe
	s_and_b32 s14, s15, exec_lo
.LBB45_128:                             ;   in Loop: Header=BB45_16 Depth=1
	s_wait_alu 0xfffe
	s_or_b32 exec_lo, exec_lo, s5
	s_mov_b32 s21, -1
	s_mov_b32 s5, -1
                                        ; implicit-def: $sgpr23
                                        ; implicit-def: $sgpr72
	s_and_saveexec_b32 s15, s14
	s_wait_alu 0xfffe
	s_xor_b32 s22, exec_lo, s15
	s_cbranch_execz .LBB45_276
; %bb.129:                              ;   in Loop: Header=BB45_16 Depth=1
	v_cmp_eq_u64_e32 vcc_lo, 1, v[10:11]
	v_cmp_eq_u64_e64 s5, 1, v[12:13]
                                        ; implicit-def: $sgpr72
                                        ; implicit-def: $sgpr23
	s_and_b32 s74, vcc_lo, s5
	s_mov_b32 s5, -1
	s_wait_alu 0xfffe
	s_and_saveexec_b32 s73, s74
	s_cbranch_execz .LBB45_165
; %bb.130:                              ;   in Loop: Header=BB45_16 Depth=1
	ds_load_b64 v[4:5], v19 offset:5120
	s_wait_loadcnt_dscnt 0x0
	s_barrier_signal -1
	s_barrier_wait -1
	global_inv scope:SCOPE_SE
	v_readfirstlane_b32 s14, v4
	v_readfirstlane_b32 s15, v5
	s_and_saveexec_b32 s5, s3
; %bb.131:                              ;   in Loop: Header=BB45_16 Depth=1
	v_mov_b32_e32 v18, v19
	ds_store_b64 v45, v[18:19]
; %bb.132:                              ;   in Loop: Header=BB45_16 Depth=1
	s_wait_alu 0xfffe
	s_or_b32 exec_lo, exec_lo, s5
	v_and_b32_e32 v2, s13, v30
	v_and_b32_e32 v4, s12, v29
	v_cmp_gt_i64_e64 s5, s[14:15], 0
	s_lshl_b64 s[16:17], 1, s95
	v_or_b32_e32 v34, s9, v34
	s_wait_alu 0xfffe
	v_or_b32_e32 v30, s17, v2
	v_or_b32_e32 v29, s16, v4
	;; [unrolled: 1-line block ×3, first 2 shown]
	s_mov_b32 s23, -1
	s_mov_b32 s72, 0
	s_and_b32 vcc_lo, exec_lo, s5
	s_mov_b32 s5, 0
	s_mov_b32 s18, -1
	s_wait_loadcnt_dscnt 0x0
	s_barrier_signal -1
	s_barrier_wait -1
	global_inv scope:SCOPE_SE
                                        ; implicit-def: $vgpr6_vgpr7
	s_wait_alu 0xfffe
	s_cbranch_vccnz .LBB45_149
; %bb.133:                              ;   in Loop: Header=BB45_16 Depth=1
	s_mov_b32 s16, s25
	s_mov_b32 s17, s65
	s_wait_alu 0xfffe
	s_cmp_lg_u64 s[16:17], 0
	s_cbranch_scc0 .LBB45_193
; %bb.134:                              ;   in Loop: Header=BB45_16 Depth=1
	s_add_nc_u64 s[16:17], s[56:57], 0
	s_wait_alu 0xfffe
	s_xor_b64 s[16:17], s[16:17], 0
	s_wait_alu 0xfffe
	s_cvt_f32_u32 s5, s16
	s_cvt_f32_u32 s18, s17
	s_sub_nc_u64 s[76:77], 0, s[16:17]
	s_wait_alu 0xfffe
	s_delay_alu instid0(SALU_CYCLE_1) | instskip(SKIP_1) | instid1(SALU_CYCLE_2)
	s_fmamk_f32 s5, s18, 0x4f800000, s5
	s_wait_alu 0xfffe
	v_s_rcp_f32 s5, s5
	s_delay_alu instid0(TRANS32_DEP_1) | instskip(SKIP_1) | instid1(SALU_CYCLE_2)
	s_mul_f32 s5, s5, 0x5f7ffffc
	s_wait_alu 0xfffe
	s_mul_f32 s18, s5, 0x2f800000
	s_delay_alu instid0(SALU_CYCLE_3) | instskip(NEXT) | instid1(SALU_CYCLE_3)
	s_trunc_f32 s18, s18
	s_fmamk_f32 s5, s18, 0xcf800000, s5
	s_cvt_u32_f32 s19, s18
	s_wait_alu 0xfffe
	s_delay_alu instid0(SALU_CYCLE_1) | instskip(NEXT) | instid1(SALU_CYCLE_3)
	s_cvt_u32_f32 s18, s5
	s_mul_u64 s[78:79], s[76:77], s[18:19]
	s_wait_alu 0xfffe
	s_mul_hi_u32 s81, s18, s79
	s_mul_i32 s80, s18, s79
	s_mul_hi_u32 s24, s18, s78
	s_mul_i32 s75, s19, s78
	s_wait_alu 0xfffe
	s_add_nc_u64 s[80:81], s[24:25], s[80:81]
	s_mul_hi_u32 s5, s19, s78
	s_mul_hi_u32 s82, s19, s79
	s_wait_alu 0xfffe
	s_add_co_u32 s24, s80, s75
	s_add_co_ci_u32 s24, s81, s5
	s_mul_i32 s78, s19, s79
	s_add_co_ci_u32 s79, s82, 0
	s_wait_alu 0xfffe
	s_add_nc_u64 s[78:79], s[24:25], s[78:79]
	s_wait_alu 0xfffe
	s_add_co_u32 s18, s18, s78
	s_cselect_b32 s5, -1, 0
	s_wait_alu 0xfffe
	s_cmp_lg_u32 s5, 0
	s_add_co_ci_u32 s19, s19, s79
	s_delay_alu instid0(SALU_CYCLE_1)
	s_mul_u64 s[76:77], s[76:77], s[18:19]
	s_wait_alu 0xfffe
	s_mul_hi_u32 s79, s18, s77
	s_mul_i32 s78, s18, s77
	s_mul_hi_u32 s24, s18, s76
	s_mul_i32 s75, s19, s76
	s_wait_alu 0xfffe
	s_add_nc_u64 s[78:79], s[24:25], s[78:79]
	s_mul_hi_u32 s5, s19, s76
	s_mul_hi_u32 s80, s19, s77
	s_wait_alu 0xfffe
	s_add_co_u32 s24, s78, s75
	s_add_co_ci_u32 s24, s79, s5
	s_mul_i32 s76, s19, s77
	s_add_co_ci_u32 s77, s80, 0
	s_wait_alu 0xfffe
	s_add_nc_u64 s[76:77], s[24:25], s[76:77]
	s_wait_alu 0xfffe
	s_add_co_u32 s5, s18, s76
	s_cselect_b32 s18, -1, 0
	s_delay_alu instid0(SALU_CYCLE_1) | instskip(SKIP_2) | instid1(SALU_CYCLE_1)
	s_cmp_lg_u32 s18, 0
	s_add_co_ci_u32 s75, s19, s77
	s_ashr_i32 s18, s65, 31
	s_mov_b32 s19, s18
	s_delay_alu instid0(SALU_CYCLE_1)
	s_add_nc_u64 s[76:77], s[64:65], s[18:19]
	s_wait_alu 0xfffe
	s_xor_b64 s[76:77], s[76:77], s[18:19]
	s_wait_alu 0xfffe
	s_mul_hi_u32 s79, s76, s75
	s_mul_i32 s78, s76, s75
	s_mul_hi_u32 s24, s76, s5
	s_mul_hi_u32 s82, s77, s5
	s_mul_i32 s5, s77, s5
	s_wait_alu 0xfffe
	s_add_nc_u64 s[78:79], s[24:25], s[78:79]
	s_mul_hi_u32 s81, s77, s75
	s_wait_alu 0xfffe
	s_add_co_u32 s5, s78, s5
	s_add_co_ci_u32 s24, s79, s82
	s_mul_i32 s80, s77, s75
	s_add_co_ci_u32 s81, s81, 0
	s_wait_alu 0xfffe
	s_add_nc_u64 s[78:79], s[24:25], s[80:81]
	s_wait_alu 0xfffe
	s_mul_u64 s[78:79], s[16:17], s[78:79]
	s_wait_alu 0xfffe
	s_sub_co_u32 s5, s76, s78
	s_cselect_b32 s24, -1, 0
	s_sub_co_i32 s75, s77, s79
	s_wait_alu 0xfffe
	s_cmp_lg_u32 s24, 0
	s_sub_co_ci_u32 s75, s75, s17
	s_sub_co_u32 s76, s5, s16
	s_cselect_b32 s78, -1, 0
	s_wait_alu 0xfffe
	s_cmp_lg_u32 s78, 0
	s_sub_co_ci_u32 s80, s75, 0
	s_wait_alu 0xfffe
	s_cmp_ge_u32 s80, s17
	s_cselect_b32 s81, -1, 0
	s_cmp_ge_u32 s76, s16
	s_cselect_b32 s82, -1, 0
	s_cmp_eq_u32 s80, s17
	s_wait_alu 0xfffe
	s_cselect_b32 s81, s82, s81
	s_cmp_lg_u32 s78, 0
	s_sub_co_ci_u32 s75, s75, s17
	s_sub_co_u32 s78, s76, s16
	s_cselect_b32 s82, -1, 0
	s_wait_alu 0xfffe
	s_cmp_lg_u32 s82, 0
	s_sub_co_ci_u32 s75, s75, 0
	s_cmp_lg_u32 s81, 0
	s_cselect_b32 s76, s78, s76
	s_wait_alu 0xfffe
	s_cselect_b32 s75, s75, s80
	s_cmp_lg_u32 s24, 0
	s_sub_co_ci_u32 s24, s77, s79
	s_wait_alu 0xfffe
	s_cmp_ge_u32 s24, s17
	s_cselect_b32 s77, -1, 0
	s_cmp_ge_u32 s5, s16
	s_cselect_b32 s16, -1, 0
	s_cmp_eq_u32 s24, s17
	s_wait_alu 0xfffe
	s_cselect_b32 s16, s16, s77
	s_wait_alu 0xfffe
	s_cmp_lg_u32 s16, 0
	s_cselect_b32 s17, s75, s24
	s_cselect_b32 s16, s76, s5
	s_wait_alu 0xfffe
	s_xor_b64 s[16:17], s[16:17], s[18:19]
	s_wait_alu 0xfffe
	s_sub_nc_u64 s[16:17], s[16:17], s[18:19]
	s_cbranch_execnz .LBB45_136
.LBB45_135:                             ;   in Loop: Header=BB45_16 Depth=1
	v_cvt_f32_u32_e32 v2, s56
	s_sub_co_i32 s16, 0, s56
	s_delay_alu instid0(VALU_DEP_1) | instskip(NEXT) | instid1(TRANS32_DEP_1)
	v_rcp_iflag_f32_e32 v2, v2
	v_mul_f32_e32 v2, 0x4f7ffffe, v2
	s_delay_alu instid0(VALU_DEP_1) | instskip(NEXT) | instid1(VALU_DEP_1)
	v_cvt_u32_f32_e32 v2, v2
	v_readfirstlane_b32 s5, v2
	s_wait_alu 0xfffe
	s_mul_i32 s16, s16, s5
	s_wait_alu 0xfffe
	s_mul_hi_u32 s16, s5, s16
	s_wait_alu 0xfffe
	s_add_co_i32 s5, s5, s16
	s_wait_alu 0xfffe
	s_mul_hi_u32 s5, s64, s5
	s_wait_alu 0xfffe
	s_mul_i32 s5, s5, s56
	s_wait_alu 0xfffe
	s_sub_co_i32 s5, s64, s5
	s_wait_alu 0xfffe
	s_sub_co_i32 s16, s5, s56
	s_cmp_ge_u32 s5, s56
	s_wait_alu 0xfffe
	s_cselect_b32 s5, s16, s5
	s_wait_alu 0xfffe
	s_sub_co_i32 s16, s5, s56
	s_cmp_ge_u32 s5, s56
	s_wait_alu 0xfffe
	s_cselect_b32 s24, s16, s5
	s_wait_alu 0xfffe
	s_mov_b64 s[16:17], s[24:25]
.LBB45_136:                             ;   in Loop: Header=BB45_16 Depth=1
	s_wait_alu 0xfffe
	s_sub_nc_u64 s[16:17], s[64:65], s[16:17]
	s_mov_b32 s18, 0
	s_mov_b32 s5, 0
	s_mov_b32 s19, exec_lo
                                        ; implicit-def: $vgpr6_vgpr7
	s_wait_alu 0xfffe
	v_cmpx_gt_i64_e64 s[16:17], v[0:1]
	s_cbranch_execz .LBB45_148
; %bb.137:                              ;   in Loop: Header=BB45_16 Depth=1
	v_dual_mov_b32 v8, v16 :: v_dual_mov_b32 v9, v17
	v_dual_mov_b32 v15, v1 :: v_dual_mov_b32 v14, v0
	s_mov_b32 s24, 0
                                        ; implicit-def: $sgpr75
	s_branch .LBB45_141
.LBB45_138:                             ;   in Loop: Header=BB45_141 Depth=2
	s_wait_alu 0xfffe
	s_or_b32 exec_lo, exec_lo, s5
	s_wait_loadcnt_dscnt 0x0
	s_barrier_signal -1
	s_barrier_wait -1
	global_inv scope:SCOPE_SE
	ds_load_b128 v[4:7], v19 offset:3072
	s_wait_loadcnt_dscnt 0x0
	s_barrier_signal -1
	s_barrier_wait -1
	global_inv scope:SCOPE_SE
	v_cmp_neq_f64_e32 vcc_lo, 0, v[4:5]
	s_cbranch_vccnz .LBB45_144
; %bb.139:                              ;   in Loop: Header=BB45_141 Depth=2
	v_add_co_u32 v14, vcc_lo, v14, s56
	s_wait_alu 0xfffd
	v_add_co_ci_u32_e64 v15, null, 0, v15, vcc_lo
	v_add_co_u32 v8, s5, v8, s58
	s_wait_alu 0xf1ff
	v_add_co_ci_u32_e64 v9, null, s59, v9, s5
	s_delay_alu instid0(VALU_DEP_3)
	v_cmp_le_i64_e32 vcc_lo, s[16:17], v[14:15]
	s_mov_b32 s5, 0
	s_or_not1_b32 s76, vcc_lo, exec_lo
.LBB45_140:                             ;   in Loop: Header=BB45_141 Depth=2
	s_wait_alu 0xfffe
	s_and_b32 s76, exec_lo, s76
	s_wait_alu 0xfffe
	s_or_b32 s24, s76, s24
	s_and_not1_b32 s75, s75, exec_lo
	s_and_b32 s5, s5, exec_lo
	s_wait_alu 0xfffe
	s_or_b32 s75, s75, s5
	s_and_not1_b32 exec_lo, exec_lo, s24
	s_cbranch_execz .LBB45_147
.LBB45_141:                             ;   Parent Loop BB45_16 Depth=1
                                        ; =>  This Inner Loop Header: Depth=2
	s_mov_b32 s5, exec_lo
	s_delay_alu instid0(VALU_DEP_1)
	v_cmpx_gt_i64_e64 s[36:37], v[14:15]
	s_cbranch_execz .LBB45_138
; %bb.142:                              ;   in Loop: Header=BB45_141 Depth=2
	global_load_b64 v[4:5], v[8:9], off
	s_wait_loadcnt 0x0
	v_cmp_o_f64_e32 vcc_lo, v[4:5], v[4:5]
	v_ashrrev_i32_e32 v2, 31, v5
	s_delay_alu instid0(VALU_DEP_1) | instskip(SKIP_1) | instid1(VALU_DEP_2)
	v_or_b32_e32 v6, 0x80000000, v2
	v_xor_b32_e32 v2, v2, v4
	v_xor_b32_e32 v6, v6, v5
	s_wait_alu 0xfffd
	s_delay_alu instid0(VALU_DEP_1) | instskip(NEXT) | instid1(VALU_DEP_3)
	v_cndmask_b32_e32 v6, -1, v6, vcc_lo
	v_cndmask_b32_e32 v2, -1, v2, vcc_lo
	s_delay_alu instid0(VALU_DEP_2) | instskip(NEXT) | instid1(VALU_DEP_2)
	v_and_b32_e32 v7, v6, v34
	v_and_b32_e32 v6, v2, v33
	s_delay_alu instid0(VALU_DEP_1)
	v_cmp_eq_u64_e32 vcc_lo, v[6:7], v[29:30]
	s_and_b32 exec_lo, exec_lo, vcc_lo
	s_cbranch_execz .LBB45_138
; %bb.143:                              ;   in Loop: Header=BB45_141 Depth=2
	v_mov_b32_e32 v2, v19
	ds_store_b128 v19, v[2:5] offset:3072
	s_branch .LBB45_138
.LBB45_144:                             ;   in Loop: Header=BB45_141 Depth=2
	s_mov_b32 s76, -1
	s_mov_b32 s5, -1
                                        ; implicit-def: $vgpr14_vgpr15
                                        ; implicit-def: $vgpr8_vgpr9
	s_branch .LBB45_140
.LBB45_145:                             ;   in Loop: Header=BB45_16 Depth=1
                                        ; implicit-def: $sgpr16_sgpr17
	s_branch .LBB45_90
.LBB45_146:                             ;   in Loop: Header=BB45_16 Depth=1
                                        ; implicit-def: $sgpr18_sgpr19
	s_branch .LBB45_105
.LBB45_147:                             ;   in Loop: Header=BB45_16 Depth=1
	s_or_b32 exec_lo, exec_lo, s24
	s_wait_alu 0xfffe
	s_and_b32 s5, s75, exec_lo
.LBB45_148:                             ;   in Loop: Header=BB45_16 Depth=1
	s_or_b32 exec_lo, exec_lo, s19
.LBB45_149:                             ;   in Loop: Header=BB45_16 Depth=1
	s_delay_alu instid0(SALU_CYCLE_1)
	s_and_b32 vcc_lo, exec_lo, s18
	s_wait_alu 0xfffe
	s_cbranch_vccz .LBB45_164
; %bb.150:                              ;   in Loop: Header=BB45_16 Depth=1
	s_add_nc_u64 s[16:17], s[14:15], s[62:63]
	s_mov_b32 s18, s25
	s_wait_alu 0xfffe
	s_mov_b32 s19, s17
	s_delay_alu instid0(SALU_CYCLE_1)
	s_cmp_lg_u64 s[18:19], 0
	s_cbranch_scc0 .LBB45_194
; %bb.151:                              ;   in Loop: Header=BB45_16 Depth=1
	s_add_nc_u64 s[18:19], s[56:57], 0
	s_delay_alu instid0(SALU_CYCLE_1) | instskip(NEXT) | instid1(SALU_CYCLE_1)
	s_xor_b64 s[18:19], s[18:19], 0
	s_cvt_f32_u32 s23, s18
	s_cvt_f32_u32 s24, s19
	s_sub_nc_u64 s[78:79], 0, s[18:19]
	s_wait_alu 0xfffe
	s_delay_alu instid0(SALU_CYCLE_1) | instskip(SKIP_1) | instid1(SALU_CYCLE_2)
	s_fmamk_f32 s23, s24, 0x4f800000, s23
	s_wait_alu 0xfffe
	v_s_rcp_f32 s23, s23
	s_delay_alu instid0(TRANS32_DEP_1) | instskip(SKIP_1) | instid1(SALU_CYCLE_2)
	s_mul_f32 s23, s23, 0x5f7ffffc
	s_wait_alu 0xfffe
	s_mul_f32 s24, s23, 0x2f800000
	s_wait_alu 0xfffe
	s_delay_alu instid0(SALU_CYCLE_2) | instskip(SKIP_1) | instid1(SALU_CYCLE_2)
	s_trunc_f32 s24, s24
	s_wait_alu 0xfffe
	s_fmamk_f32 s23, s24, 0xcf800000, s23
	s_cvt_u32_f32 s77, s24
	s_wait_alu 0xfffe
	s_delay_alu instid0(SALU_CYCLE_1) | instskip(SKIP_1) | instid1(SALU_CYCLE_2)
	s_cvt_u32_f32 s76, s23
	s_wait_alu 0xfffe
	s_mul_u64 s[80:81], s[78:79], s[76:77]
	s_wait_alu 0xfffe
	s_mul_hi_u32 s83, s76, s81
	s_mul_i32 s82, s76, s81
	s_mul_hi_u32 s24, s76, s80
	s_mul_i32 s72, s77, s80
	s_wait_alu 0xfffe
	s_add_nc_u64 s[82:83], s[24:25], s[82:83]
	s_mul_hi_u32 s23, s77, s80
	s_mul_hi_u32 s75, s77, s81
	s_wait_alu 0xfffe
	s_add_co_u32 s24, s82, s72
	s_add_co_ci_u32 s24, s83, s23
	s_mul_i32 s80, s77, s81
	s_add_co_ci_u32 s81, s75, 0
	s_wait_alu 0xfffe
	s_add_nc_u64 s[80:81], s[24:25], s[80:81]
	s_wait_alu 0xfffe
	s_add_co_u32 s76, s76, s80
	s_cselect_b32 s23, -1, 0
	s_wait_alu 0xfffe
	s_cmp_lg_u32 s23, 0
	s_add_co_ci_u32 s77, s77, s81
	s_wait_alu 0xfffe
	s_mul_u64 s[78:79], s[78:79], s[76:77]
	s_wait_alu 0xfffe
	s_mul_hi_u32 s81, s76, s79
	s_mul_i32 s80, s76, s79
	s_mul_hi_u32 s24, s76, s78
	s_mul_i32 s72, s77, s78
	s_wait_alu 0xfffe
	s_add_nc_u64 s[80:81], s[24:25], s[80:81]
	s_mul_hi_u32 s23, s77, s78
	s_mul_hi_u32 s75, s77, s79
	s_wait_alu 0xfffe
	s_add_co_u32 s24, s80, s72
	s_add_co_ci_u32 s24, s81, s23
	s_mul_i32 s78, s77, s79
	s_add_co_ci_u32 s79, s75, 0
	s_wait_alu 0xfffe
	s_add_nc_u64 s[78:79], s[24:25], s[78:79]
	s_wait_alu 0xfffe
	s_add_co_u32 s23, s76, s78
	s_cselect_b32 s24, -1, 0
	s_wait_alu 0xfffe
	s_cmp_lg_u32 s24, 0
	s_add_co_ci_u32 s72, s77, s79
	s_ashr_i32 s76, s17, 31
	s_wait_alu 0xfffe
	s_mov_b32 s77, s76
	s_wait_alu 0xfffe
	s_add_nc_u64 s[78:79], s[16:17], s[76:77]
	s_wait_alu 0xfffe
	s_xor_b64 s[78:79], s[78:79], s[76:77]
	s_wait_alu 0xfffe
	s_mul_hi_u32 s81, s78, s72
	s_mul_i32 s80, s78, s72
	s_mul_hi_u32 s24, s78, s23
	s_mul_hi_u32 s83, s79, s23
	s_mul_i32 s23, s79, s23
	s_wait_alu 0xfffe
	s_add_nc_u64 s[80:81], s[24:25], s[80:81]
	s_mul_hi_u32 s75, s79, s72
	s_wait_alu 0xfffe
	s_add_co_u32 s23, s80, s23
	s_add_co_ci_u32 s24, s81, s83
	s_mul_i32 s82, s79, s72
	s_add_co_ci_u32 s83, s75, 0
	s_wait_alu 0xfffe
	s_add_nc_u64 s[80:81], s[24:25], s[82:83]
	s_wait_alu 0xfffe
	s_mul_u64 s[80:81], s[18:19], s[80:81]
	s_wait_alu 0xfffe
	s_sub_co_u32 s23, s78, s80
	s_cselect_b32 s24, -1, 0
	s_sub_co_i32 s72, s79, s81
	s_wait_alu 0xfffe
	s_cmp_lg_u32 s24, 0
	s_sub_co_ci_u32 s72, s72, s19
	s_sub_co_u32 s75, s23, s18
	s_cselect_b32 s78, -1, 0
	s_wait_alu 0xfffe
	s_cmp_lg_u32 s78, 0
	s_sub_co_ci_u32 s80, s72, 0
	s_wait_alu 0xfffe
	s_cmp_ge_u32 s80, s19
	s_cselect_b32 s82, -1, 0
	s_cmp_ge_u32 s75, s18
	s_cselect_b32 s83, -1, 0
	s_cmp_eq_u32 s80, s19
	s_wait_alu 0xfffe
	s_cselect_b32 s82, s83, s82
	s_cmp_lg_u32 s78, 0
	s_sub_co_ci_u32 s72, s72, s19
	s_sub_co_u32 s78, s75, s18
	s_cselect_b32 s83, -1, 0
	s_wait_alu 0xfffe
	s_cmp_lg_u32 s83, 0
	s_sub_co_ci_u32 s72, s72, 0
	s_cmp_lg_u32 s82, 0
	s_cselect_b32 s75, s78, s75
	s_wait_alu 0xfffe
	s_cselect_b32 s72, s72, s80
	s_cmp_lg_u32 s24, 0
	s_sub_co_ci_u32 s24, s79, s81
	s_wait_alu 0xfffe
	s_cmp_ge_u32 s24, s19
	s_cselect_b32 s78, -1, 0
	s_cmp_ge_u32 s23, s18
	s_cselect_b32 s18, -1, 0
	s_cmp_eq_u32 s24, s19
	s_wait_alu 0xfffe
	s_cselect_b32 s18, s18, s78
	s_delay_alu instid0(SALU_CYCLE_1) | instskip(SKIP_2) | instid1(SALU_CYCLE_1)
	s_cmp_lg_u32 s18, 0
	s_cselect_b32 s19, s72, s24
	s_cselect_b32 s18, s75, s23
	s_xor_b64 s[18:19], s[18:19], s[76:77]
	s_delay_alu instid0(SALU_CYCLE_1)
	s_sub_nc_u64 s[18:19], s[18:19], s[76:77]
	s_cbranch_execnz .LBB45_153
.LBB45_152:                             ;   in Loop: Header=BB45_16 Depth=1
	v_cvt_f32_u32_e32 v2, s56
	s_sub_co_i32 s19, 0, s56
	s_delay_alu instid0(VALU_DEP_1) | instskip(NEXT) | instid1(TRANS32_DEP_1)
	v_rcp_iflag_f32_e32 v2, v2
	v_mul_f32_e32 v2, 0x4f7ffffe, v2
	s_delay_alu instid0(VALU_DEP_1) | instskip(NEXT) | instid1(VALU_DEP_1)
	v_cvt_u32_f32_e32 v2, v2
	v_readfirstlane_b32 s18, v2
	s_mul_i32 s19, s19, s18
	s_delay_alu instid0(SALU_CYCLE_1) | instskip(NEXT) | instid1(SALU_CYCLE_1)
	s_mul_hi_u32 s19, s18, s19
	s_add_co_i32 s18, s18, s19
	s_delay_alu instid0(SALU_CYCLE_1) | instskip(NEXT) | instid1(SALU_CYCLE_1)
	s_mul_hi_u32 s18, s16, s18
	s_mul_i32 s18, s18, s56
	s_delay_alu instid0(SALU_CYCLE_1) | instskip(NEXT) | instid1(SALU_CYCLE_1)
	s_sub_co_i32 s18, s16, s18
	s_sub_co_i32 s19, s18, s56
	s_cmp_ge_u32 s18, s56
	s_cselect_b32 s18, s19, s18
	s_delay_alu instid0(SALU_CYCLE_1)
	s_sub_co_i32 s19, s18, s56
	s_cmp_ge_u32 s18, s56
	s_cselect_b32 s24, s19, s18
	s_wait_alu 0xfffe
	s_mov_b64 s[18:19], s[24:25]
.LBB45_153:                             ;   in Loop: Header=BB45_16 Depth=1
	s_delay_alu instid0(SALU_CYCLE_1)
	s_sub_nc_u64 s[16:17], s[16:17], s[18:19]
	s_mov_b32 s18, exec_lo
                                        ; implicit-def: $vgpr6_vgpr7
	s_wait_alu 0xfffe
	v_cmpx_gt_i64_e64 s[16:17], v[0:1]
	s_cbranch_execz .LBB45_163
; %bb.154:                              ;   in Loop: Header=BB45_16 Depth=1
	v_dual_mov_b32 v14, v44 :: v_dual_mov_b32 v9, v1
	v_mov_b32_e32 v8, v0
	s_mov_b32 s19, 0
                                        ; implicit-def: $sgpr23
	s_branch .LBB45_158
.LBB45_155:                             ;   in Loop: Header=BB45_158 Depth=2
	s_wait_alu 0xfffe
	s_or_b32 exec_lo, exec_lo, s24
	s_wait_loadcnt_dscnt 0x0
	s_barrier_signal -1
	s_barrier_wait -1
	global_inv scope:SCOPE_SE
	ds_load_b128 v[4:7], v19 offset:3072
	s_wait_loadcnt_dscnt 0x0
	s_barrier_signal -1
	s_barrier_wait -1
	global_inv scope:SCOPE_SE
	v_cmp_eq_f64_e32 vcc_lo, 0, v[4:5]
	s_cbranch_vccz .LBB45_161
; %bb.156:                              ;   in Loop: Header=BB45_158 Depth=2
	v_add_co_u32 v8, vcc_lo, v8, s56
	s_wait_alu 0xfffd
	v_add_co_ci_u32_e64 v9, null, 0, v9, vcc_lo
	v_add_nc_u32_e32 v14, s94, v14
	s_mov_b32 s24, 0
	s_delay_alu instid0(VALU_DEP_2)
	v_cmp_le_i64_e32 vcc_lo, s[16:17], v[8:9]
	s_or_not1_b32 s72, vcc_lo, exec_lo
.LBB45_157:                             ;   in Loop: Header=BB45_158 Depth=2
	s_wait_alu 0xfffe
	s_and_b32 s72, exec_lo, s72
	s_wait_alu 0xfffe
	s_or_b32 s19, s72, s19
	s_and_not1_b32 s23, s23, exec_lo
	s_and_b32 s24, s24, exec_lo
	s_wait_alu 0xfffe
	s_or_b32 s23, s23, s24
	s_and_not1_b32 exec_lo, exec_lo, s19
	s_cbranch_execz .LBB45_162
.LBB45_158:                             ;   Parent Loop BB45_16 Depth=1
                                        ; =>  This Inner Loop Header: Depth=2
	s_mov_b32 s24, exec_lo
	s_delay_alu instid0(VALU_DEP_1)
	v_cmpx_gt_u64_e64 s[14:15], v[8:9]
	s_cbranch_execz .LBB45_155
; %bb.159:                              ;   in Loop: Header=BB45_158 Depth=2
	ds_load_b64 v[4:5], v14
	s_wait_dscnt 0x0
	v_cmp_o_f64_e32 vcc_lo, v[4:5], v[4:5]
	v_ashrrev_i32_e32 v2, 31, v5
	s_delay_alu instid0(VALU_DEP_1) | instskip(SKIP_1) | instid1(VALU_DEP_2)
	v_or_b32_e32 v6, 0x80000000, v2
	v_xor_b32_e32 v2, v2, v4
	v_xor_b32_e32 v6, v6, v5
	s_wait_alu 0xfffd
	s_delay_alu instid0(VALU_DEP_1) | instskip(NEXT) | instid1(VALU_DEP_3)
	v_cndmask_b32_e32 v6, -1, v6, vcc_lo
	v_cndmask_b32_e32 v2, -1, v2, vcc_lo
	s_delay_alu instid0(VALU_DEP_2) | instskip(NEXT) | instid1(VALU_DEP_2)
	v_and_b32_e32 v7, v6, v34
	v_and_b32_e32 v6, v2, v33
	s_delay_alu instid0(VALU_DEP_1)
	v_cmp_eq_u64_e32 vcc_lo, v[6:7], v[29:30]
	s_and_b32 exec_lo, exec_lo, vcc_lo
	s_cbranch_execz .LBB45_155
; %bb.160:                              ;   in Loop: Header=BB45_158 Depth=2
	v_mov_b32_e32 v2, v19
	ds_store_b128 v19, v[2:5] offset:3072
	s_branch .LBB45_155
.LBB45_161:                             ;   in Loop: Header=BB45_158 Depth=2
	s_mov_b32 s72, -1
	s_mov_b32 s24, -1
                                        ; implicit-def: $vgpr8_vgpr9
                                        ; implicit-def: $vgpr14
	s_branch .LBB45_157
.LBB45_162:                             ;   in Loop: Header=BB45_16 Depth=1
	s_or_b32 exec_lo, exec_lo, s19
	s_delay_alu instid0(SALU_CYCLE_1)
	s_and_not1_b32 s5, s5, exec_lo
	s_wait_alu 0xfffe
	s_and_b32 s14, s23, exec_lo
	s_wait_alu 0xfffe
	s_or_b32 s5, s5, s14
.LBB45_163:                             ;   in Loop: Header=BB45_16 Depth=1
	s_or_b32 exec_lo, exec_lo, s18
	s_mov_b32 s23, 0
	s_mov_b32 s72, -1
.LBB45_164:                             ;   in Loop: Header=BB45_16 Depth=1
	s_wait_alu 0xfffe
	s_or_not1_b32 s5, s5, exec_lo
.LBB45_165:                             ;   in Loop: Header=BB45_16 Depth=1
	s_wait_alu 0xfffe
	s_or_b32 exec_lo, exec_lo, s73
	s_mov_b32 s14, 0
	s_and_saveexec_b32 s73, s5
	s_cbranch_execz .LBB45_275
; %bb.166:                              ;   in Loop: Header=BB45_16 Depth=1
	v_dual_mov_b32 v8, 1 :: v_dual_mov_b32 v37, 1
	v_mov_b32_e32 v9, 0
	s_xor_b32 s15, s74, -1
	s_wait_alu 0xfffe
	s_and_saveexec_b32 s5, s15
	s_cbranch_execz .LBB45_176
; %bb.167:                              ;   in Loop: Header=BB45_16 Depth=1
	s_mov_b32 s14, exec_lo
	v_cmpx_le_i64_e64 v[12:13], v[10:11]
	s_wait_alu 0xfffe
	s_xor_b32 s14, exec_lo, s14
	s_cbranch_execz .LBB45_173
; %bb.168:                              ;   in Loop: Header=BB45_16 Depth=1
	ds_load_b64 v[4:5], v19 offset:5120
	v_and_b32_e32 v2, s13, v30
	v_and_b32_e32 v8, s12, v29
	s_lshl_b64 s[16:17], 1, s95
	v_or_b32_e32 v34, s9, v34
	v_or_b32_e32 v33, s8, v33
	s_wait_alu 0xfffe
	v_or_b32_e32 v30, s17, v2
	v_or_b32_e32 v29, s16, v8
	s_wait_dscnt 0x0
	v_cmp_ne_u64_e32 vcc_lo, 0, v[4:5]
	s_cbranch_vccnz .LBB45_172
; %bb.169:                              ;   in Loop: Header=BB45_16 Depth=1
	s_and_saveexec_b32 s15, s2
; %bb.170:                              ;   in Loop: Header=BB45_16 Depth=1
	ds_store_b64 v19, v[10:11] offset:5128
; %bb.171:                              ;   in Loop: Header=BB45_16 Depth=1
	s_wait_alu 0xfffe
	s_or_b32 exec_lo, exec_lo, s15
	s_wait_loadcnt_dscnt 0x0
	s_barrier_signal -1
	s_barrier_wait -1
	global_inv scope:SCOPE_SE
.LBB45_172:                             ;   in Loop: Header=BB45_16 Depth=1
                                        ; implicit-def: $vgpr8_vgpr9_vgpr10_vgpr11
.LBB45_173:                             ;   in Loop: Header=BB45_16 Depth=1
	s_wait_alu 0xfffe
	s_or_saveexec_b32 s14, s14
	v_mov_b32_e32 v37, 8
	s_mov_b32 s15, 0
	s_wait_alu 0xfffe
	s_xor_b32 exec_lo, exec_lo, s14
; %bb.174:                              ;   in Loop: Header=BB45_16 Depth=1
	v_sub_co_u32 v12, vcc_lo, v12, v10
	s_wait_alu 0xfffd
	v_sub_co_ci_u32_e64 v13, null, v13, v11, vcc_lo
	v_mov_b32_e32 v37, 0
	s_mov_b32 s15, exec_lo
; %bb.175:                              ;   in Loop: Header=BB45_16 Depth=1
	s_or_b32 exec_lo, exec_lo, s14
	s_delay_alu instid0(VALU_DEP_2)
	v_dual_mov_b32 v8, v12 :: v_dual_mov_b32 v9, v13
	s_wait_alu 0xfffe
	s_and_b32 s14, s15, exec_lo
.LBB45_176:                             ;   in Loop: Header=BB45_16 Depth=1
	s_wait_alu 0xfffe
	s_or_b32 exec_lo, exec_lo, s5
	s_mov_b32 s5, -1
                                        ; implicit-def: $sgpr18
                                        ; implicit-def: $sgpr19
	s_and_saveexec_b32 s74, s14
	s_cbranch_execz .LBB45_274
; %bb.177:                              ;   in Loop: Header=BB45_16 Depth=1
	v_cmp_eq_u64_e32 vcc_lo, 1, v[8:9]
	s_cmp_eq_u64 s[10:11], 1
                                        ; implicit-def: $sgpr19
                                        ; implicit-def: $sgpr18
	s_cselect_b32 s5, -1, 0
	s_wait_alu 0xfffe
	s_and_b32 s75, s5, vcc_lo
	s_mov_b32 s5, -1
	s_wait_alu 0xfffe
	s_and_saveexec_b32 s76, s75
	s_cbranch_execz .LBB45_213
; %bb.178:                              ;   in Loop: Header=BB45_16 Depth=1
	ds_load_b64 v[4:5], v19 offset:5120
	s_wait_loadcnt_dscnt 0x0
	s_barrier_signal -1
	s_barrier_wait -1
	global_inv scope:SCOPE_SE
	v_readfirstlane_b32 s14, v4
	v_readfirstlane_b32 s15, v5
	s_and_saveexec_b32 s5, s3
; %bb.179:                              ;   in Loop: Header=BB45_16 Depth=1
	v_mov_b32_e32 v18, v19
	ds_store_b64 v45, v[18:19]
; %bb.180:                              ;   in Loop: Header=BB45_16 Depth=1
	s_wait_alu 0xfffe
	s_or_b32 exec_lo, exec_lo, s5
	v_and_b32_e32 v2, s13, v30
	v_and_b32_e32 v4, s12, v29
	v_cmp_gt_i64_e64 s5, s[14:15], 0
	s_lshl_b64 s[16:17], 2, s95
	v_or_b32_e32 v34, s9, v34
	s_wait_alu 0xfffe
	v_or_b32_e32 v30, s17, v2
	v_or_b32_e32 v29, s16, v4
	;; [unrolled: 1-line block ×3, first 2 shown]
	s_mov_b32 s18, -1
	s_mov_b32 s19, 0
	s_and_b32 vcc_lo, exec_lo, s5
	s_mov_b32 s5, 0
	s_mov_b32 s24, -1
	s_wait_loadcnt_dscnt 0x0
	s_barrier_signal -1
	s_barrier_wait -1
	global_inv scope:SCOPE_SE
                                        ; implicit-def: $vgpr6_vgpr7
	s_wait_alu 0xfffe
	s_cbranch_vccnz .LBB45_197
; %bb.181:                              ;   in Loop: Header=BB45_16 Depth=1
	s_mov_b32 s16, s25
	s_mov_b32 s17, s65
	s_wait_alu 0xfffe
	s_cmp_lg_u64 s[16:17], 0
	s_cbranch_scc0 .LBB45_240
; %bb.182:                              ;   in Loop: Header=BB45_16 Depth=1
	s_add_nc_u64 s[16:17], s[56:57], 0
	s_wait_alu 0xfffe
	s_xor_b64 s[16:17], s[16:17], 0
	s_wait_alu 0xfffe
	s_cvt_f32_u32 s5, s16
	s_cvt_f32_u32 s24, s17
	s_sub_nc_u64 s[80:81], 0, s[16:17]
	s_wait_alu 0xfffe
	s_delay_alu instid0(SALU_CYCLE_1) | instskip(SKIP_1) | instid1(SALU_CYCLE_2)
	s_fmamk_f32 s5, s24, 0x4f800000, s5
	s_wait_alu 0xfffe
	v_s_rcp_f32 s5, s5
	s_delay_alu instid0(TRANS32_DEP_1) | instskip(SKIP_1) | instid1(SALU_CYCLE_2)
	s_mul_f32 s5, s5, 0x5f7ffffc
	s_wait_alu 0xfffe
	s_mul_f32 s24, s5, 0x2f800000
	s_wait_alu 0xfffe
	s_delay_alu instid0(SALU_CYCLE_2) | instskip(SKIP_1) | instid1(SALU_CYCLE_2)
	s_trunc_f32 s24, s24
	s_wait_alu 0xfffe
	s_fmamk_f32 s5, s24, 0xcf800000, s5
	s_cvt_u32_f32 s79, s24
	s_wait_alu 0xfffe
	s_delay_alu instid0(SALU_CYCLE_1) | instskip(SKIP_1) | instid1(SALU_CYCLE_2)
	s_cvt_u32_f32 s78, s5
	s_wait_alu 0xfffe
	s_mul_u64 s[82:83], s[80:81], s[78:79]
	s_wait_alu 0xfffe
	s_mul_hi_u32 s85, s78, s83
	s_mul_i32 s84, s78, s83
	s_mul_hi_u32 s24, s78, s82
	s_mul_i32 s77, s79, s82
	s_wait_alu 0xfffe
	s_add_nc_u64 s[84:85], s[24:25], s[84:85]
	s_mul_hi_u32 s5, s79, s82
	s_mul_hi_u32 s86, s79, s83
	s_wait_alu 0xfffe
	s_add_co_u32 s24, s84, s77
	s_add_co_ci_u32 s24, s85, s5
	s_mul_i32 s82, s79, s83
	s_add_co_ci_u32 s83, s86, 0
	s_wait_alu 0xfffe
	s_add_nc_u64 s[82:83], s[24:25], s[82:83]
	s_wait_alu 0xfffe
	s_add_co_u32 s78, s78, s82
	s_cselect_b32 s5, -1, 0
	s_wait_alu 0xfffe
	s_cmp_lg_u32 s5, 0
	s_add_co_ci_u32 s79, s79, s83
	s_wait_alu 0xfffe
	s_mul_u64 s[80:81], s[80:81], s[78:79]
	s_wait_alu 0xfffe
	s_mul_hi_u32 s83, s78, s81
	s_mul_i32 s82, s78, s81
	s_mul_hi_u32 s24, s78, s80
	s_mul_i32 s77, s79, s80
	s_wait_alu 0xfffe
	s_add_nc_u64 s[82:83], s[24:25], s[82:83]
	s_mul_hi_u32 s5, s79, s80
	s_mul_hi_u32 s84, s79, s81
	s_wait_alu 0xfffe
	s_add_co_u32 s24, s82, s77
	s_add_co_ci_u32 s24, s83, s5
	s_mul_i32 s80, s79, s81
	s_add_co_ci_u32 s81, s84, 0
	s_wait_alu 0xfffe
	s_add_nc_u64 s[80:81], s[24:25], s[80:81]
	s_wait_alu 0xfffe
	s_add_co_u32 s5, s78, s80
	s_cselect_b32 s24, -1, 0
	s_wait_alu 0xfffe
	s_cmp_lg_u32 s24, 0
	s_add_co_ci_u32 s77, s79, s81
	s_ashr_i32 s78, s65, 31
	s_wait_alu 0xfffe
	s_mov_b32 s79, s78
	s_wait_alu 0xfffe
	s_add_nc_u64 s[80:81], s[64:65], s[78:79]
	s_wait_alu 0xfffe
	s_xor_b64 s[80:81], s[80:81], s[78:79]
	s_wait_alu 0xfffe
	s_mul_hi_u32 s83, s80, s77
	s_mul_i32 s82, s80, s77
	s_mul_hi_u32 s24, s80, s5
	s_mul_hi_u32 s86, s81, s5
	s_mul_i32 s5, s81, s5
	s_wait_alu 0xfffe
	s_add_nc_u64 s[82:83], s[24:25], s[82:83]
	s_mul_hi_u32 s85, s81, s77
	s_wait_alu 0xfffe
	s_add_co_u32 s5, s82, s5
	s_add_co_ci_u32 s24, s83, s86
	s_mul_i32 s84, s81, s77
	s_add_co_ci_u32 s85, s85, 0
	s_wait_alu 0xfffe
	s_add_nc_u64 s[82:83], s[24:25], s[84:85]
	s_wait_alu 0xfffe
	s_mul_u64 s[82:83], s[16:17], s[82:83]
	s_wait_alu 0xfffe
	s_sub_co_u32 s5, s80, s82
	s_cselect_b32 s24, -1, 0
	s_sub_co_i32 s77, s81, s83
	s_wait_alu 0xfffe
	s_cmp_lg_u32 s24, 0
	s_sub_co_ci_u32 s77, s77, s17
	s_sub_co_u32 s80, s5, s16
	s_cselect_b32 s82, -1, 0
	s_wait_alu 0xfffe
	s_cmp_lg_u32 s82, 0
	s_sub_co_ci_u32 s84, s77, 0
	s_wait_alu 0xfffe
	s_cmp_ge_u32 s84, s17
	s_cselect_b32 s85, -1, 0
	s_cmp_ge_u32 s80, s16
	s_cselect_b32 s86, -1, 0
	s_cmp_eq_u32 s84, s17
	s_wait_alu 0xfffe
	s_cselect_b32 s85, s86, s85
	s_cmp_lg_u32 s82, 0
	s_sub_co_ci_u32 s77, s77, s17
	s_sub_co_u32 s82, s80, s16
	s_cselect_b32 s86, -1, 0
	s_wait_alu 0xfffe
	s_cmp_lg_u32 s86, 0
	s_sub_co_ci_u32 s77, s77, 0
	s_cmp_lg_u32 s85, 0
	s_cselect_b32 s80, s82, s80
	s_wait_alu 0xfffe
	s_cselect_b32 s77, s77, s84
	s_cmp_lg_u32 s24, 0
	s_sub_co_ci_u32 s24, s81, s83
	s_wait_alu 0xfffe
	s_cmp_ge_u32 s24, s17
	s_cselect_b32 s81, -1, 0
	s_cmp_ge_u32 s5, s16
	s_cselect_b32 s16, -1, 0
	s_cmp_eq_u32 s24, s17
	s_wait_alu 0xfffe
	s_cselect_b32 s16, s16, s81
	s_wait_alu 0xfffe
	s_cmp_lg_u32 s16, 0
	s_cselect_b32 s17, s77, s24
	s_cselect_b32 s16, s80, s5
	s_wait_alu 0xfffe
	s_xor_b64 s[16:17], s[16:17], s[78:79]
	s_wait_alu 0xfffe
	s_sub_nc_u64 s[16:17], s[16:17], s[78:79]
	s_cbranch_execnz .LBB45_184
.LBB45_183:                             ;   in Loop: Header=BB45_16 Depth=1
	v_cvt_f32_u32_e32 v2, s56
	s_sub_co_i32 s16, 0, s56
	s_delay_alu instid0(VALU_DEP_1) | instskip(NEXT) | instid1(TRANS32_DEP_1)
	v_rcp_iflag_f32_e32 v2, v2
	v_mul_f32_e32 v2, 0x4f7ffffe, v2
	s_delay_alu instid0(VALU_DEP_1) | instskip(NEXT) | instid1(VALU_DEP_1)
	v_cvt_u32_f32_e32 v2, v2
	v_readfirstlane_b32 s5, v2
	s_wait_alu 0xfffe
	s_mul_i32 s16, s16, s5
	s_wait_alu 0xfffe
	s_mul_hi_u32 s16, s5, s16
	s_wait_alu 0xfffe
	s_add_co_i32 s5, s5, s16
	s_wait_alu 0xfffe
	s_mul_hi_u32 s5, s64, s5
	s_wait_alu 0xfffe
	s_mul_i32 s5, s5, s56
	s_wait_alu 0xfffe
	s_sub_co_i32 s5, s64, s5
	s_wait_alu 0xfffe
	s_sub_co_i32 s16, s5, s56
	s_cmp_ge_u32 s5, s56
	s_wait_alu 0xfffe
	s_cselect_b32 s5, s16, s5
	s_wait_alu 0xfffe
	s_sub_co_i32 s16, s5, s56
	s_cmp_ge_u32 s5, s56
	s_wait_alu 0xfffe
	s_cselect_b32 s24, s16, s5
	s_wait_alu 0xfffe
	s_mov_b64 s[16:17], s[24:25]
.LBB45_184:                             ;   in Loop: Header=BB45_16 Depth=1
	s_wait_alu 0xfffe
	s_sub_nc_u64 s[16:17], s[64:65], s[16:17]
	s_mov_b32 s24, 0
	s_mov_b32 s5, 0
	s_mov_b32 s77, exec_lo
                                        ; implicit-def: $vgpr6_vgpr7
	s_wait_alu 0xfffe
	v_cmpx_gt_i64_e64 s[16:17], v[0:1]
	s_cbranch_execz .LBB45_196
; %bb.185:                              ;   in Loop: Header=BB45_16 Depth=1
	v_dual_mov_b32 v10, v16 :: v_dual_mov_b32 v11, v17
	v_dual_mov_b32 v13, v1 :: v_dual_mov_b32 v12, v0
	s_mov_b32 s78, 0
                                        ; implicit-def: $sgpr79
	s_branch .LBB45_189
.LBB45_186:                             ;   in Loop: Header=BB45_189 Depth=2
	s_wait_alu 0xfffe
	s_or_b32 exec_lo, exec_lo, s5
	s_wait_loadcnt_dscnt 0x0
	s_barrier_signal -1
	s_barrier_wait -1
	global_inv scope:SCOPE_SE
	ds_load_b128 v[4:7], v19 offset:3072
	s_wait_loadcnt_dscnt 0x0
	s_barrier_signal -1
	s_barrier_wait -1
	global_inv scope:SCOPE_SE
	v_cmp_neq_f64_e32 vcc_lo, 0, v[4:5]
	s_cbranch_vccnz .LBB45_192
; %bb.187:                              ;   in Loop: Header=BB45_189 Depth=2
	v_add_co_u32 v12, vcc_lo, v12, s56
	s_wait_alu 0xfffd
	v_add_co_ci_u32_e64 v13, null, 0, v13, vcc_lo
	v_add_co_u32 v10, s5, v10, s58
	s_wait_alu 0xf1ff
	v_add_co_ci_u32_e64 v11, null, s59, v11, s5
	s_delay_alu instid0(VALU_DEP_3)
	v_cmp_le_i64_e32 vcc_lo, s[16:17], v[12:13]
	s_mov_b32 s5, 0
	s_or_not1_b32 s80, vcc_lo, exec_lo
.LBB45_188:                             ;   in Loop: Header=BB45_189 Depth=2
	s_wait_alu 0xfffe
	s_and_b32 s80, exec_lo, s80
	s_wait_alu 0xfffe
	s_or_b32 s78, s80, s78
	s_and_not1_b32 s79, s79, exec_lo
	s_and_b32 s5, s5, exec_lo
	s_wait_alu 0xfffe
	s_or_b32 s79, s79, s5
	s_and_not1_b32 exec_lo, exec_lo, s78
	s_cbranch_execz .LBB45_195
.LBB45_189:                             ;   Parent Loop BB45_16 Depth=1
                                        ; =>  This Inner Loop Header: Depth=2
	s_mov_b32 s5, exec_lo
	s_delay_alu instid0(VALU_DEP_1)
	v_cmpx_gt_i64_e64 s[36:37], v[12:13]
	s_cbranch_execz .LBB45_186
; %bb.190:                              ;   in Loop: Header=BB45_189 Depth=2
	global_load_b64 v[4:5], v[10:11], off
	s_wait_loadcnt 0x0
	v_cmp_o_f64_e32 vcc_lo, v[4:5], v[4:5]
	v_ashrrev_i32_e32 v2, 31, v5
	s_delay_alu instid0(VALU_DEP_1) | instskip(SKIP_1) | instid1(VALU_DEP_2)
	v_or_b32_e32 v6, 0x80000000, v2
	v_xor_b32_e32 v2, v2, v4
	v_xor_b32_e32 v6, v6, v5
	s_wait_alu 0xfffd
	s_delay_alu instid0(VALU_DEP_1) | instskip(NEXT) | instid1(VALU_DEP_3)
	v_cndmask_b32_e32 v6, -1, v6, vcc_lo
	v_cndmask_b32_e32 v2, -1, v2, vcc_lo
	s_delay_alu instid0(VALU_DEP_2) | instskip(NEXT) | instid1(VALU_DEP_2)
	v_and_b32_e32 v7, v6, v34
	v_and_b32_e32 v6, v2, v33
	s_delay_alu instid0(VALU_DEP_1)
	v_cmp_eq_u64_e32 vcc_lo, v[6:7], v[29:30]
	s_and_b32 exec_lo, exec_lo, vcc_lo
	s_cbranch_execz .LBB45_186
; %bb.191:                              ;   in Loop: Header=BB45_189 Depth=2
	v_mov_b32_e32 v2, v19
	ds_store_b128 v19, v[2:5] offset:3072
	s_branch .LBB45_186
.LBB45_192:                             ;   in Loop: Header=BB45_189 Depth=2
	s_mov_b32 s80, -1
	s_mov_b32 s5, -1
                                        ; implicit-def: $vgpr12_vgpr13
                                        ; implicit-def: $vgpr10_vgpr11
	s_branch .LBB45_188
.LBB45_193:                             ;   in Loop: Header=BB45_16 Depth=1
                                        ; implicit-def: $sgpr16_sgpr17
	s_branch .LBB45_135
.LBB45_194:                             ;   in Loop: Header=BB45_16 Depth=1
                                        ; implicit-def: $sgpr18_sgpr19
	s_branch .LBB45_152
.LBB45_195:                             ;   in Loop: Header=BB45_16 Depth=1
	s_or_b32 exec_lo, exec_lo, s78
	s_wait_alu 0xfffe
	s_and_b32 s5, s79, exec_lo
.LBB45_196:                             ;   in Loop: Header=BB45_16 Depth=1
	s_or_b32 exec_lo, exec_lo, s77
.LBB45_197:                             ;   in Loop: Header=BB45_16 Depth=1
	s_delay_alu instid0(SALU_CYCLE_1)
	s_and_b32 vcc_lo, exec_lo, s24
	s_wait_alu 0xfffe
	s_cbranch_vccz .LBB45_212
; %bb.198:                              ;   in Loop: Header=BB45_16 Depth=1
	s_add_nc_u64 s[16:17], s[14:15], s[62:63]
	s_mov_b32 s18, s25
	s_wait_alu 0xfffe
	s_mov_b32 s19, s17
	s_delay_alu instid0(SALU_CYCLE_1)
	s_cmp_lg_u64 s[18:19], 0
	s_cbranch_scc0 .LBB45_241
; %bb.199:                              ;   in Loop: Header=BB45_16 Depth=1
	s_add_nc_u64 s[18:19], s[56:57], 0
	s_delay_alu instid0(SALU_CYCLE_1) | instskip(NEXT) | instid1(SALU_CYCLE_1)
	s_xor_b64 s[18:19], s[18:19], 0
	s_cvt_f32_u32 s24, s18
	s_cvt_f32_u32 s77, s19
	s_sub_nc_u64 s[80:81], 0, s[18:19]
	s_wait_alu 0xfffe
	s_delay_alu instid0(SALU_CYCLE_1) | instskip(SKIP_1) | instid1(SALU_CYCLE_2)
	s_fmamk_f32 s24, s77, 0x4f800000, s24
	s_wait_alu 0xfffe
	v_s_rcp_f32 s24, s24
	s_delay_alu instid0(TRANS32_DEP_1) | instskip(SKIP_1) | instid1(SALU_CYCLE_2)
	s_mul_f32 s24, s24, 0x5f7ffffc
	s_wait_alu 0xfffe
	s_mul_f32 s77, s24, 0x2f800000
	s_wait_alu 0xfffe
	s_delay_alu instid0(SALU_CYCLE_2) | instskip(SKIP_1) | instid1(SALU_CYCLE_2)
	s_trunc_f32 s77, s77
	s_wait_alu 0xfffe
	s_fmamk_f32 s24, s77, 0xcf800000, s24
	s_cvt_u32_f32 s79, s77
	s_wait_alu 0xfffe
	s_delay_alu instid0(SALU_CYCLE_1) | instskip(SKIP_1) | instid1(SALU_CYCLE_2)
	s_cvt_u32_f32 s78, s24
	s_wait_alu 0xfffe
	s_mul_u64 s[82:83], s[80:81], s[78:79]
	s_wait_alu 0xfffe
	s_mul_hi_u32 s85, s78, s83
	s_mul_i32 s84, s78, s83
	s_mul_hi_u32 s24, s78, s82
	s_mul_i32 s86, s79, s82
	s_wait_alu 0xfffe
	s_add_nc_u64 s[84:85], s[24:25], s[84:85]
	s_mul_hi_u32 s77, s79, s82
	s_mul_hi_u32 s87, s79, s83
	s_wait_alu 0xfffe
	s_add_co_u32 s24, s84, s86
	s_add_co_ci_u32 s24, s85, s77
	s_mul_i32 s82, s79, s83
	s_add_co_ci_u32 s83, s87, 0
	s_wait_alu 0xfffe
	s_add_nc_u64 s[82:83], s[24:25], s[82:83]
	s_wait_alu 0xfffe
	s_add_co_u32 s78, s78, s82
	s_cselect_b32 s24, -1, 0
	s_wait_alu 0xfffe
	s_cmp_lg_u32 s24, 0
	s_add_co_ci_u32 s79, s79, s83
	s_wait_alu 0xfffe
	s_mul_u64 s[80:81], s[80:81], s[78:79]
	s_wait_alu 0xfffe
	s_mul_hi_u32 s83, s78, s81
	s_mul_i32 s82, s78, s81
	s_mul_hi_u32 s24, s78, s80
	s_mul_i32 s84, s79, s80
	s_wait_alu 0xfffe
	s_add_nc_u64 s[82:83], s[24:25], s[82:83]
	s_mul_hi_u32 s77, s79, s80
	s_mul_hi_u32 s85, s79, s81
	s_wait_alu 0xfffe
	s_add_co_u32 s24, s82, s84
	s_add_co_ci_u32 s24, s83, s77
	s_mul_i32 s80, s79, s81
	s_add_co_ci_u32 s81, s85, 0
	s_wait_alu 0xfffe
	s_add_nc_u64 s[80:81], s[24:25], s[80:81]
	s_wait_alu 0xfffe
	s_add_co_u32 s77, s78, s80
	s_cselect_b32 s24, -1, 0
	s_wait_alu 0xfffe
	s_cmp_lg_u32 s24, 0
	s_add_co_ci_u32 s84, s79, s81
	s_ashr_i32 s78, s17, 31
	s_wait_alu 0xfffe
	s_mov_b32 s79, s78
	s_wait_alu 0xfffe
	s_add_nc_u64 s[80:81], s[16:17], s[78:79]
	s_wait_alu 0xfffe
	s_xor_b64 s[80:81], s[80:81], s[78:79]
	s_wait_alu 0xfffe
	s_mul_hi_u32 s83, s80, s84
	s_mul_i32 s82, s80, s84
	s_mul_hi_u32 s24, s80, s77
	s_mul_hi_u32 s86, s81, s77
	s_mul_i32 s77, s81, s77
	s_wait_alu 0xfffe
	s_add_nc_u64 s[82:83], s[24:25], s[82:83]
	s_mul_hi_u32 s85, s81, s84
	s_wait_alu 0xfffe
	s_add_co_u32 s24, s82, s77
	s_add_co_ci_u32 s24, s83, s86
	s_mul_i32 s84, s81, s84
	s_add_co_ci_u32 s85, s85, 0
	s_wait_alu 0xfffe
	s_add_nc_u64 s[82:83], s[24:25], s[84:85]
	s_wait_alu 0xfffe
	s_mul_u64 s[82:83], s[18:19], s[82:83]
	s_wait_alu 0xfffe
	s_sub_co_u32 s24, s80, s82
	s_cselect_b32 s77, -1, 0
	s_sub_co_i32 s80, s81, s83
	s_wait_alu 0xfffe
	s_cmp_lg_u32 s77, 0
	s_sub_co_ci_u32 s80, s80, s19
	s_sub_co_u32 s82, s24, s18
	s_cselect_b32 s84, -1, 0
	s_wait_alu 0xfffe
	s_cmp_lg_u32 s84, 0
	s_sub_co_ci_u32 s85, s80, 0
	s_wait_alu 0xfffe
	s_cmp_ge_u32 s85, s19
	s_cselect_b32 s86, -1, 0
	s_cmp_ge_u32 s82, s18
	s_cselect_b32 s87, -1, 0
	s_cmp_eq_u32 s85, s19
	s_wait_alu 0xfffe
	s_cselect_b32 s86, s87, s86
	s_cmp_lg_u32 s84, 0
	s_sub_co_ci_u32 s80, s80, s19
	s_sub_co_u32 s84, s82, s18
	s_cselect_b32 s87, -1, 0
	s_wait_alu 0xfffe
	s_cmp_lg_u32 s87, 0
	s_sub_co_ci_u32 s80, s80, 0
	s_cmp_lg_u32 s86, 0
	s_cselect_b32 s82, s84, s82
	s_wait_alu 0xfffe
	s_cselect_b32 s80, s80, s85
	s_cmp_lg_u32 s77, 0
	s_sub_co_ci_u32 s77, s81, s83
	s_wait_alu 0xfffe
	s_cmp_ge_u32 s77, s19
	s_cselect_b32 s81, -1, 0
	s_cmp_ge_u32 s24, s18
	s_cselect_b32 s18, -1, 0
	s_cmp_eq_u32 s77, s19
	s_wait_alu 0xfffe
	s_cselect_b32 s18, s18, s81
	s_delay_alu instid0(SALU_CYCLE_1) | instskip(SKIP_2) | instid1(SALU_CYCLE_1)
	s_cmp_lg_u32 s18, 0
	s_cselect_b32 s19, s80, s77
	s_cselect_b32 s18, s82, s24
	s_xor_b64 s[18:19], s[18:19], s[78:79]
	s_delay_alu instid0(SALU_CYCLE_1)
	s_sub_nc_u64 s[18:19], s[18:19], s[78:79]
	s_cbranch_execnz .LBB45_201
.LBB45_200:                             ;   in Loop: Header=BB45_16 Depth=1
	v_cvt_f32_u32_e32 v2, s56
	s_sub_co_i32 s19, 0, s56
	s_delay_alu instid0(VALU_DEP_1) | instskip(NEXT) | instid1(TRANS32_DEP_1)
	v_rcp_iflag_f32_e32 v2, v2
	v_mul_f32_e32 v2, 0x4f7ffffe, v2
	s_delay_alu instid0(VALU_DEP_1) | instskip(NEXT) | instid1(VALU_DEP_1)
	v_cvt_u32_f32_e32 v2, v2
	v_readfirstlane_b32 s18, v2
	s_mul_i32 s19, s19, s18
	s_delay_alu instid0(SALU_CYCLE_1) | instskip(NEXT) | instid1(SALU_CYCLE_1)
	s_mul_hi_u32 s19, s18, s19
	s_add_co_i32 s18, s18, s19
	s_delay_alu instid0(SALU_CYCLE_1) | instskip(NEXT) | instid1(SALU_CYCLE_1)
	s_mul_hi_u32 s18, s16, s18
	s_mul_i32 s18, s18, s56
	s_delay_alu instid0(SALU_CYCLE_1) | instskip(NEXT) | instid1(SALU_CYCLE_1)
	s_sub_co_i32 s18, s16, s18
	s_sub_co_i32 s19, s18, s56
	s_cmp_ge_u32 s18, s56
	s_cselect_b32 s18, s19, s18
	s_delay_alu instid0(SALU_CYCLE_1)
	s_sub_co_i32 s19, s18, s56
	s_cmp_ge_u32 s18, s56
	s_cselect_b32 s24, s19, s18
	s_wait_alu 0xfffe
	s_mov_b64 s[18:19], s[24:25]
.LBB45_201:                             ;   in Loop: Header=BB45_16 Depth=1
	s_delay_alu instid0(SALU_CYCLE_1)
	s_sub_nc_u64 s[16:17], s[16:17], s[18:19]
	s_mov_b32 s18, exec_lo
                                        ; implicit-def: $vgpr6_vgpr7
	s_wait_alu 0xfffe
	v_cmpx_gt_i64_e64 s[16:17], v[0:1]
	s_cbranch_execz .LBB45_211
; %bb.202:                              ;   in Loop: Header=BB45_16 Depth=1
	v_dual_mov_b32 v12, v44 :: v_dual_mov_b32 v11, v1
	v_mov_b32_e32 v10, v0
	s_mov_b32 s19, 0
                                        ; implicit-def: $sgpr24
	s_branch .LBB45_206
.LBB45_203:                             ;   in Loop: Header=BB45_206 Depth=2
	s_wait_alu 0xfffe
	s_or_b32 exec_lo, exec_lo, s77
	s_wait_loadcnt_dscnt 0x0
	s_barrier_signal -1
	s_barrier_wait -1
	global_inv scope:SCOPE_SE
	ds_load_b128 v[4:7], v19 offset:3072
	s_wait_loadcnt_dscnt 0x0
	s_barrier_signal -1
	s_barrier_wait -1
	global_inv scope:SCOPE_SE
	v_cmp_eq_f64_e32 vcc_lo, 0, v[4:5]
	s_cbranch_vccz .LBB45_209
; %bb.204:                              ;   in Loop: Header=BB45_206 Depth=2
	v_add_co_u32 v10, vcc_lo, v10, s56
	s_wait_alu 0xfffd
	v_add_co_ci_u32_e64 v11, null, 0, v11, vcc_lo
	v_add_nc_u32_e32 v12, s94, v12
	s_mov_b32 s77, 0
	s_delay_alu instid0(VALU_DEP_2)
	v_cmp_le_i64_e32 vcc_lo, s[16:17], v[10:11]
	s_or_not1_b32 s78, vcc_lo, exec_lo
.LBB45_205:                             ;   in Loop: Header=BB45_206 Depth=2
	s_wait_alu 0xfffe
	s_and_b32 s78, exec_lo, s78
	s_wait_alu 0xfffe
	s_or_b32 s19, s78, s19
	s_and_not1_b32 s24, s24, exec_lo
	s_and_b32 s77, s77, exec_lo
	s_wait_alu 0xfffe
	s_or_b32 s24, s24, s77
	s_and_not1_b32 exec_lo, exec_lo, s19
	s_cbranch_execz .LBB45_210
.LBB45_206:                             ;   Parent Loop BB45_16 Depth=1
                                        ; =>  This Inner Loop Header: Depth=2
	s_mov_b32 s77, exec_lo
	s_delay_alu instid0(VALU_DEP_1)
	v_cmpx_gt_u64_e64 s[14:15], v[10:11]
	s_cbranch_execz .LBB45_203
; %bb.207:                              ;   in Loop: Header=BB45_206 Depth=2
	ds_load_b64 v[4:5], v12
	s_wait_dscnt 0x0
	v_cmp_o_f64_e32 vcc_lo, v[4:5], v[4:5]
	v_ashrrev_i32_e32 v2, 31, v5
	s_delay_alu instid0(VALU_DEP_1) | instskip(SKIP_1) | instid1(VALU_DEP_2)
	v_or_b32_e32 v6, 0x80000000, v2
	v_xor_b32_e32 v2, v2, v4
	v_xor_b32_e32 v6, v6, v5
	s_wait_alu 0xfffd
	s_delay_alu instid0(VALU_DEP_1) | instskip(NEXT) | instid1(VALU_DEP_3)
	v_cndmask_b32_e32 v6, -1, v6, vcc_lo
	v_cndmask_b32_e32 v2, -1, v2, vcc_lo
	s_delay_alu instid0(VALU_DEP_2) | instskip(NEXT) | instid1(VALU_DEP_2)
	v_and_b32_e32 v7, v6, v34
	v_and_b32_e32 v6, v2, v33
	s_delay_alu instid0(VALU_DEP_1)
	v_cmp_eq_u64_e32 vcc_lo, v[6:7], v[29:30]
	s_and_b32 exec_lo, exec_lo, vcc_lo
	s_cbranch_execz .LBB45_203
; %bb.208:                              ;   in Loop: Header=BB45_206 Depth=2
	v_mov_b32_e32 v2, v19
	ds_store_b128 v19, v[2:5] offset:3072
	s_branch .LBB45_203
.LBB45_209:                             ;   in Loop: Header=BB45_206 Depth=2
	s_mov_b32 s78, -1
	s_mov_b32 s77, -1
                                        ; implicit-def: $vgpr10_vgpr11
                                        ; implicit-def: $vgpr12
	s_branch .LBB45_205
.LBB45_210:                             ;   in Loop: Header=BB45_16 Depth=1
	s_or_b32 exec_lo, exec_lo, s19
	s_delay_alu instid0(SALU_CYCLE_1)
	s_and_not1_b32 s5, s5, exec_lo
	s_wait_alu 0xfffe
	s_and_b32 s14, s24, exec_lo
	s_wait_alu 0xfffe
	s_or_b32 s5, s5, s14
.LBB45_211:                             ;   in Loop: Header=BB45_16 Depth=1
	s_or_b32 exec_lo, exec_lo, s18
	s_mov_b32 s18, 0
	s_mov_b32 s19, -1
.LBB45_212:                             ;   in Loop: Header=BB45_16 Depth=1
	s_wait_alu 0xfffe
	s_or_not1_b32 s5, s5, exec_lo
.LBB45_213:                             ;   in Loop: Header=BB45_16 Depth=1
	s_wait_alu 0xfffe
	s_or_b32 exec_lo, exec_lo, s76
	s_mov_b32 s14, 0
	s_and_saveexec_b32 s16, s5
	s_cbranch_execz .LBB45_273
; %bb.214:                              ;   in Loop: Header=BB45_16 Depth=1
	v_dual_mov_b32 v10, 1 :: v_dual_mov_b32 v37, 1
	v_mov_b32_e32 v11, 0
	s_xor_b32 s14, s75, -1
	s_mov_b32 s24, 0
	s_wait_alu 0xfffe
	s_and_saveexec_b32 s5, s14
	s_cbranch_execz .LBB45_223
; %bb.215:                              ;   in Loop: Header=BB45_16 Depth=1
	s_mov_b32 s14, exec_lo
	v_cmpx_ge_i64_e64 s[10:11], v[8:9]
	s_wait_alu 0xfffe
	s_xor_b32 s14, exec_lo, s14
	s_cbranch_execz .LBB45_220
; %bb.216:                              ;   in Loop: Header=BB45_16 Depth=1
	ds_load_b64 v[4:5], v19 offset:5120
	v_and_b32_e32 v2, s13, v30
	v_and_b32_e32 v10, s12, v29
	s_lshl_b64 s[12:13], 2, s95
	v_or_b32_e32 v34, s9, v34
	v_or_b32_e32 v33, s8, v33
	s_wait_alu 0xfffe
	v_or_b32_e32 v30, s13, v2
	v_or_b32_e32 v29, s12, v10
	s_wait_dscnt 0x0
	v_cmp_ne_u64_e32 vcc_lo, 0, v[4:5]
	s_cbranch_vccnz .LBB45_220
; %bb.217:                              ;   in Loop: Header=BB45_16 Depth=1
	s_and_saveexec_b32 s12, s2
; %bb.218:                              ;   in Loop: Header=BB45_16 Depth=1
	v_dual_mov_b32 v4, s10 :: v_dual_mov_b32 v5, s11
	ds_store_b64 v19, v[4:5] offset:5128
; %bb.219:                              ;   in Loop: Header=BB45_16 Depth=1
	s_wait_alu 0xfffe
	s_or_b32 exec_lo, exec_lo, s12
	s_wait_loadcnt_dscnt 0x0
	s_barrier_signal -1
	s_barrier_wait -1
	global_inv scope:SCOPE_SE
.LBB45_220:                             ;   in Loop: Header=BB45_16 Depth=1
	s_wait_alu 0xfffe
	s_or_saveexec_b32 s12, s14
	v_mov_b32_e32 v37, 8
	s_mov_b32 s13, 0
	s_wait_alu 0xfffe
	s_xor_b32 exec_lo, exec_lo, s12
; %bb.221:                              ;   in Loop: Header=BB45_16 Depth=1
	v_sub_co_u32 v8, vcc_lo, v8, s10
	s_wait_alu 0xfffd
	v_subrev_co_ci_u32_e64 v9, null, s11, v9, vcc_lo
	v_mov_b32_e32 v37, 0
	s_mov_b32 s13, exec_lo
; %bb.222:                              ;   in Loop: Header=BB45_16 Depth=1
	s_or_b32 exec_lo, exec_lo, s12
	s_delay_alu instid0(VALU_DEP_2)
	v_dual_mov_b32 v11, v9 :: v_dual_mov_b32 v10, v8
	s_wait_alu 0xfffe
	s_and_b32 s24, s13, exec_lo
.LBB45_223:                             ;   in Loop: Header=BB45_16 Depth=1
	s_wait_alu 0xfffe
	s_or_b32 exec_lo, exec_lo, s5
	s_mov_b32 s5, -1
                                        ; implicit-def: $sgpr15
                                        ; implicit-def: $sgpr14
	s_and_saveexec_b32 s17, s24
	s_cbranch_execz .LBB45_272
; %bb.224:                              ;   in Loop: Header=BB45_16 Depth=1
	v_cmp_eq_u64_e32 vcc_lo, 1, v[10:11]
	s_cmp_eq_u64 s[6:7], 1
	s_mov_b32 s10, -1
	s_cselect_b32 s5, -1, 0
                                        ; implicit-def: $sgpr15
                                        ; implicit-def: $sgpr14
	s_wait_alu 0xfffe
	s_and_b32 s75, s5, vcc_lo
	s_wait_alu 0xfffe
	s_and_saveexec_b32 s76, s75
	s_cbranch_execz .LBB45_260
; %bb.225:                              ;   in Loop: Header=BB45_16 Depth=1
	ds_load_b64 v[4:5], v19 offset:5120
	s_wait_loadcnt_dscnt 0x0
	s_barrier_signal -1
	s_barrier_wait -1
	global_inv scope:SCOPE_SE
	v_readfirstlane_b32 s10, v4
	v_readfirstlane_b32 s11, v5
	s_and_saveexec_b32 s5, s3
; %bb.226:                              ;   in Loop: Header=BB45_16 Depth=1
	v_mov_b32_e32 v18, v19
	ds_store_b64 v45, v[18:19]
; %bb.227:                              ;   in Loop: Header=BB45_16 Depth=1
	s_wait_alu 0xfffe
	s_or_b32 exec_lo, exec_lo, s5
	v_cmp_gt_i64_e64 s5, s[10:11], 0
	v_or_b32_e32 v30, s9, v30
	v_or_b32_e32 v29, s8, v29
	;; [unrolled: 1-line block ×4, first 2 shown]
	s_mov_b32 s14, -1
	s_mov_b32 s15, 0
	s_and_b32 vcc_lo, exec_lo, s5
	s_mov_b32 s5, 0
	s_mov_b32 s24, -1
	s_wait_loadcnt_dscnt 0x0
	s_barrier_signal -1
	s_barrier_wait -1
	global_inv scope:SCOPE_SE
                                        ; implicit-def: $vgpr6_vgpr7
	s_wait_alu 0xfffe
	s_cbranch_vccnz .LBB45_244
; %bb.228:                              ;   in Loop: Header=BB45_16 Depth=1
	s_mov_b32 s12, s25
	s_mov_b32 s13, s65
	s_wait_alu 0xfffe
	s_cmp_lg_u64 s[12:13], 0
	s_cbranch_scc0 .LBB45_279
; %bb.229:                              ;   in Loop: Header=BB45_16 Depth=1
	s_add_nc_u64 s[12:13], s[56:57], 0
	s_wait_alu 0xfffe
	s_xor_b64 s[12:13], s[12:13], 0
	s_wait_alu 0xfffe
	s_cvt_f32_u32 s5, s12
	s_cvt_f32_u32 s24, s13
	s_sub_nc_u64 s[80:81], 0, s[12:13]
	s_wait_alu 0xfffe
	s_delay_alu instid0(SALU_CYCLE_1) | instskip(SKIP_1) | instid1(SALU_CYCLE_2)
	s_fmamk_f32 s5, s24, 0x4f800000, s5
	s_wait_alu 0xfffe
	v_s_rcp_f32 s5, s5
	s_delay_alu instid0(TRANS32_DEP_1) | instskip(SKIP_1) | instid1(SALU_CYCLE_2)
	s_mul_f32 s5, s5, 0x5f7ffffc
	s_wait_alu 0xfffe
	s_mul_f32 s24, s5, 0x2f800000
	s_wait_alu 0xfffe
	s_delay_alu instid0(SALU_CYCLE_2) | instskip(SKIP_1) | instid1(SALU_CYCLE_2)
	s_trunc_f32 s24, s24
	s_wait_alu 0xfffe
	s_fmamk_f32 s5, s24, 0xcf800000, s5
	s_cvt_u32_f32 s79, s24
	s_wait_alu 0xfffe
	s_delay_alu instid0(SALU_CYCLE_1) | instskip(SKIP_1) | instid1(SALU_CYCLE_2)
	s_cvt_u32_f32 s78, s5
	s_wait_alu 0xfffe
	s_mul_u64 s[82:83], s[80:81], s[78:79]
	s_wait_alu 0xfffe
	s_mul_hi_u32 s85, s78, s83
	s_mul_i32 s84, s78, s83
	s_mul_hi_u32 s24, s78, s82
	s_mul_i32 s77, s79, s82
	s_wait_alu 0xfffe
	s_add_nc_u64 s[84:85], s[24:25], s[84:85]
	s_mul_hi_u32 s5, s79, s82
	s_mul_hi_u32 s86, s79, s83
	s_wait_alu 0xfffe
	s_add_co_u32 s24, s84, s77
	s_add_co_ci_u32 s24, s85, s5
	s_mul_i32 s82, s79, s83
	s_add_co_ci_u32 s83, s86, 0
	s_wait_alu 0xfffe
	s_add_nc_u64 s[82:83], s[24:25], s[82:83]
	s_wait_alu 0xfffe
	s_add_co_u32 s78, s78, s82
	s_cselect_b32 s5, -1, 0
	s_wait_alu 0xfffe
	s_cmp_lg_u32 s5, 0
	s_add_co_ci_u32 s79, s79, s83
	s_wait_alu 0xfffe
	s_mul_u64 s[80:81], s[80:81], s[78:79]
	s_wait_alu 0xfffe
	s_mul_hi_u32 s83, s78, s81
	s_mul_i32 s82, s78, s81
	s_mul_hi_u32 s24, s78, s80
	s_mul_i32 s77, s79, s80
	s_wait_alu 0xfffe
	s_add_nc_u64 s[82:83], s[24:25], s[82:83]
	s_mul_hi_u32 s5, s79, s80
	s_mul_hi_u32 s84, s79, s81
	s_wait_alu 0xfffe
	s_add_co_u32 s24, s82, s77
	s_add_co_ci_u32 s24, s83, s5
	s_mul_i32 s80, s79, s81
	s_add_co_ci_u32 s81, s84, 0
	s_wait_alu 0xfffe
	s_add_nc_u64 s[80:81], s[24:25], s[80:81]
	s_wait_alu 0xfffe
	s_add_co_u32 s5, s78, s80
	s_cselect_b32 s24, -1, 0
	s_wait_alu 0xfffe
	s_cmp_lg_u32 s24, 0
	s_add_co_ci_u32 s77, s79, s81
	s_ashr_i32 s78, s65, 31
	s_wait_alu 0xfffe
	s_mov_b32 s79, s78
	s_wait_alu 0xfffe
	s_add_nc_u64 s[80:81], s[64:65], s[78:79]
	s_wait_alu 0xfffe
	s_xor_b64 s[80:81], s[80:81], s[78:79]
	s_wait_alu 0xfffe
	s_mul_hi_u32 s83, s80, s77
	s_mul_i32 s82, s80, s77
	s_mul_hi_u32 s24, s80, s5
	s_mul_hi_u32 s86, s81, s5
	s_mul_i32 s5, s81, s5
	s_wait_alu 0xfffe
	s_add_nc_u64 s[82:83], s[24:25], s[82:83]
	s_mul_hi_u32 s85, s81, s77
	s_wait_alu 0xfffe
	s_add_co_u32 s5, s82, s5
	s_add_co_ci_u32 s24, s83, s86
	s_mul_i32 s84, s81, s77
	s_add_co_ci_u32 s85, s85, 0
	s_wait_alu 0xfffe
	s_add_nc_u64 s[82:83], s[24:25], s[84:85]
	s_wait_alu 0xfffe
	s_mul_u64 s[82:83], s[12:13], s[82:83]
	s_wait_alu 0xfffe
	s_sub_co_u32 s5, s80, s82
	s_cselect_b32 s24, -1, 0
	s_sub_co_i32 s77, s81, s83
	s_wait_alu 0xfffe
	s_cmp_lg_u32 s24, 0
	s_sub_co_ci_u32 s77, s77, s13
	s_sub_co_u32 s80, s5, s12
	s_cselect_b32 s82, -1, 0
	s_wait_alu 0xfffe
	s_cmp_lg_u32 s82, 0
	s_sub_co_ci_u32 s84, s77, 0
	s_wait_alu 0xfffe
	s_cmp_ge_u32 s84, s13
	s_cselect_b32 s85, -1, 0
	s_cmp_ge_u32 s80, s12
	s_cselect_b32 s86, -1, 0
	s_cmp_eq_u32 s84, s13
	s_wait_alu 0xfffe
	s_cselect_b32 s85, s86, s85
	s_cmp_lg_u32 s82, 0
	s_sub_co_ci_u32 s77, s77, s13
	s_sub_co_u32 s82, s80, s12
	s_cselect_b32 s86, -1, 0
	s_wait_alu 0xfffe
	s_cmp_lg_u32 s86, 0
	s_sub_co_ci_u32 s77, s77, 0
	s_cmp_lg_u32 s85, 0
	s_cselect_b32 s80, s82, s80
	s_wait_alu 0xfffe
	s_cselect_b32 s77, s77, s84
	s_cmp_lg_u32 s24, 0
	s_sub_co_ci_u32 s24, s81, s83
	s_wait_alu 0xfffe
	s_cmp_ge_u32 s24, s13
	s_cselect_b32 s81, -1, 0
	s_cmp_ge_u32 s5, s12
	s_cselect_b32 s12, -1, 0
	s_cmp_eq_u32 s24, s13
	s_wait_alu 0xfffe
	s_cselect_b32 s12, s12, s81
	s_wait_alu 0xfffe
	s_cmp_lg_u32 s12, 0
	s_cselect_b32 s13, s77, s24
	s_cselect_b32 s12, s80, s5
	s_wait_alu 0xfffe
	s_xor_b64 s[12:13], s[12:13], s[78:79]
	s_wait_alu 0xfffe
	s_sub_nc_u64 s[12:13], s[12:13], s[78:79]
	s_cbranch_execnz .LBB45_231
.LBB45_230:                             ;   in Loop: Header=BB45_16 Depth=1
	v_cvt_f32_u32_e32 v2, s56
	s_sub_co_i32 s12, 0, s56
	s_delay_alu instid0(VALU_DEP_1) | instskip(NEXT) | instid1(TRANS32_DEP_1)
	v_rcp_iflag_f32_e32 v2, v2
	v_mul_f32_e32 v2, 0x4f7ffffe, v2
	s_delay_alu instid0(VALU_DEP_1) | instskip(NEXT) | instid1(VALU_DEP_1)
	v_cvt_u32_f32_e32 v2, v2
	v_readfirstlane_b32 s5, v2
	s_wait_alu 0xfffe
	s_mul_i32 s12, s12, s5
	s_wait_alu 0xfffe
	s_mul_hi_u32 s12, s5, s12
	s_wait_alu 0xfffe
	s_add_co_i32 s5, s5, s12
	s_wait_alu 0xfffe
	s_mul_hi_u32 s5, s64, s5
	s_wait_alu 0xfffe
	s_mul_i32 s5, s5, s56
	s_wait_alu 0xfffe
	s_sub_co_i32 s5, s64, s5
	s_wait_alu 0xfffe
	s_sub_co_i32 s12, s5, s56
	s_cmp_ge_u32 s5, s56
	s_wait_alu 0xfffe
	s_cselect_b32 s5, s12, s5
	s_wait_alu 0xfffe
	s_sub_co_i32 s12, s5, s56
	s_cmp_ge_u32 s5, s56
	s_wait_alu 0xfffe
	s_cselect_b32 s24, s12, s5
	s_wait_alu 0xfffe
	s_mov_b64 s[12:13], s[24:25]
.LBB45_231:                             ;   in Loop: Header=BB45_16 Depth=1
	s_wait_alu 0xfffe
	s_sub_nc_u64 s[12:13], s[64:65], s[12:13]
	s_mov_b32 s24, 0
	s_mov_b32 s5, 0
	s_mov_b32 s77, exec_lo
                                        ; implicit-def: $vgpr6_vgpr7
	s_wait_alu 0xfffe
	v_cmpx_gt_i64_e64 s[12:13], v[0:1]
	s_cbranch_execz .LBB45_243
; %bb.232:                              ;   in Loop: Header=BB45_16 Depth=1
	v_dual_mov_b32 v8, v16 :: v_dual_mov_b32 v9, v17
	v_dual_mov_b32 v13, v1 :: v_dual_mov_b32 v12, v0
	s_mov_b32 s78, 0
                                        ; implicit-def: $sgpr79
	s_branch .LBB45_236
.LBB45_233:                             ;   in Loop: Header=BB45_236 Depth=2
	s_wait_alu 0xfffe
	s_or_b32 exec_lo, exec_lo, s5
	s_wait_loadcnt_dscnt 0x0
	s_barrier_signal -1
	s_barrier_wait -1
	global_inv scope:SCOPE_SE
	ds_load_b128 v[4:7], v19 offset:3072
	s_wait_loadcnt_dscnt 0x0
	s_barrier_signal -1
	s_barrier_wait -1
	global_inv scope:SCOPE_SE
	v_cmp_neq_f64_e32 vcc_lo, 0, v[4:5]
	s_cbranch_vccnz .LBB45_239
; %bb.234:                              ;   in Loop: Header=BB45_236 Depth=2
	v_add_co_u32 v12, vcc_lo, v12, s56
	s_wait_alu 0xfffd
	v_add_co_ci_u32_e64 v13, null, 0, v13, vcc_lo
	v_add_co_u32 v8, s5, v8, s58
	s_wait_alu 0xf1ff
	v_add_co_ci_u32_e64 v9, null, s59, v9, s5
	s_delay_alu instid0(VALU_DEP_3)
	v_cmp_le_i64_e32 vcc_lo, s[12:13], v[12:13]
	s_mov_b32 s5, 0
	s_or_not1_b32 s80, vcc_lo, exec_lo
.LBB45_235:                             ;   in Loop: Header=BB45_236 Depth=2
	s_wait_alu 0xfffe
	s_and_b32 s80, exec_lo, s80
	s_wait_alu 0xfffe
	s_or_b32 s78, s80, s78
	s_and_not1_b32 s79, s79, exec_lo
	s_and_b32 s5, s5, exec_lo
	s_wait_alu 0xfffe
	s_or_b32 s79, s79, s5
	s_and_not1_b32 exec_lo, exec_lo, s78
	s_cbranch_execz .LBB45_242
.LBB45_236:                             ;   Parent Loop BB45_16 Depth=1
                                        ; =>  This Inner Loop Header: Depth=2
	s_mov_b32 s5, exec_lo
	s_delay_alu instid0(VALU_DEP_1)
	v_cmpx_gt_i64_e64 s[36:37], v[12:13]
	s_cbranch_execz .LBB45_233
; %bb.237:                              ;   in Loop: Header=BB45_236 Depth=2
	global_load_b64 v[4:5], v[8:9], off
	s_wait_loadcnt 0x0
	v_cmp_o_f64_e32 vcc_lo, v[4:5], v[4:5]
	v_ashrrev_i32_e32 v2, 31, v5
	s_delay_alu instid0(VALU_DEP_1) | instskip(SKIP_1) | instid1(VALU_DEP_2)
	v_or_b32_e32 v6, 0x80000000, v2
	v_xor_b32_e32 v2, v2, v4
	v_xor_b32_e32 v6, v6, v5
	s_wait_alu 0xfffd
	s_delay_alu instid0(VALU_DEP_1) | instskip(NEXT) | instid1(VALU_DEP_3)
	v_cndmask_b32_e32 v6, -1, v6, vcc_lo
	v_cndmask_b32_e32 v2, -1, v2, vcc_lo
	s_delay_alu instid0(VALU_DEP_2) | instskip(NEXT) | instid1(VALU_DEP_2)
	v_and_b32_e32 v7, v6, v34
	v_and_b32_e32 v6, v2, v33
	s_delay_alu instid0(VALU_DEP_1)
	v_cmp_eq_u64_e32 vcc_lo, v[6:7], v[29:30]
	s_and_b32 exec_lo, exec_lo, vcc_lo
	s_cbranch_execz .LBB45_233
; %bb.238:                              ;   in Loop: Header=BB45_236 Depth=2
	v_mov_b32_e32 v2, v19
	ds_store_b128 v19, v[2:5] offset:3072
	s_branch .LBB45_233
.LBB45_239:                             ;   in Loop: Header=BB45_236 Depth=2
	s_mov_b32 s80, -1
	s_mov_b32 s5, -1
                                        ; implicit-def: $vgpr12_vgpr13
                                        ; implicit-def: $vgpr8_vgpr9
	s_branch .LBB45_235
.LBB45_240:                             ;   in Loop: Header=BB45_16 Depth=1
                                        ; implicit-def: $sgpr16_sgpr17
	s_branch .LBB45_183
.LBB45_241:                             ;   in Loop: Header=BB45_16 Depth=1
                                        ; implicit-def: $sgpr18_sgpr19
	s_branch .LBB45_200
.LBB45_242:                             ;   in Loop: Header=BB45_16 Depth=1
	s_or_b32 exec_lo, exec_lo, s78
	s_wait_alu 0xfffe
	s_and_b32 s5, s79, exec_lo
.LBB45_243:                             ;   in Loop: Header=BB45_16 Depth=1
	s_or_b32 exec_lo, exec_lo, s77
.LBB45_244:                             ;   in Loop: Header=BB45_16 Depth=1
	s_delay_alu instid0(SALU_CYCLE_1)
	s_and_b32 vcc_lo, exec_lo, s24
	s_wait_alu 0xfffe
	s_cbranch_vccz .LBB45_259
; %bb.245:                              ;   in Loop: Header=BB45_16 Depth=1
	s_add_nc_u64 s[12:13], s[10:11], s[62:63]
	s_mov_b32 s14, s25
	s_wait_alu 0xfffe
	s_mov_b32 s15, s13
	s_wait_alu 0xfffe
	s_cmp_lg_u64 s[14:15], 0
	s_cbranch_scc0 .LBB45_280
; %bb.246:                              ;   in Loop: Header=BB45_16 Depth=1
	s_add_nc_u64 s[14:15], s[56:57], 0
	s_wait_alu 0xfffe
	s_xor_b64 s[14:15], s[14:15], 0
	s_wait_alu 0xfffe
	s_cvt_f32_u32 s24, s14
	s_cvt_f32_u32 s77, s15
	s_sub_nc_u64 s[80:81], 0, s[14:15]
	s_wait_alu 0xfffe
	s_delay_alu instid0(SALU_CYCLE_1) | instskip(SKIP_1) | instid1(SALU_CYCLE_2)
	s_fmamk_f32 s24, s77, 0x4f800000, s24
	s_wait_alu 0xfffe
	v_s_rcp_f32 s24, s24
	s_delay_alu instid0(TRANS32_DEP_1) | instskip(SKIP_1) | instid1(SALU_CYCLE_2)
	s_mul_f32 s24, s24, 0x5f7ffffc
	s_wait_alu 0xfffe
	s_mul_f32 s77, s24, 0x2f800000
	s_wait_alu 0xfffe
	s_delay_alu instid0(SALU_CYCLE_2) | instskip(SKIP_1) | instid1(SALU_CYCLE_2)
	s_trunc_f32 s77, s77
	s_wait_alu 0xfffe
	s_fmamk_f32 s24, s77, 0xcf800000, s24
	s_cvt_u32_f32 s79, s77
	s_wait_alu 0xfffe
	s_delay_alu instid0(SALU_CYCLE_1) | instskip(SKIP_1) | instid1(SALU_CYCLE_2)
	s_cvt_u32_f32 s78, s24
	s_wait_alu 0xfffe
	s_mul_u64 s[82:83], s[80:81], s[78:79]
	s_wait_alu 0xfffe
	s_mul_hi_u32 s85, s78, s83
	s_mul_i32 s84, s78, s83
	s_mul_hi_u32 s24, s78, s82
	s_mul_i32 s86, s79, s82
	s_wait_alu 0xfffe
	s_add_nc_u64 s[84:85], s[24:25], s[84:85]
	s_mul_hi_u32 s77, s79, s82
	s_mul_hi_u32 s87, s79, s83
	s_wait_alu 0xfffe
	s_add_co_u32 s24, s84, s86
	s_add_co_ci_u32 s24, s85, s77
	s_mul_i32 s82, s79, s83
	s_add_co_ci_u32 s83, s87, 0
	s_wait_alu 0xfffe
	s_add_nc_u64 s[82:83], s[24:25], s[82:83]
	s_wait_alu 0xfffe
	s_add_co_u32 s78, s78, s82
	s_cselect_b32 s24, -1, 0
	s_wait_alu 0xfffe
	s_cmp_lg_u32 s24, 0
	s_add_co_ci_u32 s79, s79, s83
	s_wait_alu 0xfffe
	s_mul_u64 s[80:81], s[80:81], s[78:79]
	s_wait_alu 0xfffe
	s_mul_hi_u32 s83, s78, s81
	s_mul_i32 s82, s78, s81
	s_mul_hi_u32 s24, s78, s80
	s_mul_i32 s84, s79, s80
	s_wait_alu 0xfffe
	s_add_nc_u64 s[82:83], s[24:25], s[82:83]
	s_mul_hi_u32 s77, s79, s80
	s_mul_hi_u32 s85, s79, s81
	s_wait_alu 0xfffe
	s_add_co_u32 s24, s82, s84
	s_add_co_ci_u32 s24, s83, s77
	s_mul_i32 s80, s79, s81
	s_add_co_ci_u32 s81, s85, 0
	s_wait_alu 0xfffe
	s_add_nc_u64 s[80:81], s[24:25], s[80:81]
	s_wait_alu 0xfffe
	s_add_co_u32 s77, s78, s80
	s_cselect_b32 s24, -1, 0
	s_wait_alu 0xfffe
	s_cmp_lg_u32 s24, 0
	s_add_co_ci_u32 s84, s79, s81
	s_ashr_i32 s78, s13, 31
	s_wait_alu 0xfffe
	s_mov_b32 s79, s78
	s_wait_alu 0xfffe
	s_add_nc_u64 s[80:81], s[12:13], s[78:79]
	s_wait_alu 0xfffe
	s_xor_b64 s[80:81], s[80:81], s[78:79]
	s_wait_alu 0xfffe
	s_mul_hi_u32 s83, s80, s84
	s_mul_i32 s82, s80, s84
	s_mul_hi_u32 s24, s80, s77
	s_mul_hi_u32 s86, s81, s77
	s_mul_i32 s77, s81, s77
	s_wait_alu 0xfffe
	s_add_nc_u64 s[82:83], s[24:25], s[82:83]
	s_mul_hi_u32 s85, s81, s84
	s_wait_alu 0xfffe
	s_add_co_u32 s24, s82, s77
	s_add_co_ci_u32 s24, s83, s86
	s_mul_i32 s84, s81, s84
	s_add_co_ci_u32 s85, s85, 0
	s_wait_alu 0xfffe
	s_add_nc_u64 s[82:83], s[24:25], s[84:85]
	s_wait_alu 0xfffe
	s_mul_u64 s[82:83], s[14:15], s[82:83]
	s_wait_alu 0xfffe
	s_sub_co_u32 s24, s80, s82
	s_cselect_b32 s77, -1, 0
	s_sub_co_i32 s80, s81, s83
	s_wait_alu 0xfffe
	s_cmp_lg_u32 s77, 0
	s_sub_co_ci_u32 s80, s80, s15
	s_sub_co_u32 s82, s24, s14
	s_cselect_b32 s84, -1, 0
	s_wait_alu 0xfffe
	s_cmp_lg_u32 s84, 0
	s_sub_co_ci_u32 s85, s80, 0
	s_wait_alu 0xfffe
	s_cmp_ge_u32 s85, s15
	s_cselect_b32 s86, -1, 0
	s_cmp_ge_u32 s82, s14
	s_cselect_b32 s87, -1, 0
	s_cmp_eq_u32 s85, s15
	s_wait_alu 0xfffe
	s_cselect_b32 s86, s87, s86
	s_cmp_lg_u32 s84, 0
	s_sub_co_ci_u32 s80, s80, s15
	s_sub_co_u32 s84, s82, s14
	s_cselect_b32 s87, -1, 0
	s_wait_alu 0xfffe
	s_cmp_lg_u32 s87, 0
	s_sub_co_ci_u32 s80, s80, 0
	s_cmp_lg_u32 s86, 0
	s_cselect_b32 s82, s84, s82
	s_wait_alu 0xfffe
	s_cselect_b32 s80, s80, s85
	s_cmp_lg_u32 s77, 0
	s_sub_co_ci_u32 s77, s81, s83
	s_wait_alu 0xfffe
	s_cmp_ge_u32 s77, s15
	s_cselect_b32 s81, -1, 0
	s_cmp_ge_u32 s24, s14
	s_cselect_b32 s14, -1, 0
	s_cmp_eq_u32 s77, s15
	s_wait_alu 0xfffe
	s_cselect_b32 s14, s14, s81
	s_wait_alu 0xfffe
	s_cmp_lg_u32 s14, 0
	s_cselect_b32 s15, s80, s77
	s_cselect_b32 s14, s82, s24
	s_wait_alu 0xfffe
	s_xor_b64 s[14:15], s[14:15], s[78:79]
	s_wait_alu 0xfffe
	s_sub_nc_u64 s[14:15], s[14:15], s[78:79]
	s_cbranch_execnz .LBB45_248
.LBB45_247:                             ;   in Loop: Header=BB45_16 Depth=1
	v_cvt_f32_u32_e32 v2, s56
	s_sub_co_i32 s15, 0, s56
	s_delay_alu instid0(VALU_DEP_1) | instskip(NEXT) | instid1(TRANS32_DEP_1)
	v_rcp_iflag_f32_e32 v2, v2
	v_mul_f32_e32 v2, 0x4f7ffffe, v2
	s_delay_alu instid0(VALU_DEP_1) | instskip(NEXT) | instid1(VALU_DEP_1)
	v_cvt_u32_f32_e32 v2, v2
	v_readfirstlane_b32 s14, v2
	s_wait_alu 0xfffe
	s_mul_i32 s15, s15, s14
	s_wait_alu 0xfffe
	s_mul_hi_u32 s15, s14, s15
	s_wait_alu 0xfffe
	s_add_co_i32 s14, s14, s15
	s_wait_alu 0xfffe
	s_mul_hi_u32 s14, s12, s14
	s_wait_alu 0xfffe
	s_mul_i32 s14, s14, s56
	s_wait_alu 0xfffe
	s_sub_co_i32 s14, s12, s14
	s_wait_alu 0xfffe
	s_sub_co_i32 s15, s14, s56
	s_cmp_ge_u32 s14, s56
	s_wait_alu 0xfffe
	s_cselect_b32 s14, s15, s14
	s_wait_alu 0xfffe
	s_sub_co_i32 s15, s14, s56
	s_cmp_ge_u32 s14, s56
	s_wait_alu 0xfffe
	s_cselect_b32 s24, s15, s14
	s_wait_alu 0xfffe
	s_mov_b64 s[14:15], s[24:25]
.LBB45_248:                             ;   in Loop: Header=BB45_16 Depth=1
	s_wait_alu 0xfffe
	s_sub_nc_u64 s[12:13], s[12:13], s[14:15]
	s_mov_b32 s14, exec_lo
                                        ; implicit-def: $vgpr6_vgpr7
	s_wait_alu 0xfffe
	v_cmpx_gt_i64_e64 s[12:13], v[0:1]
	s_cbranch_execz .LBB45_258
; %bb.249:                              ;   in Loop: Header=BB45_16 Depth=1
	v_dual_mov_b32 v12, v44 :: v_dual_mov_b32 v9, v1
	v_mov_b32_e32 v8, v0
	s_mov_b32 s15, 0
                                        ; implicit-def: $sgpr24
	s_branch .LBB45_253
.LBB45_250:                             ;   in Loop: Header=BB45_253 Depth=2
	s_wait_alu 0xfffe
	s_or_b32 exec_lo, exec_lo, s77
	s_wait_loadcnt_dscnt 0x0
	s_barrier_signal -1
	s_barrier_wait -1
	global_inv scope:SCOPE_SE
	ds_load_b128 v[4:7], v19 offset:3072
	s_wait_loadcnt_dscnt 0x0
	s_barrier_signal -1
	s_barrier_wait -1
	global_inv scope:SCOPE_SE
	v_cmp_eq_f64_e32 vcc_lo, 0, v[4:5]
	s_cbranch_vccz .LBB45_256
; %bb.251:                              ;   in Loop: Header=BB45_253 Depth=2
	v_add_co_u32 v8, vcc_lo, v8, s56
	s_wait_alu 0xfffd
	v_add_co_ci_u32_e64 v9, null, 0, v9, vcc_lo
	v_add_nc_u32_e32 v12, s94, v12
	s_mov_b32 s77, 0
	s_delay_alu instid0(VALU_DEP_2)
	v_cmp_le_i64_e32 vcc_lo, s[12:13], v[8:9]
	s_or_not1_b32 s78, vcc_lo, exec_lo
.LBB45_252:                             ;   in Loop: Header=BB45_253 Depth=2
	s_wait_alu 0xfffe
	s_and_b32 s78, exec_lo, s78
	s_wait_alu 0xfffe
	s_or_b32 s15, s78, s15
	s_and_not1_b32 s24, s24, exec_lo
	s_and_b32 s77, s77, exec_lo
	s_wait_alu 0xfffe
	s_or_b32 s24, s24, s77
	s_and_not1_b32 exec_lo, exec_lo, s15
	s_cbranch_execz .LBB45_257
.LBB45_253:                             ;   Parent Loop BB45_16 Depth=1
                                        ; =>  This Inner Loop Header: Depth=2
	s_mov_b32 s77, exec_lo
	s_delay_alu instid0(VALU_DEP_1)
	v_cmpx_gt_u64_e64 s[10:11], v[8:9]
	s_cbranch_execz .LBB45_250
; %bb.254:                              ;   in Loop: Header=BB45_253 Depth=2
	ds_load_b64 v[4:5], v12
	s_wait_dscnt 0x0
	v_cmp_o_f64_e32 vcc_lo, v[4:5], v[4:5]
	v_ashrrev_i32_e32 v2, 31, v5
	s_delay_alu instid0(VALU_DEP_1) | instskip(SKIP_1) | instid1(VALU_DEP_2)
	v_or_b32_e32 v6, 0x80000000, v2
	v_xor_b32_e32 v2, v2, v4
	v_xor_b32_e32 v6, v6, v5
	s_wait_alu 0xfffd
	s_delay_alu instid0(VALU_DEP_1) | instskip(NEXT) | instid1(VALU_DEP_3)
	v_cndmask_b32_e32 v6, -1, v6, vcc_lo
	v_cndmask_b32_e32 v2, -1, v2, vcc_lo
	s_delay_alu instid0(VALU_DEP_2) | instskip(NEXT) | instid1(VALU_DEP_2)
	v_and_b32_e32 v7, v6, v34
	v_and_b32_e32 v6, v2, v33
	s_delay_alu instid0(VALU_DEP_1)
	v_cmp_eq_u64_e32 vcc_lo, v[6:7], v[29:30]
	s_and_b32 exec_lo, exec_lo, vcc_lo
	s_cbranch_execz .LBB45_250
; %bb.255:                              ;   in Loop: Header=BB45_253 Depth=2
	v_mov_b32_e32 v2, v19
	ds_store_b128 v19, v[2:5] offset:3072
	s_branch .LBB45_250
.LBB45_256:                             ;   in Loop: Header=BB45_253 Depth=2
	s_mov_b32 s78, -1
	s_mov_b32 s77, -1
                                        ; implicit-def: $vgpr8_vgpr9
                                        ; implicit-def: $vgpr12
	s_branch .LBB45_252
.LBB45_257:                             ;   in Loop: Header=BB45_16 Depth=1
	s_or_b32 exec_lo, exec_lo, s15
	s_delay_alu instid0(SALU_CYCLE_1)
	s_and_not1_b32 s5, s5, exec_lo
	s_wait_alu 0xfffe
	s_and_b32 s10, s24, exec_lo
	s_wait_alu 0xfffe
	s_or_b32 s5, s5, s10
.LBB45_258:                             ;   in Loop: Header=BB45_16 Depth=1
	s_or_b32 exec_lo, exec_lo, s14
	s_mov_b32 s14, 0
	s_mov_b32 s15, -1
.LBB45_259:                             ;   in Loop: Header=BB45_16 Depth=1
	s_wait_alu 0xfffe
	s_or_not1_b32 s10, s5, exec_lo
.LBB45_260:                             ;   in Loop: Header=BB45_16 Depth=1
	s_wait_alu 0xfffe
	s_or_b32 exec_lo, exec_lo, s76
	s_mov_b32 s11, 0
	s_and_saveexec_b32 s5, s10
	s_cbranch_execz .LBB45_271
; %bb.261:                              ;   in Loop: Header=BB45_16 Depth=1
	v_dual_mov_b32 v4, 1 :: v_dual_mov_b32 v37, 1
	v_mov_b32_e32 v5, 0
	s_xor_b32 s11, s75, -1
	s_wait_alu 0xfffe
	s_and_saveexec_b32 s10, s11
	s_cbranch_execz .LBB45_270
; %bb.262:                              ;   in Loop: Header=BB45_16 Depth=1
	s_mov_b32 s11, exec_lo
	v_cmpx_ge_i64_e64 s[6:7], v[10:11]
	s_wait_alu 0xfffe
	s_xor_b32 s11, exec_lo, s11
	s_cbranch_execz .LBB45_267
; %bb.263:                              ;   in Loop: Header=BB45_16 Depth=1
	ds_load_b64 v[4:5], v19 offset:5120
	v_or_b32_e32 v30, s9, v30
	v_or_b32_e32 v29, s8, v29
	;; [unrolled: 1-line block ×4, first 2 shown]
	s_wait_dscnt 0x0
	v_cmp_ne_u64_e32 vcc_lo, 0, v[4:5]
	s_cbranch_vccnz .LBB45_267
; %bb.264:                              ;   in Loop: Header=BB45_16 Depth=1
	s_and_saveexec_b32 s8, s2
; %bb.265:                              ;   in Loop: Header=BB45_16 Depth=1
	v_dual_mov_b32 v4, s6 :: v_dual_mov_b32 v5, s7
	ds_store_b64 v19, v[4:5] offset:5128
; %bb.266:                              ;   in Loop: Header=BB45_16 Depth=1
	s_wait_alu 0xfffe
	s_or_b32 exec_lo, exec_lo, s8
	s_wait_loadcnt_dscnt 0x0
	s_barrier_signal -1
	s_barrier_wait -1
	global_inv scope:SCOPE_SE
.LBB45_267:                             ;   in Loop: Header=BB45_16 Depth=1
	s_wait_alu 0xfffe
	s_and_not1_saveexec_b32 s8, s11
; %bb.268:                              ;   in Loop: Header=BB45_16 Depth=1
	v_sub_co_u32 v10, vcc_lo, v10, s6
	s_wait_alu 0xfffd
	v_subrev_co_ci_u32_e64 v11, null, s7, v11, vcc_lo
; %bb.269:                              ;   in Loop: Header=BB45_16 Depth=1
	s_wait_alu 0xfffe
	s_or_b32 exec_lo, exec_lo, s8
	v_dual_mov_b32 v37, 8 :: v_dual_mov_b32 v4, v10
	s_delay_alu instid0(VALU_DEP_2)
	v_mov_b32_e32 v5, v11
.LBB45_270:                             ;   in Loop: Header=BB45_16 Depth=1
	s_wait_alu 0xfffe
	s_or_b32 exec_lo, exec_lo, s10
	s_delay_alu instid0(VALU_DEP_1)
	v_dual_mov_b32 v11, v5 :: v_dual_mov_b32 v10, v4
	s_mov_b32 s11, exec_lo
.LBB45_271:                             ;   in Loop: Header=BB45_16 Depth=1
	s_wait_alu 0xfffe
	s_or_b32 exec_lo, exec_lo, s5
	s_delay_alu instid0(SALU_CYCLE_1)
	s_or_not1_b32 s5, s11, exec_lo
.LBB45_272:                             ;   in Loop: Header=BB45_16 Depth=1
	s_wait_alu 0xfffe
	s_or_b32 exec_lo, exec_lo, s17
	v_dual_mov_b32 v8, v10 :: v_dual_mov_b32 v9, v11
	s_and_not1_b32 s6, s19, exec_lo
	s_and_b32 s7, s15, exec_lo
	s_and_not1_b32 s8, s18, exec_lo
	s_and_b32 s9, s14, exec_lo
	s_wait_alu 0xfffe
	s_or_b32 s19, s6, s7
	s_or_b32 s18, s8, s9
	s_and_b32 s14, s5, exec_lo
.LBB45_273:                             ;   in Loop: Header=BB45_16 Depth=1
	s_wait_alu 0xfffe
	s_or_b32 exec_lo, exec_lo, s16
	s_delay_alu instid0(SALU_CYCLE_1)
	s_or_not1_b32 s5, s14, exec_lo
.LBB45_274:                             ;   in Loop: Header=BB45_16 Depth=1
	s_wait_alu 0xfffe
	s_or_b32 exec_lo, exec_lo, s74
	v_dual_mov_b32 v13, v9 :: v_dual_mov_b32 v12, v8
	s_and_not1_b32 s6, s72, exec_lo
	s_and_b32 s7, s19, exec_lo
	s_and_not1_b32 s8, s23, exec_lo
	s_and_b32 s9, s18, exec_lo
	s_wait_alu 0xfffe
	s_or_b32 s72, s6, s7
	s_or_b32 s23, s8, s9
	s_and_b32 s14, s5, exec_lo
.LBB45_275:                             ;   in Loop: Header=BB45_16 Depth=1
	s_wait_alu 0xfffe
	s_or_b32 exec_lo, exec_lo, s73
	s_delay_alu instid0(SALU_CYCLE_1)
	s_or_not1_b32 s5, s14, exec_lo
.LBB45_276:                             ;   in Loop: Header=BB45_16 Depth=1
	s_wait_alu 0xfffe
	s_or_b32 exec_lo, exec_lo, s22
	s_mov_b32 s6, 0
	s_and_saveexec_b32 s7, s5
	s_wait_alu 0xfffe
	s_xor_b32 s5, exec_lo, s7
	s_cbranch_execz .LBB45_14
; %bb.277:                              ;   in Loop: Header=BB45_16 Depth=1
	v_and_b32_e32 v2, 7, v37
	s_mov_b32 s7, -1
	s_mov_b32 s6, -1
	s_mov_b32 s8, exec_lo
	s_delay_alu instid0(VALU_DEP_1)
	v_cmpx_eq_u32_e32 0, v2
	s_cbranch_execz .LBB45_13
; %bb.278:                              ;   in Loop: Header=BB45_16 Depth=1
	s_xor_b32 s97, s97, 1
	s_add_co_i32 s9, s95, -2
	s_cmp_eq_u32 s95, 0
	s_wait_alu 0xfffe
	s_mov_b32 s95, s9
	s_cselect_b32 s7, -1, 0
	s_xor_b32 s6, exec_lo, -1
	s_wait_alu 0xfffe
	s_or_not1_b32 s7, s7, exec_lo
	s_branch .LBB45_13
.LBB45_279:                             ;   in Loop: Header=BB45_16 Depth=1
                                        ; implicit-def: $sgpr12_sgpr13
	s_branch .LBB45_230
.LBB45_280:                             ;   in Loop: Header=BB45_16 Depth=1
                                        ; implicit-def: $sgpr14_sgpr15
	s_branch .LBB45_247
.LBB45_281:
	s_or_b32 exec_lo, exec_lo, s96
	s_xor_b32 s5, s103, -1
	s_xor_b32 s1, s101, -1
	;; [unrolled: 1-line block ×3, first 2 shown]
	s_mov_b32 s3, 0
	s_and_saveexec_b32 s6, s1
	s_wait_alu 0xfffe
	s_xor_b32 s1, exec_lo, s6
	s_cbranch_execnz .LBB45_286
; %bb.282:
	s_and_not1_saveexec_b32 s0, s1
	s_cbranch_execnz .LBB45_311
.LBB45_283:
	s_wait_alu 0xfffe
	s_or_b32 exec_lo, exec_lo, s0
	s_and_saveexec_b32 s0, s3
.LBB45_284:
	; divergent unreachable
.LBB45_285:
	s_endpgm
.LBB45_286:
	s_and_saveexec_b32 s3, s5
	s_delay_alu instid0(SALU_CYCLE_1)
	s_xor_b32 s3, exec_lo, s3
	s_cbranch_execz .LBB45_309
; %bb.287:
	s_and_saveexec_b32 s5, s4
	s_wait_alu 0xfffe
	s_xor_b32 s4, exec_lo, s5
; %bb.288:
	v_lshrrev_b32_e32 v2, 31, v30
	s_delay_alu instid0(VALU_DEP_1) | instskip(SKIP_2) | instid1(VALU_DEP_2)
	v_add_co_u32 v2, s5, v2, -1
	s_wait_alu 0xf1ff
	v_add_co_ci_u32_e64 v3, null, 0, -1, s5
	v_xor_b32_e32 v6, v2, v29
	s_delay_alu instid0(VALU_DEP_2) | instskip(NEXT) | instid1(VALU_DEP_1)
	v_or_b32_e32 v3, 0x80000000, v3
	v_xor_b32_e32 v7, v3, v30
; %bb.289:
	s_wait_alu 0xfffe
	s_or_b32 exec_lo, exec_lo, s4
	s_and_saveexec_b32 s4, s2
; %bb.290:
	v_dual_mov_b32 v2, 0 :: v_dual_mov_b32 v3, s36
	ds_store_b32 v2, v3 offset:5140
; %bb.291:
	s_wait_alu 0xfffe
	s_or_b32 exec_lo, exec_lo, s4
	s_wait_loadcnt_dscnt 0x0
	s_barrier_signal -1
	s_barrier_wait -1
	global_inv scope:SCOPE_SE
	s_and_saveexec_b32 s4, s0
	s_cbranch_execz .LBB45_306
; %bb.292:
	v_cmp_u_f64_e32 vcc_lo, v[6:7], v[6:7]
	v_mov_b32_e32 v2, 0
	s_mov_b32 s5, 0
                                        ; implicit-def: $sgpr7
                                        ; implicit-def: $sgpr8
                                        ; implicit-def: $sgpr9
	ds_load_b32 v4, v2 offset:5140
	s_wait_dscnt 0x0
	v_ashrrev_i32_e32 v5, 31, v4
	s_xor_b32 s6, vcc_lo, -1
	s_branch .LBB45_295
.LBB45_293:                             ;   in Loop: Header=BB45_295 Depth=1
	s_wait_alu 0xfffe
	s_or_b32 exec_lo, exec_lo, s13
	s_delay_alu instid0(SALU_CYCLE_1)
	s_and_not1_b32 s0, s9, exec_lo
	s_and_b32 s9, s11, exec_lo
	s_and_not1_b32 s8, s8, exec_lo
	s_and_b32 s11, s12, exec_lo
	s_wait_alu 0xfffe
	s_or_b32 s9, s0, s9
	s_or_b32 s8, s8, s11
.LBB45_294:                             ;   in Loop: Header=BB45_295 Depth=1
	s_wait_alu 0xfffe
	s_or_b32 exec_lo, exec_lo, s10
	s_delay_alu instid0(SALU_CYCLE_1)
	s_and_b32 s0, exec_lo, s8
	s_wait_alu 0xfffe
	s_or_b32 s5, s0, s5
	s_and_not1_b32 s0, s7, exec_lo
	s_and_b32 s7, s9, exec_lo
	s_wait_alu 0xfffe
	s_or_b32 s7, s0, s7
	s_and_not1_b32 exec_lo, exec_lo, s5
	s_cbranch_execz .LBB45_301
.LBB45_295:                             ; =>This Inner Loop Header: Depth=1
	v_dual_mov_b32 v3, v1 :: v_dual_mov_b32 v2, v0
	s_or_b32 s9, s9, exec_lo
	s_or_b32 s8, s8, exec_lo
	s_mov_b32 s10, exec_lo
                                        ; implicit-def: $vgpr0_vgpr1
	s_delay_alu instid0(VALU_DEP_1)
	v_cmpx_lt_i64_e64 v[2:3], v[4:5]
	s_cbranch_execz .LBB45_294
; %bb.296:                              ;   in Loop: Header=BB45_295 Depth=1
	global_load_b64 v[0:1], v[16:17], off
	s_mov_b32 s12, -1
	s_wait_loadcnt 0x0
	v_cmp_o_f64_e32 vcc_lo, v[0:1], v[0:1]
	v_cmp_neq_f64_e64 s0, v[0:1], v[6:7]
                                        ; implicit-def: $vgpr0_vgpr1
	s_wait_alu 0xfffe
	s_or_b32 s11, vcc_lo, s6
	s_wait_alu 0xfffe
	s_and_b32 s0, s0, s11
	s_mov_b32 s11, 0
	s_wait_alu 0xfffe
	s_and_saveexec_b32 s13, s0
	s_cbranch_execz .LBB45_293
; %bb.297:                              ;   in Loop: Header=BB45_295 Depth=1
	v_add_co_u32 v0, vcc_lo, v2, s56
	s_wait_alu 0xfffd
	v_add_co_ci_u32_e64 v1, null, 0, v3, vcc_lo
	v_add_co_u32 v16, s0, v16, s58
	s_wait_alu 0xf1ff
	v_add_co_ci_u32_e64 v17, null, s59, v17, s0
	s_delay_alu instid0(VALU_DEP_3)
	v_cmp_le_i64_e32 vcc_lo, s[36:37], v[0:1]
	s_mov_b32 s11, exec_lo
	s_or_not1_b32 s12, vcc_lo, exec_lo
	s_branch .LBB45_293
.LBB45_298:
                                        ; implicit-def: $sgpr12_sgpr13
	s_branch .LBB45_3
.LBB45_299:
                                        ; implicit-def: $sgpr48_sgpr49
	s_branch .LBB45_6
.LBB45_300:
                                        ; implicit-def: $sgpr50_sgpr51
	s_branch .LBB45_9
.LBB45_301:
	s_or_b32 exec_lo, exec_lo, s5
	s_wait_alu 0xfffe
	s_xor_b32 s0, s7, -1
	s_wait_alu 0xfffe
	s_and_saveexec_b32 s5, s0
	s_wait_alu 0xfffe
	s_xor_b32 s5, exec_lo, s5
	s_cbranch_execz .LBB45_306
; %bb.302:
	s_mov_b32 s5, exec_lo
	s_brev_b32 s0, -2
.LBB45_303:                             ; =>This Inner Loop Header: Depth=1
	s_wait_alu 0xfffe
	s_ctz_i32_b32 s6, s5
	s_wait_alu 0xfffe
	v_readlane_b32 s7, v2, s6
	s_lshl_b32 s6, 1, s6
	s_wait_alu 0xfffe
	s_and_not1_b32 s5, s5, s6
	s_min_i32 s0, s0, s7
	s_wait_alu 0xfffe
	s_cmp_lg_u32 s5, 0
	s_cbranch_scc1 .LBB45_303
; %bb.304:
	v_mbcnt_lo_u32_b32 v0, exec_lo, 0
	s_mov_b32 s5, exec_lo
	s_delay_alu instid0(VALU_DEP_1)
	v_cmpx_eq_u32_e32 0, v0
	s_wait_alu 0xfffe
	s_xor_b32 s5, exec_lo, s5
; %bb.305:
	v_dual_mov_b32 v0, 0 :: v_dual_mov_b32 v1, s0
	ds_min_i32 v0, v1 offset:5140
.LBB45_306:
	s_wait_alu 0xfffe
	s_or_b32 exec_lo, exec_lo, s4
	s_wait_loadcnt_dscnt 0x0
	s_barrier_signal -1
	s_barrier_wait -1
	global_inv scope:SCOPE_SE
	s_and_saveexec_b32 s0, s2
	s_cbranch_execz .LBB45_308
; %bb.307:
	v_mov_b32_e32 v2, 0
	s_mul_u64 s[8:9], s[50:51], s[40:41]
	s_mul_u64 s[4:5], s[48:49], s[34:35]
	;; [unrolled: 1-line block ×3, first 2 shown]
	s_wait_alu 0xfffe
	s_sub_nc_u64 s[8:9], s[26:27], s[8:9]
	ds_load_b32 v0, v2 offset:5140
	s_mul_u64 s[6:7], s[48:49], s[44:45]
	s_sub_nc_u64 s[4:5], s[26:27], s[4:5]
	s_lshl_b64 s[10:11], s[10:11], 3
	s_wait_alu 0xfffe
	s_mul_u64 s[8:9], s[8:9], s[30:31]
	s_lshl_b64 s[6:7], s[6:7], 3
	s_mul_u64 s[4:5], s[4:5], s[46:47]
	s_add_nc_u64 s[10:11], s[52:53], s[10:11]
	s_wait_alu 0xfffe
	s_lshl_b64 s[8:9], s[8:9], 3
	s_add_nc_u64 s[6:7], s[54:55], s[6:7]
	s_lshl_b64 s[4:5], s[4:5], 3
	s_wait_alu 0xfffe
	s_add_nc_u64 s[8:9], s[10:11], s[8:9]
	s_add_nc_u64 s[4:5], s[6:7], s[4:5]
	s_wait_dscnt 0x0
	v_ashrrev_i32_e32 v1, 31, v0
	s_clause 0x1
	global_store_b64 v2, v[0:1], s[8:9]
	global_store_b64 v2, v[6:7], s[4:5]
.LBB45_308:
	s_wait_alu 0xfffe
	s_or_b32 exec_lo, exec_lo, s0
.LBB45_309:
	s_or_saveexec_b32 s0, s3
	s_mov_b32 s2, 0
	s_wait_alu 0xfffe
	s_xor_b32 exec_lo, exec_lo, s0
	s_cbranch_execnz .LBB45_312
.LBB45_310:
	s_or_b32 exec_lo, exec_lo, s0
	s_delay_alu instid0(SALU_CYCLE_1)
	s_and_b32 s3, s2, exec_lo
	s_and_not1_saveexec_b32 s0, s1
	s_cbranch_execz .LBB45_283
.LBB45_311:
	s_or_b32 s3, s3, exec_lo
	s_trap 2
	s_wait_alu 0xfffe
	s_or_b32 exec_lo, exec_lo, s0
	s_and_saveexec_b32 s0, s3
	s_cbranch_execnz .LBB45_284
	s_branch .LBB45_285
.LBB45_312:
	s_mov_b32 s2, exec_lo
	s_trap 2
	s_branch .LBB45_310
	.section	.rodata,"a",@progbits
	.p2align	6, 0x0
	.amdhsa_kernel _ZN2at6native12_GLOBAL__N_114gatherKthValueIdlLi2EEEvNS_4cuda6detail10TensorInfoIKT_T0_EES8_S8_S8_S8_NS5_IS6_S8_EENS5_IlS8_EE
		.amdhsa_group_segment_fixed_size 5144
		.amdhsa_private_segment_fixed_size 0
		.amdhsa_kernarg_size 1536
		.amdhsa_user_sgpr_count 2
		.amdhsa_user_sgpr_dispatch_ptr 0
		.amdhsa_user_sgpr_queue_ptr 0
		.amdhsa_user_sgpr_kernarg_segment_ptr 1
		.amdhsa_user_sgpr_dispatch_id 0
		.amdhsa_user_sgpr_private_segment_size 0
		.amdhsa_wavefront_size32 1
		.amdhsa_uses_dynamic_stack 0
		.amdhsa_enable_private_segment 0
		.amdhsa_system_sgpr_workgroup_id_x 1
		.amdhsa_system_sgpr_workgroup_id_y 1
		.amdhsa_system_sgpr_workgroup_id_z 1
		.amdhsa_system_sgpr_workgroup_info 0
		.amdhsa_system_vgpr_workitem_id 0
		.amdhsa_next_free_vgpr 67
		.amdhsa_next_free_sgpr 104
		.amdhsa_reserve_vcc 1
		.amdhsa_float_round_mode_32 0
		.amdhsa_float_round_mode_16_64 0
		.amdhsa_float_denorm_mode_32 3
		.amdhsa_float_denorm_mode_16_64 3
		.amdhsa_fp16_overflow 0
		.amdhsa_workgroup_processor_mode 1
		.amdhsa_memory_ordered 1
		.amdhsa_forward_progress 1
		.amdhsa_inst_pref_size 170
		.amdhsa_round_robin_scheduling 0
		.amdhsa_exception_fp_ieee_invalid_op 0
		.amdhsa_exception_fp_denorm_src 0
		.amdhsa_exception_fp_ieee_div_zero 0
		.amdhsa_exception_fp_ieee_overflow 0
		.amdhsa_exception_fp_ieee_underflow 0
		.amdhsa_exception_fp_ieee_inexact 0
		.amdhsa_exception_int_div_zero 0
	.end_amdhsa_kernel
	.section	.text._ZN2at6native12_GLOBAL__N_114gatherKthValueIdlLi2EEEvNS_4cuda6detail10TensorInfoIKT_T0_EES8_S8_S8_S8_NS5_IS6_S8_EENS5_IlS8_EE,"axG",@progbits,_ZN2at6native12_GLOBAL__N_114gatherKthValueIdlLi2EEEvNS_4cuda6detail10TensorInfoIKT_T0_EES8_S8_S8_S8_NS5_IS6_S8_EENS5_IlS8_EE,comdat
.Lfunc_end45:
	.size	_ZN2at6native12_GLOBAL__N_114gatherKthValueIdlLi2EEEvNS_4cuda6detail10TensorInfoIKT_T0_EES8_S8_S8_S8_NS5_IS6_S8_EENS5_IlS8_EE, .Lfunc_end45-_ZN2at6native12_GLOBAL__N_114gatherKthValueIdlLi2EEEvNS_4cuda6detail10TensorInfoIKT_T0_EES8_S8_S8_S8_NS5_IS6_S8_EENS5_IlS8_EE
                                        ; -- End function
	.set _ZN2at6native12_GLOBAL__N_114gatherKthValueIdlLi2EEEvNS_4cuda6detail10TensorInfoIKT_T0_EES8_S8_S8_S8_NS5_IS6_S8_EENS5_IlS8_EE.num_vgpr, 67
	.set _ZN2at6native12_GLOBAL__N_114gatherKthValueIdlLi2EEEvNS_4cuda6detail10TensorInfoIKT_T0_EES8_S8_S8_S8_NS5_IS6_S8_EENS5_IlS8_EE.num_agpr, 0
	.set _ZN2at6native12_GLOBAL__N_114gatherKthValueIdlLi2EEEvNS_4cuda6detail10TensorInfoIKT_T0_EES8_S8_S8_S8_NS5_IS6_S8_EENS5_IlS8_EE.numbered_sgpr, 104
	.set _ZN2at6native12_GLOBAL__N_114gatherKthValueIdlLi2EEEvNS_4cuda6detail10TensorInfoIKT_T0_EES8_S8_S8_S8_NS5_IS6_S8_EENS5_IlS8_EE.num_named_barrier, 0
	.set _ZN2at6native12_GLOBAL__N_114gatherKthValueIdlLi2EEEvNS_4cuda6detail10TensorInfoIKT_T0_EES8_S8_S8_S8_NS5_IS6_S8_EENS5_IlS8_EE.private_seg_size, 0
	.set _ZN2at6native12_GLOBAL__N_114gatherKthValueIdlLi2EEEvNS_4cuda6detail10TensorInfoIKT_T0_EES8_S8_S8_S8_NS5_IS6_S8_EENS5_IlS8_EE.uses_vcc, 1
	.set _ZN2at6native12_GLOBAL__N_114gatherKthValueIdlLi2EEEvNS_4cuda6detail10TensorInfoIKT_T0_EES8_S8_S8_S8_NS5_IS6_S8_EENS5_IlS8_EE.uses_flat_scratch, 0
	.set _ZN2at6native12_GLOBAL__N_114gatherKthValueIdlLi2EEEvNS_4cuda6detail10TensorInfoIKT_T0_EES8_S8_S8_S8_NS5_IS6_S8_EENS5_IlS8_EE.has_dyn_sized_stack, 0
	.set _ZN2at6native12_GLOBAL__N_114gatherKthValueIdlLi2EEEvNS_4cuda6detail10TensorInfoIKT_T0_EES8_S8_S8_S8_NS5_IS6_S8_EENS5_IlS8_EE.has_recursion, 0
	.set _ZN2at6native12_GLOBAL__N_114gatherKthValueIdlLi2EEEvNS_4cuda6detail10TensorInfoIKT_T0_EES8_S8_S8_S8_NS5_IS6_S8_EENS5_IlS8_EE.has_indirect_call, 0
	.section	.AMDGPU.csdata,"",@progbits
; Kernel info:
; codeLenInByte = 21724
; TotalNumSgprs: 106
; NumVgprs: 67
; ScratchSize: 0
; MemoryBound: 0
; FloatMode: 240
; IeeeMode: 1
; LDSByteSize: 5144 bytes/workgroup (compile time only)
; SGPRBlocks: 0
; VGPRBlocks: 8
; NumSGPRsForWavesPerEU: 106
; NumVGPRsForWavesPerEU: 67
; Occupancy: 16
; WaveLimiterHint : 1
; COMPUTE_PGM_RSRC2:SCRATCH_EN: 0
; COMPUTE_PGM_RSRC2:USER_SGPR: 2
; COMPUTE_PGM_RSRC2:TRAP_HANDLER: 0
; COMPUTE_PGM_RSRC2:TGID_X_EN: 1
; COMPUTE_PGM_RSRC2:TGID_Y_EN: 1
; COMPUTE_PGM_RSRC2:TGID_Z_EN: 1
; COMPUTE_PGM_RSRC2:TIDIG_COMP_CNT: 0
	.section	.text._ZN2at6native12_GLOBAL__N_114gatherKthValueIdlLi3EEEvNS_4cuda6detail10TensorInfoIKT_T0_EES8_S8_S8_S8_NS5_IS6_S8_EENS5_IlS8_EE,"axG",@progbits,_ZN2at6native12_GLOBAL__N_114gatherKthValueIdlLi3EEEvNS_4cuda6detail10TensorInfoIKT_T0_EES8_S8_S8_S8_NS5_IS6_S8_EENS5_IlS8_EE,comdat
	.globl	_ZN2at6native12_GLOBAL__N_114gatherKthValueIdlLi3EEEvNS_4cuda6detail10TensorInfoIKT_T0_EES8_S8_S8_S8_NS5_IS6_S8_EENS5_IlS8_EE ; -- Begin function _ZN2at6native12_GLOBAL__N_114gatherKthValueIdlLi3EEEvNS_4cuda6detail10TensorInfoIKT_T0_EES8_S8_S8_S8_NS5_IS6_S8_EENS5_IlS8_EE
	.p2align	8
	.type	_ZN2at6native12_GLOBAL__N_114gatherKthValueIdlLi3EEEvNS_4cuda6detail10TensorInfoIKT_T0_EES8_S8_S8_S8_NS5_IS6_S8_EENS5_IlS8_EE,@function
_ZN2at6native12_GLOBAL__N_114gatherKthValueIdlLi3EEEvNS_4cuda6detail10TensorInfoIKT_T0_EES8_S8_S8_S8_NS5_IS6_S8_EENS5_IlS8_EE: ; @_ZN2at6native12_GLOBAL__N_114gatherKthValueIdlLi3EEEvNS_4cuda6detail10TensorInfoIKT_T0_EES8_S8_S8_S8_NS5_IS6_S8_EENS5_IlS8_EE
; %bb.0:
	s_clause 0x1
	s_load_b64 s[12:13], s[0:1], 0x500
	s_load_b256 s[36:43], s[0:1], 0x1a0
	s_lshr_b32 s2, ttmp7, 16
	s_and_b32 s3, ttmp7, 0xffff
	s_mov_b32 s27, 0
	s_wait_kmcnt 0x0
	s_mul_i32 s2, s13, s2
	s_delay_alu instid0(SALU_CYCLE_1) | instskip(NEXT) | instid1(SALU_CYCLE_1)
	s_add_co_i32 s2, s2, s3
	s_mul_i32 s2, s2, s12
	s_delay_alu instid0(SALU_CYCLE_1) | instskip(NEXT) | instid1(SALU_CYCLE_1)
	s_add_co_i32 s26, s2, ttmp9
	v_cmp_le_i64_e64 s2, s[40:41], s[26:27]
	s_and_b32 vcc_lo, exec_lo, s2
	s_cbranch_vccnz .LBB46_301
; %bb.1:
	s_load_b128 s[4:7], s[0:1], 0x10
	s_mov_b32 s2, s27
	s_wait_kmcnt 0x0
	s_mov_b32 s3, s7
	s_delay_alu instid0(SALU_CYCLE_1)
	s_cmp_lg_u64 s[2:3], 0
	s_add_nc_u64 s[2:3], s[26:27], 0
	s_cbranch_scc0 .LBB46_18
; %bb.2:
	s_ashr_i32 s8, s7, 31
	s_mov_b32 s17, 0
	s_mov_b32 s9, s8
	s_delay_alu instid0(SALU_CYCLE_1) | instskip(NEXT) | instid1(SALU_CYCLE_1)
	s_add_nc_u64 s[10:11], s[6:7], s[8:9]
	s_xor_b64 s[10:11], s[10:11], s[8:9]
	s_delay_alu instid0(SALU_CYCLE_1) | instskip(SKIP_2) | instid1(SALU_CYCLE_2)
	s_cvt_f32_u32 s13, s10
	s_cvt_f32_u32 s14, s11
	s_sub_nc_u64 s[18:19], 0, s[10:11]
	s_fmamk_f32 s13, s14, 0x4f800000, s13
	s_delay_alu instid0(SALU_CYCLE_3) | instskip(NEXT) | instid1(TRANS32_DEP_1)
	v_s_rcp_f32 s13, s13
	s_mul_f32 s13, s13, 0x5f7ffffc
	s_wait_alu 0xfffe
	s_delay_alu instid0(SALU_CYCLE_2) | instskip(NEXT) | instid1(SALU_CYCLE_3)
	s_mul_f32 s14, s13, 0x2f800000
	s_trunc_f32 s14, s14
	s_delay_alu instid0(SALU_CYCLE_3) | instskip(SKIP_2) | instid1(SALU_CYCLE_1)
	s_fmamk_f32 s13, s14, 0xcf800000, s13
	s_cvt_u32_f32 s15, s14
	s_wait_alu 0xfffe
	s_cvt_u32_f32 s14, s13
	s_delay_alu instid0(SALU_CYCLE_3) | instskip(NEXT) | instid1(SALU_CYCLE_1)
	s_mul_u64 s[20:21], s[18:19], s[14:15]
	s_mul_hi_u32 s23, s14, s21
	s_mul_i32 s22, s14, s21
	s_mul_hi_u32 s16, s14, s20
	s_mul_i32 s24, s15, s20
	s_add_nc_u64 s[22:23], s[16:17], s[22:23]
	s_mul_hi_u32 s13, s15, s20
	s_mul_hi_u32 s25, s15, s21
	s_add_co_u32 s16, s22, s24
	s_wait_alu 0xfffe
	s_add_co_ci_u32 s16, s23, s13
	s_mul_i32 s20, s15, s21
	s_add_co_ci_u32 s21, s25, 0
	s_delay_alu instid0(SALU_CYCLE_1) | instskip(NEXT) | instid1(SALU_CYCLE_1)
	s_add_nc_u64 s[20:21], s[16:17], s[20:21]
	s_add_co_u32 s14, s14, s20
	s_cselect_b32 s13, -1, 0
	s_wait_alu 0xfffe
	s_cmp_lg_u32 s13, 0
	s_add_co_ci_u32 s15, s15, s21
	s_delay_alu instid0(SALU_CYCLE_1) | instskip(NEXT) | instid1(SALU_CYCLE_1)
	s_mul_u64 s[18:19], s[18:19], s[14:15]
	s_mul_hi_u32 s21, s14, s19
	s_mul_i32 s20, s14, s19
	s_mul_hi_u32 s16, s14, s18
	s_mul_i32 s22, s15, s18
	s_add_nc_u64 s[20:21], s[16:17], s[20:21]
	s_mul_hi_u32 s13, s15, s18
	s_mul_hi_u32 s23, s15, s19
	s_add_co_u32 s16, s20, s22
	s_wait_alu 0xfffe
	s_add_co_ci_u32 s16, s21, s13
	s_mul_i32 s18, s15, s19
	s_add_co_ci_u32 s19, s23, 0
	s_delay_alu instid0(SALU_CYCLE_1) | instskip(NEXT) | instid1(SALU_CYCLE_1)
	s_add_nc_u64 s[18:19], s[16:17], s[18:19]
	s_add_co_u32 s13, s14, s18
	s_cselect_b32 s14, -1, 0
	s_delay_alu instid0(SALU_CYCLE_1) | instskip(SKIP_2) | instid1(SALU_CYCLE_1)
	s_cmp_lg_u32 s14, 0
	s_add_co_ci_u32 s20, s15, s19
	s_xor_b64 s[14:15], s[2:3], 0
	s_mul_hi_u32 s19, s14, s20
	s_mul_i32 s18, s14, s20
	s_wait_alu 0xfffe
	s_mul_hi_u32 s16, s14, s13
	s_mul_hi_u32 s22, s15, s13
	s_mul_i32 s13, s15, s13
	s_add_nc_u64 s[18:19], s[16:17], s[18:19]
	s_mul_hi_u32 s21, s15, s20
	s_wait_alu 0xfffe
	s_add_co_u32 s13, s18, s13
	s_add_co_ci_u32 s16, s19, s22
	s_mul_i32 s20, s15, s20
	s_add_co_ci_u32 s21, s21, 0
	s_delay_alu instid0(SALU_CYCLE_1) | instskip(NEXT) | instid1(SALU_CYCLE_1)
	s_add_nc_u64 s[18:19], s[16:17], s[20:21]
	s_mul_u64 s[20:21], s[10:11], s[18:19]
	s_delay_alu instid0(SALU_CYCLE_1)
	s_sub_co_u32 s13, s14, s20
	s_cselect_b32 s14, -1, 0
	s_sub_co_i32 s16, s15, s21
	s_cmp_lg_u32 s14, 0
	s_sub_co_ci_u32 s16, s16, s11
	s_wait_alu 0xfffe
	s_sub_co_u32 s20, s13, s10
	s_cselect_b32 s22, -1, 0
	s_delay_alu instid0(SALU_CYCLE_1) | instskip(SKIP_2) | instid1(SALU_CYCLE_1)
	s_cmp_lg_u32 s22, 0
	s_add_nc_u64 s[22:23], s[18:19], 1
	s_sub_co_ci_u32 s16, s16, 0
	s_cmp_ge_u32 s16, s11
	s_cselect_b32 s24, -1, 0
	s_cmp_ge_u32 s20, s10
	s_cselect_b32 s20, -1, 0
	s_cmp_eq_u32 s16, s11
	s_cselect_b32 s16, s20, s24
	s_add_nc_u64 s[24:25], s[18:19], 2
	s_cmp_lg_u32 s16, 0
	s_cselect_b32 s16, s24, s22
	s_cselect_b32 s20, s25, s23
	s_cmp_lg_u32 s14, 0
	s_sub_co_ci_u32 s14, s15, s21
	s_delay_alu instid0(SALU_CYCLE_1)
	s_cmp_ge_u32 s14, s11
	s_cselect_b32 s15, -1, 0
	s_cmp_ge_u32 s13, s10
	s_cselect_b32 s10, -1, 0
	s_cmp_eq_u32 s14, s11
	s_cselect_b32 s10, s10, s15
	s_delay_alu instid0(SALU_CYCLE_1) | instskip(SKIP_3) | instid1(SALU_CYCLE_1)
	s_cmp_lg_u32 s10, 0
	s_cselect_b32 s11, s20, s19
	s_cselect_b32 s10, s16, s18
	s_xor_b64 s[8:9], 0, s[8:9]
	s_xor_b64 s[10:11], s[10:11], s[8:9]
	s_delay_alu instid0(SALU_CYCLE_1)
	s_sub_nc_u64 s[14:15], s[10:11], s[8:9]
	s_cbranch_execnz .LBB46_4
.LBB46_3:
	v_cvt_f32_u32_e32 v1, s6
	s_sub_co_i32 s9, 0, s6
	s_mov_b32 s15, 0
	s_delay_alu instid0(VALU_DEP_1) | instskip(NEXT) | instid1(TRANS32_DEP_1)
	v_rcp_iflag_f32_e32 v1, v1
	v_mul_f32_e32 v1, 0x4f7ffffe, v1
	s_delay_alu instid0(VALU_DEP_1) | instskip(NEXT) | instid1(VALU_DEP_1)
	v_cvt_u32_f32_e32 v1, v1
	v_readfirstlane_b32 s8, v1
	s_mul_i32 s9, s9, s8
	s_delay_alu instid0(SALU_CYCLE_1) | instskip(NEXT) | instid1(SALU_CYCLE_1)
	s_mul_hi_u32 s9, s8, s9
	s_add_co_i32 s8, s8, s9
	s_delay_alu instid0(SALU_CYCLE_1) | instskip(NEXT) | instid1(SALU_CYCLE_1)
	s_mul_hi_u32 s8, s26, s8
	s_mul_i32 s9, s8, s6
	s_add_co_i32 s10, s8, 1
	s_sub_co_i32 s9, s26, s9
	s_delay_alu instid0(SALU_CYCLE_1)
	s_sub_co_i32 s11, s9, s6
	s_cmp_ge_u32 s9, s6
	s_cselect_b32 s8, s10, s8
	s_cselect_b32 s9, s11, s9
	s_add_co_i32 s10, s8, 1
	s_cmp_ge_u32 s9, s6
	s_cselect_b32 s14, s10, s8
.LBB46_4:
	s_delay_alu instid0(SALU_CYCLE_1) | instskip(SKIP_1) | instid1(SALU_CYCLE_1)
	s_or_b64 s[8:9], s[14:15], s[4:5]
	s_mov_b32 s8, 0
	s_cmp_lg_u64 s[8:9], 0
	s_cbranch_scc0 .LBB46_19
; %bb.5:
	s_ashr_i32 s10, s5, 31
	s_mov_b32 s23, s8
	s_mov_b32 s11, s10
	;; [unrolled: 1-line block ×3, first 2 shown]
	s_add_nc_u64 s[16:17], s[4:5], s[10:11]
	s_delay_alu instid0(SALU_CYCLE_1) | instskip(NEXT) | instid1(SALU_CYCLE_1)
	s_xor_b64 s[16:17], s[16:17], s[10:11]
	s_cvt_f32_u32 s9, s16
	s_cvt_f32_u32 s13, s17
	s_sub_nc_u64 s[20:21], 0, s[16:17]
	s_wait_alu 0xfffe
	s_delay_alu instid0(SALU_CYCLE_1) | instskip(NEXT) | instid1(SALU_CYCLE_3)
	s_fmamk_f32 s9, s13, 0x4f800000, s9
	v_s_rcp_f32 s9, s9
	s_delay_alu instid0(TRANS32_DEP_1) | instskip(SKIP_1) | instid1(SALU_CYCLE_2)
	s_mul_f32 s9, s9, 0x5f7ffffc
	s_wait_alu 0xfffe
	s_mul_f32 s13, s9, 0x2f800000
	s_wait_alu 0xfffe
	s_delay_alu instid0(SALU_CYCLE_2) | instskip(SKIP_1) | instid1(SALU_CYCLE_2)
	s_trunc_f32 s13, s13
	s_wait_alu 0xfffe
	s_fmamk_f32 s9, s13, 0xcf800000, s9
	s_cvt_u32_f32 s19, s13
	s_wait_alu 0xfffe
	s_delay_alu instid0(SALU_CYCLE_1) | instskip(NEXT) | instid1(SALU_CYCLE_3)
	s_cvt_u32_f32 s18, s9
	s_mul_u64 s[24:25], s[20:21], s[18:19]
	s_delay_alu instid0(SALU_CYCLE_1)
	s_mul_hi_u32 s31, s18, s25
	s_mul_i32 s30, s18, s25
	s_mul_hi_u32 s22, s18, s24
	s_mul_i32 s13, s19, s24
	s_add_nc_u64 s[22:23], s[22:23], s[30:31]
	s_mul_hi_u32 s9, s19, s24
	s_mul_hi_u32 s33, s19, s25
	s_wait_alu 0xfffe
	s_add_co_u32 s13, s22, s13
	s_add_co_ci_u32 s28, s23, s9
	s_mul_i32 s24, s19, s25
	s_add_co_ci_u32 s25, s33, 0
	s_delay_alu instid0(SALU_CYCLE_1)
	s_add_nc_u64 s[22:23], s[28:29], s[24:25]
	s_mov_b32 s25, s8
	s_add_co_u32 s18, s18, s22
	s_cselect_b32 s9, -1, 0
	s_wait_alu 0xfffe
	s_cmp_lg_u32 s9, 0
	s_add_co_ci_u32 s19, s19, s23
	s_mov_b32 s23, s8
	s_mul_u64 s[20:21], s[20:21], s[18:19]
	s_delay_alu instid0(SALU_CYCLE_1)
	s_mul_hi_u32 s29, s18, s21
	s_mul_i32 s28, s18, s21
	s_mul_hi_u32 s22, s18, s20
	s_mul_i32 s13, s19, s20
	s_add_nc_u64 s[22:23], s[22:23], s[28:29]
	s_mul_hi_u32 s9, s19, s20
	s_mul_hi_u32 s30, s19, s21
	s_wait_alu 0xfffe
	s_add_co_u32 s13, s22, s13
	s_add_co_ci_u32 s24, s23, s9
	s_mul_i32 s20, s19, s21
	s_add_co_ci_u32 s21, s30, 0
	s_mov_b32 s23, s8
	s_add_nc_u64 s[20:21], s[24:25], s[20:21]
	s_delay_alu instid0(SALU_CYCLE_1)
	s_add_co_u32 s9, s18, s20
	s_cselect_b32 s13, -1, 0
	s_wait_alu 0xfffe
	s_cmp_lg_u32 s13, 0
	s_add_co_ci_u32 s13, s19, s21
	s_ashr_i32 s18, s15, 31
	s_delay_alu instid0(SALU_CYCLE_1) | instskip(NEXT) | instid1(SALU_CYCLE_1)
	s_mov_b32 s19, s18
	s_add_nc_u64 s[20:21], s[14:15], s[18:19]
	s_delay_alu instid0(SALU_CYCLE_1)
	s_xor_b64 s[20:21], s[20:21], s[18:19]
	s_wait_alu 0xfffe
	s_mul_hi_u32 s29, s20, s13
	s_mul_i32 s28, s20, s13
	s_mul_hi_u32 s22, s20, s9
	s_mul_hi_u32 s24, s21, s9
	s_mul_i32 s9, s21, s9
	s_add_nc_u64 s[22:23], s[22:23], s[28:29]
	s_mul_hi_u32 s30, s21, s13
	s_wait_alu 0xfffe
	s_add_co_u32 s9, s22, s9
	s_add_co_ci_u32 s24, s23, s24
	s_mul_i32 s28, s21, s13
	s_add_co_ci_u32 s29, s30, 0
	s_delay_alu instid0(SALU_CYCLE_1) | instskip(NEXT) | instid1(SALU_CYCLE_1)
	s_add_nc_u64 s[22:23], s[24:25], s[28:29]
	s_mul_u64 s[24:25], s[16:17], s[22:23]
	s_delay_alu instid0(SALU_CYCLE_1)
	s_sub_co_u32 s9, s20, s24
	s_cselect_b32 s13, -1, 0
	s_sub_co_i32 s20, s21, s25
	s_wait_alu 0xfffe
	s_cmp_lg_u32 s13, 0
	s_sub_co_ci_u32 s20, s20, s17
	s_sub_co_u32 s24, s9, s16
	s_cselect_b32 s28, -1, 0
	s_delay_alu instid0(SALU_CYCLE_1) | instskip(SKIP_2) | instid1(SALU_CYCLE_1)
	s_cmp_lg_u32 s28, 0
	s_add_nc_u64 s[28:29], s[22:23], 1
	s_sub_co_ci_u32 s20, s20, 0
	s_cmp_ge_u32 s20, s17
	s_cselect_b32 s30, -1, 0
	s_cmp_ge_u32 s24, s16
	s_cselect_b32 s24, -1, 0
	s_cmp_eq_u32 s20, s17
	s_cselect_b32 s20, s24, s30
	s_add_nc_u64 s[30:31], s[22:23], 2
	s_cmp_lg_u32 s20, 0
	s_cselect_b32 s20, s30, s28
	s_cselect_b32 s24, s31, s29
	s_cmp_lg_u32 s13, 0
	s_sub_co_ci_u32 s13, s21, s25
	s_wait_alu 0xfffe
	s_cmp_ge_u32 s13, s17
	s_cselect_b32 s21, -1, 0
	s_cmp_ge_u32 s9, s16
	s_cselect_b32 s9, -1, 0
	s_cmp_eq_u32 s13, s17
	s_wait_alu 0xfffe
	s_cselect_b32 s9, s9, s21
	s_wait_alu 0xfffe
	s_cmp_lg_u32 s9, 0
	s_cselect_b32 s17, s24, s23
	s_cselect_b32 s16, s20, s22
	s_xor_b64 s[10:11], s[18:19], s[10:11]
	s_delay_alu instid0(SALU_CYCLE_1) | instskip(NEXT) | instid1(SALU_CYCLE_1)
	s_xor_b64 s[16:17], s[16:17], s[10:11]
	s_sub_nc_u64 s[16:17], s[16:17], s[10:11]
	s_load_b128 s[28:31], s[0:1], 0x1d0
	s_and_not1_b32 vcc_lo, exec_lo, s8
	s_cbranch_vccnz .LBB46_7
.LBB46_6:
	v_cvt_f32_u32_e32 v1, s4
	s_sub_co_i32 s9, 0, s4
	s_mov_b32 s17, 0
	s_delay_alu instid0(VALU_DEP_1) | instskip(NEXT) | instid1(TRANS32_DEP_1)
	v_rcp_iflag_f32_e32 v1, v1
	v_mul_f32_e32 v1, 0x4f7ffffe, v1
	s_delay_alu instid0(VALU_DEP_1) | instskip(NEXT) | instid1(VALU_DEP_1)
	v_cvt_u32_f32_e32 v1, v1
	v_readfirstlane_b32 s8, v1
	s_wait_alu 0xfffe
	s_mul_i32 s9, s9, s8
	s_wait_alu 0xfffe
	s_mul_hi_u32 s9, s8, s9
	s_wait_alu 0xfffe
	s_add_co_i32 s8, s8, s9
	s_wait_alu 0xfffe
	s_mul_hi_u32 s8, s14, s8
	s_wait_alu 0xfffe
	s_mul_i32 s9, s8, s4
	s_add_co_i32 s10, s8, 1
	s_wait_alu 0xfffe
	s_sub_co_i32 s9, s14, s9
	s_wait_alu 0xfffe
	s_sub_co_i32 s11, s9, s4
	s_cmp_ge_u32 s9, s4
	s_cselect_b32 s8, s10, s8
	s_cselect_b32 s9, s11, s9
	s_wait_alu 0xfffe
	s_add_co_i32 s10, s8, 1
	s_cmp_ge_u32 s9, s4
	s_cselect_b32 s16, s10, s8
.LBB46_7:
	s_mov_b32 s8, 0
	s_wait_kmcnt 0x0
	s_mov_b32 s9, s31
	s_wait_alu 0xfffe
	s_cmp_lg_u64 s[8:9], 0
	s_cbranch_scc0 .LBB46_20
; %bb.8:
	s_ashr_i32 s10, s31, 31
	s_mov_b32 s25, s8
	s_mov_b32 s11, s10
	;; [unrolled: 1-line block ×3, first 2 shown]
	s_add_nc_u64 s[18:19], s[30:31], s[10:11]
	s_delay_alu instid0(SALU_CYCLE_1) | instskip(NEXT) | instid1(SALU_CYCLE_1)
	s_xor_b64 s[18:19], s[18:19], s[10:11]
	s_cvt_f32_u32 s9, s18
	s_cvt_f32_u32 s13, s19
	s_sub_nc_u64 s[22:23], 0, s[18:19]
	s_wait_alu 0xfffe
	s_delay_alu instid0(SALU_CYCLE_1) | instskip(SKIP_1) | instid1(SALU_CYCLE_2)
	s_fmamk_f32 s9, s13, 0x4f800000, s9
	s_wait_alu 0xfffe
	v_s_rcp_f32 s9, s9
	s_delay_alu instid0(TRANS32_DEP_1) | instskip(SKIP_1) | instid1(SALU_CYCLE_2)
	s_mul_f32 s9, s9, 0x5f7ffffc
	s_wait_alu 0xfffe
	s_mul_f32 s13, s9, 0x2f800000
	s_wait_alu 0xfffe
	s_delay_alu instid0(SALU_CYCLE_2) | instskip(SKIP_1) | instid1(SALU_CYCLE_2)
	s_trunc_f32 s13, s13
	s_wait_alu 0xfffe
	s_fmamk_f32 s9, s13, 0xcf800000, s9
	s_cvt_u32_f32 s21, s13
	s_wait_alu 0xfffe
	s_delay_alu instid0(SALU_CYCLE_1) | instskip(NEXT) | instid1(SALU_CYCLE_3)
	s_cvt_u32_f32 s20, s9
	s_mul_u64 s[34:35], s[22:23], s[20:21]
	s_delay_alu instid0(SALU_CYCLE_1)
	s_mul_hi_u32 s45, s20, s35
	s_mul_i32 s44, s20, s35
	s_mul_hi_u32 s24, s20, s34
	s_mul_i32 s13, s21, s34
	s_add_nc_u64 s[24:25], s[24:25], s[44:45]
	s_mul_hi_u32 s9, s21, s34
	s_mul_hi_u32 s33, s21, s35
	s_wait_alu 0xfffe
	s_add_co_u32 s13, s24, s13
	s_add_co_ci_u32 s40, s25, s9
	s_mul_i32 s34, s21, s35
	s_add_co_ci_u32 s35, s33, 0
	s_wait_alu 0xfffe
	s_add_nc_u64 s[24:25], s[40:41], s[34:35]
	s_mov_b32 s35, s8
	s_add_co_u32 s20, s20, s24
	s_cselect_b32 s9, -1, 0
	s_wait_alu 0xfffe
	s_cmp_lg_u32 s9, 0
	s_add_co_ci_u32 s21, s21, s25
	s_mov_b32 s25, s8
	s_mul_u64 s[22:23], s[22:23], s[20:21]
	s_delay_alu instid0(SALU_CYCLE_1)
	s_mul_hi_u32 s41, s20, s23
	s_mul_i32 s40, s20, s23
	s_mul_hi_u32 s24, s20, s22
	s_mul_i32 s13, s21, s22
	s_wait_alu 0xfffe
	s_add_nc_u64 s[24:25], s[24:25], s[40:41]
	s_mul_hi_u32 s9, s21, s22
	s_mul_hi_u32 s33, s21, s23
	s_add_co_u32 s13, s24, s13
	s_wait_alu 0xfffe
	s_add_co_ci_u32 s34, s25, s9
	s_mul_i32 s22, s21, s23
	s_add_co_ci_u32 s23, s33, 0
	s_mov_b32 s25, s8
	s_add_nc_u64 s[22:23], s[34:35], s[22:23]
	s_delay_alu instid0(SALU_CYCLE_1)
	s_add_co_u32 s9, s20, s22
	s_cselect_b32 s13, -1, 0
	s_wait_alu 0xfffe
	s_cmp_lg_u32 s13, 0
	s_add_co_ci_u32 s13, s21, s23
	s_xor_b64 s[20:21], s[2:3], 0
	s_mov_b32 s23, s8
	s_wait_alu 0xfffe
	s_mul_hi_u32 s35, s20, s13
	s_mul_i32 s34, s20, s13
	s_mul_hi_u32 s24, s20, s9
	s_mul_hi_u32 s22, s21, s9
	s_mul_i32 s9, s21, s9
	s_add_nc_u64 s[24:25], s[24:25], s[34:35]
	s_mul_hi_u32 s33, s21, s13
	s_wait_alu 0xfffe
	s_add_co_u32 s9, s24, s9
	s_add_co_ci_u32 s22, s25, s22
	s_mul_i32 s34, s21, s13
	s_add_co_ci_u32 s35, s33, 0
	s_delay_alu instid0(SALU_CYCLE_1) | instskip(NEXT) | instid1(SALU_CYCLE_1)
	s_add_nc_u64 s[22:23], s[22:23], s[34:35]
	s_mul_u64 s[24:25], s[18:19], s[22:23]
	s_add_nc_u64 s[34:35], s[22:23], 1
	s_sub_co_u32 s9, s20, s24
	s_cselect_b32 s13, -1, 0
	s_sub_co_i32 s20, s21, s25
	s_wait_alu 0xfffe
	s_cmp_lg_u32 s13, 0
	s_add_nc_u64 s[40:41], s[22:23], 2
	s_sub_co_ci_u32 s20, s20, s19
	s_sub_co_u32 s24, s9, s18
	s_cselect_b32 s33, -1, 0
	s_delay_alu instid0(SALU_CYCLE_1) | instskip(SKIP_1) | instid1(SALU_CYCLE_1)
	s_cmp_lg_u32 s33, 0
	s_sub_co_ci_u32 s20, s20, 0
	s_cmp_ge_u32 s20, s19
	s_cselect_b32 s33, -1, 0
	s_cmp_ge_u32 s24, s18
	s_cselect_b32 s24, -1, 0
	s_cmp_eq_u32 s20, s19
	s_cselect_b32 s20, s24, s33
	s_delay_alu instid0(SALU_CYCLE_1)
	s_cmp_lg_u32 s20, 0
	s_wait_alu 0xfffe
	s_cselect_b32 s20, s40, s34
	s_cselect_b32 s24, s41, s35
	s_cmp_lg_u32 s13, 0
	s_sub_co_ci_u32 s13, s21, s25
	s_wait_alu 0xfffe
	s_cmp_ge_u32 s13, s19
	s_cselect_b32 s21, -1, 0
	s_cmp_ge_u32 s9, s18
	s_cselect_b32 s9, -1, 0
	s_cmp_eq_u32 s13, s19
	s_wait_alu 0xfffe
	s_cselect_b32 s9, s9, s21
	s_wait_alu 0xfffe
	s_cmp_lg_u32 s9, 0
	s_cselect_b32 s19, s24, s23
	s_cselect_b32 s18, s20, s22
	s_xor_b64 s[10:11], 0, s[10:11]
	s_delay_alu instid0(SALU_CYCLE_1) | instskip(NEXT) | instid1(SALU_CYCLE_1)
	s_xor_b64 s[18:19], s[18:19], s[10:11]
	s_sub_nc_u64 s[34:35], s[18:19], s[10:11]
	s_and_not1_b32 vcc_lo, exec_lo, s8
	s_cbranch_vccnz .LBB46_10
.LBB46_9:
	v_cvt_f32_u32_e32 v1, s30
	s_sub_co_i32 s9, 0, s30
	s_mov_b32 s35, 0
	s_delay_alu instid0(VALU_DEP_1) | instskip(NEXT) | instid1(TRANS32_DEP_1)
	v_rcp_iflag_f32_e32 v1, v1
	v_mul_f32_e32 v1, 0x4f7ffffe, v1
	s_delay_alu instid0(VALU_DEP_1) | instskip(NEXT) | instid1(VALU_DEP_1)
	v_cvt_u32_f32_e32 v1, v1
	v_readfirstlane_b32 s8, v1
	s_wait_alu 0xfffe
	s_mul_i32 s9, s9, s8
	s_wait_alu 0xfffe
	s_mul_hi_u32 s9, s8, s9
	s_wait_alu 0xfffe
	s_add_co_i32 s8, s8, s9
	s_wait_alu 0xfffe
	s_mul_hi_u32 s8, s26, s8
	s_wait_alu 0xfffe
	s_mul_i32 s9, s8, s30
	s_add_co_i32 s10, s8, 1
	s_wait_alu 0xfffe
	s_sub_co_i32 s9, s26, s9
	s_wait_alu 0xfffe
	s_sub_co_i32 s11, s9, s30
	s_cmp_ge_u32 s9, s30
	s_cselect_b32 s8, s10, s8
	s_cselect_b32 s9, s11, s9
	s_wait_alu 0xfffe
	s_add_co_i32 s10, s8, 1
	s_cmp_ge_u32 s9, s30
	s_cselect_b32 s34, s10, s8
.LBB46_10:
	s_delay_alu instid0(SALU_CYCLE_1)
	s_or_b64 s[8:9], s[34:35], s[28:29]
	s_mov_b32 s8, 0
	s_wait_alu 0xfffe
	s_cmp_lg_u64 s[8:9], 0
	s_cbranch_scc0 .LBB46_21
; %bb.11:
	s_ashr_i32 s10, s29, 31
	s_mov_b32 s25, s8
	s_mov_b32 s11, s10
	;; [unrolled: 1-line block ×3, first 2 shown]
	s_add_nc_u64 s[18:19], s[28:29], s[10:11]
	s_delay_alu instid0(SALU_CYCLE_1) | instskip(NEXT) | instid1(SALU_CYCLE_1)
	s_xor_b64 s[18:19], s[18:19], s[10:11]
	s_cvt_f32_u32 s9, s18
	s_cvt_f32_u32 s13, s19
	s_sub_nc_u64 s[22:23], 0, s[18:19]
	s_wait_alu 0xfffe
	s_delay_alu instid0(SALU_CYCLE_1) | instskip(SKIP_1) | instid1(SALU_CYCLE_2)
	s_fmamk_f32 s9, s13, 0x4f800000, s9
	s_wait_alu 0xfffe
	v_s_rcp_f32 s9, s9
	s_delay_alu instid0(TRANS32_DEP_1) | instskip(SKIP_1) | instid1(SALU_CYCLE_2)
	s_mul_f32 s9, s9, 0x5f7ffffc
	s_wait_alu 0xfffe
	s_mul_f32 s13, s9, 0x2f800000
	s_wait_alu 0xfffe
	s_delay_alu instid0(SALU_CYCLE_2) | instskip(SKIP_1) | instid1(SALU_CYCLE_2)
	s_trunc_f32 s13, s13
	s_wait_alu 0xfffe
	s_fmamk_f32 s9, s13, 0xcf800000, s9
	s_cvt_u32_f32 s21, s13
	s_wait_alu 0xfffe
	s_delay_alu instid0(SALU_CYCLE_1) | instskip(NEXT) | instid1(SALU_CYCLE_3)
	s_cvt_u32_f32 s20, s9
	s_mul_u64 s[40:41], s[22:23], s[20:21]
	s_wait_alu 0xfffe
	s_mul_hi_u32 s47, s20, s41
	s_mul_i32 s46, s20, s41
	s_mul_hi_u32 s24, s20, s40
	s_mul_i32 s13, s21, s40
	s_add_nc_u64 s[24:25], s[24:25], s[46:47]
	s_mul_hi_u32 s9, s21, s40
	s_mul_hi_u32 s33, s21, s41
	s_wait_alu 0xfffe
	s_add_co_u32 s13, s24, s13
	s_add_co_ci_u32 s44, s25, s9
	s_mul_i32 s40, s21, s41
	s_add_co_ci_u32 s41, s33, 0
	s_wait_alu 0xfffe
	s_add_nc_u64 s[24:25], s[44:45], s[40:41]
	s_mov_b32 s41, s8
	s_add_co_u32 s20, s20, s24
	s_cselect_b32 s9, -1, 0
	s_wait_alu 0xfffe
	s_cmp_lg_u32 s9, 0
	s_add_co_ci_u32 s21, s21, s25
	s_mov_b32 s25, s8
	s_mul_u64 s[22:23], s[22:23], s[20:21]
	s_delay_alu instid0(SALU_CYCLE_1)
	s_mul_hi_u32 s45, s20, s23
	s_mul_i32 s44, s20, s23
	s_mul_hi_u32 s24, s20, s22
	s_mul_i32 s13, s21, s22
	s_add_nc_u64 s[24:25], s[24:25], s[44:45]
	s_mul_hi_u32 s9, s21, s22
	s_mul_hi_u32 s33, s21, s23
	s_wait_alu 0xfffe
	s_add_co_u32 s13, s24, s13
	s_add_co_ci_u32 s40, s25, s9
	s_mul_i32 s22, s21, s23
	s_add_co_ci_u32 s23, s33, 0
	s_mov_b32 s25, s8
	s_wait_alu 0xfffe
	s_add_nc_u64 s[22:23], s[40:41], s[22:23]
	s_delay_alu instid0(SALU_CYCLE_1)
	s_add_co_u32 s9, s20, s22
	s_cselect_b32 s13, -1, 0
	s_wait_alu 0xfffe
	s_cmp_lg_u32 s13, 0
	s_add_co_ci_u32 s13, s21, s23
	s_ashr_i32 s20, s35, 31
	s_delay_alu instid0(SALU_CYCLE_1) | instskip(NEXT) | instid1(SALU_CYCLE_1)
	s_mov_b32 s21, s20
	s_add_nc_u64 s[22:23], s[34:35], s[20:21]
	s_delay_alu instid0(SALU_CYCLE_1)
	s_xor_b64 s[22:23], s[22:23], s[20:21]
	s_wait_alu 0xfffe
	s_mul_hi_u32 s45, s22, s13
	s_mul_i32 s44, s22, s13
	s_mul_hi_u32 s24, s22, s9
	s_mul_hi_u32 s40, s23, s9
	s_mul_i32 s9, s23, s9
	s_add_nc_u64 s[24:25], s[24:25], s[44:45]
	s_mul_hi_u32 s33, s23, s13
	s_wait_alu 0xfffe
	s_add_co_u32 s9, s24, s9
	s_add_co_ci_u32 s40, s25, s40
	s_mul_i32 s44, s23, s13
	s_add_co_ci_u32 s45, s33, 0
	s_wait_alu 0xfffe
	s_add_nc_u64 s[24:25], s[40:41], s[44:45]
	s_delay_alu instid0(SALU_CYCLE_1)
	s_mul_u64 s[40:41], s[18:19], s[24:25]
	s_add_nc_u64 s[44:45], s[24:25], 1
	s_wait_alu 0xfffe
	s_sub_co_u32 s9, s22, s40
	s_cselect_b32 s13, -1, 0
	s_sub_co_i32 s22, s23, s41
	s_wait_alu 0xfffe
	s_cmp_lg_u32 s13, 0
	s_add_nc_u64 s[46:47], s[24:25], 2
	s_sub_co_ci_u32 s22, s22, s19
	s_sub_co_u32 s33, s9, s18
	s_cselect_b32 s40, -1, 0
	s_wait_alu 0xfffe
	s_cmp_lg_u32 s40, 0
	s_sub_co_ci_u32 s22, s22, 0
	s_delay_alu instid0(SALU_CYCLE_1)
	s_cmp_ge_u32 s22, s19
	s_cselect_b32 s40, -1, 0
	s_cmp_ge_u32 s33, s18
	s_cselect_b32 s33, -1, 0
	s_cmp_eq_u32 s22, s19
	s_wait_alu 0xfffe
	s_cselect_b32 s22, s33, s40
	s_delay_alu instid0(SALU_CYCLE_1)
	s_cmp_lg_u32 s22, 0
	s_cselect_b32 s22, s46, s44
	s_cselect_b32 s33, s47, s45
	s_cmp_lg_u32 s13, 0
	s_sub_co_ci_u32 s13, s23, s41
	s_wait_alu 0xfffe
	s_cmp_ge_u32 s13, s19
	s_cselect_b32 s23, -1, 0
	s_cmp_ge_u32 s9, s18
	s_cselect_b32 s9, -1, 0
	s_cmp_eq_u32 s13, s19
	s_wait_alu 0xfffe
	s_cselect_b32 s9, s9, s23
	s_wait_alu 0xfffe
	s_cmp_lg_u32 s9, 0
	s_cselect_b32 s19, s33, s25
	s_cselect_b32 s18, s22, s24
	s_xor_b64 s[10:11], s[20:21], s[10:11]
	s_delay_alu instid0(SALU_CYCLE_1) | instskip(NEXT) | instid1(SALU_CYCLE_1)
	s_xor_b64 s[18:19], s[18:19], s[10:11]
	s_sub_nc_u64 s[40:41], s[18:19], s[10:11]
	s_load_b128 s[44:47], s[0:1], 0x370
	s_and_not1_b32 vcc_lo, exec_lo, s8
	s_cbranch_vccnz .LBB46_13
.LBB46_12:
	v_cvt_f32_u32_e32 v1, s28
	s_sub_co_i32 s9, 0, s28
	s_mov_b32 s41, 0
	s_delay_alu instid0(VALU_DEP_1) | instskip(NEXT) | instid1(TRANS32_DEP_1)
	v_rcp_iflag_f32_e32 v1, v1
	v_mul_f32_e32 v1, 0x4f7ffffe, v1
	s_delay_alu instid0(VALU_DEP_1) | instskip(NEXT) | instid1(VALU_DEP_1)
	v_cvt_u32_f32_e32 v1, v1
	v_readfirstlane_b32 s8, v1
	s_wait_alu 0xfffe
	s_mul_i32 s9, s9, s8
	s_wait_alu 0xfffe
	s_mul_hi_u32 s9, s8, s9
	s_wait_alu 0xfffe
	s_add_co_i32 s8, s8, s9
	s_wait_alu 0xfffe
	s_mul_hi_u32 s8, s34, s8
	s_wait_alu 0xfffe
	s_mul_i32 s9, s8, s28
	s_add_co_i32 s10, s8, 1
	s_wait_alu 0xfffe
	s_sub_co_i32 s9, s34, s9
	s_wait_alu 0xfffe
	s_sub_co_i32 s11, s9, s28
	s_cmp_ge_u32 s9, s28
	s_cselect_b32 s8, s10, s8
	s_cselect_b32 s9, s11, s9
	s_wait_alu 0xfffe
	s_add_co_i32 s10, s8, 1
	s_cmp_ge_u32 s9, s28
	s_cselect_b32 s40, s10, s8
.LBB46_13:
	s_mov_b32 s8, 0
	s_wait_kmcnt 0x0
	s_mov_b32 s9, s47
	s_wait_alu 0xfffe
	s_cmp_lg_u64 s[8:9], 0
	s_cbranch_scc0 .LBB46_22
; %bb.14:
	s_ashr_i32 s10, s47, 31
	s_mov_b32 s25, s8
	s_mov_b32 s11, s10
	;; [unrolled: 1-line block ×3, first 2 shown]
	s_add_nc_u64 s[18:19], s[46:47], s[10:11]
	s_delay_alu instid0(SALU_CYCLE_1) | instskip(NEXT) | instid1(SALU_CYCLE_1)
	s_xor_b64 s[18:19], s[18:19], s[10:11]
	s_cvt_f32_u32 s9, s18
	s_cvt_f32_u32 s13, s19
	s_sub_nc_u64 s[22:23], 0, s[18:19]
	s_wait_alu 0xfffe
	s_delay_alu instid0(SALU_CYCLE_1) | instskip(SKIP_1) | instid1(SALU_CYCLE_2)
	s_fmamk_f32 s9, s13, 0x4f800000, s9
	s_wait_alu 0xfffe
	v_s_rcp_f32 s9, s9
	s_delay_alu instid0(TRANS32_DEP_1) | instskip(SKIP_1) | instid1(SALU_CYCLE_2)
	s_mul_f32 s9, s9, 0x5f7ffffc
	s_wait_alu 0xfffe
	s_mul_f32 s13, s9, 0x2f800000
	s_wait_alu 0xfffe
	s_delay_alu instid0(SALU_CYCLE_2) | instskip(SKIP_1) | instid1(SALU_CYCLE_2)
	s_trunc_f32 s13, s13
	s_wait_alu 0xfffe
	s_fmamk_f32 s9, s13, 0xcf800000, s9
	s_cvt_u32_f32 s21, s13
	s_wait_alu 0xfffe
	s_delay_alu instid0(SALU_CYCLE_1) | instskip(NEXT) | instid1(SALU_CYCLE_3)
	s_cvt_u32_f32 s20, s9
	s_mul_u64 s[48:49], s[22:23], s[20:21]
	s_delay_alu instid0(SALU_CYCLE_1)
	s_mul_hi_u32 s53, s20, s49
	s_mul_i32 s52, s20, s49
	s_mul_hi_u32 s24, s20, s48
	s_mul_i32 s13, s21, s48
	s_add_nc_u64 s[24:25], s[24:25], s[52:53]
	s_mul_hi_u32 s9, s21, s48
	s_mul_hi_u32 s33, s21, s49
	s_wait_alu 0xfffe
	s_add_co_u32 s13, s24, s13
	s_add_co_ci_u32 s50, s25, s9
	s_mul_i32 s48, s21, s49
	s_add_co_ci_u32 s49, s33, 0
	s_delay_alu instid0(SALU_CYCLE_1)
	s_add_nc_u64 s[24:25], s[50:51], s[48:49]
	s_mov_b32 s49, s8
	s_add_co_u32 s20, s20, s24
	s_cselect_b32 s9, -1, 0
	s_wait_alu 0xfffe
	s_cmp_lg_u32 s9, 0
	s_add_co_ci_u32 s21, s21, s25
	s_mov_b32 s25, s8
	s_mul_u64 s[22:23], s[22:23], s[20:21]
	s_delay_alu instid0(SALU_CYCLE_1)
	s_mul_hi_u32 s51, s20, s23
	s_mul_i32 s50, s20, s23
	s_mul_hi_u32 s24, s20, s22
	s_mul_i32 s13, s21, s22
	s_add_nc_u64 s[24:25], s[24:25], s[50:51]
	s_mul_hi_u32 s9, s21, s22
	s_mul_hi_u32 s33, s21, s23
	s_wait_alu 0xfffe
	s_add_co_u32 s13, s24, s13
	s_add_co_ci_u32 s48, s25, s9
	s_mul_i32 s22, s21, s23
	s_add_co_ci_u32 s23, s33, 0
	s_mov_b32 s25, s8
	s_add_nc_u64 s[22:23], s[48:49], s[22:23]
	s_delay_alu instid0(SALU_CYCLE_1)
	s_add_co_u32 s9, s20, s22
	s_cselect_b32 s13, -1, 0
	s_wait_alu 0xfffe
	s_cmp_lg_u32 s13, 0
	s_add_co_ci_u32 s13, s21, s23
	s_xor_b64 s[2:3], s[2:3], 0
	s_mov_b32 s21, s8
	s_wait_alu 0xfffe
	s_mul_hi_u32 s23, s2, s13
	s_mul_i32 s22, s2, s13
	s_mul_hi_u32 s24, s2, s9
	s_mul_hi_u32 s20, s3, s9
	s_mul_i32 s9, s3, s9
	s_add_nc_u64 s[22:23], s[24:25], s[22:23]
	s_mul_hi_u32 s33, s3, s13
	s_wait_alu 0xfffe
	s_add_co_u32 s9, s22, s9
	s_add_co_ci_u32 s20, s23, s20
	s_mul_i32 s24, s3, s13
	s_add_co_ci_u32 s25, s33, 0
	s_delay_alu instid0(SALU_CYCLE_1) | instskip(NEXT) | instid1(SALU_CYCLE_1)
	s_add_nc_u64 s[20:21], s[20:21], s[24:25]
	s_mul_u64 s[22:23], s[18:19], s[20:21]
	s_add_nc_u64 s[48:49], s[20:21], 2
	s_sub_co_u32 s2, s2, s22
	s_cselect_b32 s9, -1, 0
	s_sub_co_i32 s13, s3, s23
	s_wait_alu 0xfffe
	s_cmp_lg_u32 s9, 0
	s_sub_co_ci_u32 s13, s13, s19
	s_sub_co_u32 s22, s2, s18
	s_cselect_b32 s24, -1, 0
	s_delay_alu instid0(SALU_CYCLE_1)
	s_cmp_lg_u32 s24, 0
	s_add_nc_u64 s[24:25], s[20:21], 1
	s_wait_alu 0xfffe
	s_sub_co_ci_u32 s13, s13, 0
	s_wait_alu 0xfffe
	s_cmp_ge_u32 s13, s19
	s_cselect_b32 s33, -1, 0
	s_cmp_ge_u32 s22, s18
	s_cselect_b32 s22, -1, 0
	s_cmp_eq_u32 s13, s19
	s_cselect_b32 s13, s22, s33
	s_wait_alu 0xfffe
	s_cmp_lg_u32 s13, 0
	s_cselect_b32 s13, s48, s24
	s_cselect_b32 s22, s49, s25
	s_cmp_lg_u32 s9, 0
	s_sub_co_ci_u32 s3, s3, s23
	s_delay_alu instid0(SALU_CYCLE_1)
	s_cmp_ge_u32 s3, s19
	s_cselect_b32 s9, -1, 0
	s_cmp_ge_u32 s2, s18
	s_cselect_b32 s2, -1, 0
	s_cmp_eq_u32 s3, s19
	s_wait_alu 0xfffe
	s_cselect_b32 s2, s2, s9
	s_delay_alu instid0(SALU_CYCLE_1) | instskip(SKIP_3) | instid1(SALU_CYCLE_1)
	s_cmp_lg_u32 s2, 0
	s_cselect_b32 s3, s22, s21
	s_cselect_b32 s2, s13, s20
	s_xor_b64 s[10:11], 0, s[10:11]
	s_xor_b64 s[2:3], s[2:3], s[10:11]
	s_delay_alu instid0(SALU_CYCLE_1)
	s_sub_nc_u64 s[56:57], s[2:3], s[10:11]
	s_and_not1_b32 vcc_lo, exec_lo, s8
	s_cbranch_vccnz .LBB46_16
.LBB46_15:
	v_cvt_f32_u32_e32 v1, s46
	s_sub_co_i32 s3, 0, s46
	s_mov_b32 s57, 0
	s_delay_alu instid0(VALU_DEP_1) | instskip(NEXT) | instid1(TRANS32_DEP_1)
	v_rcp_iflag_f32_e32 v1, v1
	v_mul_f32_e32 v1, 0x4f7ffffe, v1
	s_delay_alu instid0(VALU_DEP_1) | instskip(NEXT) | instid1(VALU_DEP_1)
	v_cvt_u32_f32_e32 v1, v1
	v_readfirstlane_b32 s2, v1
	s_mul_i32 s3, s3, s2
	s_delay_alu instid0(SALU_CYCLE_1) | instskip(NEXT) | instid1(SALU_CYCLE_1)
	s_mul_hi_u32 s3, s2, s3
	s_add_co_i32 s2, s2, s3
	s_delay_alu instid0(SALU_CYCLE_1) | instskip(NEXT) | instid1(SALU_CYCLE_1)
	s_mul_hi_u32 s2, s26, s2
	s_mul_i32 s3, s2, s46
	s_add_co_i32 s8, s2, 1
	s_sub_co_i32 s3, s26, s3
	s_delay_alu instid0(SALU_CYCLE_1)
	s_sub_co_i32 s9, s3, s46
	s_cmp_ge_u32 s3, s46
	s_wait_alu 0xfffe
	s_cselect_b32 s2, s8, s2
	s_cselect_b32 s3, s9, s3
	s_add_co_i32 s8, s2, 1
	s_cmp_ge_u32 s3, s46
	s_wait_alu 0xfffe
	s_cselect_b32 s56, s8, s2
.LBB46_16:
	s_clause 0x1
	s_load_b64 s[18:19], s[0:1], 0xe0
	s_load_b128 s[8:11], s[0:1], 0xd0
	s_or_b64 s[2:3], s[56:57], s[44:45]
	s_mov_b32 s2, 0
	s_delay_alu instid0(SALU_CYCLE_1)
	s_cmp_lg_u64 s[2:3], 0
	s_cbranch_scc0 .LBB46_23
; %bb.17:
	s_ashr_i32 s20, s45, 31
	s_mov_b32 s51, s2
	s_mov_b32 s21, s20
	;; [unrolled: 1-line block ×3, first 2 shown]
	s_add_nc_u64 s[22:23], s[44:45], s[20:21]
	s_delay_alu instid0(SALU_CYCLE_1) | instskip(NEXT) | instid1(SALU_CYCLE_1)
	s_xor_b64 s[22:23], s[22:23], s[20:21]
	s_cvt_f32_u32 s3, s22
	s_cvt_f32_u32 s13, s23
	s_sub_nc_u64 s[48:49], 0, s[22:23]
	s_wait_alu 0xfffe
	s_delay_alu instid0(SALU_CYCLE_1) | instskip(NEXT) | instid1(SALU_CYCLE_3)
	s_fmamk_f32 s3, s13, 0x4f800000, s3
	v_s_rcp_f32 s3, s3
	s_delay_alu instid0(TRANS32_DEP_1) | instskip(SKIP_1) | instid1(SALU_CYCLE_2)
	s_mul_f32 s3, s3, 0x5f7ffffc
	s_wait_alu 0xfffe
	s_mul_f32 s13, s3, 0x2f800000
	s_wait_alu 0xfffe
	s_delay_alu instid0(SALU_CYCLE_2) | instskip(SKIP_1) | instid1(SALU_CYCLE_2)
	s_trunc_f32 s13, s13
	s_wait_alu 0xfffe
	s_fmamk_f32 s3, s13, 0xcf800000, s3
	s_cvt_u32_f32 s25, s13
	s_wait_alu 0xfffe
	s_delay_alu instid0(SALU_CYCLE_1) | instskip(NEXT) | instid1(SALU_CYCLE_3)
	s_cvt_u32_f32 s24, s3
	s_mul_u64 s[52:53], s[48:49], s[24:25]
	s_delay_alu instid0(SALU_CYCLE_1)
	s_mul_hi_u32 s59, s24, s53
	s_mul_i32 s58, s24, s53
	s_mul_hi_u32 s50, s24, s52
	s_mul_i32 s13, s25, s52
	s_add_nc_u64 s[50:51], s[50:51], s[58:59]
	s_mul_hi_u32 s3, s25, s52
	s_mul_hi_u32 s33, s25, s53
	s_wait_alu 0xfffe
	s_add_co_u32 s13, s50, s13
	s_add_co_ci_u32 s54, s51, s3
	s_mul_i32 s52, s25, s53
	s_add_co_ci_u32 s53, s33, 0
	s_delay_alu instid0(SALU_CYCLE_1)
	s_add_nc_u64 s[50:51], s[54:55], s[52:53]
	s_mov_b32 s53, s2
	s_add_co_u32 s24, s24, s50
	s_cselect_b32 s3, -1, 0
	s_wait_alu 0xfffe
	s_cmp_lg_u32 s3, 0
	s_add_co_ci_u32 s25, s25, s51
	s_mov_b32 s51, s2
	s_mul_u64 s[48:49], s[48:49], s[24:25]
	s_delay_alu instid0(SALU_CYCLE_1)
	s_mul_hi_u32 s55, s24, s49
	s_mul_i32 s54, s24, s49
	s_mul_hi_u32 s50, s24, s48
	s_mul_i32 s13, s25, s48
	s_add_nc_u64 s[50:51], s[50:51], s[54:55]
	s_mul_hi_u32 s3, s25, s48
	s_mul_hi_u32 s33, s25, s49
	s_wait_alu 0xfffe
	s_add_co_u32 s13, s50, s13
	s_add_co_ci_u32 s52, s51, s3
	s_mul_i32 s48, s25, s49
	s_add_co_ci_u32 s49, s33, 0
	s_mov_b32 s51, s2
	s_add_nc_u64 s[48:49], s[52:53], s[48:49]
	s_delay_alu instid0(SALU_CYCLE_1)
	s_add_co_u32 s3, s24, s48
	s_cselect_b32 s13, -1, 0
	s_wait_alu 0xfffe
	s_cmp_lg_u32 s13, 0
	s_add_co_ci_u32 s13, s25, s49
	s_ashr_i32 s24, s57, 31
	s_delay_alu instid0(SALU_CYCLE_1) | instskip(NEXT) | instid1(SALU_CYCLE_1)
	s_mov_b32 s25, s24
	s_add_nc_u64 s[48:49], s[56:57], s[24:25]
	s_delay_alu instid0(SALU_CYCLE_1)
	s_xor_b64 s[48:49], s[48:49], s[24:25]
	s_wait_alu 0xfffe
	s_mul_hi_u32 s55, s48, s13
	s_mul_i32 s54, s48, s13
	s_mul_hi_u32 s50, s48, s3
	s_mul_hi_u32 s52, s49, s3
	s_mul_i32 s3, s49, s3
	s_add_nc_u64 s[50:51], s[50:51], s[54:55]
	s_mul_hi_u32 s33, s49, s13
	s_wait_alu 0xfffe
	s_add_co_u32 s3, s50, s3
	s_add_co_ci_u32 s52, s51, s52
	s_mul_i32 s54, s49, s13
	s_add_co_ci_u32 s55, s33, 0
	s_delay_alu instid0(SALU_CYCLE_1) | instskip(NEXT) | instid1(SALU_CYCLE_1)
	s_add_nc_u64 s[50:51], s[52:53], s[54:55]
	s_mul_u64 s[52:53], s[22:23], s[50:51]
	s_add_nc_u64 s[54:55], s[50:51], 1
	s_sub_co_u32 s3, s48, s52
	s_cselect_b32 s13, -1, 0
	s_sub_co_i32 s33, s49, s53
	s_wait_alu 0xfffe
	s_cmp_lg_u32 s13, 0
	s_add_nc_u64 s[58:59], s[50:51], 2
	s_sub_co_ci_u32 s33, s33, s23
	s_sub_co_u32 s48, s3, s22
	s_cselect_b32 s52, -1, 0
	s_delay_alu instid0(SALU_CYCLE_1) | instskip(SKIP_1) | instid1(SALU_CYCLE_1)
	s_cmp_lg_u32 s52, 0
	s_sub_co_ci_u32 s33, s33, 0
	s_cmp_ge_u32 s33, s23
	s_cselect_b32 s52, -1, 0
	s_cmp_ge_u32 s48, s22
	s_cselect_b32 s48, -1, 0
	s_cmp_eq_u32 s33, s23
	s_cselect_b32 s33, s48, s52
	s_delay_alu instid0(SALU_CYCLE_1)
	s_cmp_lg_u32 s33, 0
	s_cselect_b32 s33, s58, s54
	s_cselect_b32 s48, s59, s55
	s_cmp_lg_u32 s13, 0
	s_sub_co_ci_u32 s13, s49, s53
	s_wait_alu 0xfffe
	s_cmp_ge_u32 s13, s23
	s_cselect_b32 s49, -1, 0
	s_cmp_ge_u32 s3, s22
	s_cselect_b32 s3, -1, 0
	s_cmp_eq_u32 s13, s23
	s_wait_alu 0xfffe
	s_cselect_b32 s3, s3, s49
	s_wait_alu 0xfffe
	s_cmp_lg_u32 s3, 0
	s_cselect_b32 s23, s48, s51
	s_cselect_b32 s22, s33, s50
	s_xor_b64 s[20:21], s[24:25], s[20:21]
	s_delay_alu instid0(SALU_CYCLE_1) | instskip(NEXT) | instid1(SALU_CYCLE_1)
	s_xor_b64 s[22:23], s[22:23], s[20:21]
	s_sub_nc_u64 s[62:63], s[22:23], s[20:21]
	s_branch .LBB46_24
.LBB46_18:
                                        ; implicit-def: $sgpr14_sgpr15
	s_branch .LBB46_3
.LBB46_19:
                                        ; implicit-def: $sgpr16_sgpr17
	s_load_b128 s[28:31], s[0:1], 0x1d0
	s_branch .LBB46_6
.LBB46_20:
                                        ; implicit-def: $sgpr34_sgpr35
	s_branch .LBB46_9
.LBB46_21:
                                        ; implicit-def: $sgpr40_sgpr41
	s_load_b128 s[44:47], s[0:1], 0x370
	s_branch .LBB46_12
.LBB46_22:
                                        ; implicit-def: $sgpr56_sgpr57
	s_branch .LBB46_15
.LBB46_23:
	s_mov_b32 s2, -1
                                        ; implicit-def: $sgpr62_sgpr63
.LBB46_24:
	s_load_b64 s[20:21], s[0:1], 0x440
                                        ; implicit-def: $vgpr59 : SGPR spill to VGPR lane
	s_and_not1_b32 vcc_lo, exec_lo, s2
	s_load_b128 s[52:55], s[0:1], 0x290
	s_wait_kmcnt 0x0
	v_writelane_b32 v59, s20, 0
	v_writelane_b32 v59, s21, 1
	s_load_b128 s[20:23], s[0:1], 0x430
	s_wait_kmcnt 0x0
	v_writelane_b32 v59, s20, 2
	v_writelane_b32 v59, s21, 3
	;; [unrolled: 1-line block ×4, first 2 shown]
	s_load_b64 s[20:21], s[0:1], 0x2a0
	s_wait_kmcnt 0x0
	v_writelane_b32 v59, s20, 6
	v_writelane_b32 v59, s21, 7
	s_cbranch_vccnz .LBB46_26
; %bb.25:
	v_cvt_f32_u32_e32 v1, s44
	s_sub_co_i32 s3, 0, s44
	s_mov_b32 s63, 0
	s_delay_alu instid0(VALU_DEP_1) | instskip(NEXT) | instid1(TRANS32_DEP_1)
	v_rcp_iflag_f32_e32 v1, v1
	v_mul_f32_e32 v1, 0x4f7ffffe, v1
	s_delay_alu instid0(VALU_DEP_1) | instskip(NEXT) | instid1(VALU_DEP_1)
	v_cvt_u32_f32_e32 v1, v1
	v_readfirstlane_b32 s2, v1
	s_wait_alu 0xfffe
	s_mul_i32 s3, s3, s2
	s_wait_alu 0xfffe
	s_mul_hi_u32 s3, s2, s3
	s_wait_alu 0xfffe
	s_add_co_i32 s2, s2, s3
	s_wait_alu 0xfffe
	s_mul_hi_u32 s2, s56, s2
	s_wait_alu 0xfffe
	s_mul_i32 s3, s2, s44
	s_add_co_i32 s13, s2, 1
	s_wait_alu 0xfffe
	s_sub_co_i32 s3, s56, s3
	s_wait_alu 0xfffe
	s_sub_co_i32 s20, s3, s44
	s_cmp_ge_u32 s3, s44
	s_cselect_b32 s2, s13, s2
	s_wait_alu 0xfffe
	s_cselect_b32 s3, s20, s3
	s_add_co_i32 s13, s2, 1
	s_wait_alu 0xfffe
	s_cmp_ge_u32 s3, s44
	s_cselect_b32 s62, s13, s2
.LBB46_26:
	s_load_b64 s[22:23], s[0:1], 0x0
	v_cmp_eq_u32_e64 s2, 0, v0
	s_add_nc_u64 s[20:21], s[0:1], 0x500
	s_mov_b32 s25, 0
	s_and_saveexec_b32 s3, s2
	s_cbranch_execz .LBB46_28
; %bb.27:
	v_dual_mov_b32 v1, 0 :: v_dual_mov_b32 v4, s37
	s_delay_alu instid0(VALU_DEP_1)
	v_dual_mov_b32 v3, s36 :: v_dual_mov_b32 v2, v1
	ds_store_b32 v1, v1 offset:5136
	ds_store_b128 v1, v[1:4] offset:5120
.LBB46_28:
	s_wait_alu 0xfffe
	s_or_b32 exec_lo, exec_lo, s3
	s_mul_u64 s[4:5], s[16:17], s[4:5]
	s_mul_u64 s[8:9], s[16:17], s[8:9]
	s_wait_alu 0xfffe
	s_sub_nc_u64 s[4:5], s[14:15], s[4:5]
	s_mul_u64 s[14:15], s[14:15], s[6:7]
	s_wait_alu 0xfffe
	s_mul_u64 s[4:5], s[4:5], s[10:11]
	s_lshl_b64 s[6:7], s[8:9], 3
	s_sub_nc_u64 s[10:11], s[26:27], s[14:15]
	s_wait_kmcnt 0x0
	s_wait_alu 0xfffe
	s_add_nc_u64 s[14:15], s[22:23], s[6:7]
	s_lshl_b64 s[8:9], s[4:5], 3
	s_mul_u64 s[4:5], s[10:11], s[18:19]
	s_wait_alu 0xfffe
	s_add_nc_u64 s[10:11], s[14:15], s[8:9]
	s_lshl_b64 s[14:15], s[4:5], 3
	s_clause 0x1
	s_load_b64 s[4:5], s[0:1], 0x360
	s_load_b64 s[0:1], s[0:1], 0x1c0
	s_wait_dscnt 0x0
	s_barrier_signal -1
	s_barrier_wait -1
	global_inv scope:SCOPE_SE
	v_lshlrev_b32_e32 v47, 5, v0
	v_mad_co_u64_u32 v[2:3], null, s42, v0, 0
	v_mbcnt_lo_u32_b32 v43, -1, 0
	v_dual_mov_b32 v19, 0 :: v_dual_lshlrev_b32 v22, 2, v0
	s_delay_alu instid0(VALU_DEP_4) | instskip(SKIP_1) | instid1(VALU_DEP_4)
	v_or_b32_e32 v9, 24, v47
	v_or_b32_e32 v11, 16, v47
	v_lshlrev_b64_e64 v[6:7], v43, -1
	v_or_b32_e32 v12, 8, v47
	v_dual_mov_b32 v1, v3 :: v_dual_lshlrev_b32 v44, 3, v0
	v_mad_co_u64_u32 v[24:25], null, s42, v9, 0
	s_wait_kmcnt 0x0
	v_writelane_b32 v59, s4, 8
	v_mad_co_u64_u32 v[26:27], null, s42, v11, 0
	v_cmp_gt_u32_e32 vcc_lo, 32, v0
	v_mad_co_u64_u32 v[28:29], null, s42, v12, 0
	v_writelane_b32 v59, s5, 9
	s_load_b32 s5, s[20:21], 0xc
	v_mad_co_u64_u32 v[3:4], null, s43, v0, v[1:2]
	v_mov_b32_e32 v1, v19
	v_writelane_b32 v59, s0, 10
	v_not_b32_e32 v46, v6
	v_dual_mov_b32 v6, v25 :: v_dual_mov_b32 v7, v27
	v_mov_b32_e32 v35, s38
	v_writelane_b32 v59, s1, 11
	v_cmp_gt_i32_e64 s0, 4, v43
	v_mov_b32_e32 v36, s39
	v_mad_co_u64_u32 v[9:10], null, s43, v9, v[6:7]
	v_dual_mov_b32 v8, v29 :: v_dual_add_nc_u32 v45, 0xc00, v44
	s_delay_alu instid0(VALU_DEP_4)
	s_and_b32 s33, vcc_lo, s0
	s_add_nc_u64 s[72:73], s[10:11], s[14:15]
	v_lshlrev_b64_e32 v[4:5], 3, v[2:3]
	s_add_nc_u64 s[6:7], s[6:7], s[14:15]
	s_wait_kmcnt 0x0
	s_and_b32 s68, s5, 0xffff
	s_bfe_u32 s5, s5, 0xb0005
	s_cmp_gt_u32 s68, 31
	v_mad_co_u64_u32 v[6:7], null, s43, v11, v[7:8]
	s_cselect_b32 s101, -1, 0
	s_cmp_lt_u32 ttmp9, s12
	v_mad_co_u64_u32 v[7:8], null, s43, v12, v[8:9]
	s_cselect_b32 s24, 12, 18
	s_wait_alu 0xfffe
	s_add_co_i32 s11, s5, -1
	s_bfe_u32 s102, s68, 0x30005
	s_and_b32 s11, s11, 0xffff
	s_add_nc_u64 s[6:7], s[6:7], s[8:9]
	s_cmp_gt_u32 s11, 6
	v_add_co_u32 v20, vcc_lo, s72, v4
	s_cselect_b32 s103, -1, 0
	s_and_b32 s104, s5, 0x7f8
	s_cmp_lg_u32 s102, 0
	s_wait_alu 0xfffe
	s_add_nc_u64 s[78:79], s[22:23], s[6:7]
	s_cselect_b32 vcc_hi, -1, 0
	s_lshl_b64 s[80:81], s[42:43], 3
	s_lshl_b64 s[82:83], s[42:43], 5
	v_mul_lo_u32 v53, 0, s80
	v_mul_lo_u32 v54, 0, s82
	v_add_co_ci_u32_e64 v21, null, s73, v5, vcc_lo
	s_movk_i32 s10, 0x3e0
	v_add_co_u32 v50, s5, s36, v0
	v_add_co_u32 v16, vcc_lo, s78, v4
	v_cmp_lt_i64_e64 s100, 0x180, s[36:37]
	v_cmp_gt_u64_e64 s4, s[36:37], v[0:1]
	v_cmp_gt_i64_e64 s0, s[36:37], v[0:1]
	s_mov_b32 s69, s25
	v_mov_b32_e32 v27, v6
	v_mov_b32_e32 v49, v7
	v_lshlrev_b64_e32 v[31:32], 5, v[2:3]
	v_dual_mov_b32 v29, 0 :: v_dual_mov_b32 v6, 0
	v_mov_b32_e32 v33, 0
	v_cmp_eq_u32_e64 s1, 0, v43
	v_cmp_gt_u32_e64 s3, 2, v0
	v_dual_mov_b32 v23, v19 :: v_dual_mov_b32 v30, 0
	v_and_or_b32 v48, v0, s10, 0xc00
	v_dual_mov_b32 v25, v9 :: v_dual_mov_b32 v34, 0
	s_wait_alu 0xf1ff
	v_add_co_ci_u32_e64 v51, null, s37, 0, s5
	v_lshl_or_b32 v52, v43, 3, 0xc00
	s_wait_alu 0xfffd
	v_add_co_ci_u32_e64 v17, null, s79, v5, vcc_lo
	v_mov_b32_e32 v7, 0
	v_mov_b32_e32 v3, 0x3ff00000
	s_add_nc_u64 s[74:75], s[68:69], -1
	s_mul_u64 s[6:7], s[42:43], s[68:69]
	s_add_nc_u64 s[76:77], s[74:75], s[36:37]
	s_wait_alu 0xfffe
	s_lshl_b64 s[70:71], s[6:7], 3
	s_lshl_b32 s58, s68, 3
	s_mov_b32 s59, 62
	s_add_nc_u64 s[38:39], s[20:21], s[24:25]
	s_mov_b32 s60, 0
	s_mov_b32 s61, 0
                                        ; implicit-def: $sgpr67
                                        ; implicit-def: $sgpr49
                                        ; implicit-def: $sgpr64
                                        ; implicit-def: $sgpr66
                                        ; implicit-def: $sgpr48
                                        ; implicit-def: $sgpr65
	s_branch .LBB46_32
.LBB46_29:                              ;   in Loop: Header=BB46_32 Depth=1
	s_wait_alu 0xfffe
	s_or_b32 exec_lo, exec_lo, s8
	s_delay_alu instid0(SALU_CYCLE_1)
	s_and_b32 s6, s6, exec_lo
	s_and_not1_b32 s50, s50, exec_lo
	s_and_not1_b32 s23, s23, exec_lo
	s_or_not1_b32 s21, s7, exec_lo
.LBB46_30:                              ;   in Loop: Header=BB46_32 Depth=1
	s_wait_alu 0xfffe
	s_or_b32 exec_lo, exec_lo, s5
	s_delay_alu instid0(SALU_CYCLE_1)
	s_and_not1_b32 s5, s65, exec_lo
	s_and_b32 s6, s6, exec_lo
	s_and_not1_b32 s7, s66, exec_lo
	s_wait_alu 0xfffe
	s_or_b32 s65, s5, s6
	s_and_not1_b32 s5, s48, exec_lo
	s_and_b32 s6, s50, exec_lo
	s_and_b32 s8, s23, exec_lo
	s_wait_alu 0xfffe
	s_or_b32 s48, s5, s6
	s_or_b32 s66, s7, s8
	s_or_not1_b32 s21, s21, exec_lo
.LBB46_31:                              ;   in Loop: Header=BB46_32 Depth=1
	s_wait_alu 0xfffe
	s_or_b32 exec_lo, exec_lo, s20
	s_delay_alu instid0(SALU_CYCLE_1)
	s_and_b32 s5, exec_lo, s21
	v_dual_mov_b32 v36, v13 :: v_dual_mov_b32 v35, v12
	s_wait_alu 0xfffe
	s_or_b32 s60, s5, s60
	s_and_not1_b32 s5, s64, exec_lo
	s_and_b32 s6, s65, exec_lo
	s_and_not1_b32 s7, s49, exec_lo
	s_wait_alu 0xfffe
	s_or_b32 s64, s5, s6
	s_and_b32 s5, s48, exec_lo
	s_and_not1_b32 s6, s67, exec_lo
	s_and_b32 s8, s66, exec_lo
	s_wait_alu 0xfffe
	s_or_b32 s49, s7, s5
	s_or_b32 s67, s6, s8
	s_and_not1_b32 exec_lo, exec_lo, s60
	s_cbranch_execz .LBB46_297
.LBB46_32:                              ; =>This Loop Header: Depth=1
                                        ;     Child Loop BB46_38 Depth 2
                                        ;     Child Loop BB46_51 Depth 2
	;; [unrolled: 1-line block ×16, first 2 shown]
	ds_load_b128 v[8:11], v19 offset:5120
	s_wait_dscnt 0x0
	v_readfirstlane_b32 s85, v9
	v_readfirstlane_b32 s84, v8
	s_wait_alu 0xf1ff
	s_delay_alu instid0(VALU_DEP_1)
	v_cmp_gt_i64_e64 s5, s[84:85], 0
	s_and_b32 vcc_lo, exec_lo, s5
	s_wait_alu 0xfffe
	s_cbranch_vccnz .LBB46_59
; %bb.33:                               ;   in Loop: Header=BB46_32 Depth=1
	s_and_b32 vcc_lo, exec_lo, s100
	s_wait_alu 0xfffe
	s_cbranch_vccz .LBB46_46
; %bb.34:                               ;   in Loop: Header=BB46_32 Depth=1
	v_cmp_gt_i64_e32 vcc_lo, 0x181, v[10:11]
	s_mov_b32 s7, 0
	s_mov_b32 s5, 0
	s_cbranch_vccz .LBB46_47
; %bb.35:                               ;   in Loop: Header=BB46_32 Depth=1
	s_and_saveexec_b32 s8, s4
	s_cbranch_execz .LBB46_93
; %bb.36:                               ;   in Loop: Header=BB46_32 Depth=1
	global_load_u16 v2, v19, s[38:39]
	global_load_b64 v[8:9], v[20:21], off
	s_mov_b32 s9, 0
	s_wait_loadcnt 0x1
	v_and_b32_e32 v2, 0xffff, v2
	s_delay_alu instid0(VALU_DEP_1) | instskip(SKIP_2) | instid1(VALU_DEP_3)
	v_add_nc_u32_e32 v10, v0, v2
	v_mul_lo_u32 v12, v2, s81
	v_mul_hi_u32 v13, v2, s80
	v_mad_co_u64_u32 v[4:5], null, s80, v10, s[78:79]
	s_delay_alu instid0(VALU_DEP_1) | instskip(NEXT) | instid1(VALU_DEP_4)
	v_mad_co_u64_u32 v[10:11], null, s81, v10, v[5:6]
	v_add_nc_u32_e32 v5, v12, v53
	s_delay_alu instid0(VALU_DEP_1) | instskip(NEXT) | instid1(VALU_DEP_3)
	v_add_nc_u32_e32 v15, v5, v13
	v_mov_b32_e32 v5, v10
	v_mul_lo_u32 v14, v2, s80
	v_dual_mov_b32 v11, v1 :: v_dual_mov_b32 v10, v0
	s_branch .LBB46_38
.LBB46_37:                              ;   in Loop: Header=BB46_38 Depth=2
	s_wait_alu 0xfffe
	s_or_b32 exec_lo, exec_lo, s6
	v_add_co_u32 v4, vcc_lo, v4, v14
	s_wait_alu 0xfffd
	v_add_co_ci_u32_e64 v5, null, v5, v15, vcc_lo
	v_dual_mov_b32 v8, v12 :: v_dual_mov_b32 v9, v13
	s_and_not1_b32 exec_lo, exec_lo, s9
	s_cbranch_execz .LBB46_93
.LBB46_38:                              ;   Parent Loop BB46_32 Depth=1
                                        ; =>  This Inner Loop Header: Depth=2
	s_delay_alu instid0(VALU_DEP_1)
	v_add_co_u32 v10, vcc_lo, v10, v2
	v_mov_b32_e32 v12, 0
	s_wait_alu 0xfffd
	v_add_co_ci_u32_e64 v11, null, 0, v11, vcc_lo
	v_mov_b32_e32 v13, 0
	s_mov_b32 s6, exec_lo
	s_delay_alu instid0(VALU_DEP_2)
	v_cmp_le_i64_e32 vcc_lo, s[36:37], v[10:11]
	v_cmpx_gt_i64_e64 s[36:37], v[10:11]
	s_cbranch_execz .LBB46_40
; %bb.39:                               ;   in Loop: Header=BB46_38 Depth=2
	global_load_b64 v[12:13], v[4:5], off
.LBB46_40:                              ;   in Loop: Header=BB46_38 Depth=2
	s_wait_alu 0xfffe
	s_or_b32 exec_lo, exec_lo, s6
	s_wait_loadcnt 0x0
	v_cmp_o_f64_e64 s5, v[8:9], v[8:9]
	s_wait_dscnt 0x0
	v_ashrrev_i32_e32 v18, 31, v9
	s_delay_alu instid0(VALU_DEP_1) | instskip(SKIP_1) | instid1(VALU_DEP_2)
	v_or_b32_e32 v37, 0x80000000, v18
	v_xor_b32_e32 v18, v18, v8
	v_xor_b32_e32 v37, v37, v9
	s_wait_alu 0xf1ff
	s_delay_alu instid0(VALU_DEP_1) | instskip(NEXT) | instid1(VALU_DEP_3)
	v_cndmask_b32_e64 v37, -1, v37, s5
	v_cndmask_b32_e64 v18, -1, v18, s5
	s_delay_alu instid0(VALU_DEP_2) | instskip(NEXT) | instid1(VALU_DEP_2)
	v_and_b32_e32 v38, v37, v34
	v_dual_mov_b32 v18, 0 :: v_dual_and_b32 v37, v18, v33
	s_delay_alu instid0(VALU_DEP_1)
	v_cmp_eq_u64_e64 s5, v[37:38], v[29:30]
	s_cmp_lg_u32 s5, 0
	s_cselect_b32 s6, -1, 0
	s_wait_alu 0xfffe
	s_and_b32 s6, s1, s6
	s_wait_alu 0xfffe
	s_and_saveexec_b32 s10, s6
	s_cbranch_execz .LBB46_44
; %bb.41:                               ;   in Loop: Header=BB46_38 Depth=2
	s_mov_b32 s13, exec_lo
	s_bcnt1_i32_b32 s11, s5
	s_wait_alu 0xfffe
	v_mbcnt_lo_u32_b32 v18, s13, 0
	s_mov_b32 s12, exec_lo
                                        ; implicit-def: $vgpr37
	s_delay_alu instid0(VALU_DEP_1)
	v_cmpx_eq_u32_e32 0, v18
; %bb.42:                               ;   in Loop: Header=BB46_38 Depth=2
	s_bcnt1_i32_b32 s6, s13
	s_wait_alu 0xfffe
	s_mul_i32 s6, s11, s6
	s_wait_alu 0xfffe
	v_mov_b32_e32 v37, s6
	ds_add_rtn_u32 v37, v19, v37 offset:5136
; %bb.43:                               ;   in Loop: Header=BB46_38 Depth=2
	s_or_b32 exec_lo, exec_lo, s12
	s_wait_dscnt 0x0
	v_readfirstlane_b32 s6, v37
	s_wait_alu 0xf1ff
	s_delay_alu instid0(VALU_DEP_1)
	v_mad_u32_u24 v18, s11, v18, s6
.LBB46_44:                              ;   in Loop: Header=BB46_38 Depth=2
	s_wait_alu 0xfffe
	s_or_b32 exec_lo, exec_lo, s10
	ds_bpermute_b32 v18, v19, v18
	s_and_b32 s6, exec_lo, vcc_lo
	s_wait_alu 0xfffe
	s_or_b32 s9, s6, s9
	s_and_saveexec_b32 s6, s5
	s_cbranch_execz .LBB46_37
; %bb.45:                               ;   in Loop: Header=BB46_38 Depth=2
	v_and_b32_e32 v37, s5, v46
	s_delay_alu instid0(VALU_DEP_1) | instskip(NEXT) | instid1(VALU_DEP_1)
	v_bcnt_u32_b32 v37, v37, 0
	v_lshlrev_b32_e32 v37, 3, v37
	s_wait_dscnt 0x0
	s_delay_alu instid0(VALU_DEP_1)
	v_lshl_add_u32 v18, v18, 3, v37
	ds_store_b64 v18, v[8:9]
	s_branch .LBB46_37
.LBB46_46:                              ;   in Loop: Header=BB46_32 Depth=1
	s_mov_b32 s7, -1
	s_mov_b32 s5, 0
.LBB46_47:                              ;   in Loop: Header=BB46_32 Depth=1
	s_wait_alu 0xfffe
	s_and_b32 vcc_lo, exec_lo, s7
	s_wait_alu 0xfffe
	s_cbranch_vccz .LBB46_57
.LBB46_48:                              ;   in Loop: Header=BB46_32 Depth=1
	s_and_saveexec_b32 s6, s0
	s_cbranch_execz .LBB46_54
; %bb.49:                               ;   in Loop: Header=BB46_32 Depth=1
	global_load_u16 v2, v19, s[38:39]
	global_load_b64 v[4:5], v[20:21], off
	v_mov_b32_e32 v8, v0
	s_mov_b32 s7, exec_lo
	s_wait_loadcnt 0x1
	v_and_b32_e32 v2, 0xffff, v2
	s_delay_alu instid0(VALU_DEP_1) | instskip(NEXT) | instid1(VALU_DEP_1)
	v_add_nc_u32_e32 v18, v2, v0
	v_cmpx_gt_i64_e64 s[36:37], v[18:19]
	s_cbranch_execz .LBB46_53
; %bb.50:                               ;   in Loop: Header=BB46_32 Depth=1
	v_mul_lo_u32 v11, v2, s81
	v_mad_co_u64_u32 v[8:9], null, s80, v18, s[78:79]
	v_mul_hi_u32 v12, v2, s80
	v_mul_lo_u32 v37, v2, s80
	v_dual_mov_b32 v15, v1 :: v_dual_mov_b32 v14, v0
	s_mov_b32 s8, 0
	v_add_nc_u32_e32 v13, v11, v53
	v_mad_co_u64_u32 v[9:10], null, s81, v18, v[9:10]
	v_dual_mov_b32 v10, v18 :: v_dual_mov_b32 v11, v19
	s_delay_alu instid0(VALU_DEP_3)
	v_add_nc_u32_e32 v18, v13, v12
.LBB46_51:                              ;   Parent Loop BB46_32 Depth=1
                                        ; =>  This Inner Loop Header: Depth=2
	global_load_b64 v[12:13], v[8:9], off
	v_dual_mov_b32 v39, v11 :: v_dual_mov_b32 v38, v10
	v_lshlrev_b32_e32 v14, 3, v14
	s_delay_alu instid0(VALU_DEP_2) | instskip(SKIP_1) | instid1(VALU_DEP_3)
	v_add_co_u32 v10, vcc_lo, v38, v2
	s_wait_alu 0xfffd
	v_add_co_ci_u32_e64 v11, null, 0, v39, vcc_lo
	v_add_co_u32 v8, vcc_lo, v8, v37
	s_wait_loadcnt 0x1
	ds_store_b64 v14, v[4:5]
	v_cmp_le_i64_e64 s5, s[36:37], v[10:11]
	s_wait_alu 0xfffd
	v_add_co_ci_u32_e64 v9, null, v9, v18, vcc_lo
	v_dual_mov_b32 v14, v38 :: v_dual_mov_b32 v15, v39
	s_wait_alu 0xfffe
	s_delay_alu instid0(VALU_DEP_3)
	s_or_b32 s8, s5, s8
	s_wait_loadcnt 0x0
	v_dual_mov_b32 v4, v12 :: v_dual_mov_b32 v5, v13
	s_wait_alu 0xfffe
	s_and_not1_b32 exec_lo, exec_lo, s8
	s_cbranch_execnz .LBB46_51
; %bb.52:                               ;   in Loop: Header=BB46_32 Depth=1
	s_or_b32 exec_lo, exec_lo, s8
	v_sub_nc_u32_e32 v8, v10, v2
	v_dual_mov_b32 v4, v12 :: v_dual_mov_b32 v5, v13
.LBB46_53:                              ;   in Loop: Header=BB46_32 Depth=1
	s_wait_alu 0xfffe
	s_or_b32 exec_lo, exec_lo, s7
	s_delay_alu instid0(VALU_DEP_2)
	v_lshlrev_b32_e32 v2, 3, v8
	s_wait_loadcnt 0x0
	ds_store_b64 v2, v[4:5]
.LBB46_54:                              ;   in Loop: Header=BB46_32 Depth=1
	s_wait_alu 0xfffe
	s_or_b32 exec_lo, exec_lo, s6
	s_wait_loadcnt_dscnt 0x0
	s_barrier_signal -1
	s_barrier_wait -1
	global_inv scope:SCOPE_SE
	s_and_saveexec_b32 s5, s2
; %bb.55:                               ;   in Loop: Header=BB46_32 Depth=1
	v_dual_mov_b32 v4, s36 :: v_dual_mov_b32 v5, s37
	ds_store_b64 v19, v[4:5] offset:5120
; %bb.56:                               ;   in Loop: Header=BB46_32 Depth=1
	s_wait_alu 0xfffe
	s_or_b32 exec_lo, exec_lo, s5
	s_mov_b32 s5, -1
	s_wait_loadcnt_dscnt 0x0
	s_barrier_signal -1
	s_barrier_wait -1
.LBB46_57:                              ;   in Loop: Header=BB46_32 Depth=1
	s_wait_alu 0xfffe
	s_and_b32 vcc_lo, exec_lo, s5
	s_wait_alu 0xfffe
	s_cbranch_vccz .LBB46_59
; %bb.58:                               ;   in Loop: Header=BB46_32 Depth=1
	s_wait_loadcnt 0x0
	global_inv scope:SCOPE_SE
	ds_load_b64 v[4:5], v19 offset:5120
	s_wait_dscnt 0x0
	v_readfirstlane_b32 s84, v4
.LBB46_59:                              ;   in Loop: Header=BB46_32 Depth=1
	s_delay_alu instid0(VALU_DEP_1)
	s_cmp_lt_i32 s84, 1
	s_mov_b32 s5, -1
                                        ; implicit-def: $vgpr8_vgpr9
                                        ; implicit-def: $vgpr12_vgpr13
	s_cbranch_scc1 .LBB46_69
; %bb.60:                               ;   in Loop: Header=BB46_32 Depth=1
	s_wait_alu 0xfffe
	s_and_b32 vcc_lo, exec_lo, s5
	s_wait_alu 0xfffe
	s_cbranch_vccnz .LBB46_83
.LBB46_61:                              ;   in Loop: Header=BB46_32 Depth=1
	s_lshl_b32 s5, s61, 7
	s_and_saveexec_b32 s6, s1
	s_cbranch_execz .LBB46_63
.LBB46_62:                              ;   in Loop: Header=BB46_32 Depth=1
	s_wait_alu 0xfffe
	v_lshl_add_u32 v2, s5, 3, v48
	ds_store_b128 v2, v[8:11]
	ds_store_b128 v2, v[12:15] offset:16
.LBB46_63:                              ;   in Loop: Header=BB46_32 Depth=1
	s_wait_alu 0xfffe
	s_or_b32 exec_lo, exec_lo, s6
	s_wait_loadcnt_dscnt 0x0
	s_barrier_signal -1
	s_barrier_wait -1
	global_inv scope:SCOPE_SE
	s_and_saveexec_b32 s6, s33
	s_cbranch_execz .LBB46_100
; %bb.64:                               ;   in Loop: Header=BB46_32 Depth=1
	v_mov_b32_e32 v4, 0
	v_mov_b32_e32 v5, 0
	s_and_not1_b32 vcc_lo, exec_lo, s101
	s_wait_alu 0xfffe
	s_cbranch_vccnz .LBB46_99
; %bb.65:                               ;   in Loop: Header=BB46_32 Depth=1
	v_mov_b32_e32 v4, 0
	v_mov_b32_e32 v5, 0
	s_and_not1_b32 vcc_lo, exec_lo, s103
	s_wait_alu 0xfffe
	s_cbranch_vccnz .LBB46_96
; %bb.66:                               ;   in Loop: Header=BB46_32 Depth=1
	v_lshl_add_u32 v2, s61, 10, v52
	s_mov_b32 s7, 0
.LBB46_67:                              ;   Parent Loop BB46_32 Depth=1
                                        ; =>  This Inner Loop Header: Depth=2
	ds_load_2addr_b64 v[8:11], v2 offset1:4
	ds_load_2addr_b64 v[12:15], v2 offset0:8 offset1:12
	ds_load_2addr_b64 v[37:40], v2 offset0:16 offset1:20
	s_wait_alu 0xfffe
	s_add_co_i32 s7, s7, 8
	s_wait_alu 0xfffe
	s_cmp_eq_u32 s104, s7
	s_wait_dscnt 0x2
	v_add_co_u32 v4, vcc_lo, v8, v4
	s_wait_alu 0xfffd
	v_add_co_ci_u32_e64 v5, null, v9, v5, vcc_lo
	s_delay_alu instid0(VALU_DEP_2) | instskip(SKIP_1) | instid1(VALU_DEP_2)
	v_add_co_u32 v4, vcc_lo, v10, v4
	s_wait_alu 0xfffd
	v_add_co_ci_u32_e64 v5, null, v11, v5, vcc_lo
	ds_load_2addr_b64 v[8:11], v2 offset0:24 offset1:28
	s_wait_dscnt 0x2
	v_add_co_u32 v4, vcc_lo, v12, v4
	s_wait_alu 0xfffd
	v_add_co_ci_u32_e64 v5, null, v13, v5, vcc_lo
	v_add_nc_u32_e32 v2, 0x100, v2
	s_delay_alu instid0(VALU_DEP_3) | instskip(SKIP_1) | instid1(VALU_DEP_3)
	v_add_co_u32 v4, vcc_lo, v14, v4
	s_wait_alu 0xfffd
	v_add_co_ci_u32_e64 v5, null, v15, v5, vcc_lo
	s_wait_dscnt 0x1
	s_delay_alu instid0(VALU_DEP_2) | instskip(SKIP_1) | instid1(VALU_DEP_2)
	v_add_co_u32 v4, vcc_lo, v37, v4
	s_wait_alu 0xfffd
	v_add_co_ci_u32_e64 v5, null, v38, v5, vcc_lo
	s_delay_alu instid0(VALU_DEP_2) | instskip(SKIP_1) | instid1(VALU_DEP_2)
	v_add_co_u32 v4, vcc_lo, v39, v4
	s_wait_alu 0xfffd
	v_add_co_ci_u32_e64 v5, null, v40, v5, vcc_lo
	s_wait_dscnt 0x0
	s_delay_alu instid0(VALU_DEP_2) | instskip(SKIP_1) | instid1(VALU_DEP_2)
	v_add_co_u32 v4, vcc_lo, v8, v4
	s_wait_alu 0xfffd
	v_add_co_ci_u32_e64 v5, null, v9, v5, vcc_lo
	s_delay_alu instid0(VALU_DEP_2) | instskip(SKIP_1) | instid1(VALU_DEP_2)
	v_add_co_u32 v4, vcc_lo, v10, v4
	s_wait_alu 0xfffd
	v_add_co_ci_u32_e64 v5, null, v11, v5, vcc_lo
	s_cbranch_scc0 .LBB46_67
; %bb.68:                               ;   in Loop: Header=BB46_32 Depth=1
	s_mov_b32 s7, s104
	s_and_not1_b32 vcc_lo, exec_lo, vcc_hi
	s_wait_alu 0xfffe
	s_cbranch_vccz .LBB46_97
	s_branch .LBB46_99
.LBB46_69:                              ;   in Loop: Header=BB46_32 Depth=1
	global_load_u16 v2, v19, s[38:39]
	s_mov_b32 s6, s25
	s_mov_b32 s7, s37
	s_wait_loadcnt 0x0
	v_readfirstlane_b32 s5, v2
	s_wait_alu 0xfffe
	s_and_b32 s5, 0xffff, s5
	s_wait_alu 0xfffe
	s_lshl_b32 s86, s5, 2
	s_cmp_lg_u64 s[6:7], 0
	s_cbranch_scc0 .LBB46_92
; %bb.70:                               ;   in Loop: Header=BB46_32 Depth=1
	s_mov_b32 s87, s25
	s_wait_alu 0xfffe
	s_add_nc_u64 s[6:7], s[86:87], 0
	s_wait_alu 0xfffe
	s_xor_b64 s[6:7], s[6:7], 0
	s_wait_alu 0xfffe
	s_cvt_f32_u32 s5, s6
	s_cvt_f32_u32 s8, s7
	s_sub_nc_u64 s[10:11], 0, s[6:7]
	s_wait_alu 0xfffe
	s_delay_alu instid0(SALU_CYCLE_1) | instskip(SKIP_1) | instid1(SALU_CYCLE_2)
	s_fmamk_f32 s5, s8, 0x4f800000, s5
	s_wait_alu 0xfffe
	v_s_rcp_f32 s5, s5
	s_delay_alu instid0(TRANS32_DEP_1) | instskip(SKIP_1) | instid1(SALU_CYCLE_2)
	s_mul_f32 s5, s5, 0x5f7ffffc
	s_wait_alu 0xfffe
	s_mul_f32 s8, s5, 0x2f800000
	s_wait_alu 0xfffe
	s_delay_alu instid0(SALU_CYCLE_2) | instskip(SKIP_1) | instid1(SALU_CYCLE_2)
	s_trunc_f32 s8, s8
	s_wait_alu 0xfffe
	s_fmamk_f32 s5, s8, 0xcf800000, s5
	s_cvt_u32_f32 s9, s8
	s_wait_alu 0xfffe
	s_delay_alu instid0(SALU_CYCLE_1) | instskip(SKIP_1) | instid1(SALU_CYCLE_2)
	s_cvt_u32_f32 s8, s5
	s_wait_alu 0xfffe
	s_mul_u64 s[12:13], s[10:11], s[8:9]
	s_wait_alu 0xfffe
	s_mul_hi_u32 s15, s8, s13
	s_mul_i32 s14, s8, s13
	s_mul_hi_u32 s24, s8, s12
	s_mul_i32 s16, s9, s12
	s_wait_alu 0xfffe
	s_add_nc_u64 s[14:15], s[24:25], s[14:15]
	s_mul_hi_u32 s5, s9, s12
	s_mul_hi_u32 s17, s9, s13
	s_mul_i32 s12, s9, s13
	s_wait_alu 0xfffe
	s_add_co_u32 s13, s14, s16
	s_add_co_ci_u32 s24, s15, s5
	s_add_co_ci_u32 s13, s17, 0
	s_wait_alu 0xfffe
	s_add_nc_u64 s[12:13], s[24:25], s[12:13]
	s_wait_alu 0xfffe
	s_add_co_u32 s8, s8, s12
	s_cselect_b32 s5, -1, 0
	s_wait_alu 0xfffe
	s_cmp_lg_u32 s5, 0
	s_add_co_ci_u32 s9, s9, s13
	s_wait_alu 0xfffe
	s_mul_u64 s[10:11], s[10:11], s[8:9]
	s_wait_alu 0xfffe
	s_mul_hi_u32 s13, s8, s11
	s_mul_i32 s12, s8, s11
	s_mul_hi_u32 s24, s8, s10
	s_mul_i32 s14, s9, s10
	s_wait_alu 0xfffe
	s_add_nc_u64 s[12:13], s[24:25], s[12:13]
	s_mul_hi_u32 s5, s9, s10
	s_mul_hi_u32 s15, s9, s11
	s_mul_i32 s10, s9, s11
	s_wait_alu 0xfffe
	s_add_co_u32 s11, s12, s14
	s_add_co_ci_u32 s24, s13, s5
	s_add_co_ci_u32 s11, s15, 0
	s_wait_alu 0xfffe
	s_add_nc_u64 s[10:11], s[24:25], s[10:11]
	s_wait_alu 0xfffe
	s_add_co_u32 s5, s8, s10
	s_cselect_b32 s8, -1, 0
	s_wait_alu 0xfffe
	s_cmp_lg_u32 s8, 0
	s_add_co_ci_u32 s14, s9, s11
	s_ashr_i32 s8, s37, 31
	s_wait_alu 0xfffe
	s_mov_b32 s9, s8
	s_wait_alu 0xfffe
	s_add_nc_u64 s[10:11], s[36:37], s[8:9]
	s_wait_alu 0xfffe
	s_xor_b64 s[10:11], s[10:11], s[8:9]
	s_wait_alu 0xfffe
	s_mul_hi_u32 s13, s10, s14
	s_mul_i32 s12, s10, s14
	s_mul_hi_u32 s24, s10, s5
	s_mul_hi_u32 s16, s11, s5
	s_mul_i32 s5, s11, s5
	s_wait_alu 0xfffe
	s_add_nc_u64 s[12:13], s[24:25], s[12:13]
	s_mul_hi_u32 s15, s11, s14
	s_wait_alu 0xfffe
	s_add_co_u32 s5, s12, s5
	s_add_co_ci_u32 s24, s13, s16
	s_mul_i32 s14, s11, s14
	s_add_co_ci_u32 s15, s15, 0
	s_wait_alu 0xfffe
	s_add_nc_u64 s[12:13], s[24:25], s[14:15]
	s_wait_alu 0xfffe
	s_mul_u64 s[12:13], s[6:7], s[12:13]
	s_wait_alu 0xfffe
	s_sub_co_u32 s5, s10, s12
	s_cselect_b32 s10, -1, 0
	s_sub_co_i32 s12, s11, s13
	s_wait_alu 0xfffe
	s_cmp_lg_u32 s10, 0
	s_sub_co_ci_u32 s12, s12, s7
	s_sub_co_u32 s14, s5, s6
	s_cselect_b32 s15, -1, 0
	s_wait_alu 0xfffe
	s_cmp_lg_u32 s15, 0
	s_sub_co_ci_u32 s16, s12, 0
	s_wait_alu 0xfffe
	s_cmp_ge_u32 s16, s7
	s_cselect_b32 s17, -1, 0
	s_cmp_ge_u32 s14, s6
	s_cselect_b32 s18, -1, 0
	s_cmp_eq_u32 s16, s7
	s_wait_alu 0xfffe
	s_cselect_b32 s17, s18, s17
	s_cmp_lg_u32 s15, 0
	s_sub_co_ci_u32 s12, s12, s7
	s_sub_co_u32 s15, s14, s6
	s_cselect_b32 s18, -1, 0
	s_wait_alu 0xfffe
	s_cmp_lg_u32 s18, 0
	s_sub_co_ci_u32 s12, s12, 0
	s_cmp_lg_u32 s17, 0
	s_cselect_b32 s14, s15, s14
	s_wait_alu 0xfffe
	s_cselect_b32 s12, s12, s16
	s_cmp_lg_u32 s10, 0
	s_sub_co_ci_u32 s10, s11, s13
	s_wait_alu 0xfffe
	s_cmp_ge_u32 s10, s7
	s_cselect_b32 s11, -1, 0
	s_cmp_ge_u32 s5, s6
	s_cselect_b32 s6, -1, 0
	s_cmp_eq_u32 s10, s7
	s_wait_alu 0xfffe
	s_cselect_b32 s6, s6, s11
	s_wait_alu 0xfffe
	s_cmp_lg_u32 s6, 0
	s_cselect_b32 s7, s12, s10
	s_cselect_b32 s6, s14, s5
	s_wait_alu 0xfffe
	s_xor_b64 s[6:7], s[6:7], s[8:9]
	s_wait_alu 0xfffe
	s_sub_nc_u64 s[88:89], s[6:7], s[8:9]
	s_cbranch_execnz .LBB46_72
.LBB46_71:                              ;   in Loop: Header=BB46_32 Depth=1
	s_wait_alu 0xfffe
	v_cvt_f32_u32_e32 v4, s86
	s_sub_co_i32 s6, 0, s86
	s_delay_alu instid0(VALU_DEP_1) | instskip(NEXT) | instid1(TRANS32_DEP_1)
	v_rcp_iflag_f32_e32 v4, v4
	v_mul_f32_e32 v4, 0x4f7ffffe, v4
	s_delay_alu instid0(VALU_DEP_1) | instskip(NEXT) | instid1(VALU_DEP_1)
	v_cvt_u32_f32_e32 v4, v4
	v_readfirstlane_b32 s5, v4
	s_wait_alu 0xfffe
	s_mul_i32 s6, s6, s5
	s_wait_alu 0xfffe
	s_mul_hi_u32 s6, s5, s6
	s_wait_alu 0xfffe
	s_add_co_i32 s5, s5, s6
	s_wait_alu 0xfffe
	s_mul_hi_u32 s5, s36, s5
	s_wait_alu 0xfffe
	s_mul_i32 s5, s5, s86
	s_wait_alu 0xfffe
	s_sub_co_i32 s5, s36, s5
	s_wait_alu 0xfffe
	s_sub_co_i32 s6, s5, s86
	s_cmp_ge_u32 s5, s86
	s_wait_alu 0xfffe
	s_cselect_b32 s5, s6, s5
	s_wait_alu 0xfffe
	s_sub_co_i32 s6, s5, s86
	s_cmp_ge_u32 s5, s86
	s_wait_alu 0xfffe
	s_cselect_b32 s24, s6, s5
	s_wait_alu 0xfffe
	s_mov_b64 s[88:89], s[24:25]
.LBB46_72:                              ;   in Loop: Header=BB46_32 Depth=1
	v_mov_b32_e32 v8, 0
	v_dual_mov_b32 v12, 0 :: v_dual_mov_b32 v9, 0
	v_dual_mov_b32 v10, 0 :: v_dual_mov_b32 v13, 0
	;; [unrolled: 1-line block ×3, first 2 shown]
	v_dual_mov_b32 v15, 0 :: v_dual_and_b32 v2, 0xffff, v2
	s_wait_alu 0xfffe
	s_sub_nc_u64 s[90:91], s[36:37], s[88:89]
	s_mov_b32 s50, exec_lo
	s_wait_alu 0xfffe
	v_cmpx_gt_i64_e64 s[90:91], v[22:23]
	s_cbranch_execz .LBB46_76
; %bb.73:                               ;   in Loop: Header=BB46_32 Depth=1
	v_mul_lo_u32 v4, v2, s83
	v_mul_hi_u32 v8, v2, s82
	v_mul_lo_u32 v39, v2, s82
	v_dual_mov_b32 v38, v23 :: v_dual_mov_b32 v37, v22
	s_mov_b64 s[92:93], 0
	s_mov_b32 s51, 0
	s_mov_b64 s[94:95], 0
	s_delay_alu instid0(VALU_DEP_4) | instskip(SKIP_3) | instid1(VALU_DEP_2)
	v_dual_mov_b32 v4, s72 :: v_dual_add_nc_u32 v9, v4, v54
	v_mov_b32_e32 v5, s73
	s_mov_b64 s[96:97], 0
	s_mov_b64 s[98:99], 0
	v_add_nc_u32_e32 v40, v9, v8
.LBB46_74:                              ;   Parent Loop BB46_32 Depth=1
                                        ; =>  This Inner Loop Header: Depth=2
	v_add_co_u32 v8, vcc_lo, v4, v31
	s_wait_alu 0xfffd
	v_add_co_ci_u32_e64 v9, null, v5, v32, vcc_lo
	global_load_b64 v[8:9], v[8:9], off
	s_wait_loadcnt 0x0
	v_ashrrev_i32_e32 v10, 31, v9
	v_cmp_o_f64_e32 vcc_lo, v[8:9], v[8:9]
	s_delay_alu instid0(VALU_DEP_2) | instskip(SKIP_2) | instid1(VALU_DEP_3)
	v_or_b32_e32 v11, 0x80000000, v10
	v_xor_b32_e32 v10, v10, v8
	v_add_co_u32 v8, s5, v4, v28
	v_xor_b32_e32 v11, v11, v9
	s_wait_alu 0xf1ff
	v_add_co_ci_u32_e64 v9, null, v5, v49, s5
	global_load_b64 v[8:9], v[8:9], off
	s_wait_loadcnt 0x0
	v_ashrrev_i32_e32 v12, 31, v9
	v_cmp_o_f64_e64 s5, v[8:9], v[8:9]
	s_delay_alu instid0(VALU_DEP_2) | instskip(SKIP_2) | instid1(VALU_DEP_3)
	v_or_b32_e32 v13, 0x80000000, v12
	v_xor_b32_e32 v12, v12, v8
	v_add_co_u32 v8, s6, v4, v26
	v_xor_b32_e32 v13, v13, v9
	s_wait_alu 0xf1ff
	v_add_co_ci_u32_e64 v9, null, v5, v27, s6
	global_load_b64 v[8:9], v[8:9], off
	s_wait_loadcnt 0x0
	v_ashrrev_i32_e32 v14, 31, v9
	v_cmp_o_f64_e64 s6, v[8:9], v[8:9]
	;; [unrolled: 11-line block ×3, first 2 shown]
	s_delay_alu instid0(VALU_DEP_2) | instskip(SKIP_3) | instid1(VALU_DEP_3)
	v_or_b32_e32 v41, 0x80000000, v18
	v_xor_b32_e32 v18, v18, v8
	s_wait_alu 0xfffd
	v_cndmask_b32_e32 v8, -1, v10, vcc_lo
	v_xor_b32_e32 v41, v41, v9
	s_delay_alu instid0(VALU_DEP_2) | instskip(NEXT) | instid1(VALU_DEP_1)
	v_dual_cndmask_b32 v9, -1, v11 :: v_dual_and_b32 v10, v8, v33
	v_and_b32_e32 v11, v9, v34
	v_lshrrev_b64 v[8:9], s59, v[8:9]
	s_delay_alu instid0(VALU_DEP_2) | instskip(SKIP_2) | instid1(VALU_DEP_2)
	v_cmp_eq_u64_e32 vcc_lo, v[10:11], v[29:30]
	v_cndmask_b32_e64 v11, -1, v13, s5
	v_cndmask_b32_e64 v10, -1, v12, s5
	v_and_b32_e32 v13, v11, v34
	s_delay_alu instid0(VALU_DEP_2) | instskip(NEXT) | instid1(VALU_DEP_1)
	v_and_b32_e32 v12, v10, v33
	v_cmp_eq_u64_e64 s5, v[12:13], v[29:30]
	v_cndmask_b32_e64 v13, -1, v15, s6
	v_cndmask_b32_e64 v12, -1, v14, s6
	s_delay_alu instid0(VALU_DEP_2) | instskip(NEXT) | instid1(VALU_DEP_2)
	v_and_b32_e32 v15, v13, v34
	v_and_b32_e32 v14, v12, v33
	s_delay_alu instid0(VALU_DEP_1)
	v_cmp_eq_u64_e64 s6, v[14:15], v[29:30]
	s_wait_alu 0xf1ff
	v_cndmask_b32_e64 v14, -1, v18, s7
	v_and_b32_e32 v18, 3, v8
	v_lshrrev_b64 v[8:9], s59, v[10:11]
	v_mov_b32_e32 v9, v19
	v_cndmask_b32_e64 v15, -1, v41, s7
	v_and_b32_e32 v41, v14, v33
	v_cmp_eq_u64_e64 s20, 0, v[18:19]
	v_cmp_eq_u64_e64 s21, 1, v[18:19]
	v_and_b32_e32 v8, 3, v8
	v_and_b32_e32 v42, v15, v34
	s_and_b32 s20, vcc_lo, s20
	s_delay_alu instid0(VALU_DEP_2)
	v_cmp_eq_u64_e64 s8, 0, v[8:9]
	v_cmp_eq_u64_e64 s9, 1, v[8:9]
	;; [unrolled: 1-line block ×4, first 2 shown]
	v_lshrrev_b64 v[8:9], s59, v[12:13]
	v_mov_b32_e32 v9, v19
	s_and_b32 s8, s5, s8
	v_cmp_eq_u64_e64 s7, v[41:42], v[29:30]
	s_and_b32 s21, vcc_lo, s21
	s_and_b32 s9, s5, s9
	v_and_b32_e32 v8, 3, v8
	s_and_b32 s10, s5, s10
	s_and_b32 s5, s5, s11
	v_add_co_u32 v37, s11, v37, s86
	s_delay_alu instid0(VALU_DEP_2)
	v_cmp_eq_u64_e64 s12, 0, v[8:9]
	v_cmp_eq_u64_e64 s13, 1, v[8:9]
	;; [unrolled: 1-line block ×4, first 2 shown]
	v_lshrrev_b64 v[8:9], s59, v[14:15]
	v_mov_b32_e32 v9, v19
	s_and_b32 s12, s6, s12
	s_and_b32 s13, s6, s13
	;; [unrolled: 1-line block ×4, first 2 shown]
	v_and_b32_e32 v8, 3, v8
	v_add_co_u32 v4, s15, v4, v39
	s_wait_alu 0xf1ff
	v_add_co_ci_u32_e64 v5, null, v5, v40, s15
	s_delay_alu instid0(VALU_DEP_3)
	v_cmp_eq_u64_e64 s16, 0, v[8:9]
	v_cmp_eq_u64_e64 s17, 1, v[8:9]
	;; [unrolled: 1-line block ×4, first 2 shown]
	s_wait_alu 0xfffe
	v_cndmask_b32_e64 v8, 0, 1, s20
	v_add_co_ci_u32_e64 v38, null, 0, v38, s11
	s_and_b32 s16, s7, s16
	s_and_b32 s17, s7, s17
	v_cmp_ne_u32_e64 s20, 0, v8
	v_cndmask_b32_e64 v8, 0, 1, s8
	s_and_b32 s18, s7, s18
	s_and_b32 s7, s7, s19
	v_cmp_le_i64_e64 s11, s[90:91], v[37:38]
	s_bcnt1_i32_b32 s15, s20
	v_cmp_ne_u32_e64 s8, 0, v8
	v_cndmask_b32_e64 v8, 0, 1, s12
	s_bcnt1_i32_b32 s8, s8
	s_delay_alu instid0(VALU_DEP_1) | instskip(SKIP_4) | instid1(VALU_DEP_1)
	v_cmp_ne_u32_e64 s12, 0, v8
	s_wait_alu 0xfffe
	v_cndmask_b32_e64 v8, 0, 1, s16
	s_add_co_i32 s8, s8, s15
	s_bcnt1_i32_b32 s12, s12
	v_cmp_ne_u32_e64 s16, 0, v8
	v_cndmask_b32_e64 v8, 0, 1, s21
	s_wait_alu 0xfffe
	s_add_co_i32 s8, s8, s12
	s_bcnt1_i32_b32 s16, s16
	s_delay_alu instid0(VALU_DEP_1)
	v_cmp_ne_u32_e64 s21, 0, v8
	v_cndmask_b32_e64 v8, 0, 1, s9
	s_wait_alu 0xfffe
	s_add_co_i32 s24, s8, s16
	s_wait_alu 0xfffe
	s_add_nc_u64 s[98:99], s[98:99], s[24:25]
	s_bcnt1_i32_b32 s19, s21
	v_cmp_ne_u32_e64 s9, 0, v8
	v_cndmask_b32_e64 v8, 0, 1, s13
	s_bcnt1_i32_b32 s9, s9
	s_delay_alu instid0(VALU_DEP_1) | instskip(SKIP_4) | instid1(VALU_DEP_1)
	v_cmp_ne_u32_e64 s13, 0, v8
	v_cndmask_b32_e64 v8, 0, 1, s17
	s_wait_alu 0xfffe
	s_add_co_i32 s9, s9, s19
	s_bcnt1_i32_b32 s13, s13
	v_cmp_ne_u32_e64 s17, 0, v8
	s_wait_alu 0xfffe
	s_add_co_i32 s9, s9, s13
	s_bcnt1_i32_b32 s17, s17
	s_wait_alu 0xfffe
	s_add_co_i32 s24, s9, s17
	s_wait_alu 0xfffe
	s_add_nc_u64 s[96:97], s[96:97], s[24:25]
	s_wait_alu 0xfffe
	v_dual_mov_b32 v10, s96 :: v_dual_mov_b32 v11, s97
	v_cmp_eq_u64_e64 s22, 2, v[18:19]
	v_cmp_eq_u64_e64 s23, 3, v[18:19]
	s_and_b32 s22, vcc_lo, s22
	s_and_b32 s23, vcc_lo, s23
	s_wait_alu 0xfffe
	v_cndmask_b32_e64 v8, 0, 1, s22
	s_delay_alu instid0(VALU_DEP_1) | instskip(SKIP_2) | instid1(VALU_DEP_1)
	v_cmp_ne_u32_e64 s22, 0, v8
	v_cndmask_b32_e64 v8, 0, 1, s10
	s_bcnt1_i32_b32 s20, s22
	v_cmp_ne_u32_e64 s10, 0, v8
	v_cndmask_b32_e64 v8, 0, 1, s14
	s_bcnt1_i32_b32 s10, s10
	s_delay_alu instid0(VALU_DEP_1) | instskip(SKIP_4) | instid1(VALU_DEP_1)
	v_cmp_ne_u32_e64 s14, 0, v8
	v_cndmask_b32_e64 v8, 0, 1, s18
	s_wait_alu 0xfffe
	s_add_co_i32 s10, s10, s20
	s_bcnt1_i32_b32 s14, s14
	v_cmp_ne_u32_e64 s18, 0, v8
	v_cndmask_b32_e64 v8, 0, 1, s23
	s_wait_alu 0xfffe
	s_add_co_i32 s10, s10, s14
	s_bcnt1_i32_b32 s18, s18
	s_delay_alu instid0(VALU_DEP_1)
	v_cmp_ne_u32_e32 vcc_lo, 0, v8
	v_cndmask_b32_e64 v8, 0, 1, s5
	s_wait_alu 0xfffe
	s_add_co_i32 s24, s10, s18
	s_wait_alu 0xfffe
	s_add_nc_u64 s[94:95], s[94:95], s[24:25]
	s_bcnt1_i32_b32 s21, vcc_lo
	v_cmp_ne_u32_e64 s5, 0, v8
	v_cndmask_b32_e64 v8, 0, 1, s6
	s_wait_alu 0xfffe
	v_dual_mov_b32 v12, s94 :: v_dual_mov_b32 v13, s95
	s_bcnt1_i32_b32 s5, s5
	s_delay_alu instid0(VALU_DEP_2) | instskip(SKIP_4) | instid1(VALU_DEP_1)
	v_cmp_ne_u32_e64 s6, 0, v8
	v_cndmask_b32_e64 v8, 0, 1, s7
	s_wait_alu 0xfffe
	s_add_co_i32 s5, s5, s21
	s_bcnt1_i32_b32 s6, s6
	v_cmp_ne_u32_e64 s7, 0, v8
	s_wait_alu 0xfffe
	s_add_co_i32 s5, s5, s6
	v_dual_mov_b32 v8, s98 :: v_dual_mov_b32 v9, s99
	s_bcnt1_i32_b32 s7, s7
	s_wait_alu 0xfffe
	s_add_co_i32 s24, s5, s7
	s_or_b32 s51, s11, s51
	s_wait_alu 0xfffe
	s_add_nc_u64 s[92:93], s[92:93], s[24:25]
	s_wait_alu 0xfffe
	v_dual_mov_b32 v14, s92 :: v_dual_mov_b32 v15, s93
	s_and_not1_b32 exec_lo, exec_lo, s51
	s_cbranch_execnz .LBB46_74
; %bb.75:                               ;   in Loop: Header=BB46_32 Depth=1
	s_or_b32 exec_lo, exec_lo, s51
.LBB46_76:                              ;   in Loop: Header=BB46_32 Depth=1
	s_delay_alu instid0(SALU_CYCLE_1)
	s_or_b32 exec_lo, exec_lo, s50
	v_add_co_u32 v4, s5, s90, v0
	s_wait_alu 0xf1ff
	v_add_co_ci_u32_e64 v5, null, s91, 0, s5
	s_mov_b32 s9, exec_lo
	v_cmpx_gt_i64_e64 s[36:37], v[4:5]
	s_cbranch_execz .LBB46_82
; %bb.77:                               ;   in Loop: Header=BB46_32 Depth=1
	v_mul_lo_u32 v18, v5, s42
	v_mul_lo_u32 v39, v4, s43
	v_mad_co_u64_u32 v[37:38], null, v4, s42, 0
	v_mul_lo_u32 v55, v2, s80
	s_mov_b32 s10, 0
	s_delay_alu instid0(VALU_DEP_2) | instskip(SKIP_1) | instid1(VALU_DEP_2)
	v_add3_u32 v38, v38, v39, v18
	v_mul_lo_u32 v39, v2, s81
	v_lshlrev_b64_e32 v[37:38], 3, v[37:38]
	s_delay_alu instid0(VALU_DEP_2) | instskip(NEXT) | instid1(VALU_DEP_2)
	v_add_nc_u32_e32 v39, v39, v53
	v_add_co_u32 v37, vcc_lo, s72, v37
	s_wait_alu 0xfffd
	s_delay_alu instid0(VALU_DEP_3)
	v_add_co_ci_u32_e64 v38, null, s73, v38, vcc_lo
	v_add_co_u32 v18, vcc_lo, v50, v2
	global_load_b64 v[41:42], v[37:38], off
	s_wait_alu 0xfffd
	v_add_co_ci_u32_e64 v37, null, 0, v51, vcc_lo
	v_sub_co_u32 v18, vcc_lo, v18, s88
	s_wait_alu 0xfffd
	s_delay_alu instid0(VALU_DEP_2) | instskip(NEXT) | instid1(VALU_DEP_2)
	v_subrev_co_ci_u32_e64 v37, null, s89, v37, vcc_lo
	v_mul_lo_u32 v56, s81, v18
	s_delay_alu instid0(VALU_DEP_2) | instskip(SKIP_2) | instid1(VALU_DEP_2)
	v_mul_lo_u32 v40, s80, v37
	v_mad_co_u64_u32 v[37:38], null, s80, v18, s[78:79]
	v_mul_hi_u32 v18, v2, s80
	v_add3_u32 v38, v56, v38, v40
	s_delay_alu instid0(VALU_DEP_2)
	v_add_nc_u32_e32 v56, v39, v18
	s_branch .LBB46_79
.LBB46_78:                              ;   in Loop: Header=BB46_79 Depth=2
	s_wait_alu 0xfffe
	s_or_b32 exec_lo, exec_lo, s6
	s_wait_loadcnt 0x0
	v_cmp_o_f64_e64 s5, v[41:42], v[41:42]
	v_ashrrev_i32_e32 v18, 31, v42
	s_and_b32 s7, exec_lo, vcc_lo
	s_wait_alu 0xfffe
	s_or_b32 s10, s7, s10
	s_delay_alu instid0(VALU_DEP_1) | instskip(SKIP_1) | instid1(VALU_DEP_2)
	v_or_b32_e32 v57, 0x80000000, v18
	v_xor_b32_e32 v18, v18, v41
	v_xor_b32_e32 v57, v57, v42
	s_delay_alu instid0(VALU_DEP_1) | instskip(NEXT) | instid1(VALU_DEP_3)
	v_cndmask_b32_e64 v42, -1, v57, s5
	v_cndmask_b32_e64 v41, -1, v18, s5
	s_delay_alu instid0(VALU_DEP_1) | instskip(SKIP_2) | instid1(VALU_DEP_3)
	v_lshrrev_b64 v[57:58], s59, v[41:42]
	v_and_b32_e32 v42, v42, v34
	v_and_b32_e32 v41, v41, v33
	;; [unrolled: 1-line block ×3, first 2 shown]
	s_delay_alu instid0(VALU_DEP_2) | instskip(NEXT) | instid1(VALU_DEP_2)
	v_cmp_eq_u64_e64 s5, v[41:42], v[29:30]
	v_cmp_eq_u64_e64 s6, 0, v[18:19]
	v_cmp_eq_u64_e32 vcc_lo, 1, v[18:19]
	v_cmp_eq_u64_e64 s7, 2, v[18:19]
	v_cmp_eq_u64_e64 s8, 3, v[18:19]
	s_and_b32 s6, s5, s6
	s_wait_alu 0xfffe
	v_cndmask_b32_e64 v18, 0, 1, s6
	s_and_b32 s6, s5, vcc_lo
	s_wait_alu 0xfffe
	v_cndmask_b32_e64 v41, 0, 1, s6
	s_and_b32 s6, s5, s7
	s_and_b32 s5, s5, s8
	s_wait_alu 0xfffe
	v_cndmask_b32_e64 v42, 0, 1, s6
	v_cmp_ne_u32_e32 vcc_lo, 0, v18
	v_cndmask_b32_e64 v57, 0, 1, s5
	v_cmp_ne_u32_e64 s5, 0, v41
	v_add_co_u32 v37, s8, v37, v55
	v_cmp_ne_u32_e64 s6, 0, v42
	s_wait_alu 0xf1ff
	v_add_co_ci_u32_e64 v38, null, v38, v56, s8
	s_bcnt1_i32_b32 s8, vcc_lo
	v_cmp_ne_u32_e64 s7, 0, v57
	s_bcnt1_i32_b32 s5, s5
	s_wait_alu 0xfffe
	v_add_co_u32 v8, vcc_lo, v8, s8
	s_bcnt1_i32_b32 s6, s6
	s_wait_alu 0xfffd
	v_add_co_ci_u32_e64 v9, null, 0, v9, vcc_lo
	v_add_co_u32 v10, vcc_lo, v10, s5
	s_bcnt1_i32_b32 s7, s7
	s_wait_alu 0xfffd
	v_add_co_ci_u32_e64 v11, null, 0, v11, vcc_lo
	s_wait_alu 0xfffe
	v_add_co_u32 v12, vcc_lo, v12, s6
	s_wait_alu 0xfffd
	v_add_co_ci_u32_e64 v13, null, 0, v13, vcc_lo
	v_add_co_u32 v14, vcc_lo, v14, s7
	v_mov_b32_e32 v42, v40
	s_wait_alu 0xfffd
	v_add_co_ci_u32_e64 v15, null, 0, v15, vcc_lo
	v_mov_b32_e32 v41, v39
	s_and_not1_b32 exec_lo, exec_lo, s10
	s_cbranch_execz .LBB46_81
.LBB46_79:                              ;   Parent Loop BB46_32 Depth=1
                                        ; =>  This Inner Loop Header: Depth=2
	v_add_co_u32 v4, vcc_lo, v4, v2
	v_mov_b32_e32 v39, 0
	s_wait_alu 0xfffd
	v_add_co_ci_u32_e64 v5, null, 0, v5, vcc_lo
	v_mov_b32_e32 v40, 0
	s_mov_b32 s6, exec_lo
	s_delay_alu instid0(VALU_DEP_2)
	v_cmp_le_i64_e32 vcc_lo, s[36:37], v[4:5]
	v_cmpx_gt_i64_e64 s[36:37], v[4:5]
	s_cbranch_execz .LBB46_78
; %bb.80:                               ;   in Loop: Header=BB46_79 Depth=2
	global_load_b64 v[39:40], v[37:38], off
	s_branch .LBB46_78
.LBB46_81:                              ;   in Loop: Header=BB46_32 Depth=1
	s_or_b32 exec_lo, exec_lo, s10
.LBB46_82:                              ;   in Loop: Header=BB46_32 Depth=1
	s_wait_alu 0xfffe
	s_or_b32 exec_lo, exec_lo, s9
	s_branch .LBB46_61
.LBB46_83:                              ;   in Loop: Header=BB46_32 Depth=1
	global_load_u16 v2, v19, s[38:39]
	v_mov_b32_e32 v8, 0
	v_mov_b32_e32 v10, 0
	;; [unrolled: 1-line block ×3, first 2 shown]
	v_dual_mov_b32 v14, 0 :: v_dual_mov_b32 v11, 0
	v_mov_b32_e32 v13, 0
	v_mov_b32_e32 v15, 0
	s_mov_b32 s94, exec_lo
	v_mov_b32_e32 v9, 0
	s_wait_loadcnt 0x0
	v_readfirstlane_b32 s5, v2
	v_and_b32_e32 v2, 0xffff, v2
	s_and_b32 s50, 0xffff, s5
	s_wait_alu 0xfffe
	s_lshl_b32 s85, s50, 2
	s_wait_alu 0xfffe
	s_cvt_f32_u32 s5, s85
	s_sub_co_i32 s6, 0, s85
	s_wait_alu 0xfffe
	s_delay_alu instid0(SALU_CYCLE_1) | instskip(NEXT) | instid1(TRANS32_DEP_1)
	v_rcp_iflag_f32_e32 v4, s5
	v_readfirstlane_b32 s5, v4
	s_mul_f32 s5, s5, 0x4f7ffffe
	s_wait_alu 0xfffe
	s_delay_alu instid0(SALU_CYCLE_2) | instskip(SKIP_1) | instid1(SALU_CYCLE_2)
	s_cvt_u32_f32 s5, s5
	s_wait_alu 0xfffe
	s_mul_i32 s6, s6, s5
	s_wait_alu 0xfffe
	s_mul_hi_u32 s6, s5, s6
	s_wait_alu 0xfffe
	s_add_co_i32 s5, s5, s6
	s_wait_alu 0xfffe
	s_mul_hi_u32 s5, s84, s5
	s_wait_alu 0xfffe
	s_mul_i32 s6, s5, s85
	s_add_co_i32 s7, s5, 1
	s_wait_alu 0xfffe
	s_sub_co_i32 s6, s84, s6
	s_wait_alu 0xfffe
	s_sub_co_i32 s8, s6, s85
	s_cmp_ge_u32 s6, s85
	s_cselect_b32 s5, s7, s5
	s_wait_alu 0xfffe
	s_cselect_b32 s6, s8, s6
	s_add_co_i32 s7, s5, 1
	s_wait_alu 0xfffe
	s_cmp_ge_u32 s6, s85
	s_cselect_b32 s51, s7, s5
	s_wait_alu 0xfffe
	v_mul_hi_u32 v5, s51, v2
	v_mul_lo_u32 v4, s51, v2
	s_delay_alu instid0(VALU_DEP_1) | instskip(NEXT) | instid1(VALU_DEP_1)
	v_lshlrev_b64_e32 v[4:5], 2, v[4:5]
	v_cmpx_gt_u64_e64 v[4:5], v[22:23]
	s_cbranch_execz .LBB46_87
; %bb.84:                               ;   in Loop: Header=BB46_32 Depth=1
	v_dual_mov_b32 v39, v47 :: v_dual_mov_b32 v38, v23
	v_mov_b32_e32 v37, v22
	s_lshl_b32 s95, s50, 5
	s_mov_b64 s[86:87], 0
	s_mov_b32 s96, 0
	s_mov_b64 s[88:89], 0
	s_mov_b64 s[90:91], 0
	;; [unrolled: 1-line block ×3, first 2 shown]
.LBB46_85:                              ;   Parent Loop BB46_32 Depth=1
                                        ; =>  This Inner Loop Header: Depth=2
	ds_load_b128 v[8:11], v39
	v_add_co_u32 v37, s16, v37, s85
	s_wait_alu 0xf1ff
	v_add_co_ci_u32_e64 v38, null, 0, v38, s16
	s_delay_alu instid0(VALU_DEP_1) | instskip(SKIP_4) | instid1(VALU_DEP_3)
	v_cmp_ge_u64_e64 s16, v[37:38], v[4:5]
	s_wait_dscnt 0x0
	v_ashrrev_i32_e32 v12, 31, v9
	v_cmp_o_f64_e32 vcc_lo, v[8:9], v[8:9]
	v_cmp_o_f64_e64 s5, v[10:11], v[10:11]
	v_or_b32_e32 v13, 0x80000000, v12
	v_xor_b32_e32 v12, v12, v8
	v_ashrrev_i32_e32 v8, 31, v11
	s_delay_alu instid0(VALU_DEP_3) | instskip(NEXT) | instid1(VALU_DEP_2)
	v_xor_b32_e32 v13, v13, v9
	v_or_b32_e32 v14, 0x80000000, v8
	v_xor_b32_e32 v15, v8, v10
	s_delay_alu instid0(VALU_DEP_2)
	v_xor_b32_e32 v14, v14, v11
	ds_load_b128 v[8:11], v39 offset:16
	s_wait_alu 0xfffe
	v_add_nc_u32_e32 v39, s95, v39
	s_wait_dscnt 0x0
	v_cmp_o_f64_e64 s6, v[8:9], v[8:9]
	v_ashrrev_i32_e32 v18, 31, v9
	v_cmp_o_f64_e64 s7, v[10:11], v[10:11]
	s_delay_alu instid0(VALU_DEP_2) | instskip(SKIP_2) | instid1(VALU_DEP_3)
	v_or_b32_e32 v40, 0x80000000, v18
	v_xor_b32_e32 v18, v18, v8
	v_ashrrev_i32_e32 v8, 31, v11
	v_xor_b32_e32 v40, v40, v9
	s_wait_alu 0xfffd
	v_cndmask_b32_e32 v9, -1, v13, vcc_lo
	s_delay_alu instid0(VALU_DEP_3) | instskip(SKIP_2) | instid1(VALU_DEP_3)
	v_or_b32_e32 v41, 0x80000000, v8
	v_xor_b32_e32 v42, v8, v10
	v_cndmask_b32_e32 v8, -1, v12, vcc_lo
	v_xor_b32_e32 v41, v41, v11
	v_and_b32_e32 v11, v9, v34
	s_delay_alu instid0(VALU_DEP_3) | instskip(SKIP_1) | instid1(VALU_DEP_2)
	v_and_b32_e32 v10, v8, v33
	v_lshrrev_b64 v[8:9], s59, v[8:9]
	v_cmp_eq_u64_e32 vcc_lo, v[10:11], v[29:30]
	s_wait_alu 0xf1ff
	v_cndmask_b32_e64 v11, -1, v14, s5
	v_cndmask_b32_e64 v10, -1, v15, s5
	s_delay_alu instid0(VALU_DEP_2) | instskip(NEXT) | instid1(VALU_DEP_2)
	v_and_b32_e32 v13, v11, v34
	v_and_b32_e32 v12, v10, v33
	s_delay_alu instid0(VALU_DEP_1) | instskip(SKIP_4) | instid1(VALU_DEP_4)
	v_cmp_eq_u64_e64 s5, v[12:13], v[29:30]
	v_cndmask_b32_e64 v12, -1, v18, s6
	v_and_b32_e32 v18, 3, v8
	v_lshrrev_b64 v[8:9], s59, v[10:11]
	v_cndmask_b32_e64 v13, -1, v40, s6
	v_dual_mov_b32 v9, v19 :: v_dual_and_b32 v14, v12, v33
	s_delay_alu instid0(VALU_DEP_4)
	v_cmp_eq_u64_e64 s17, 0, v[18:19]
	v_cmp_eq_u64_e64 s19, 1, v[18:19]
	v_and_b32_e32 v8, 3, v8
	v_and_b32_e32 v15, v13, v34
	v_cmp_eq_u64_e64 s21, 2, v[18:19]
	v_cmp_eq_u64_e64 s23, 3, v[18:19]
	s_and_b32 s17, vcc_lo, s17
	v_cmp_eq_u64_e64 s8, 0, v[8:9]
	v_cmp_eq_u64_e64 s9, 1, v[8:9]
	;; [unrolled: 1-line block ×4, first 2 shown]
	v_lshrrev_b64 v[8:9], s59, v[12:13]
	v_cmp_eq_u64_e64 s6, v[14:15], v[29:30]
	v_cndmask_b32_e64 v15, -1, v41, s7
	v_cndmask_b32_e64 v14, -1, v42, s7
	v_mov_b32_e32 v9, v19
	s_and_b32 s8, s5, s8
	v_and_b32_e32 v8, 3, v8
	v_and_b32_e32 v41, v15, v34
	;; [unrolled: 1-line block ×3, first 2 shown]
	s_and_b32 s19, vcc_lo, s19
	s_and_b32 s21, vcc_lo, s21
	v_cmp_eq_u64_e64 s12, 0, v[8:9]
	v_cmp_eq_u64_e64 s13, 1, v[8:9]
	;; [unrolled: 1-line block ×4, first 2 shown]
	v_lshrrev_b64 v[8:9], s59, v[14:15]
	v_mov_b32_e32 v9, v19
	v_cmp_eq_u64_e64 s7, v[40:41], v[29:30]
	s_and_b32 s12, s6, s12
	s_and_b32 s23, vcc_lo, s23
	s_and_b32 s9, s5, s9
	v_and_b32_e32 v8, 3, v8
	s_and_b32 s97, s5, s10
	s_and_b32 s98, s5, s11
	;; [unrolled: 1-line block ×4, first 2 shown]
	v_cmp_eq_u64_e64 s18, 0, v[8:9]
	v_cmp_eq_u64_e64 s20, 1, v[8:9]
	;; [unrolled: 1-line block ×4, first 2 shown]
	s_wait_alu 0xfffe
	v_cndmask_b32_e64 v8, 0, 1, s17
	v_cndmask_b32_e64 v9, 0, 1, s8
	s_and_b32 s18, s7, s18
	s_and_b32 s99, s6, s15
	;; [unrolled: 1-line block ×3, first 2 shown]
	v_cmp_ne_u32_e32 vcc_lo, 0, v8
	v_cndmask_b32_e64 v8, 0, 1, s12
	v_cmp_ne_u32_e64 s5, 0, v9
	s_wait_alu 0xfffe
	v_cndmask_b32_e64 v9, 0, 1, s18
	s_and_b32 s22, s7, s22
	s_and_b32 s24, s7, s24
	v_cmp_ne_u32_e64 s6, 0, v8
	v_cndmask_b32_e64 v8, 0, 1, s19
	v_cmp_ne_u32_e64 s7, 0, v9
	v_cndmask_b32_e64 v9, 0, 1, s9
	s_bcnt1_i32_b32 s5, s5
	s_bcnt1_i32_b32 s6, s6
	v_cmp_ne_u32_e64 s8, 0, v8
	v_cndmask_b32_e64 v8, 0, 1, s13
	v_cmp_ne_u32_e64 s9, 0, v9
	v_cndmask_b32_e64 v9, 0, 1, s20
	s_bcnt1_i32_b32 s7, s7
	s_bcnt1_i32_b32 s8, s8
	v_cmp_ne_u32_e64 s10, 0, v8
	v_cndmask_b32_e64 v8, 0, 1, s21
	v_cmp_ne_u32_e64 s11, 0, v9
	v_cndmask_b32_e64 v9, 0, 1, s97
	s_bcnt1_i32_b32 s21, vcc_lo
	s_bcnt1_i32_b32 s9, s9
	v_cmp_ne_u32_e64 s12, 0, v8
	v_cndmask_b32_e64 v8, 0, 1, s14
	v_cmp_ne_u32_e64 s13, 0, v9
	s_wait_alu 0xfffe
	v_cndmask_b32_e64 v9, 0, 1, s22
	s_add_co_i32 s5, s5, s21
	s_bcnt1_i32_b32 s10, s10
	v_cmp_ne_u32_e64 s14, 0, v8
	v_cndmask_b32_e64 v8, 0, 1, s23
	v_cmp_ne_u32_e64 s15, 0, v9
	v_cndmask_b32_e64 v9, 0, 1, s98
	s_bcnt1_i32_b32 s12, s12
	s_bcnt1_i32_b32 s13, s13
	v_cmp_ne_u32_e64 s17, 0, v8
	v_cndmask_b32_e64 v8, 0, 1, s99
	v_cmp_ne_u32_e64 s18, 0, v9
	v_cndmask_b32_e64 v9, 0, 1, s24
	s_add_co_i32 s8, s9, s8
	s_wait_alu 0xfffe
	s_add_co_i32 s5, s5, s6
	v_cmp_ne_u32_e64 s19, 0, v8
	s_bcnt1_i32_b32 s11, s11
	v_cmp_ne_u32_e64 s20, 0, v9
	s_bcnt1_i32_b32 s14, s14
	s_bcnt1_i32_b32 s17, s17
	;; [unrolled: 1-line block ×3, first 2 shown]
	s_add_co_i32 s9, s13, s12
	s_add_co_i32 s6, s8, s10
	s_wait_alu 0xfffe
	s_add_co_i32 s24, s5, s7
	s_bcnt1_i32_b32 s15, s15
	s_bcnt1_i32_b32 s19, s19
	s_add_co_i32 s12, s18, s17
	s_add_co_i32 s8, s9, s14
	s_wait_alu 0xfffe
	s_add_nc_u64 s[92:93], s[92:93], s[24:25]
	s_add_co_i32 s24, s6, s11
	s_bcnt1_i32_b32 s20, s20
	s_add_co_i32 s9, s12, s19
	s_wait_alu 0xfffe
	s_add_nc_u64 s[90:91], s[90:91], s[24:25]
	s_add_co_i32 s24, s8, s15
	v_mov_b32_e32 v8, s92
	s_wait_alu 0xfffe
	s_add_nc_u64 s[88:89], s[88:89], s[24:25]
	s_add_co_i32 s24, s9, s20
	v_mov_b32_e32 v10, s90
	s_wait_alu 0xfffe
	s_add_nc_u64 s[86:87], s[86:87], s[24:25]
	v_mov_b32_e32 v12, s88
	s_wait_alu 0xfffe
	v_dual_mov_b32 v14, s86 :: v_dual_mov_b32 v9, s93
	v_mov_b32_e32 v11, s91
	v_mov_b32_e32 v13, s89
	;; [unrolled: 1-line block ×3, first 2 shown]
	s_or_b32 s96, s16, s96
	s_wait_alu 0xfffe
	s_and_not1_b32 exec_lo, exec_lo, s96
	s_cbranch_execnz .LBB46_85
; %bb.86:                               ;   in Loop: Header=BB46_32 Depth=1
	s_or_b32 exec_lo, exec_lo, s96
.LBB46_87:                              ;   in Loop: Header=BB46_32 Depth=1
	s_delay_alu instid0(SALU_CYCLE_1)
	s_or_b32 exec_lo, exec_lo, s94
	v_add_co_u32 v4, vcc_lo, v4, v0
	s_wait_alu 0xfffd
	v_add_co_ci_u32_e64 v5, null, 0, v5, vcc_lo
	s_and_b32 s24, s84, 0x7fffffff
	s_mov_b32 s10, exec_lo
	s_wait_alu 0xfffe
	v_cmpx_gt_u64_e64 s[24:25], v[4:5]
	s_cbranch_execz .LBB46_91
; %bb.88:                               ;   in Loop: Header=BB46_32 Depth=1
	s_mul_i32 s51, s51, s50
	s_lshl_b32 s12, s50, 3
	s_wait_alu 0xfffe
	v_lshl_add_u32 v37, s51, 5, v44
	s_mov_b32 s11, 0
.LBB46_89:                              ;   Parent Loop BB46_32 Depth=1
                                        ; =>  This Inner Loop Header: Depth=2
	ds_load_b64 v[38:39], v37
	v_add_co_u32 v4, s5, v4, v2
	s_wait_alu 0xf1ff
	v_add_co_ci_u32_e64 v5, null, 0, v5, s5
	s_delay_alu instid0(VALU_DEP_1) | instskip(SKIP_3) | instid1(VALU_DEP_1)
	v_cmp_le_u64_e64 s5, s[24:25], v[4:5]
	s_wait_dscnt 0x0
	v_cmp_o_f64_e32 vcc_lo, v[38:39], v[38:39]
	v_ashrrev_i32_e32 v18, 31, v39
	v_or_b32_e32 v40, 0x80000000, v18
	v_xor_b32_e32 v18, v18, v38
	v_add_nc_u32_e32 v37, s12, v37
	s_delay_alu instid0(VALU_DEP_3) | instskip(SKIP_1) | instid1(VALU_DEP_1)
	v_xor_b32_e32 v40, v40, v39
	s_wait_alu 0xfffd
	v_dual_cndmask_b32 v38, -1, v18 :: v_dual_cndmask_b32 v39, -1, v40
	s_delay_alu instid0(VALU_DEP_1) | instskip(NEXT) | instid1(VALU_DEP_2)
	v_and_b32_e32 v40, v38, v33
	v_and_b32_e32 v41, v39, v34
	v_lshrrev_b64 v[38:39], s59, v[38:39]
	s_delay_alu instid0(VALU_DEP_2) | instskip(NEXT) | instid1(VALU_DEP_2)
	v_cmp_eq_u64_e32 vcc_lo, v[40:41], v[29:30]
	v_and_b32_e32 v18, 3, v38
	s_delay_alu instid0(VALU_DEP_1)
	v_cmp_eq_u64_e64 s6, 0, v[18:19]
	v_cmp_eq_u64_e64 s7, 1, v[18:19]
	;; [unrolled: 1-line block ×4, first 2 shown]
	s_and_b32 s6, vcc_lo, s6
	s_wait_alu 0xfffe
	v_cndmask_b32_e64 v18, 0, 1, s6
	s_and_b32 s6, vcc_lo, s7
	s_wait_alu 0xfffe
	v_cndmask_b32_e64 v38, 0, 1, s6
	;; [unrolled: 3-line block ×3, first 2 shown]
	s_and_b32 s6, vcc_lo, s9
	v_cmp_ne_u32_e32 vcc_lo, 0, v18
	s_wait_alu 0xfffe
	v_cndmask_b32_e64 v40, 0, 1, s6
	v_cmp_ne_u32_e64 s6, 0, v38
	v_cmp_ne_u32_e64 s7, 0, v39
	s_bcnt1_i32_b32 s9, vcc_lo
	v_cmp_ne_u32_e64 s8, 0, v40
	s_bcnt1_i32_b32 s6, s6
	s_wait_alu 0xfffe
	v_add_co_u32 v8, vcc_lo, v8, s9
	s_bcnt1_i32_b32 s7, s7
	s_wait_alu 0xfffd
	v_add_co_ci_u32_e64 v9, null, 0, v9, vcc_lo
	v_add_co_u32 v10, vcc_lo, v10, s6
	s_bcnt1_i32_b32 s8, s8
	s_wait_alu 0xfffd
	v_add_co_ci_u32_e64 v11, null, 0, v11, vcc_lo
	s_wait_alu 0xfffe
	v_add_co_u32 v12, vcc_lo, v12, s7
	s_wait_alu 0xfffd
	v_add_co_ci_u32_e64 v13, null, 0, v13, vcc_lo
	v_add_co_u32 v14, vcc_lo, v14, s8
	s_wait_alu 0xfffd
	v_add_co_ci_u32_e64 v15, null, 0, v15, vcc_lo
	s_or_b32 s11, s5, s11
	s_wait_alu 0xfffe
	s_and_not1_b32 exec_lo, exec_lo, s11
	s_cbranch_execnz .LBB46_89
; %bb.90:                               ;   in Loop: Header=BB46_32 Depth=1
	s_or_b32 exec_lo, exec_lo, s11
.LBB46_91:                              ;   in Loop: Header=BB46_32 Depth=1
	s_delay_alu instid0(SALU_CYCLE_1)
	s_or_b32 exec_lo, exec_lo, s10
	s_lshl_b32 s5, s61, 7
	s_and_saveexec_b32 s6, s1
	s_cbranch_execnz .LBB46_62
	s_branch .LBB46_63
.LBB46_92:                              ;   in Loop: Header=BB46_32 Depth=1
                                        ; implicit-def: $sgpr88_sgpr89
	s_branch .LBB46_71
.LBB46_93:                              ;   in Loop: Header=BB46_32 Depth=1
	s_wait_alu 0xfffe
	s_or_b32 exec_lo, exec_lo, s8
	s_wait_loadcnt_dscnt 0x0
	s_barrier_signal -1
	s_barrier_wait -1
	global_inv scope:SCOPE_SE
	s_and_saveexec_b32 s5, s2
	s_cbranch_execz .LBB46_95
; %bb.94:                               ;   in Loop: Header=BB46_32 Depth=1
	ds_load_b32 v4, v19 offset:5136
	s_wait_dscnt 0x0
	v_ashrrev_i32_e32 v5, 31, v4
	ds_store_b64 v19, v[4:5] offset:5120
.LBB46_95:                              ;   in Loop: Header=BB46_32 Depth=1
	s_wait_alu 0xfffe
	s_or_b32 exec_lo, exec_lo, s5
	s_wait_loadcnt_dscnt 0x0
	s_barrier_signal -1
	s_mov_b32 s5, -1
	s_barrier_wait -1
	s_and_b32 vcc_lo, exec_lo, s7
	s_wait_alu 0xfffe
	s_cbranch_vccnz .LBB46_48
	s_branch .LBB46_57
.LBB46_96:                              ;   in Loop: Header=BB46_32 Depth=1
	s_mov_b32 s7, 0
	s_and_not1_b32 vcc_lo, exec_lo, vcc_hi
	s_wait_alu 0xfffe
	s_cbranch_vccnz .LBB46_99
.LBB46_97:                              ;   in Loop: Header=BB46_32 Depth=1
	s_lshl_b32 s8, s61, 10
	s_lshl_b32 s7, s7, 5
	s_wait_alu 0xfffe
	v_add3_u32 v2, s8, s7, v52
	s_mov_b32 s7, s102
.LBB46_98:                              ;   Parent Loop BB46_32 Depth=1
                                        ; =>  This Inner Loop Header: Depth=2
	ds_load_b64 v[8:9], v2
	v_add_nc_u32_e32 v2, 32, v2
	s_wait_alu 0xfffe
	s_add_co_i32 s7, s7, -1
	s_wait_alu 0xfffe
	s_cmp_lg_u32 s7, 0
	s_wait_dscnt 0x0
	v_add_co_u32 v4, vcc_lo, v8, v4
	s_wait_alu 0xfffd
	v_add_co_ci_u32_e64 v5, null, v9, v5, vcc_lo
	s_cbranch_scc1 .LBB46_98
.LBB46_99:                              ;   in Loop: Header=BB46_32 Depth=1
	v_add_lshl_u32 v2, s5, v43, 3
	ds_store_b64 v2, v[4:5] offset:3072
.LBB46_100:                             ;   in Loop: Header=BB46_32 Depth=1
	s_wait_alu 0xfffe
	s_or_b32 exec_lo, exec_lo, s6
	s_lshl_b32 s5, s5, 3
	s_wait_loadcnt_dscnt 0x0
	s_wait_alu 0xfffe
	v_mov_b32_e32 v2, s5
	s_barrier_signal -1
	s_barrier_wait -1
	global_inv scope:SCOPE_SE
	v_cmp_eq_u64_e32 vcc_lo, 1, v[35:36]
	ds_load_b128 v[8:11], v2 offset:3072
	ds_load_b128 v[12:15], v2 offset:3088
	s_lshl_b64 s[8:9], 3, s59
	s_mov_b32 s21, -1
	s_wait_alu 0xfffe
	s_not_b64 s[12:13], s[8:9]
                                        ; implicit-def: $sgpr19
                                        ; implicit-def: $sgpr18
	s_wait_dscnt 0x1
	v_cmp_eq_u64_e64 s5, 1, v[8:9]
	s_wait_dscnt 0x0
	v_readfirstlane_b32 s10, v12
	v_readfirstlane_b32 s11, v13
	v_readfirstlane_b32 s6, v14
	v_readfirstlane_b32 s7, v15
	s_and_b32 s22, s5, vcc_lo
	s_mov_b32 s5, -1
	s_wait_alu 0xfffe
	s_and_saveexec_b32 s20, s22
	s_cbranch_execz .LBB46_134
; %bb.101:                              ;   in Loop: Header=BB46_32 Depth=1
	ds_load_b64 v[4:5], v19 offset:5120
	s_wait_loadcnt_dscnt 0x0
	s_barrier_signal -1
	s_barrier_wait -1
	global_inv scope:SCOPE_SE
	v_readfirstlane_b32 s14, v4
	v_readfirstlane_b32 s15, v5
	s_and_saveexec_b32 s5, s3
; %bb.102:                              ;   in Loop: Header=BB46_32 Depth=1
	v_mov_b32_e32 v18, v19
	ds_store_b64 v45, v[18:19]
; %bb.103:                              ;   in Loop: Header=BB46_32 Depth=1
	s_wait_alu 0xfffe
	s_or_b32 exec_lo, exec_lo, s5
	v_cmp_lt_i64_e64 s5, s[14:15], 1
	v_and_b32_e32 v30, s13, v30
	v_and_b32_e32 v29, s12, v29
	v_or_b32_e32 v34, s9, v34
	v_or_b32_e32 v33, s8, v33
	s_mov_b32 s18, -1
	s_mov_b32 s19, 0
	s_and_b32 vcc_lo, exec_lo, s5
	s_mov_b32 s5, 0
	s_mov_b32 s23, -1
	s_wait_loadcnt_dscnt 0x0
	s_barrier_signal -1
	s_barrier_wait -1
	global_inv scope:SCOPE_SE
                                        ; implicit-def: $vgpr6_vgpr7
	s_wait_alu 0xfffe
	s_cbranch_vccz .LBB46_118
; %bb.104:                              ;   in Loop: Header=BB46_32 Depth=1
	s_mov_b32 s16, s25
	s_mov_b32 s17, s77
	s_wait_alu 0xfffe
	s_cmp_lg_u64 s[16:17], 0
	s_cbranch_scc0 .LBB46_161
; %bb.105:                              ;   in Loop: Header=BB46_32 Depth=1
	s_add_nc_u64 s[16:17], s[68:69], 0
	s_wait_alu 0xfffe
	s_xor_b64 s[16:17], s[16:17], 0
	s_wait_alu 0xfffe
	s_cvt_f32_u32 s5, s16
	s_cvt_f32_u32 s23, s17
	s_sub_nc_u64 s[84:85], 0, s[16:17]
	s_wait_alu 0xfffe
	s_delay_alu instid0(SALU_CYCLE_1) | instskip(SKIP_1) | instid1(SALU_CYCLE_2)
	s_fmamk_f32 s5, s23, 0x4f800000, s5
	s_wait_alu 0xfffe
	v_s_rcp_f32 s5, s5
	s_delay_alu instid0(TRANS32_DEP_1) | instskip(SKIP_1) | instid1(SALU_CYCLE_2)
	s_mul_f32 s5, s5, 0x5f7ffffc
	s_wait_alu 0xfffe
	s_mul_f32 s23, s5, 0x2f800000
	s_wait_alu 0xfffe
	s_delay_alu instid0(SALU_CYCLE_2) | instskip(SKIP_1) | instid1(SALU_CYCLE_2)
	s_trunc_f32 s23, s23
	s_wait_alu 0xfffe
	s_fmamk_f32 s5, s23, 0xcf800000, s5
	s_cvt_u32_f32 s51, s23
	s_wait_alu 0xfffe
	s_delay_alu instid0(SALU_CYCLE_1) | instskip(SKIP_1) | instid1(SALU_CYCLE_2)
	s_cvt_u32_f32 s50, s5
	s_wait_alu 0xfffe
	s_mul_u64 s[86:87], s[84:85], s[50:51]
	s_wait_alu 0xfffe
	s_mul_hi_u32 s89, s50, s87
	s_mul_i32 s88, s50, s87
	s_mul_hi_u32 s24, s50, s86
	s_mul_i32 s23, s51, s86
	s_wait_alu 0xfffe
	s_add_nc_u64 s[88:89], s[24:25], s[88:89]
	s_mul_hi_u32 s5, s51, s86
	s_mul_hi_u32 s90, s51, s87
	s_wait_alu 0xfffe
	s_add_co_u32 s23, s88, s23
	s_add_co_ci_u32 s24, s89, s5
	s_mul_i32 s86, s51, s87
	s_add_co_ci_u32 s87, s90, 0
	s_wait_alu 0xfffe
	s_add_nc_u64 s[86:87], s[24:25], s[86:87]
	s_wait_alu 0xfffe
	s_add_co_u32 s50, s50, s86
	s_cselect_b32 s5, -1, 0
	s_wait_alu 0xfffe
	s_cmp_lg_u32 s5, 0
	s_add_co_ci_u32 s51, s51, s87
	s_wait_alu 0xfffe
	s_mul_u64 s[84:85], s[84:85], s[50:51]
	s_wait_alu 0xfffe
	s_mul_hi_u32 s87, s50, s85
	s_mul_i32 s86, s50, s85
	s_mul_hi_u32 s24, s50, s84
	s_mul_i32 s23, s51, s84
	s_wait_alu 0xfffe
	s_add_nc_u64 s[86:87], s[24:25], s[86:87]
	s_mul_hi_u32 s5, s51, s84
	s_mul_hi_u32 s88, s51, s85
	s_wait_alu 0xfffe
	s_add_co_u32 s23, s86, s23
	s_add_co_ci_u32 s24, s87, s5
	s_mul_i32 s84, s51, s85
	s_add_co_ci_u32 s85, s88, 0
	s_wait_alu 0xfffe
	s_add_nc_u64 s[84:85], s[24:25], s[84:85]
	s_wait_alu 0xfffe
	s_add_co_u32 s5, s50, s84
	s_cselect_b32 s23, -1, 0
	s_wait_alu 0xfffe
	s_cmp_lg_u32 s23, 0
	s_add_co_ci_u32 s23, s51, s85
	s_ashr_i32 s50, s77, 31
	s_wait_alu 0xfffe
	s_mov_b32 s51, s50
	s_wait_alu 0xfffe
	s_add_nc_u64 s[84:85], s[76:77], s[50:51]
	s_wait_alu 0xfffe
	s_xor_b64 s[84:85], s[84:85], s[50:51]
	s_wait_alu 0xfffe
	s_mul_hi_u32 s87, s84, s23
	s_mul_i32 s86, s84, s23
	s_mul_hi_u32 s24, s84, s5
	s_mul_hi_u32 s90, s85, s5
	s_mul_i32 s5, s85, s5
	s_wait_alu 0xfffe
	s_add_nc_u64 s[86:87], s[24:25], s[86:87]
	s_mul_hi_u32 s89, s85, s23
	s_wait_alu 0xfffe
	s_add_co_u32 s5, s86, s5
	s_add_co_ci_u32 s24, s87, s90
	s_mul_i32 s88, s85, s23
	s_add_co_ci_u32 s89, s89, 0
	s_wait_alu 0xfffe
	s_add_nc_u64 s[86:87], s[24:25], s[88:89]
	s_wait_alu 0xfffe
	s_mul_u64 s[86:87], s[16:17], s[86:87]
	s_wait_alu 0xfffe
	s_sub_co_u32 s5, s84, s86
	s_cselect_b32 s23, -1, 0
	s_sub_co_i32 s24, s85, s87
	s_wait_alu 0xfffe
	s_cmp_lg_u32 s23, 0
	s_sub_co_ci_u32 s24, s24, s17
	s_sub_co_u32 s84, s5, s16
	s_cselect_b32 s86, -1, 0
	s_wait_alu 0xfffe
	s_cmp_lg_u32 s86, 0
	s_sub_co_ci_u32 s88, s24, 0
	s_wait_alu 0xfffe
	s_cmp_ge_u32 s88, s17
	s_cselect_b32 s89, -1, 0
	s_cmp_ge_u32 s84, s16
	s_cselect_b32 s90, -1, 0
	s_cmp_eq_u32 s88, s17
	s_wait_alu 0xfffe
	s_cselect_b32 s89, s90, s89
	s_cmp_lg_u32 s86, 0
	s_sub_co_ci_u32 s24, s24, s17
	s_sub_co_u32 s86, s84, s16
	s_cselect_b32 s90, -1, 0
	s_wait_alu 0xfffe
	s_cmp_lg_u32 s90, 0
	s_sub_co_ci_u32 s24, s24, 0
	s_cmp_lg_u32 s89, 0
	s_cselect_b32 s84, s86, s84
	s_wait_alu 0xfffe
	s_cselect_b32 s24, s24, s88
	s_cmp_lg_u32 s23, 0
	s_sub_co_ci_u32 s23, s85, s87
	s_wait_alu 0xfffe
	s_cmp_ge_u32 s23, s17
	s_cselect_b32 s85, -1, 0
	s_cmp_ge_u32 s5, s16
	s_cselect_b32 s16, -1, 0
	s_cmp_eq_u32 s23, s17
	s_wait_alu 0xfffe
	s_cselect_b32 s16, s16, s85
	s_wait_alu 0xfffe
	s_cmp_lg_u32 s16, 0
	s_cselect_b32 s17, s24, s23
	s_cselect_b32 s16, s84, s5
	s_wait_alu 0xfffe
	s_xor_b64 s[16:17], s[16:17], s[50:51]
	s_wait_alu 0xfffe
	s_sub_nc_u64 s[16:17], s[16:17], s[50:51]
	s_cbranch_execnz .LBB46_107
.LBB46_106:                             ;   in Loop: Header=BB46_32 Depth=1
	v_cvt_f32_u32_e32 v2, s68
	s_sub_co_i32 s16, 0, s68
	s_delay_alu instid0(VALU_DEP_1) | instskip(NEXT) | instid1(TRANS32_DEP_1)
	v_rcp_iflag_f32_e32 v2, v2
	v_mul_f32_e32 v2, 0x4f7ffffe, v2
	s_delay_alu instid0(VALU_DEP_1) | instskip(NEXT) | instid1(VALU_DEP_1)
	v_cvt_u32_f32_e32 v2, v2
	v_readfirstlane_b32 s5, v2
	s_wait_alu 0xfffe
	s_mul_i32 s16, s16, s5
	s_wait_alu 0xfffe
	s_mul_hi_u32 s16, s5, s16
	s_wait_alu 0xfffe
	s_add_co_i32 s5, s5, s16
	s_wait_alu 0xfffe
	s_mul_hi_u32 s5, s76, s5
	s_wait_alu 0xfffe
	s_mul_i32 s5, s5, s68
	s_wait_alu 0xfffe
	s_sub_co_i32 s5, s76, s5
	s_wait_alu 0xfffe
	s_sub_co_i32 s16, s5, s68
	s_cmp_ge_u32 s5, s68
	s_wait_alu 0xfffe
	s_cselect_b32 s5, s16, s5
	s_wait_alu 0xfffe
	s_sub_co_i32 s16, s5, s68
	s_cmp_ge_u32 s5, s68
	s_wait_alu 0xfffe
	s_cselect_b32 s24, s16, s5
	s_wait_alu 0xfffe
	s_mov_b64 s[16:17], s[24:25]
.LBB46_107:                             ;   in Loop: Header=BB46_32 Depth=1
	s_wait_alu 0xfffe
	s_sub_nc_u64 s[16:17], s[76:77], s[16:17]
	s_mov_b32 s23, 0
	s_mov_b32 s5, 0
	s_mov_b32 s24, exec_lo
                                        ; implicit-def: $vgpr6_vgpr7
	s_wait_alu 0xfffe
	v_cmpx_gt_i64_e64 s[16:17], v[0:1]
	s_cbranch_execz .LBB46_117
; %bb.108:                              ;   in Loop: Header=BB46_32 Depth=1
	v_dual_mov_b32 v12, v16 :: v_dual_mov_b32 v13, v17
	v_dual_mov_b32 v15, v1 :: v_dual_mov_b32 v14, v0
	s_mov_b32 s50, 0
                                        ; implicit-def: $sgpr51
	s_branch .LBB46_112
.LBB46_109:                             ;   in Loop: Header=BB46_112 Depth=2
	s_wait_alu 0xfffe
	s_or_b32 exec_lo, exec_lo, s5
	s_wait_loadcnt_dscnt 0x0
	s_barrier_signal -1
	s_barrier_wait -1
	global_inv scope:SCOPE_SE
	ds_load_b128 v[4:7], v19 offset:3072
	s_wait_loadcnt_dscnt 0x0
	s_barrier_signal -1
	s_barrier_wait -1
	global_inv scope:SCOPE_SE
	v_cmp_neq_f64_e32 vcc_lo, 0, v[4:5]
	s_cbranch_vccnz .LBB46_115
; %bb.110:                              ;   in Loop: Header=BB46_112 Depth=2
	v_add_co_u32 v14, vcc_lo, v14, s68
	s_wait_alu 0xfffd
	v_add_co_ci_u32_e64 v15, null, 0, v15, vcc_lo
	v_add_co_u32 v12, s5, v12, s70
	s_wait_alu 0xf1ff
	v_add_co_ci_u32_e64 v13, null, s71, v13, s5
	s_delay_alu instid0(VALU_DEP_3)
	v_cmp_le_i64_e32 vcc_lo, s[16:17], v[14:15]
	s_mov_b32 s5, 0
	s_or_not1_b32 s84, vcc_lo, exec_lo
.LBB46_111:                             ;   in Loop: Header=BB46_112 Depth=2
	s_wait_alu 0xfffe
	s_and_b32 s84, exec_lo, s84
	s_wait_alu 0xfffe
	s_or_b32 s50, s84, s50
	s_and_not1_b32 s51, s51, exec_lo
	s_and_b32 s5, s5, exec_lo
	s_wait_alu 0xfffe
	s_or_b32 s51, s51, s5
	s_and_not1_b32 exec_lo, exec_lo, s50
	s_cbranch_execz .LBB46_116
.LBB46_112:                             ;   Parent Loop BB46_32 Depth=1
                                        ; =>  This Inner Loop Header: Depth=2
	s_mov_b32 s5, exec_lo
	s_delay_alu instid0(VALU_DEP_1)
	v_cmpx_gt_i64_e64 s[36:37], v[14:15]
	s_cbranch_execz .LBB46_109
; %bb.113:                              ;   in Loop: Header=BB46_112 Depth=2
	global_load_b64 v[4:5], v[12:13], off
	s_wait_loadcnt 0x0
	v_cmp_o_f64_e32 vcc_lo, v[4:5], v[4:5]
	v_ashrrev_i32_e32 v2, 31, v5
	s_delay_alu instid0(VALU_DEP_1) | instskip(SKIP_1) | instid1(VALU_DEP_2)
	v_or_b32_e32 v6, 0x80000000, v2
	v_xor_b32_e32 v2, v2, v4
	v_xor_b32_e32 v6, v6, v5
	s_wait_alu 0xfffd
	s_delay_alu instid0(VALU_DEP_1) | instskip(NEXT) | instid1(VALU_DEP_3)
	v_cndmask_b32_e32 v6, -1, v6, vcc_lo
	v_cndmask_b32_e32 v2, -1, v2, vcc_lo
	s_delay_alu instid0(VALU_DEP_2) | instskip(NEXT) | instid1(VALU_DEP_2)
	v_and_b32_e32 v7, v6, v34
	v_and_b32_e32 v6, v2, v33
	s_delay_alu instid0(VALU_DEP_1)
	v_cmp_eq_u64_e32 vcc_lo, v[6:7], v[29:30]
	s_and_b32 exec_lo, exec_lo, vcc_lo
	s_cbranch_execz .LBB46_109
; %bb.114:                              ;   in Loop: Header=BB46_112 Depth=2
	v_mov_b32_e32 v2, v19
	ds_store_b128 v19, v[2:5] offset:3072
	s_branch .LBB46_109
.LBB46_115:                             ;   in Loop: Header=BB46_112 Depth=2
	s_mov_b32 s84, -1
	s_mov_b32 s5, -1
                                        ; implicit-def: $vgpr14_vgpr15
                                        ; implicit-def: $vgpr12_vgpr13
	s_branch .LBB46_111
.LBB46_116:                             ;   in Loop: Header=BB46_32 Depth=1
	s_or_b32 exec_lo, exec_lo, s50
	s_wait_alu 0xfffe
	s_and_b32 s5, s51, exec_lo
.LBB46_117:                             ;   in Loop: Header=BB46_32 Depth=1
	s_or_b32 exec_lo, exec_lo, s24
.LBB46_118:                             ;   in Loop: Header=BB46_32 Depth=1
	s_delay_alu instid0(SALU_CYCLE_1)
	s_and_b32 vcc_lo, exec_lo, s23
	s_wait_alu 0xfffe
	s_cbranch_vccz .LBB46_133
; %bb.119:                              ;   in Loop: Header=BB46_32 Depth=1
	s_add_nc_u64 s[16:17], s[14:15], s[74:75]
	s_mov_b32 s18, s25
	s_wait_alu 0xfffe
	s_mov_b32 s19, s17
	s_wait_alu 0xfffe
	s_cmp_lg_u64 s[18:19], 0
	s_cbranch_scc0 .LBB46_162
; %bb.120:                              ;   in Loop: Header=BB46_32 Depth=1
	s_add_nc_u64 s[18:19], s[68:69], 0
	s_wait_alu 0xfffe
	s_xor_b64 s[18:19], s[18:19], 0
	s_wait_alu 0xfffe
	s_cvt_f32_u32 s23, s18
	s_cvt_f32_u32 s24, s19
	s_sub_nc_u64 s[84:85], 0, s[18:19]
	s_wait_alu 0xfffe
	s_delay_alu instid0(SALU_CYCLE_1) | instskip(SKIP_1) | instid1(SALU_CYCLE_2)
	s_fmamk_f32 s23, s24, 0x4f800000, s23
	s_wait_alu 0xfffe
	v_s_rcp_f32 s23, s23
	s_delay_alu instid0(TRANS32_DEP_1) | instskip(SKIP_1) | instid1(SALU_CYCLE_2)
	s_mul_f32 s23, s23, 0x5f7ffffc
	s_wait_alu 0xfffe
	s_mul_f32 s24, s23, 0x2f800000
	s_wait_alu 0xfffe
	s_delay_alu instid0(SALU_CYCLE_2) | instskip(SKIP_1) | instid1(SALU_CYCLE_2)
	s_trunc_f32 s24, s24
	s_wait_alu 0xfffe
	s_fmamk_f32 s23, s24, 0xcf800000, s23
	s_cvt_u32_f32 s51, s24
	s_wait_alu 0xfffe
	s_delay_alu instid0(SALU_CYCLE_1) | instskip(SKIP_1) | instid1(SALU_CYCLE_2)
	s_cvt_u32_f32 s50, s23
	s_wait_alu 0xfffe
	s_mul_u64 s[86:87], s[84:85], s[50:51]
	s_wait_alu 0xfffe
	s_mul_hi_u32 s89, s50, s87
	s_mul_i32 s88, s50, s87
	s_mul_hi_u32 s24, s50, s86
	s_mul_i32 s90, s51, s86
	s_wait_alu 0xfffe
	s_add_nc_u64 s[88:89], s[24:25], s[88:89]
	s_mul_hi_u32 s23, s51, s86
	s_mul_hi_u32 s91, s51, s87
	s_wait_alu 0xfffe
	s_add_co_u32 s24, s88, s90
	s_add_co_ci_u32 s24, s89, s23
	s_mul_i32 s86, s51, s87
	s_add_co_ci_u32 s87, s91, 0
	s_wait_alu 0xfffe
	s_add_nc_u64 s[86:87], s[24:25], s[86:87]
	s_wait_alu 0xfffe
	s_add_co_u32 s50, s50, s86
	s_cselect_b32 s23, -1, 0
	s_wait_alu 0xfffe
	s_cmp_lg_u32 s23, 0
	s_add_co_ci_u32 s51, s51, s87
	s_wait_alu 0xfffe
	s_mul_u64 s[84:85], s[84:85], s[50:51]
	s_wait_alu 0xfffe
	s_mul_hi_u32 s87, s50, s85
	s_mul_i32 s86, s50, s85
	s_mul_hi_u32 s24, s50, s84
	s_mul_i32 s88, s51, s84
	s_wait_alu 0xfffe
	s_add_nc_u64 s[86:87], s[24:25], s[86:87]
	s_mul_hi_u32 s23, s51, s84
	s_mul_hi_u32 s89, s51, s85
	s_wait_alu 0xfffe
	s_add_co_u32 s24, s86, s88
	s_add_co_ci_u32 s24, s87, s23
	s_mul_i32 s84, s51, s85
	s_add_co_ci_u32 s85, s89, 0
	s_wait_alu 0xfffe
	s_add_nc_u64 s[84:85], s[24:25], s[84:85]
	s_wait_alu 0xfffe
	s_add_co_u32 s23, s50, s84
	s_cselect_b32 s24, -1, 0
	s_wait_alu 0xfffe
	s_cmp_lg_u32 s24, 0
	s_add_co_ci_u32 s88, s51, s85
	s_ashr_i32 s50, s17, 31
	s_wait_alu 0xfffe
	s_mov_b32 s51, s50
	s_wait_alu 0xfffe
	s_add_nc_u64 s[84:85], s[16:17], s[50:51]
	s_wait_alu 0xfffe
	s_xor_b64 s[84:85], s[84:85], s[50:51]
	s_wait_alu 0xfffe
	s_mul_hi_u32 s87, s84, s88
	s_mul_i32 s86, s84, s88
	s_mul_hi_u32 s24, s84, s23
	s_mul_hi_u32 s90, s85, s23
	s_mul_i32 s23, s85, s23
	s_wait_alu 0xfffe
	s_add_nc_u64 s[86:87], s[24:25], s[86:87]
	s_mul_hi_u32 s89, s85, s88
	s_wait_alu 0xfffe
	s_add_co_u32 s23, s86, s23
	s_add_co_ci_u32 s24, s87, s90
	s_mul_i32 s88, s85, s88
	s_add_co_ci_u32 s89, s89, 0
	s_wait_alu 0xfffe
	s_add_nc_u64 s[86:87], s[24:25], s[88:89]
	s_wait_alu 0xfffe
	s_mul_u64 s[86:87], s[18:19], s[86:87]
	s_wait_alu 0xfffe
	s_sub_co_u32 s23, s84, s86
	s_cselect_b32 s24, -1, 0
	s_sub_co_i32 s84, s85, s87
	s_wait_alu 0xfffe
	s_cmp_lg_u32 s24, 0
	s_sub_co_ci_u32 s84, s84, s19
	s_sub_co_u32 s86, s23, s18
	s_cselect_b32 s88, -1, 0
	s_wait_alu 0xfffe
	s_cmp_lg_u32 s88, 0
	s_sub_co_ci_u32 s89, s84, 0
	s_wait_alu 0xfffe
	s_cmp_ge_u32 s89, s19
	s_cselect_b32 s90, -1, 0
	s_cmp_ge_u32 s86, s18
	s_cselect_b32 s91, -1, 0
	s_cmp_eq_u32 s89, s19
	s_wait_alu 0xfffe
	s_cselect_b32 s90, s91, s90
	s_cmp_lg_u32 s88, 0
	s_sub_co_ci_u32 s84, s84, s19
	s_sub_co_u32 s88, s86, s18
	s_cselect_b32 s91, -1, 0
	s_wait_alu 0xfffe
	s_cmp_lg_u32 s91, 0
	s_sub_co_ci_u32 s84, s84, 0
	s_cmp_lg_u32 s90, 0
	s_cselect_b32 s86, s88, s86
	s_wait_alu 0xfffe
	s_cselect_b32 s84, s84, s89
	s_cmp_lg_u32 s24, 0
	s_sub_co_ci_u32 s24, s85, s87
	s_wait_alu 0xfffe
	s_cmp_ge_u32 s24, s19
	s_cselect_b32 s85, -1, 0
	s_cmp_ge_u32 s23, s18
	s_cselect_b32 s18, -1, 0
	s_cmp_eq_u32 s24, s19
	s_wait_alu 0xfffe
	s_cselect_b32 s18, s18, s85
	s_wait_alu 0xfffe
	s_cmp_lg_u32 s18, 0
	s_cselect_b32 s19, s84, s24
	s_cselect_b32 s18, s86, s23
	s_wait_alu 0xfffe
	s_xor_b64 s[18:19], s[18:19], s[50:51]
	s_wait_alu 0xfffe
	s_sub_nc_u64 s[18:19], s[18:19], s[50:51]
	s_cbranch_execnz .LBB46_122
.LBB46_121:                             ;   in Loop: Header=BB46_32 Depth=1
	v_cvt_f32_u32_e32 v2, s68
	s_sub_co_i32 s19, 0, s68
	s_delay_alu instid0(VALU_DEP_1) | instskip(NEXT) | instid1(TRANS32_DEP_1)
	v_rcp_iflag_f32_e32 v2, v2
	v_mul_f32_e32 v2, 0x4f7ffffe, v2
	s_delay_alu instid0(VALU_DEP_1) | instskip(NEXT) | instid1(VALU_DEP_1)
	v_cvt_u32_f32_e32 v2, v2
	v_readfirstlane_b32 s18, v2
	s_wait_alu 0xfffe
	s_mul_i32 s19, s19, s18
	s_wait_alu 0xfffe
	s_mul_hi_u32 s19, s18, s19
	s_wait_alu 0xfffe
	s_add_co_i32 s18, s18, s19
	s_wait_alu 0xfffe
	s_mul_hi_u32 s18, s16, s18
	s_wait_alu 0xfffe
	s_mul_i32 s18, s18, s68
	s_wait_alu 0xfffe
	s_sub_co_i32 s18, s16, s18
	s_wait_alu 0xfffe
	s_sub_co_i32 s19, s18, s68
	s_cmp_ge_u32 s18, s68
	s_wait_alu 0xfffe
	s_cselect_b32 s18, s19, s18
	s_wait_alu 0xfffe
	s_sub_co_i32 s19, s18, s68
	s_cmp_ge_u32 s18, s68
	s_wait_alu 0xfffe
	s_cselect_b32 s24, s19, s18
	s_wait_alu 0xfffe
	s_mov_b64 s[18:19], s[24:25]
.LBB46_122:                             ;   in Loop: Header=BB46_32 Depth=1
	s_wait_alu 0xfffe
	s_sub_nc_u64 s[16:17], s[16:17], s[18:19]
	s_mov_b32 s18, exec_lo
                                        ; implicit-def: $vgpr6_vgpr7
	s_wait_alu 0xfffe
	v_cmpx_gt_i64_e64 s[16:17], v[0:1]
	s_cbranch_execz .LBB46_132
; %bb.123:                              ;   in Loop: Header=BB46_32 Depth=1
	v_dual_mov_b32 v14, v44 :: v_dual_mov_b32 v13, v1
	v_mov_b32_e32 v12, v0
	s_mov_b32 s23, 0
                                        ; implicit-def: $sgpr19
	s_branch .LBB46_127
.LBB46_124:                             ;   in Loop: Header=BB46_127 Depth=2
	s_wait_alu 0xfffe
	s_or_b32 exec_lo, exec_lo, s24
	s_wait_loadcnt_dscnt 0x0
	s_barrier_signal -1
	s_barrier_wait -1
	global_inv scope:SCOPE_SE
	ds_load_b128 v[4:7], v19 offset:3072
	s_wait_loadcnt_dscnt 0x0
	s_barrier_signal -1
	s_barrier_wait -1
	global_inv scope:SCOPE_SE
	v_cmp_neq_f64_e32 vcc_lo, 0, v[4:5]
	s_cbranch_vccnz .LBB46_130
; %bb.125:                              ;   in Loop: Header=BB46_127 Depth=2
	v_add_co_u32 v12, vcc_lo, v12, s68
	s_wait_alu 0xfffd
	v_add_co_ci_u32_e64 v13, null, 0, v13, vcc_lo
	v_add_nc_u32_e32 v14, s58, v14
	s_mov_b32 s24, 0
	s_delay_alu instid0(VALU_DEP_2)
	v_cmp_le_i64_e32 vcc_lo, s[16:17], v[12:13]
	s_or_not1_b32 s50, vcc_lo, exec_lo
.LBB46_126:                             ;   in Loop: Header=BB46_127 Depth=2
	s_wait_alu 0xfffe
	s_and_b32 s50, exec_lo, s50
	s_wait_alu 0xfffe
	s_or_b32 s23, s50, s23
	s_and_not1_b32 s19, s19, exec_lo
	s_and_b32 s24, s24, exec_lo
	s_wait_alu 0xfffe
	s_or_b32 s19, s19, s24
	s_and_not1_b32 exec_lo, exec_lo, s23
	s_cbranch_execz .LBB46_131
.LBB46_127:                             ;   Parent Loop BB46_32 Depth=1
                                        ; =>  This Inner Loop Header: Depth=2
	s_mov_b32 s24, exec_lo
	s_delay_alu instid0(VALU_DEP_1)
	v_cmpx_gt_u64_e64 s[14:15], v[12:13]
	s_cbranch_execz .LBB46_124
; %bb.128:                              ;   in Loop: Header=BB46_127 Depth=2
	ds_load_b64 v[4:5], v14
	s_wait_dscnt 0x0
	v_cmp_o_f64_e32 vcc_lo, v[4:5], v[4:5]
	v_ashrrev_i32_e32 v2, 31, v5
	s_delay_alu instid0(VALU_DEP_1) | instskip(SKIP_1) | instid1(VALU_DEP_2)
	v_or_b32_e32 v6, 0x80000000, v2
	v_xor_b32_e32 v2, v2, v4
	v_xor_b32_e32 v6, v6, v5
	s_wait_alu 0xfffd
	s_delay_alu instid0(VALU_DEP_1) | instskip(NEXT) | instid1(VALU_DEP_3)
	v_cndmask_b32_e32 v6, -1, v6, vcc_lo
	v_cndmask_b32_e32 v2, -1, v2, vcc_lo
	s_delay_alu instid0(VALU_DEP_2) | instskip(NEXT) | instid1(VALU_DEP_2)
	v_and_b32_e32 v7, v6, v34
	v_and_b32_e32 v6, v2, v33
	s_delay_alu instid0(VALU_DEP_1)
	v_cmp_eq_u64_e32 vcc_lo, v[6:7], v[29:30]
	s_and_b32 exec_lo, exec_lo, vcc_lo
	s_cbranch_execz .LBB46_124
; %bb.129:                              ;   in Loop: Header=BB46_127 Depth=2
	v_mov_b32_e32 v2, v19
	ds_store_b128 v19, v[2:5] offset:3072
	s_branch .LBB46_124
.LBB46_130:                             ;   in Loop: Header=BB46_127 Depth=2
	s_mov_b32 s50, -1
	s_mov_b32 s24, -1
                                        ; implicit-def: $vgpr12_vgpr13
                                        ; implicit-def: $vgpr14
	s_branch .LBB46_126
.LBB46_131:                             ;   in Loop: Header=BB46_32 Depth=1
	s_or_b32 exec_lo, exec_lo, s23
	s_delay_alu instid0(SALU_CYCLE_1)
	s_and_not1_b32 s5, s5, exec_lo
	s_wait_alu 0xfffe
	s_and_b32 s14, s19, exec_lo
	s_wait_alu 0xfffe
	s_or_b32 s5, s5, s14
.LBB46_132:                             ;   in Loop: Header=BB46_32 Depth=1
	s_or_b32 exec_lo, exec_lo, s18
	s_mov_b32 s18, 0
	s_mov_b32 s19, -1
.LBB46_133:                             ;   in Loop: Header=BB46_32 Depth=1
	s_wait_alu 0xfffe
	s_or_not1_b32 s5, s5, exec_lo
.LBB46_134:                             ;   in Loop: Header=BB46_32 Depth=1
	s_wait_alu 0xfffe
	s_or_b32 exec_lo, exec_lo, s20
	s_delay_alu instid0(SALU_CYCLE_1)
	s_and_not1_b32 s14, s48, exec_lo
	s_and_b32 s15, s19, exec_lo
	s_and_not1_b32 s16, s66, exec_lo
	s_and_b32 s17, s18, exec_lo
	s_and_not1_b32 s65, s65, exec_lo
	s_wait_alu 0xfffe
	s_or_b32 s48, s14, s15
	s_or_b32 s66, s16, s17
                                        ; implicit-def: $vgpr12_vgpr13
	s_and_saveexec_b32 s20, s5
	s_cbranch_execz .LBB46_31
; %bb.135:                              ;   in Loop: Header=BB46_32 Depth=1
	v_dual_mov_b32 v12, 1 :: v_dual_mov_b32 v37, 1
	v_mov_b32_e32 v13, 0
	s_xor_b32 s15, s22, -1
	s_mov_b32 s14, 0
	s_wait_alu 0xfffe
	s_and_saveexec_b32 s5, s15
	s_cbranch_execz .LBB46_144
; %bb.136:                              ;   in Loop: Header=BB46_32 Depth=1
	s_mov_b32 s14, exec_lo
	v_cmpx_le_i64_e64 v[35:36], v[8:9]
	s_wait_alu 0xfffe
	s_xor_b32 s14, exec_lo, s14
	s_cbranch_execz .LBB46_141
; %bb.137:                              ;   in Loop: Header=BB46_32 Depth=1
	ds_load_b64 v[4:5], v19 offset:5120
	v_and_b32_e32 v30, s13, v30
	v_and_b32_e32 v29, s12, v29
	v_or_b32_e32 v34, s9, v34
	v_or_b32_e32 v33, s8, v33
	s_wait_dscnt 0x0
	v_cmp_ne_u64_e32 vcc_lo, 0, v[4:5]
	s_cbranch_vccnz .LBB46_141
; %bb.138:                              ;   in Loop: Header=BB46_32 Depth=1
	s_and_saveexec_b32 s15, s2
; %bb.139:                              ;   in Loop: Header=BB46_32 Depth=1
	ds_store_b64 v19, v[8:9] offset:5128
; %bb.140:                              ;   in Loop: Header=BB46_32 Depth=1
	s_wait_alu 0xfffe
	s_or_b32 exec_lo, exec_lo, s15
	s_wait_loadcnt_dscnt 0x0
	s_barrier_signal -1
	s_barrier_wait -1
	global_inv scope:SCOPE_SE
.LBB46_141:                             ;   in Loop: Header=BB46_32 Depth=1
	s_wait_alu 0xfffe
	s_or_saveexec_b32 s14, s14
	v_mov_b32_e32 v37, 8
	s_mov_b32 s15, 0
	s_wait_alu 0xfffe
	s_xor_b32 exec_lo, exec_lo, s14
; %bb.142:                              ;   in Loop: Header=BB46_32 Depth=1
	v_sub_co_u32 v35, vcc_lo, v35, v8
	s_wait_alu 0xfffd
	v_sub_co_ci_u32_e64 v36, null, v36, v9, vcc_lo
	v_mov_b32_e32 v37, 0
	s_mov_b32 s15, exec_lo
; %bb.143:                              ;   in Loop: Header=BB46_32 Depth=1
	s_or_b32 exec_lo, exec_lo, s14
	s_delay_alu instid0(VALU_DEP_2)
	v_dual_mov_b32 v12, v35 :: v_dual_mov_b32 v13, v36
	s_wait_alu 0xfffe
	s_and_b32 s14, s15, exec_lo
.LBB46_144:                             ;   in Loop: Header=BB46_32 Depth=1
	s_wait_alu 0xfffe
	s_or_b32 exec_lo, exec_lo, s5
	s_mov_b32 s21, -1
	s_mov_b32 s5, -1
                                        ; implicit-def: $sgpr23
                                        ; implicit-def: $sgpr50
	s_and_saveexec_b32 s15, s14
	s_wait_alu 0xfffe
	s_xor_b32 s22, exec_lo, s15
	s_cbranch_execz .LBB46_292
; %bb.145:                              ;   in Loop: Header=BB46_32 Depth=1
	v_cmp_eq_u64_e32 vcc_lo, 1, v[10:11]
	v_cmp_eq_u64_e64 s5, 1, v[12:13]
                                        ; implicit-def: $sgpr50
                                        ; implicit-def: $sgpr23
	s_and_b32 s84, vcc_lo, s5
	s_mov_b32 s5, -1
	s_wait_alu 0xfffe
	s_and_saveexec_b32 s51, s84
	s_cbranch_execz .LBB46_181
; %bb.146:                              ;   in Loop: Header=BB46_32 Depth=1
	ds_load_b64 v[4:5], v19 offset:5120
	s_wait_loadcnt_dscnt 0x0
	s_barrier_signal -1
	s_barrier_wait -1
	global_inv scope:SCOPE_SE
	v_readfirstlane_b32 s14, v4
	v_readfirstlane_b32 s15, v5
	s_and_saveexec_b32 s5, s3
; %bb.147:                              ;   in Loop: Header=BB46_32 Depth=1
	v_mov_b32_e32 v18, v19
	ds_store_b64 v45, v[18:19]
; %bb.148:                              ;   in Loop: Header=BB46_32 Depth=1
	s_wait_alu 0xfffe
	s_or_b32 exec_lo, exec_lo, s5
	v_and_b32_e32 v2, s13, v30
	v_and_b32_e32 v4, s12, v29
	v_cmp_gt_i64_e64 s5, s[14:15], 0
	s_lshl_b64 s[16:17], 1, s59
	v_or_b32_e32 v34, s9, v34
	s_wait_alu 0xfffe
	v_or_b32_e32 v30, s17, v2
	v_or_b32_e32 v29, s16, v4
	;; [unrolled: 1-line block ×3, first 2 shown]
	s_mov_b32 s23, -1
	s_mov_b32 s50, 0
	s_and_b32 vcc_lo, exec_lo, s5
	s_mov_b32 s5, 0
	s_mov_b32 s18, -1
	s_wait_loadcnt_dscnt 0x0
	s_barrier_signal -1
	s_barrier_wait -1
	global_inv scope:SCOPE_SE
                                        ; implicit-def: $vgpr6_vgpr7
	s_wait_alu 0xfffe
	s_cbranch_vccnz .LBB46_165
; %bb.149:                              ;   in Loop: Header=BB46_32 Depth=1
	s_mov_b32 s16, s25
	s_mov_b32 s17, s77
	s_wait_alu 0xfffe
	s_cmp_lg_u64 s[16:17], 0
	s_cbranch_scc0 .LBB46_209
; %bb.150:                              ;   in Loop: Header=BB46_32 Depth=1
	s_add_nc_u64 s[16:17], s[68:69], 0
	s_wait_alu 0xfffe
	s_xor_b64 s[16:17], s[16:17], 0
	s_wait_alu 0xfffe
	s_cvt_f32_u32 s5, s16
	s_cvt_f32_u32 s18, s17
	s_sub_nc_u64 s[86:87], 0, s[16:17]
	s_wait_alu 0xfffe
	s_delay_alu instid0(SALU_CYCLE_1) | instskip(SKIP_1) | instid1(SALU_CYCLE_2)
	s_fmamk_f32 s5, s18, 0x4f800000, s5
	s_wait_alu 0xfffe
	v_s_rcp_f32 s5, s5
	s_delay_alu instid0(TRANS32_DEP_1) | instskip(SKIP_1) | instid1(SALU_CYCLE_2)
	s_mul_f32 s5, s5, 0x5f7ffffc
	s_wait_alu 0xfffe
	s_mul_f32 s18, s5, 0x2f800000
	s_wait_alu 0xfffe
	s_delay_alu instid0(SALU_CYCLE_2) | instskip(SKIP_1) | instid1(SALU_CYCLE_2)
	s_trunc_f32 s18, s18
	s_wait_alu 0xfffe
	s_fmamk_f32 s5, s18, 0xcf800000, s5
	s_cvt_u32_f32 s19, s18
	s_wait_alu 0xfffe
	s_delay_alu instid0(SALU_CYCLE_1) | instskip(SKIP_1) | instid1(SALU_CYCLE_2)
	s_cvt_u32_f32 s18, s5
	s_wait_alu 0xfffe
	s_mul_u64 s[88:89], s[86:87], s[18:19]
	s_wait_alu 0xfffe
	s_mul_hi_u32 s91, s18, s89
	s_mul_i32 s90, s18, s89
	s_mul_hi_u32 s24, s18, s88
	s_mul_i32 s85, s19, s88
	s_wait_alu 0xfffe
	s_add_nc_u64 s[90:91], s[24:25], s[90:91]
	s_mul_hi_u32 s5, s19, s88
	s_mul_hi_u32 s92, s19, s89
	s_wait_alu 0xfffe
	s_add_co_u32 s24, s90, s85
	s_add_co_ci_u32 s24, s91, s5
	s_mul_i32 s88, s19, s89
	s_add_co_ci_u32 s89, s92, 0
	s_wait_alu 0xfffe
	s_add_nc_u64 s[88:89], s[24:25], s[88:89]
	s_wait_alu 0xfffe
	s_add_co_u32 s18, s18, s88
	s_cselect_b32 s5, -1, 0
	s_wait_alu 0xfffe
	s_cmp_lg_u32 s5, 0
	s_add_co_ci_u32 s19, s19, s89
	s_wait_alu 0xfffe
	s_mul_u64 s[86:87], s[86:87], s[18:19]
	s_wait_alu 0xfffe
	s_mul_hi_u32 s89, s18, s87
	s_mul_i32 s88, s18, s87
	s_mul_hi_u32 s24, s18, s86
	s_mul_i32 s85, s19, s86
	s_wait_alu 0xfffe
	s_add_nc_u64 s[88:89], s[24:25], s[88:89]
	s_mul_hi_u32 s5, s19, s86
	s_mul_hi_u32 s90, s19, s87
	s_wait_alu 0xfffe
	s_add_co_u32 s24, s88, s85
	s_add_co_ci_u32 s24, s89, s5
	s_mul_i32 s86, s19, s87
	s_add_co_ci_u32 s87, s90, 0
	s_wait_alu 0xfffe
	s_add_nc_u64 s[86:87], s[24:25], s[86:87]
	s_wait_alu 0xfffe
	s_add_co_u32 s5, s18, s86
	s_cselect_b32 s18, -1, 0
	s_wait_alu 0xfffe
	s_cmp_lg_u32 s18, 0
	s_add_co_ci_u32 s85, s19, s87
	s_ashr_i32 s18, s77, 31
	s_wait_alu 0xfffe
	s_mov_b32 s19, s18
	s_wait_alu 0xfffe
	s_add_nc_u64 s[86:87], s[76:77], s[18:19]
	s_wait_alu 0xfffe
	s_xor_b64 s[86:87], s[86:87], s[18:19]
	s_wait_alu 0xfffe
	s_mul_hi_u32 s89, s86, s85
	s_mul_i32 s88, s86, s85
	s_mul_hi_u32 s24, s86, s5
	s_mul_hi_u32 s92, s87, s5
	s_mul_i32 s5, s87, s5
	s_wait_alu 0xfffe
	s_add_nc_u64 s[88:89], s[24:25], s[88:89]
	s_mul_hi_u32 s91, s87, s85
	s_wait_alu 0xfffe
	s_add_co_u32 s5, s88, s5
	s_add_co_ci_u32 s24, s89, s92
	s_mul_i32 s90, s87, s85
	s_add_co_ci_u32 s91, s91, 0
	s_wait_alu 0xfffe
	s_add_nc_u64 s[88:89], s[24:25], s[90:91]
	s_wait_alu 0xfffe
	s_mul_u64 s[88:89], s[16:17], s[88:89]
	s_wait_alu 0xfffe
	s_sub_co_u32 s5, s86, s88
	s_cselect_b32 s24, -1, 0
	s_sub_co_i32 s85, s87, s89
	s_wait_alu 0xfffe
	s_cmp_lg_u32 s24, 0
	s_sub_co_ci_u32 s85, s85, s17
	s_sub_co_u32 s86, s5, s16
	s_cselect_b32 s88, -1, 0
	s_wait_alu 0xfffe
	s_cmp_lg_u32 s88, 0
	s_sub_co_ci_u32 s90, s85, 0
	s_wait_alu 0xfffe
	s_cmp_ge_u32 s90, s17
	s_cselect_b32 s91, -1, 0
	s_cmp_ge_u32 s86, s16
	s_cselect_b32 s92, -1, 0
	s_cmp_eq_u32 s90, s17
	s_wait_alu 0xfffe
	s_cselect_b32 s91, s92, s91
	s_cmp_lg_u32 s88, 0
	s_sub_co_ci_u32 s85, s85, s17
	s_sub_co_u32 s88, s86, s16
	s_cselect_b32 s92, -1, 0
	s_wait_alu 0xfffe
	s_cmp_lg_u32 s92, 0
	s_sub_co_ci_u32 s85, s85, 0
	s_cmp_lg_u32 s91, 0
	s_cselect_b32 s86, s88, s86
	s_wait_alu 0xfffe
	s_cselect_b32 s85, s85, s90
	s_cmp_lg_u32 s24, 0
	s_sub_co_ci_u32 s24, s87, s89
	s_wait_alu 0xfffe
	s_cmp_ge_u32 s24, s17
	s_cselect_b32 s87, -1, 0
	s_cmp_ge_u32 s5, s16
	s_cselect_b32 s16, -1, 0
	s_cmp_eq_u32 s24, s17
	s_wait_alu 0xfffe
	s_cselect_b32 s16, s16, s87
	s_wait_alu 0xfffe
	s_cmp_lg_u32 s16, 0
	s_cselect_b32 s17, s85, s24
	s_cselect_b32 s16, s86, s5
	s_wait_alu 0xfffe
	s_xor_b64 s[16:17], s[16:17], s[18:19]
	s_wait_alu 0xfffe
	s_sub_nc_u64 s[16:17], s[16:17], s[18:19]
	s_cbranch_execnz .LBB46_152
.LBB46_151:                             ;   in Loop: Header=BB46_32 Depth=1
	v_cvt_f32_u32_e32 v2, s68
	s_sub_co_i32 s16, 0, s68
	s_delay_alu instid0(VALU_DEP_1) | instskip(NEXT) | instid1(TRANS32_DEP_1)
	v_rcp_iflag_f32_e32 v2, v2
	v_mul_f32_e32 v2, 0x4f7ffffe, v2
	s_delay_alu instid0(VALU_DEP_1) | instskip(NEXT) | instid1(VALU_DEP_1)
	v_cvt_u32_f32_e32 v2, v2
	v_readfirstlane_b32 s5, v2
	s_wait_alu 0xfffe
	s_mul_i32 s16, s16, s5
	s_wait_alu 0xfffe
	s_mul_hi_u32 s16, s5, s16
	s_wait_alu 0xfffe
	s_add_co_i32 s5, s5, s16
	s_wait_alu 0xfffe
	s_mul_hi_u32 s5, s76, s5
	s_wait_alu 0xfffe
	s_mul_i32 s5, s5, s68
	s_wait_alu 0xfffe
	s_sub_co_i32 s5, s76, s5
	s_wait_alu 0xfffe
	s_sub_co_i32 s16, s5, s68
	s_cmp_ge_u32 s5, s68
	s_wait_alu 0xfffe
	s_cselect_b32 s5, s16, s5
	s_wait_alu 0xfffe
	s_sub_co_i32 s16, s5, s68
	s_cmp_ge_u32 s5, s68
	s_wait_alu 0xfffe
	s_cselect_b32 s24, s16, s5
	s_wait_alu 0xfffe
	s_mov_b64 s[16:17], s[24:25]
.LBB46_152:                             ;   in Loop: Header=BB46_32 Depth=1
	s_wait_alu 0xfffe
	s_sub_nc_u64 s[16:17], s[76:77], s[16:17]
	s_mov_b32 s18, 0
	s_mov_b32 s5, 0
	s_mov_b32 s19, exec_lo
                                        ; implicit-def: $vgpr6_vgpr7
	s_wait_alu 0xfffe
	v_cmpx_gt_i64_e64 s[16:17], v[0:1]
	s_cbranch_execz .LBB46_164
; %bb.153:                              ;   in Loop: Header=BB46_32 Depth=1
	v_dual_mov_b32 v8, v16 :: v_dual_mov_b32 v9, v17
	v_dual_mov_b32 v15, v1 :: v_dual_mov_b32 v14, v0
	s_mov_b32 s24, 0
                                        ; implicit-def: $sgpr85
	s_branch .LBB46_157
.LBB46_154:                             ;   in Loop: Header=BB46_157 Depth=2
	s_wait_alu 0xfffe
	s_or_b32 exec_lo, exec_lo, s5
	s_wait_loadcnt_dscnt 0x0
	s_barrier_signal -1
	s_barrier_wait -1
	global_inv scope:SCOPE_SE
	ds_load_b128 v[4:7], v19 offset:3072
	s_wait_loadcnt_dscnt 0x0
	s_barrier_signal -1
	s_barrier_wait -1
	global_inv scope:SCOPE_SE
	v_cmp_neq_f64_e32 vcc_lo, 0, v[4:5]
	s_cbranch_vccnz .LBB46_160
; %bb.155:                              ;   in Loop: Header=BB46_157 Depth=2
	v_add_co_u32 v14, vcc_lo, v14, s68
	s_wait_alu 0xfffd
	v_add_co_ci_u32_e64 v15, null, 0, v15, vcc_lo
	v_add_co_u32 v8, s5, v8, s70
	s_wait_alu 0xf1ff
	v_add_co_ci_u32_e64 v9, null, s71, v9, s5
	s_delay_alu instid0(VALU_DEP_3)
	v_cmp_le_i64_e32 vcc_lo, s[16:17], v[14:15]
	s_mov_b32 s5, 0
	s_or_not1_b32 s86, vcc_lo, exec_lo
.LBB46_156:                             ;   in Loop: Header=BB46_157 Depth=2
	s_wait_alu 0xfffe
	s_and_b32 s86, exec_lo, s86
	s_wait_alu 0xfffe
	s_or_b32 s24, s86, s24
	s_and_not1_b32 s85, s85, exec_lo
	s_and_b32 s5, s5, exec_lo
	s_wait_alu 0xfffe
	s_or_b32 s85, s85, s5
	s_and_not1_b32 exec_lo, exec_lo, s24
	s_cbranch_execz .LBB46_163
.LBB46_157:                             ;   Parent Loop BB46_32 Depth=1
                                        ; =>  This Inner Loop Header: Depth=2
	s_mov_b32 s5, exec_lo
	s_delay_alu instid0(VALU_DEP_1)
	v_cmpx_gt_i64_e64 s[36:37], v[14:15]
	s_cbranch_execz .LBB46_154
; %bb.158:                              ;   in Loop: Header=BB46_157 Depth=2
	global_load_b64 v[4:5], v[8:9], off
	s_wait_loadcnt 0x0
	v_cmp_o_f64_e32 vcc_lo, v[4:5], v[4:5]
	v_ashrrev_i32_e32 v2, 31, v5
	s_delay_alu instid0(VALU_DEP_1) | instskip(SKIP_1) | instid1(VALU_DEP_2)
	v_or_b32_e32 v6, 0x80000000, v2
	v_xor_b32_e32 v2, v2, v4
	v_xor_b32_e32 v6, v6, v5
	s_wait_alu 0xfffd
	s_delay_alu instid0(VALU_DEP_1) | instskip(NEXT) | instid1(VALU_DEP_3)
	v_cndmask_b32_e32 v6, -1, v6, vcc_lo
	v_cndmask_b32_e32 v2, -1, v2, vcc_lo
	s_delay_alu instid0(VALU_DEP_2) | instskip(NEXT) | instid1(VALU_DEP_2)
	v_and_b32_e32 v7, v6, v34
	v_and_b32_e32 v6, v2, v33
	s_delay_alu instid0(VALU_DEP_1)
	v_cmp_eq_u64_e32 vcc_lo, v[6:7], v[29:30]
	s_and_b32 exec_lo, exec_lo, vcc_lo
	s_cbranch_execz .LBB46_154
; %bb.159:                              ;   in Loop: Header=BB46_157 Depth=2
	v_mov_b32_e32 v2, v19
	ds_store_b128 v19, v[2:5] offset:3072
	s_branch .LBB46_154
.LBB46_160:                             ;   in Loop: Header=BB46_157 Depth=2
	s_mov_b32 s86, -1
	s_mov_b32 s5, -1
                                        ; implicit-def: $vgpr14_vgpr15
                                        ; implicit-def: $vgpr8_vgpr9
	s_branch .LBB46_156
.LBB46_161:                             ;   in Loop: Header=BB46_32 Depth=1
                                        ; implicit-def: $sgpr16_sgpr17
	s_branch .LBB46_106
.LBB46_162:                             ;   in Loop: Header=BB46_32 Depth=1
                                        ; implicit-def: $sgpr18_sgpr19
	s_branch .LBB46_121
.LBB46_163:                             ;   in Loop: Header=BB46_32 Depth=1
	s_or_b32 exec_lo, exec_lo, s24
	s_wait_alu 0xfffe
	s_and_b32 s5, s85, exec_lo
.LBB46_164:                             ;   in Loop: Header=BB46_32 Depth=1
	s_or_b32 exec_lo, exec_lo, s19
.LBB46_165:                             ;   in Loop: Header=BB46_32 Depth=1
	s_delay_alu instid0(SALU_CYCLE_1)
	s_and_b32 vcc_lo, exec_lo, s18
	s_wait_alu 0xfffe
	s_cbranch_vccz .LBB46_180
; %bb.166:                              ;   in Loop: Header=BB46_32 Depth=1
	s_add_nc_u64 s[16:17], s[14:15], s[74:75]
	s_mov_b32 s18, s25
	s_wait_alu 0xfffe
	s_mov_b32 s19, s17
	s_wait_alu 0xfffe
	s_cmp_lg_u64 s[18:19], 0
	s_cbranch_scc0 .LBB46_210
; %bb.167:                              ;   in Loop: Header=BB46_32 Depth=1
	s_add_nc_u64 s[18:19], s[68:69], 0
	s_wait_alu 0xfffe
	s_xor_b64 s[18:19], s[18:19], 0
	s_wait_alu 0xfffe
	s_cvt_f32_u32 s23, s18
	s_cvt_f32_u32 s24, s19
	s_sub_nc_u64 s[88:89], 0, s[18:19]
	s_wait_alu 0xfffe
	s_delay_alu instid0(SALU_CYCLE_1) | instskip(SKIP_1) | instid1(SALU_CYCLE_2)
	s_fmamk_f32 s23, s24, 0x4f800000, s23
	s_wait_alu 0xfffe
	v_s_rcp_f32 s23, s23
	s_delay_alu instid0(TRANS32_DEP_1) | instskip(SKIP_1) | instid1(SALU_CYCLE_2)
	s_mul_f32 s23, s23, 0x5f7ffffc
	s_wait_alu 0xfffe
	s_mul_f32 s24, s23, 0x2f800000
	s_wait_alu 0xfffe
	s_delay_alu instid0(SALU_CYCLE_2) | instskip(SKIP_1) | instid1(SALU_CYCLE_2)
	s_trunc_f32 s24, s24
	s_wait_alu 0xfffe
	s_fmamk_f32 s23, s24, 0xcf800000, s23
	s_cvt_u32_f32 s87, s24
	s_wait_alu 0xfffe
	s_delay_alu instid0(SALU_CYCLE_1) | instskip(SKIP_1) | instid1(SALU_CYCLE_2)
	s_cvt_u32_f32 s86, s23
	s_wait_alu 0xfffe
	s_mul_u64 s[90:91], s[88:89], s[86:87]
	s_wait_alu 0xfffe
	s_mul_hi_u32 s93, s86, s91
	s_mul_i32 s92, s86, s91
	s_mul_hi_u32 s24, s86, s90
	s_mul_i32 s50, s87, s90
	s_wait_alu 0xfffe
	s_add_nc_u64 s[92:93], s[24:25], s[92:93]
	s_mul_hi_u32 s23, s87, s90
	s_mul_hi_u32 s85, s87, s91
	s_wait_alu 0xfffe
	s_add_co_u32 s24, s92, s50
	s_add_co_ci_u32 s24, s93, s23
	s_mul_i32 s90, s87, s91
	s_add_co_ci_u32 s91, s85, 0
	s_wait_alu 0xfffe
	s_add_nc_u64 s[90:91], s[24:25], s[90:91]
	s_wait_alu 0xfffe
	s_add_co_u32 s86, s86, s90
	s_cselect_b32 s23, -1, 0
	s_wait_alu 0xfffe
	s_cmp_lg_u32 s23, 0
	s_add_co_ci_u32 s87, s87, s91
	s_wait_alu 0xfffe
	s_mul_u64 s[88:89], s[88:89], s[86:87]
	s_wait_alu 0xfffe
	s_mul_hi_u32 s91, s86, s89
	s_mul_i32 s90, s86, s89
	s_mul_hi_u32 s24, s86, s88
	s_mul_i32 s50, s87, s88
	s_wait_alu 0xfffe
	s_add_nc_u64 s[90:91], s[24:25], s[90:91]
	s_mul_hi_u32 s23, s87, s88
	s_mul_hi_u32 s85, s87, s89
	s_wait_alu 0xfffe
	s_add_co_u32 s24, s90, s50
	s_add_co_ci_u32 s24, s91, s23
	s_mul_i32 s88, s87, s89
	s_add_co_ci_u32 s89, s85, 0
	s_wait_alu 0xfffe
	s_add_nc_u64 s[88:89], s[24:25], s[88:89]
	s_wait_alu 0xfffe
	s_add_co_u32 s23, s86, s88
	s_cselect_b32 s24, -1, 0
	s_wait_alu 0xfffe
	s_cmp_lg_u32 s24, 0
	s_add_co_ci_u32 s50, s87, s89
	s_ashr_i32 s86, s17, 31
	s_wait_alu 0xfffe
	s_mov_b32 s87, s86
	s_wait_alu 0xfffe
	s_add_nc_u64 s[88:89], s[16:17], s[86:87]
	s_wait_alu 0xfffe
	s_xor_b64 s[88:89], s[88:89], s[86:87]
	s_wait_alu 0xfffe
	s_mul_hi_u32 s91, s88, s50
	s_mul_i32 s90, s88, s50
	s_mul_hi_u32 s24, s88, s23
	s_mul_hi_u32 s93, s89, s23
	s_mul_i32 s23, s89, s23
	s_wait_alu 0xfffe
	s_add_nc_u64 s[90:91], s[24:25], s[90:91]
	s_mul_hi_u32 s85, s89, s50
	s_wait_alu 0xfffe
	s_add_co_u32 s23, s90, s23
	s_add_co_ci_u32 s24, s91, s93
	s_mul_i32 s92, s89, s50
	s_add_co_ci_u32 s93, s85, 0
	s_wait_alu 0xfffe
	s_add_nc_u64 s[90:91], s[24:25], s[92:93]
	s_wait_alu 0xfffe
	s_mul_u64 s[90:91], s[18:19], s[90:91]
	s_wait_alu 0xfffe
	s_sub_co_u32 s23, s88, s90
	s_cselect_b32 s24, -1, 0
	s_sub_co_i32 s50, s89, s91
	s_wait_alu 0xfffe
	s_cmp_lg_u32 s24, 0
	s_sub_co_ci_u32 s50, s50, s19
	s_sub_co_u32 s85, s23, s18
	s_cselect_b32 s88, -1, 0
	s_wait_alu 0xfffe
	s_cmp_lg_u32 s88, 0
	s_sub_co_ci_u32 s90, s50, 0
	s_wait_alu 0xfffe
	s_cmp_ge_u32 s90, s19
	s_cselect_b32 s92, -1, 0
	s_cmp_ge_u32 s85, s18
	s_cselect_b32 s93, -1, 0
	s_cmp_eq_u32 s90, s19
	s_wait_alu 0xfffe
	s_cselect_b32 s92, s93, s92
	s_cmp_lg_u32 s88, 0
	s_sub_co_ci_u32 s50, s50, s19
	s_sub_co_u32 s88, s85, s18
	s_cselect_b32 s93, -1, 0
	s_wait_alu 0xfffe
	s_cmp_lg_u32 s93, 0
	s_sub_co_ci_u32 s50, s50, 0
	s_cmp_lg_u32 s92, 0
	s_cselect_b32 s85, s88, s85
	s_wait_alu 0xfffe
	s_cselect_b32 s50, s50, s90
	s_cmp_lg_u32 s24, 0
	s_sub_co_ci_u32 s24, s89, s91
	s_wait_alu 0xfffe
	s_cmp_ge_u32 s24, s19
	s_cselect_b32 s88, -1, 0
	s_cmp_ge_u32 s23, s18
	s_cselect_b32 s18, -1, 0
	s_cmp_eq_u32 s24, s19
	s_wait_alu 0xfffe
	s_cselect_b32 s18, s18, s88
	s_wait_alu 0xfffe
	s_cmp_lg_u32 s18, 0
	s_cselect_b32 s19, s50, s24
	s_cselect_b32 s18, s85, s23
	s_wait_alu 0xfffe
	s_xor_b64 s[18:19], s[18:19], s[86:87]
	s_wait_alu 0xfffe
	s_sub_nc_u64 s[18:19], s[18:19], s[86:87]
	s_cbranch_execnz .LBB46_169
.LBB46_168:                             ;   in Loop: Header=BB46_32 Depth=1
	v_cvt_f32_u32_e32 v2, s68
	s_sub_co_i32 s19, 0, s68
	s_delay_alu instid0(VALU_DEP_1) | instskip(NEXT) | instid1(TRANS32_DEP_1)
	v_rcp_iflag_f32_e32 v2, v2
	v_mul_f32_e32 v2, 0x4f7ffffe, v2
	s_delay_alu instid0(VALU_DEP_1) | instskip(NEXT) | instid1(VALU_DEP_1)
	v_cvt_u32_f32_e32 v2, v2
	v_readfirstlane_b32 s18, v2
	s_wait_alu 0xfffe
	s_mul_i32 s19, s19, s18
	s_wait_alu 0xfffe
	s_mul_hi_u32 s19, s18, s19
	s_wait_alu 0xfffe
	s_add_co_i32 s18, s18, s19
	s_wait_alu 0xfffe
	s_mul_hi_u32 s18, s16, s18
	s_wait_alu 0xfffe
	s_mul_i32 s18, s18, s68
	s_wait_alu 0xfffe
	s_sub_co_i32 s18, s16, s18
	s_wait_alu 0xfffe
	s_sub_co_i32 s19, s18, s68
	s_cmp_ge_u32 s18, s68
	s_wait_alu 0xfffe
	s_cselect_b32 s18, s19, s18
	s_wait_alu 0xfffe
	s_sub_co_i32 s19, s18, s68
	s_cmp_ge_u32 s18, s68
	s_wait_alu 0xfffe
	s_cselect_b32 s24, s19, s18
	s_wait_alu 0xfffe
	s_mov_b64 s[18:19], s[24:25]
.LBB46_169:                             ;   in Loop: Header=BB46_32 Depth=1
	s_wait_alu 0xfffe
	s_sub_nc_u64 s[16:17], s[16:17], s[18:19]
	s_mov_b32 s18, exec_lo
                                        ; implicit-def: $vgpr6_vgpr7
	s_wait_alu 0xfffe
	v_cmpx_gt_i64_e64 s[16:17], v[0:1]
	s_cbranch_execz .LBB46_179
; %bb.170:                              ;   in Loop: Header=BB46_32 Depth=1
	v_dual_mov_b32 v14, v44 :: v_dual_mov_b32 v9, v1
	v_mov_b32_e32 v8, v0
	s_mov_b32 s19, 0
                                        ; implicit-def: $sgpr23
	s_branch .LBB46_174
.LBB46_171:                             ;   in Loop: Header=BB46_174 Depth=2
	s_wait_alu 0xfffe
	s_or_b32 exec_lo, exec_lo, s24
	s_wait_loadcnt_dscnt 0x0
	s_barrier_signal -1
	s_barrier_wait -1
	global_inv scope:SCOPE_SE
	ds_load_b128 v[4:7], v19 offset:3072
	s_wait_loadcnt_dscnt 0x0
	s_barrier_signal -1
	s_barrier_wait -1
	global_inv scope:SCOPE_SE
	v_cmp_eq_f64_e32 vcc_lo, 0, v[4:5]
	s_cbranch_vccz .LBB46_177
; %bb.172:                              ;   in Loop: Header=BB46_174 Depth=2
	v_add_co_u32 v8, vcc_lo, v8, s68
	s_wait_alu 0xfffd
	v_add_co_ci_u32_e64 v9, null, 0, v9, vcc_lo
	v_add_nc_u32_e32 v14, s58, v14
	s_mov_b32 s24, 0
	s_delay_alu instid0(VALU_DEP_2)
	v_cmp_le_i64_e32 vcc_lo, s[16:17], v[8:9]
	s_or_not1_b32 s50, vcc_lo, exec_lo
.LBB46_173:                             ;   in Loop: Header=BB46_174 Depth=2
	s_wait_alu 0xfffe
	s_and_b32 s50, exec_lo, s50
	s_wait_alu 0xfffe
	s_or_b32 s19, s50, s19
	s_and_not1_b32 s23, s23, exec_lo
	s_and_b32 s24, s24, exec_lo
	s_wait_alu 0xfffe
	s_or_b32 s23, s23, s24
	s_and_not1_b32 exec_lo, exec_lo, s19
	s_cbranch_execz .LBB46_178
.LBB46_174:                             ;   Parent Loop BB46_32 Depth=1
                                        ; =>  This Inner Loop Header: Depth=2
	s_mov_b32 s24, exec_lo
	s_delay_alu instid0(VALU_DEP_1)
	v_cmpx_gt_u64_e64 s[14:15], v[8:9]
	s_cbranch_execz .LBB46_171
; %bb.175:                              ;   in Loop: Header=BB46_174 Depth=2
	ds_load_b64 v[4:5], v14
	s_wait_dscnt 0x0
	v_cmp_o_f64_e32 vcc_lo, v[4:5], v[4:5]
	v_ashrrev_i32_e32 v2, 31, v5
	s_delay_alu instid0(VALU_DEP_1) | instskip(SKIP_1) | instid1(VALU_DEP_2)
	v_or_b32_e32 v6, 0x80000000, v2
	v_xor_b32_e32 v2, v2, v4
	v_xor_b32_e32 v6, v6, v5
	s_wait_alu 0xfffd
	s_delay_alu instid0(VALU_DEP_1) | instskip(NEXT) | instid1(VALU_DEP_3)
	v_cndmask_b32_e32 v6, -1, v6, vcc_lo
	v_cndmask_b32_e32 v2, -1, v2, vcc_lo
	s_delay_alu instid0(VALU_DEP_2) | instskip(NEXT) | instid1(VALU_DEP_2)
	v_and_b32_e32 v7, v6, v34
	v_and_b32_e32 v6, v2, v33
	s_delay_alu instid0(VALU_DEP_1)
	v_cmp_eq_u64_e32 vcc_lo, v[6:7], v[29:30]
	s_and_b32 exec_lo, exec_lo, vcc_lo
	s_cbranch_execz .LBB46_171
; %bb.176:                              ;   in Loop: Header=BB46_174 Depth=2
	v_mov_b32_e32 v2, v19
	ds_store_b128 v19, v[2:5] offset:3072
	s_branch .LBB46_171
.LBB46_177:                             ;   in Loop: Header=BB46_174 Depth=2
	s_mov_b32 s50, -1
	s_mov_b32 s24, -1
                                        ; implicit-def: $vgpr8_vgpr9
                                        ; implicit-def: $vgpr14
	s_branch .LBB46_173
.LBB46_178:                             ;   in Loop: Header=BB46_32 Depth=1
	s_or_b32 exec_lo, exec_lo, s19
	s_delay_alu instid0(SALU_CYCLE_1)
	s_and_not1_b32 s5, s5, exec_lo
	s_wait_alu 0xfffe
	s_and_b32 s14, s23, exec_lo
	s_wait_alu 0xfffe
	s_or_b32 s5, s5, s14
.LBB46_179:                             ;   in Loop: Header=BB46_32 Depth=1
	s_or_b32 exec_lo, exec_lo, s18
	s_mov_b32 s23, 0
	s_mov_b32 s50, -1
.LBB46_180:                             ;   in Loop: Header=BB46_32 Depth=1
	s_wait_alu 0xfffe
	s_or_not1_b32 s5, s5, exec_lo
.LBB46_181:                             ;   in Loop: Header=BB46_32 Depth=1
	s_wait_alu 0xfffe
	s_or_b32 exec_lo, exec_lo, s51
	s_mov_b32 s14, 0
	s_and_saveexec_b32 s51, s5
	s_cbranch_execz .LBB46_291
; %bb.182:                              ;   in Loop: Header=BB46_32 Depth=1
	v_dual_mov_b32 v8, 1 :: v_dual_mov_b32 v37, 1
	v_mov_b32_e32 v9, 0
	s_xor_b32 s15, s84, -1
	s_wait_alu 0xfffe
	s_and_saveexec_b32 s5, s15
	s_cbranch_execz .LBB46_192
; %bb.183:                              ;   in Loop: Header=BB46_32 Depth=1
	s_mov_b32 s14, exec_lo
	v_cmpx_le_i64_e64 v[12:13], v[10:11]
	s_wait_alu 0xfffe
	s_xor_b32 s14, exec_lo, s14
	s_cbranch_execz .LBB46_189
; %bb.184:                              ;   in Loop: Header=BB46_32 Depth=1
	ds_load_b64 v[4:5], v19 offset:5120
	v_and_b32_e32 v2, s13, v30
	v_and_b32_e32 v8, s12, v29
	s_lshl_b64 s[16:17], 1, s59
	v_or_b32_e32 v34, s9, v34
	v_or_b32_e32 v33, s8, v33
	s_wait_alu 0xfffe
	v_or_b32_e32 v30, s17, v2
	v_or_b32_e32 v29, s16, v8
	s_wait_dscnt 0x0
	v_cmp_ne_u64_e32 vcc_lo, 0, v[4:5]
	s_cbranch_vccnz .LBB46_188
; %bb.185:                              ;   in Loop: Header=BB46_32 Depth=1
	s_and_saveexec_b32 s15, s2
; %bb.186:                              ;   in Loop: Header=BB46_32 Depth=1
	ds_store_b64 v19, v[10:11] offset:5128
; %bb.187:                              ;   in Loop: Header=BB46_32 Depth=1
	s_wait_alu 0xfffe
	s_or_b32 exec_lo, exec_lo, s15
	s_wait_loadcnt_dscnt 0x0
	s_barrier_signal -1
	s_barrier_wait -1
	global_inv scope:SCOPE_SE
.LBB46_188:                             ;   in Loop: Header=BB46_32 Depth=1
                                        ; implicit-def: $vgpr8_vgpr9_vgpr10_vgpr11
.LBB46_189:                             ;   in Loop: Header=BB46_32 Depth=1
	s_wait_alu 0xfffe
	s_or_saveexec_b32 s14, s14
	v_mov_b32_e32 v37, 8
	s_mov_b32 s15, 0
	s_wait_alu 0xfffe
	s_xor_b32 exec_lo, exec_lo, s14
; %bb.190:                              ;   in Loop: Header=BB46_32 Depth=1
	v_sub_co_u32 v12, vcc_lo, v12, v10
	s_wait_alu 0xfffd
	v_sub_co_ci_u32_e64 v13, null, v13, v11, vcc_lo
	v_mov_b32_e32 v37, 0
	s_mov_b32 s15, exec_lo
; %bb.191:                              ;   in Loop: Header=BB46_32 Depth=1
	s_or_b32 exec_lo, exec_lo, s14
	s_delay_alu instid0(VALU_DEP_2)
	v_dual_mov_b32 v8, v12 :: v_dual_mov_b32 v9, v13
	s_wait_alu 0xfffe
	s_and_b32 s14, s15, exec_lo
.LBB46_192:                             ;   in Loop: Header=BB46_32 Depth=1
	s_wait_alu 0xfffe
	s_or_b32 exec_lo, exec_lo, s5
	s_mov_b32 s5, -1
                                        ; implicit-def: $sgpr18
                                        ; implicit-def: $sgpr19
	s_and_saveexec_b32 s84, s14
	s_cbranch_execz .LBB46_290
; %bb.193:                              ;   in Loop: Header=BB46_32 Depth=1
	v_cmp_eq_u64_e32 vcc_lo, 1, v[8:9]
	s_cmp_eq_u64 s[10:11], 1
                                        ; implicit-def: $sgpr19
                                        ; implicit-def: $sgpr18
	s_cselect_b32 s5, -1, 0
	s_wait_alu 0xfffe
	s_and_b32 s85, s5, vcc_lo
	s_mov_b32 s5, -1
	s_wait_alu 0xfffe
	s_and_saveexec_b32 s86, s85
	s_cbranch_execz .LBB46_229
; %bb.194:                              ;   in Loop: Header=BB46_32 Depth=1
	ds_load_b64 v[4:5], v19 offset:5120
	s_wait_loadcnt_dscnt 0x0
	s_barrier_signal -1
	s_barrier_wait -1
	global_inv scope:SCOPE_SE
	v_readfirstlane_b32 s14, v4
	v_readfirstlane_b32 s15, v5
	s_and_saveexec_b32 s5, s3
; %bb.195:                              ;   in Loop: Header=BB46_32 Depth=1
	v_mov_b32_e32 v18, v19
	ds_store_b64 v45, v[18:19]
; %bb.196:                              ;   in Loop: Header=BB46_32 Depth=1
	s_wait_alu 0xfffe
	s_or_b32 exec_lo, exec_lo, s5
	v_and_b32_e32 v2, s13, v30
	v_and_b32_e32 v4, s12, v29
	v_cmp_gt_i64_e64 s5, s[14:15], 0
	s_lshl_b64 s[16:17], 2, s59
	v_or_b32_e32 v34, s9, v34
	s_wait_alu 0xfffe
	v_or_b32_e32 v30, s17, v2
	v_or_b32_e32 v29, s16, v4
	v_or_b32_e32 v33, s8, v33
	s_mov_b32 s18, -1
	s_mov_b32 s19, 0
	s_and_b32 vcc_lo, exec_lo, s5
	s_mov_b32 s5, 0
	s_mov_b32 s24, -1
	s_wait_loadcnt_dscnt 0x0
	s_barrier_signal -1
	s_barrier_wait -1
	global_inv scope:SCOPE_SE
                                        ; implicit-def: $vgpr6_vgpr7
	s_wait_alu 0xfffe
	s_cbranch_vccnz .LBB46_213
; %bb.197:                              ;   in Loop: Header=BB46_32 Depth=1
	s_mov_b32 s16, s25
	s_mov_b32 s17, s77
	s_wait_alu 0xfffe
	s_cmp_lg_u64 s[16:17], 0
	s_cbranch_scc0 .LBB46_256
; %bb.198:                              ;   in Loop: Header=BB46_32 Depth=1
	s_add_nc_u64 s[16:17], s[68:69], 0
	s_wait_alu 0xfffe
	s_xor_b64 s[16:17], s[16:17], 0
	s_wait_alu 0xfffe
	s_cvt_f32_u32 s5, s16
	s_cvt_f32_u32 s24, s17
	s_sub_nc_u64 s[90:91], 0, s[16:17]
	s_wait_alu 0xfffe
	s_delay_alu instid0(SALU_CYCLE_1) | instskip(SKIP_1) | instid1(SALU_CYCLE_2)
	s_fmamk_f32 s5, s24, 0x4f800000, s5
	s_wait_alu 0xfffe
	v_s_rcp_f32 s5, s5
	s_delay_alu instid0(TRANS32_DEP_1) | instskip(SKIP_1) | instid1(SALU_CYCLE_2)
	s_mul_f32 s5, s5, 0x5f7ffffc
	s_wait_alu 0xfffe
	s_mul_f32 s24, s5, 0x2f800000
	s_wait_alu 0xfffe
	s_delay_alu instid0(SALU_CYCLE_2) | instskip(SKIP_1) | instid1(SALU_CYCLE_2)
	s_trunc_f32 s24, s24
	s_wait_alu 0xfffe
	s_fmamk_f32 s5, s24, 0xcf800000, s5
	s_cvt_u32_f32 s89, s24
	s_wait_alu 0xfffe
	s_delay_alu instid0(SALU_CYCLE_1) | instskip(SKIP_1) | instid1(SALU_CYCLE_2)
	s_cvt_u32_f32 s88, s5
	s_wait_alu 0xfffe
	s_mul_u64 s[92:93], s[90:91], s[88:89]
	s_wait_alu 0xfffe
	s_mul_hi_u32 s95, s88, s93
	s_mul_i32 s94, s88, s93
	s_mul_hi_u32 s24, s88, s92
	s_mul_i32 s87, s89, s92
	s_wait_alu 0xfffe
	s_add_nc_u64 s[94:95], s[24:25], s[94:95]
	s_mul_hi_u32 s5, s89, s92
	s_mul_hi_u32 s96, s89, s93
	s_wait_alu 0xfffe
	s_add_co_u32 s24, s94, s87
	s_add_co_ci_u32 s24, s95, s5
	s_mul_i32 s92, s89, s93
	s_add_co_ci_u32 s93, s96, 0
	s_wait_alu 0xfffe
	s_add_nc_u64 s[92:93], s[24:25], s[92:93]
	s_wait_alu 0xfffe
	s_add_co_u32 s88, s88, s92
	s_cselect_b32 s5, -1, 0
	s_wait_alu 0xfffe
	s_cmp_lg_u32 s5, 0
	s_add_co_ci_u32 s89, s89, s93
	s_wait_alu 0xfffe
	s_mul_u64 s[90:91], s[90:91], s[88:89]
	s_wait_alu 0xfffe
	s_mul_hi_u32 s93, s88, s91
	s_mul_i32 s92, s88, s91
	s_mul_hi_u32 s24, s88, s90
	s_mul_i32 s87, s89, s90
	s_wait_alu 0xfffe
	s_add_nc_u64 s[92:93], s[24:25], s[92:93]
	s_mul_hi_u32 s5, s89, s90
	s_mul_hi_u32 s94, s89, s91
	s_wait_alu 0xfffe
	s_add_co_u32 s24, s92, s87
	s_add_co_ci_u32 s24, s93, s5
	s_mul_i32 s90, s89, s91
	s_add_co_ci_u32 s91, s94, 0
	s_wait_alu 0xfffe
	s_add_nc_u64 s[90:91], s[24:25], s[90:91]
	s_wait_alu 0xfffe
	s_add_co_u32 s5, s88, s90
	s_cselect_b32 s24, -1, 0
	s_wait_alu 0xfffe
	s_cmp_lg_u32 s24, 0
	s_add_co_ci_u32 s87, s89, s91
	s_ashr_i32 s88, s77, 31
	s_wait_alu 0xfffe
	s_mov_b32 s89, s88
	s_wait_alu 0xfffe
	s_add_nc_u64 s[90:91], s[76:77], s[88:89]
	s_wait_alu 0xfffe
	s_xor_b64 s[90:91], s[90:91], s[88:89]
	s_wait_alu 0xfffe
	s_mul_hi_u32 s93, s90, s87
	s_mul_i32 s92, s90, s87
	s_mul_hi_u32 s24, s90, s5
	s_mul_hi_u32 s96, s91, s5
	s_mul_i32 s5, s91, s5
	s_wait_alu 0xfffe
	s_add_nc_u64 s[92:93], s[24:25], s[92:93]
	s_mul_hi_u32 s95, s91, s87
	s_wait_alu 0xfffe
	s_add_co_u32 s5, s92, s5
	s_add_co_ci_u32 s24, s93, s96
	s_mul_i32 s94, s91, s87
	s_add_co_ci_u32 s95, s95, 0
	s_wait_alu 0xfffe
	s_add_nc_u64 s[92:93], s[24:25], s[94:95]
	s_wait_alu 0xfffe
	s_mul_u64 s[92:93], s[16:17], s[92:93]
	s_wait_alu 0xfffe
	s_sub_co_u32 s5, s90, s92
	s_cselect_b32 s24, -1, 0
	s_sub_co_i32 s87, s91, s93
	s_wait_alu 0xfffe
	s_cmp_lg_u32 s24, 0
	s_sub_co_ci_u32 s87, s87, s17
	s_sub_co_u32 s90, s5, s16
	s_cselect_b32 s92, -1, 0
	s_wait_alu 0xfffe
	s_cmp_lg_u32 s92, 0
	s_sub_co_ci_u32 s94, s87, 0
	s_wait_alu 0xfffe
	s_cmp_ge_u32 s94, s17
	s_cselect_b32 s95, -1, 0
	s_cmp_ge_u32 s90, s16
	s_cselect_b32 s96, -1, 0
	s_cmp_eq_u32 s94, s17
	s_wait_alu 0xfffe
	s_cselect_b32 s95, s96, s95
	s_cmp_lg_u32 s92, 0
	s_sub_co_ci_u32 s87, s87, s17
	s_sub_co_u32 s92, s90, s16
	s_cselect_b32 s96, -1, 0
	s_wait_alu 0xfffe
	s_cmp_lg_u32 s96, 0
	s_sub_co_ci_u32 s87, s87, 0
	s_cmp_lg_u32 s95, 0
	s_cselect_b32 s90, s92, s90
	s_wait_alu 0xfffe
	s_cselect_b32 s87, s87, s94
	s_cmp_lg_u32 s24, 0
	s_sub_co_ci_u32 s24, s91, s93
	s_wait_alu 0xfffe
	s_cmp_ge_u32 s24, s17
	s_cselect_b32 s91, -1, 0
	s_cmp_ge_u32 s5, s16
	s_cselect_b32 s16, -1, 0
	s_cmp_eq_u32 s24, s17
	s_wait_alu 0xfffe
	s_cselect_b32 s16, s16, s91
	s_wait_alu 0xfffe
	s_cmp_lg_u32 s16, 0
	s_cselect_b32 s17, s87, s24
	s_cselect_b32 s16, s90, s5
	s_wait_alu 0xfffe
	s_xor_b64 s[16:17], s[16:17], s[88:89]
	s_wait_alu 0xfffe
	s_sub_nc_u64 s[16:17], s[16:17], s[88:89]
	s_cbranch_execnz .LBB46_200
.LBB46_199:                             ;   in Loop: Header=BB46_32 Depth=1
	v_cvt_f32_u32_e32 v2, s68
	s_sub_co_i32 s16, 0, s68
	s_delay_alu instid0(VALU_DEP_1) | instskip(NEXT) | instid1(TRANS32_DEP_1)
	v_rcp_iflag_f32_e32 v2, v2
	v_mul_f32_e32 v2, 0x4f7ffffe, v2
	s_delay_alu instid0(VALU_DEP_1) | instskip(NEXT) | instid1(VALU_DEP_1)
	v_cvt_u32_f32_e32 v2, v2
	v_readfirstlane_b32 s5, v2
	s_wait_alu 0xfffe
	s_mul_i32 s16, s16, s5
	s_wait_alu 0xfffe
	s_mul_hi_u32 s16, s5, s16
	s_wait_alu 0xfffe
	s_add_co_i32 s5, s5, s16
	s_wait_alu 0xfffe
	s_mul_hi_u32 s5, s76, s5
	s_wait_alu 0xfffe
	s_mul_i32 s5, s5, s68
	s_wait_alu 0xfffe
	s_sub_co_i32 s5, s76, s5
	s_wait_alu 0xfffe
	s_sub_co_i32 s16, s5, s68
	s_cmp_ge_u32 s5, s68
	s_wait_alu 0xfffe
	s_cselect_b32 s5, s16, s5
	s_wait_alu 0xfffe
	s_sub_co_i32 s16, s5, s68
	s_cmp_ge_u32 s5, s68
	s_wait_alu 0xfffe
	s_cselect_b32 s24, s16, s5
	s_wait_alu 0xfffe
	s_mov_b64 s[16:17], s[24:25]
.LBB46_200:                             ;   in Loop: Header=BB46_32 Depth=1
	s_wait_alu 0xfffe
	s_sub_nc_u64 s[16:17], s[76:77], s[16:17]
	s_mov_b32 s24, 0
	s_mov_b32 s5, 0
	s_mov_b32 s87, exec_lo
                                        ; implicit-def: $vgpr6_vgpr7
	s_wait_alu 0xfffe
	v_cmpx_gt_i64_e64 s[16:17], v[0:1]
	s_cbranch_execz .LBB46_212
; %bb.201:                              ;   in Loop: Header=BB46_32 Depth=1
	v_dual_mov_b32 v10, v16 :: v_dual_mov_b32 v11, v17
	v_dual_mov_b32 v13, v1 :: v_dual_mov_b32 v12, v0
	s_mov_b32 s88, 0
                                        ; implicit-def: $sgpr89
	s_branch .LBB46_205
.LBB46_202:                             ;   in Loop: Header=BB46_205 Depth=2
	s_wait_alu 0xfffe
	s_or_b32 exec_lo, exec_lo, s5
	s_wait_loadcnt_dscnt 0x0
	s_barrier_signal -1
	s_barrier_wait -1
	global_inv scope:SCOPE_SE
	ds_load_b128 v[4:7], v19 offset:3072
	s_wait_loadcnt_dscnt 0x0
	s_barrier_signal -1
	s_barrier_wait -1
	global_inv scope:SCOPE_SE
	v_cmp_neq_f64_e32 vcc_lo, 0, v[4:5]
	s_cbranch_vccnz .LBB46_208
; %bb.203:                              ;   in Loop: Header=BB46_205 Depth=2
	v_add_co_u32 v12, vcc_lo, v12, s68
	s_wait_alu 0xfffd
	v_add_co_ci_u32_e64 v13, null, 0, v13, vcc_lo
	v_add_co_u32 v10, s5, v10, s70
	s_wait_alu 0xf1ff
	v_add_co_ci_u32_e64 v11, null, s71, v11, s5
	s_delay_alu instid0(VALU_DEP_3)
	v_cmp_le_i64_e32 vcc_lo, s[16:17], v[12:13]
	s_mov_b32 s5, 0
	s_or_not1_b32 s90, vcc_lo, exec_lo
.LBB46_204:                             ;   in Loop: Header=BB46_205 Depth=2
	s_wait_alu 0xfffe
	s_and_b32 s90, exec_lo, s90
	s_wait_alu 0xfffe
	s_or_b32 s88, s90, s88
	s_and_not1_b32 s89, s89, exec_lo
	s_and_b32 s5, s5, exec_lo
	s_wait_alu 0xfffe
	s_or_b32 s89, s89, s5
	s_and_not1_b32 exec_lo, exec_lo, s88
	s_cbranch_execz .LBB46_211
.LBB46_205:                             ;   Parent Loop BB46_32 Depth=1
                                        ; =>  This Inner Loop Header: Depth=2
	s_mov_b32 s5, exec_lo
	s_delay_alu instid0(VALU_DEP_1)
	v_cmpx_gt_i64_e64 s[36:37], v[12:13]
	s_cbranch_execz .LBB46_202
; %bb.206:                              ;   in Loop: Header=BB46_205 Depth=2
	global_load_b64 v[4:5], v[10:11], off
	s_wait_loadcnt 0x0
	v_cmp_o_f64_e32 vcc_lo, v[4:5], v[4:5]
	v_ashrrev_i32_e32 v2, 31, v5
	s_delay_alu instid0(VALU_DEP_1) | instskip(SKIP_1) | instid1(VALU_DEP_2)
	v_or_b32_e32 v6, 0x80000000, v2
	v_xor_b32_e32 v2, v2, v4
	v_xor_b32_e32 v6, v6, v5
	s_wait_alu 0xfffd
	s_delay_alu instid0(VALU_DEP_1) | instskip(NEXT) | instid1(VALU_DEP_3)
	v_cndmask_b32_e32 v6, -1, v6, vcc_lo
	v_cndmask_b32_e32 v2, -1, v2, vcc_lo
	s_delay_alu instid0(VALU_DEP_2) | instskip(NEXT) | instid1(VALU_DEP_2)
	v_and_b32_e32 v7, v6, v34
	v_and_b32_e32 v6, v2, v33
	s_delay_alu instid0(VALU_DEP_1)
	v_cmp_eq_u64_e32 vcc_lo, v[6:7], v[29:30]
	s_and_b32 exec_lo, exec_lo, vcc_lo
	s_cbranch_execz .LBB46_202
; %bb.207:                              ;   in Loop: Header=BB46_205 Depth=2
	v_mov_b32_e32 v2, v19
	ds_store_b128 v19, v[2:5] offset:3072
	s_branch .LBB46_202
.LBB46_208:                             ;   in Loop: Header=BB46_205 Depth=2
	s_mov_b32 s90, -1
	s_mov_b32 s5, -1
                                        ; implicit-def: $vgpr12_vgpr13
                                        ; implicit-def: $vgpr10_vgpr11
	s_branch .LBB46_204
.LBB46_209:                             ;   in Loop: Header=BB46_32 Depth=1
                                        ; implicit-def: $sgpr16_sgpr17
	s_branch .LBB46_151
.LBB46_210:                             ;   in Loop: Header=BB46_32 Depth=1
                                        ; implicit-def: $sgpr18_sgpr19
	s_branch .LBB46_168
.LBB46_211:                             ;   in Loop: Header=BB46_32 Depth=1
	s_or_b32 exec_lo, exec_lo, s88
	s_wait_alu 0xfffe
	s_and_b32 s5, s89, exec_lo
.LBB46_212:                             ;   in Loop: Header=BB46_32 Depth=1
	s_or_b32 exec_lo, exec_lo, s87
.LBB46_213:                             ;   in Loop: Header=BB46_32 Depth=1
	s_delay_alu instid0(SALU_CYCLE_1)
	s_and_b32 vcc_lo, exec_lo, s24
	s_wait_alu 0xfffe
	s_cbranch_vccz .LBB46_228
; %bb.214:                              ;   in Loop: Header=BB46_32 Depth=1
	s_add_nc_u64 s[16:17], s[14:15], s[74:75]
	s_mov_b32 s18, s25
	s_wait_alu 0xfffe
	s_mov_b32 s19, s17
	s_wait_alu 0xfffe
	s_cmp_lg_u64 s[18:19], 0
	s_cbranch_scc0 .LBB46_257
; %bb.215:                              ;   in Loop: Header=BB46_32 Depth=1
	s_add_nc_u64 s[18:19], s[68:69], 0
	s_wait_alu 0xfffe
	s_xor_b64 s[18:19], s[18:19], 0
	s_wait_alu 0xfffe
	s_cvt_f32_u32 s24, s18
	s_cvt_f32_u32 s87, s19
	s_sub_nc_u64 s[90:91], 0, s[18:19]
	s_wait_alu 0xfffe
	s_delay_alu instid0(SALU_CYCLE_1) | instskip(SKIP_1) | instid1(SALU_CYCLE_2)
	s_fmamk_f32 s24, s87, 0x4f800000, s24
	s_wait_alu 0xfffe
	v_s_rcp_f32 s24, s24
	s_delay_alu instid0(TRANS32_DEP_1) | instskip(SKIP_1) | instid1(SALU_CYCLE_2)
	s_mul_f32 s24, s24, 0x5f7ffffc
	s_wait_alu 0xfffe
	s_mul_f32 s87, s24, 0x2f800000
	s_wait_alu 0xfffe
	s_delay_alu instid0(SALU_CYCLE_2) | instskip(SKIP_1) | instid1(SALU_CYCLE_2)
	s_trunc_f32 s87, s87
	s_wait_alu 0xfffe
	s_fmamk_f32 s24, s87, 0xcf800000, s24
	s_cvt_u32_f32 s89, s87
	s_wait_alu 0xfffe
	s_delay_alu instid0(SALU_CYCLE_1) | instskip(SKIP_1) | instid1(SALU_CYCLE_2)
	s_cvt_u32_f32 s88, s24
	s_wait_alu 0xfffe
	s_mul_u64 s[92:93], s[90:91], s[88:89]
	s_wait_alu 0xfffe
	s_mul_hi_u32 s95, s88, s93
	s_mul_i32 s94, s88, s93
	s_mul_hi_u32 s24, s88, s92
	s_mul_i32 s96, s89, s92
	s_wait_alu 0xfffe
	s_add_nc_u64 s[94:95], s[24:25], s[94:95]
	s_mul_hi_u32 s87, s89, s92
	s_mul_hi_u32 s97, s89, s93
	s_wait_alu 0xfffe
	s_add_co_u32 s24, s94, s96
	s_add_co_ci_u32 s24, s95, s87
	s_mul_i32 s92, s89, s93
	s_add_co_ci_u32 s93, s97, 0
	s_wait_alu 0xfffe
	s_add_nc_u64 s[92:93], s[24:25], s[92:93]
	s_wait_alu 0xfffe
	s_add_co_u32 s88, s88, s92
	s_cselect_b32 s24, -1, 0
	s_wait_alu 0xfffe
	s_cmp_lg_u32 s24, 0
	s_add_co_ci_u32 s89, s89, s93
	s_wait_alu 0xfffe
	s_mul_u64 s[90:91], s[90:91], s[88:89]
	s_wait_alu 0xfffe
	s_mul_hi_u32 s93, s88, s91
	s_mul_i32 s92, s88, s91
	s_mul_hi_u32 s24, s88, s90
	s_mul_i32 s94, s89, s90
	s_wait_alu 0xfffe
	s_add_nc_u64 s[92:93], s[24:25], s[92:93]
	s_mul_hi_u32 s87, s89, s90
	s_mul_hi_u32 s95, s89, s91
	s_wait_alu 0xfffe
	s_add_co_u32 s24, s92, s94
	s_add_co_ci_u32 s24, s93, s87
	s_mul_i32 s90, s89, s91
	s_add_co_ci_u32 s91, s95, 0
	s_wait_alu 0xfffe
	s_add_nc_u64 s[90:91], s[24:25], s[90:91]
	s_wait_alu 0xfffe
	s_add_co_u32 s87, s88, s90
	s_cselect_b32 s24, -1, 0
	s_wait_alu 0xfffe
	s_cmp_lg_u32 s24, 0
	s_add_co_ci_u32 s94, s89, s91
	s_ashr_i32 s88, s17, 31
	s_wait_alu 0xfffe
	s_mov_b32 s89, s88
	s_wait_alu 0xfffe
	s_add_nc_u64 s[90:91], s[16:17], s[88:89]
	s_wait_alu 0xfffe
	s_xor_b64 s[90:91], s[90:91], s[88:89]
	s_wait_alu 0xfffe
	s_mul_hi_u32 s93, s90, s94
	s_mul_i32 s92, s90, s94
	s_mul_hi_u32 s24, s90, s87
	s_mul_hi_u32 s96, s91, s87
	s_mul_i32 s87, s91, s87
	s_wait_alu 0xfffe
	s_add_nc_u64 s[92:93], s[24:25], s[92:93]
	s_mul_hi_u32 s95, s91, s94
	s_wait_alu 0xfffe
	s_add_co_u32 s24, s92, s87
	s_add_co_ci_u32 s24, s93, s96
	s_mul_i32 s94, s91, s94
	s_add_co_ci_u32 s95, s95, 0
	s_wait_alu 0xfffe
	s_add_nc_u64 s[92:93], s[24:25], s[94:95]
	s_wait_alu 0xfffe
	s_mul_u64 s[92:93], s[18:19], s[92:93]
	s_wait_alu 0xfffe
	s_sub_co_u32 s24, s90, s92
	s_cselect_b32 s87, -1, 0
	s_sub_co_i32 s90, s91, s93
	s_wait_alu 0xfffe
	s_cmp_lg_u32 s87, 0
	s_sub_co_ci_u32 s90, s90, s19
	s_sub_co_u32 s92, s24, s18
	s_cselect_b32 s94, -1, 0
	s_wait_alu 0xfffe
	s_cmp_lg_u32 s94, 0
	s_sub_co_ci_u32 s95, s90, 0
	s_wait_alu 0xfffe
	s_cmp_ge_u32 s95, s19
	s_cselect_b32 s96, -1, 0
	s_cmp_ge_u32 s92, s18
	s_cselect_b32 s97, -1, 0
	s_cmp_eq_u32 s95, s19
	s_wait_alu 0xfffe
	s_cselect_b32 s96, s97, s96
	s_cmp_lg_u32 s94, 0
	s_sub_co_ci_u32 s90, s90, s19
	s_sub_co_u32 s94, s92, s18
	s_cselect_b32 s97, -1, 0
	s_wait_alu 0xfffe
	s_cmp_lg_u32 s97, 0
	s_sub_co_ci_u32 s90, s90, 0
	s_cmp_lg_u32 s96, 0
	s_cselect_b32 s92, s94, s92
	s_wait_alu 0xfffe
	s_cselect_b32 s90, s90, s95
	s_cmp_lg_u32 s87, 0
	s_sub_co_ci_u32 s87, s91, s93
	s_wait_alu 0xfffe
	s_cmp_ge_u32 s87, s19
	s_cselect_b32 s91, -1, 0
	s_cmp_ge_u32 s24, s18
	s_cselect_b32 s18, -1, 0
	s_cmp_eq_u32 s87, s19
	s_wait_alu 0xfffe
	s_cselect_b32 s18, s18, s91
	s_wait_alu 0xfffe
	s_cmp_lg_u32 s18, 0
	s_cselect_b32 s19, s90, s87
	s_cselect_b32 s18, s92, s24
	s_wait_alu 0xfffe
	s_xor_b64 s[18:19], s[18:19], s[88:89]
	s_wait_alu 0xfffe
	s_sub_nc_u64 s[18:19], s[18:19], s[88:89]
	s_cbranch_execnz .LBB46_217
.LBB46_216:                             ;   in Loop: Header=BB46_32 Depth=1
	v_cvt_f32_u32_e32 v2, s68
	s_sub_co_i32 s19, 0, s68
	s_delay_alu instid0(VALU_DEP_1) | instskip(NEXT) | instid1(TRANS32_DEP_1)
	v_rcp_iflag_f32_e32 v2, v2
	v_mul_f32_e32 v2, 0x4f7ffffe, v2
	s_delay_alu instid0(VALU_DEP_1) | instskip(NEXT) | instid1(VALU_DEP_1)
	v_cvt_u32_f32_e32 v2, v2
	v_readfirstlane_b32 s18, v2
	s_wait_alu 0xfffe
	s_mul_i32 s19, s19, s18
	s_wait_alu 0xfffe
	s_mul_hi_u32 s19, s18, s19
	s_wait_alu 0xfffe
	s_add_co_i32 s18, s18, s19
	s_wait_alu 0xfffe
	s_mul_hi_u32 s18, s16, s18
	s_wait_alu 0xfffe
	s_mul_i32 s18, s18, s68
	s_wait_alu 0xfffe
	s_sub_co_i32 s18, s16, s18
	s_wait_alu 0xfffe
	s_sub_co_i32 s19, s18, s68
	s_cmp_ge_u32 s18, s68
	s_wait_alu 0xfffe
	s_cselect_b32 s18, s19, s18
	s_wait_alu 0xfffe
	s_sub_co_i32 s19, s18, s68
	s_cmp_ge_u32 s18, s68
	s_wait_alu 0xfffe
	s_cselect_b32 s24, s19, s18
	s_wait_alu 0xfffe
	s_mov_b64 s[18:19], s[24:25]
.LBB46_217:                             ;   in Loop: Header=BB46_32 Depth=1
	s_wait_alu 0xfffe
	s_sub_nc_u64 s[16:17], s[16:17], s[18:19]
	s_mov_b32 s18, exec_lo
                                        ; implicit-def: $vgpr6_vgpr7
	s_wait_alu 0xfffe
	v_cmpx_gt_i64_e64 s[16:17], v[0:1]
	s_cbranch_execz .LBB46_227
; %bb.218:                              ;   in Loop: Header=BB46_32 Depth=1
	v_dual_mov_b32 v12, v44 :: v_dual_mov_b32 v11, v1
	v_mov_b32_e32 v10, v0
	s_mov_b32 s19, 0
                                        ; implicit-def: $sgpr24
	s_branch .LBB46_222
.LBB46_219:                             ;   in Loop: Header=BB46_222 Depth=2
	s_wait_alu 0xfffe
	s_or_b32 exec_lo, exec_lo, s87
	s_wait_loadcnt_dscnt 0x0
	s_barrier_signal -1
	s_barrier_wait -1
	global_inv scope:SCOPE_SE
	ds_load_b128 v[4:7], v19 offset:3072
	s_wait_loadcnt_dscnt 0x0
	s_barrier_signal -1
	s_barrier_wait -1
	global_inv scope:SCOPE_SE
	v_cmp_eq_f64_e32 vcc_lo, 0, v[4:5]
	s_cbranch_vccz .LBB46_225
; %bb.220:                              ;   in Loop: Header=BB46_222 Depth=2
	v_add_co_u32 v10, vcc_lo, v10, s68
	s_wait_alu 0xfffd
	v_add_co_ci_u32_e64 v11, null, 0, v11, vcc_lo
	v_add_nc_u32_e32 v12, s58, v12
	s_mov_b32 s87, 0
	s_delay_alu instid0(VALU_DEP_2)
	v_cmp_le_i64_e32 vcc_lo, s[16:17], v[10:11]
	s_or_not1_b32 s88, vcc_lo, exec_lo
.LBB46_221:                             ;   in Loop: Header=BB46_222 Depth=2
	s_wait_alu 0xfffe
	s_and_b32 s88, exec_lo, s88
	s_wait_alu 0xfffe
	s_or_b32 s19, s88, s19
	s_and_not1_b32 s24, s24, exec_lo
	s_and_b32 s87, s87, exec_lo
	s_wait_alu 0xfffe
	s_or_b32 s24, s24, s87
	s_and_not1_b32 exec_lo, exec_lo, s19
	s_cbranch_execz .LBB46_226
.LBB46_222:                             ;   Parent Loop BB46_32 Depth=1
                                        ; =>  This Inner Loop Header: Depth=2
	s_mov_b32 s87, exec_lo
	s_delay_alu instid0(VALU_DEP_1)
	v_cmpx_gt_u64_e64 s[14:15], v[10:11]
	s_cbranch_execz .LBB46_219
; %bb.223:                              ;   in Loop: Header=BB46_222 Depth=2
	ds_load_b64 v[4:5], v12
	s_wait_dscnt 0x0
	v_cmp_o_f64_e32 vcc_lo, v[4:5], v[4:5]
	v_ashrrev_i32_e32 v2, 31, v5
	s_delay_alu instid0(VALU_DEP_1) | instskip(SKIP_1) | instid1(VALU_DEP_2)
	v_or_b32_e32 v6, 0x80000000, v2
	v_xor_b32_e32 v2, v2, v4
	v_xor_b32_e32 v6, v6, v5
	s_wait_alu 0xfffd
	s_delay_alu instid0(VALU_DEP_1) | instskip(NEXT) | instid1(VALU_DEP_3)
	v_cndmask_b32_e32 v6, -1, v6, vcc_lo
	v_cndmask_b32_e32 v2, -1, v2, vcc_lo
	s_delay_alu instid0(VALU_DEP_2) | instskip(NEXT) | instid1(VALU_DEP_2)
	v_and_b32_e32 v7, v6, v34
	v_and_b32_e32 v6, v2, v33
	s_delay_alu instid0(VALU_DEP_1)
	v_cmp_eq_u64_e32 vcc_lo, v[6:7], v[29:30]
	s_and_b32 exec_lo, exec_lo, vcc_lo
	s_cbranch_execz .LBB46_219
; %bb.224:                              ;   in Loop: Header=BB46_222 Depth=2
	v_mov_b32_e32 v2, v19
	ds_store_b128 v19, v[2:5] offset:3072
	s_branch .LBB46_219
.LBB46_225:                             ;   in Loop: Header=BB46_222 Depth=2
	s_mov_b32 s88, -1
	s_mov_b32 s87, -1
                                        ; implicit-def: $vgpr10_vgpr11
                                        ; implicit-def: $vgpr12
	s_branch .LBB46_221
.LBB46_226:                             ;   in Loop: Header=BB46_32 Depth=1
	s_or_b32 exec_lo, exec_lo, s19
	s_delay_alu instid0(SALU_CYCLE_1)
	s_and_not1_b32 s5, s5, exec_lo
	s_wait_alu 0xfffe
	s_and_b32 s14, s24, exec_lo
	s_wait_alu 0xfffe
	s_or_b32 s5, s5, s14
.LBB46_227:                             ;   in Loop: Header=BB46_32 Depth=1
	s_or_b32 exec_lo, exec_lo, s18
	s_mov_b32 s18, 0
	s_mov_b32 s19, -1
.LBB46_228:                             ;   in Loop: Header=BB46_32 Depth=1
	s_wait_alu 0xfffe
	s_or_not1_b32 s5, s5, exec_lo
.LBB46_229:                             ;   in Loop: Header=BB46_32 Depth=1
	s_wait_alu 0xfffe
	s_or_b32 exec_lo, exec_lo, s86
	s_mov_b32 s14, 0
	s_and_saveexec_b32 s16, s5
	s_cbranch_execz .LBB46_289
; %bb.230:                              ;   in Loop: Header=BB46_32 Depth=1
	v_dual_mov_b32 v10, 1 :: v_dual_mov_b32 v37, 1
	v_mov_b32_e32 v11, 0
	s_xor_b32 s14, s85, -1
	s_mov_b32 s24, 0
	s_wait_alu 0xfffe
	s_and_saveexec_b32 s5, s14
	s_cbranch_execz .LBB46_239
; %bb.231:                              ;   in Loop: Header=BB46_32 Depth=1
	s_mov_b32 s14, exec_lo
	v_cmpx_ge_i64_e64 s[10:11], v[8:9]
	s_wait_alu 0xfffe
	s_xor_b32 s14, exec_lo, s14
	s_cbranch_execz .LBB46_236
; %bb.232:                              ;   in Loop: Header=BB46_32 Depth=1
	ds_load_b64 v[4:5], v19 offset:5120
	v_and_b32_e32 v2, s13, v30
	v_and_b32_e32 v10, s12, v29
	s_lshl_b64 s[12:13], 2, s59
	v_or_b32_e32 v34, s9, v34
	v_or_b32_e32 v33, s8, v33
	s_wait_alu 0xfffe
	v_or_b32_e32 v30, s13, v2
	v_or_b32_e32 v29, s12, v10
	s_wait_dscnt 0x0
	v_cmp_ne_u64_e32 vcc_lo, 0, v[4:5]
	s_cbranch_vccnz .LBB46_236
; %bb.233:                              ;   in Loop: Header=BB46_32 Depth=1
	s_and_saveexec_b32 s12, s2
; %bb.234:                              ;   in Loop: Header=BB46_32 Depth=1
	v_dual_mov_b32 v4, s10 :: v_dual_mov_b32 v5, s11
	ds_store_b64 v19, v[4:5] offset:5128
; %bb.235:                              ;   in Loop: Header=BB46_32 Depth=1
	s_wait_alu 0xfffe
	s_or_b32 exec_lo, exec_lo, s12
	s_wait_loadcnt_dscnt 0x0
	s_barrier_signal -1
	s_barrier_wait -1
	global_inv scope:SCOPE_SE
.LBB46_236:                             ;   in Loop: Header=BB46_32 Depth=1
	s_wait_alu 0xfffe
	s_or_saveexec_b32 s12, s14
	v_mov_b32_e32 v37, 8
	s_mov_b32 s13, 0
	s_wait_alu 0xfffe
	s_xor_b32 exec_lo, exec_lo, s12
; %bb.237:                              ;   in Loop: Header=BB46_32 Depth=1
	v_sub_co_u32 v8, vcc_lo, v8, s10
	s_wait_alu 0xfffd
	v_subrev_co_ci_u32_e64 v9, null, s11, v9, vcc_lo
	v_mov_b32_e32 v37, 0
	s_mov_b32 s13, exec_lo
; %bb.238:                              ;   in Loop: Header=BB46_32 Depth=1
	s_or_b32 exec_lo, exec_lo, s12
	s_delay_alu instid0(VALU_DEP_2)
	v_dual_mov_b32 v11, v9 :: v_dual_mov_b32 v10, v8
	s_wait_alu 0xfffe
	s_and_b32 s24, s13, exec_lo
.LBB46_239:                             ;   in Loop: Header=BB46_32 Depth=1
	s_wait_alu 0xfffe
	s_or_b32 exec_lo, exec_lo, s5
	s_mov_b32 s5, -1
                                        ; implicit-def: $sgpr15
                                        ; implicit-def: $sgpr14
	s_and_saveexec_b32 s17, s24
	s_cbranch_execz .LBB46_288
; %bb.240:                              ;   in Loop: Header=BB46_32 Depth=1
	v_cmp_eq_u64_e32 vcc_lo, 1, v[10:11]
	s_cmp_eq_u64 s[6:7], 1
	s_mov_b32 s10, -1
	s_cselect_b32 s5, -1, 0
                                        ; implicit-def: $sgpr15
                                        ; implicit-def: $sgpr14
	s_wait_alu 0xfffe
	s_and_b32 s85, s5, vcc_lo
	s_wait_alu 0xfffe
	s_and_saveexec_b32 s86, s85
	s_cbranch_execz .LBB46_276
; %bb.241:                              ;   in Loop: Header=BB46_32 Depth=1
	ds_load_b64 v[4:5], v19 offset:5120
	s_wait_loadcnt_dscnt 0x0
	s_barrier_signal -1
	s_barrier_wait -1
	global_inv scope:SCOPE_SE
	v_readfirstlane_b32 s10, v4
	v_readfirstlane_b32 s11, v5
	s_and_saveexec_b32 s5, s3
; %bb.242:                              ;   in Loop: Header=BB46_32 Depth=1
	v_mov_b32_e32 v18, v19
	ds_store_b64 v45, v[18:19]
; %bb.243:                              ;   in Loop: Header=BB46_32 Depth=1
	s_wait_alu 0xfffe
	s_or_b32 exec_lo, exec_lo, s5
	v_cmp_gt_i64_e64 s5, s[10:11], 0
	v_or_b32_e32 v30, s9, v30
	v_or_b32_e32 v29, s8, v29
	;; [unrolled: 1-line block ×4, first 2 shown]
	s_mov_b32 s14, -1
	s_mov_b32 s15, 0
	s_and_b32 vcc_lo, exec_lo, s5
	s_mov_b32 s5, 0
	s_mov_b32 s24, -1
	s_wait_loadcnt_dscnt 0x0
	s_barrier_signal -1
	s_barrier_wait -1
	global_inv scope:SCOPE_SE
                                        ; implicit-def: $vgpr6_vgpr7
	s_wait_alu 0xfffe
	s_cbranch_vccnz .LBB46_260
; %bb.244:                              ;   in Loop: Header=BB46_32 Depth=1
	s_mov_b32 s12, s25
	s_mov_b32 s13, s77
	s_wait_alu 0xfffe
	s_cmp_lg_u64 s[12:13], 0
	s_cbranch_scc0 .LBB46_295
; %bb.245:                              ;   in Loop: Header=BB46_32 Depth=1
	s_add_nc_u64 s[12:13], s[68:69], 0
	s_wait_alu 0xfffe
	s_xor_b64 s[12:13], s[12:13], 0
	s_wait_alu 0xfffe
	s_cvt_f32_u32 s5, s12
	s_cvt_f32_u32 s24, s13
	s_sub_nc_u64 s[90:91], 0, s[12:13]
	s_wait_alu 0xfffe
	s_delay_alu instid0(SALU_CYCLE_1) | instskip(SKIP_1) | instid1(SALU_CYCLE_2)
	s_fmamk_f32 s5, s24, 0x4f800000, s5
	s_wait_alu 0xfffe
	v_s_rcp_f32 s5, s5
	s_delay_alu instid0(TRANS32_DEP_1) | instskip(SKIP_1) | instid1(SALU_CYCLE_2)
	s_mul_f32 s5, s5, 0x5f7ffffc
	s_wait_alu 0xfffe
	s_mul_f32 s24, s5, 0x2f800000
	s_wait_alu 0xfffe
	s_delay_alu instid0(SALU_CYCLE_2) | instskip(SKIP_1) | instid1(SALU_CYCLE_2)
	s_trunc_f32 s24, s24
	s_wait_alu 0xfffe
	s_fmamk_f32 s5, s24, 0xcf800000, s5
	s_cvt_u32_f32 s89, s24
	s_wait_alu 0xfffe
	s_delay_alu instid0(SALU_CYCLE_1) | instskip(SKIP_1) | instid1(SALU_CYCLE_2)
	s_cvt_u32_f32 s88, s5
	s_wait_alu 0xfffe
	s_mul_u64 s[92:93], s[90:91], s[88:89]
	s_wait_alu 0xfffe
	s_mul_hi_u32 s95, s88, s93
	s_mul_i32 s94, s88, s93
	s_mul_hi_u32 s24, s88, s92
	s_mul_i32 s87, s89, s92
	s_wait_alu 0xfffe
	s_add_nc_u64 s[94:95], s[24:25], s[94:95]
	s_mul_hi_u32 s5, s89, s92
	s_mul_hi_u32 s96, s89, s93
	s_wait_alu 0xfffe
	s_add_co_u32 s24, s94, s87
	s_add_co_ci_u32 s24, s95, s5
	s_mul_i32 s92, s89, s93
	s_add_co_ci_u32 s93, s96, 0
	s_wait_alu 0xfffe
	s_add_nc_u64 s[92:93], s[24:25], s[92:93]
	s_wait_alu 0xfffe
	s_add_co_u32 s88, s88, s92
	s_cselect_b32 s5, -1, 0
	s_wait_alu 0xfffe
	s_cmp_lg_u32 s5, 0
	s_add_co_ci_u32 s89, s89, s93
	s_wait_alu 0xfffe
	s_mul_u64 s[90:91], s[90:91], s[88:89]
	s_wait_alu 0xfffe
	s_mul_hi_u32 s93, s88, s91
	s_mul_i32 s92, s88, s91
	s_mul_hi_u32 s24, s88, s90
	s_mul_i32 s87, s89, s90
	s_wait_alu 0xfffe
	s_add_nc_u64 s[92:93], s[24:25], s[92:93]
	s_mul_hi_u32 s5, s89, s90
	s_mul_hi_u32 s94, s89, s91
	s_wait_alu 0xfffe
	s_add_co_u32 s24, s92, s87
	s_add_co_ci_u32 s24, s93, s5
	s_mul_i32 s90, s89, s91
	s_add_co_ci_u32 s91, s94, 0
	s_wait_alu 0xfffe
	s_add_nc_u64 s[90:91], s[24:25], s[90:91]
	s_wait_alu 0xfffe
	s_add_co_u32 s5, s88, s90
	s_cselect_b32 s24, -1, 0
	s_wait_alu 0xfffe
	s_cmp_lg_u32 s24, 0
	s_add_co_ci_u32 s87, s89, s91
	s_ashr_i32 s88, s77, 31
	s_wait_alu 0xfffe
	s_mov_b32 s89, s88
	s_wait_alu 0xfffe
	s_add_nc_u64 s[90:91], s[76:77], s[88:89]
	s_wait_alu 0xfffe
	s_xor_b64 s[90:91], s[90:91], s[88:89]
	s_wait_alu 0xfffe
	s_mul_hi_u32 s93, s90, s87
	s_mul_i32 s92, s90, s87
	s_mul_hi_u32 s24, s90, s5
	s_mul_hi_u32 s96, s91, s5
	s_mul_i32 s5, s91, s5
	s_wait_alu 0xfffe
	s_add_nc_u64 s[92:93], s[24:25], s[92:93]
	s_mul_hi_u32 s95, s91, s87
	s_wait_alu 0xfffe
	s_add_co_u32 s5, s92, s5
	s_add_co_ci_u32 s24, s93, s96
	s_mul_i32 s94, s91, s87
	s_add_co_ci_u32 s95, s95, 0
	s_wait_alu 0xfffe
	s_add_nc_u64 s[92:93], s[24:25], s[94:95]
	s_wait_alu 0xfffe
	s_mul_u64 s[92:93], s[12:13], s[92:93]
	s_wait_alu 0xfffe
	s_sub_co_u32 s5, s90, s92
	s_cselect_b32 s24, -1, 0
	s_sub_co_i32 s87, s91, s93
	s_wait_alu 0xfffe
	s_cmp_lg_u32 s24, 0
	s_sub_co_ci_u32 s87, s87, s13
	s_sub_co_u32 s90, s5, s12
	s_cselect_b32 s92, -1, 0
	s_wait_alu 0xfffe
	s_cmp_lg_u32 s92, 0
	s_sub_co_ci_u32 s94, s87, 0
	s_wait_alu 0xfffe
	s_cmp_ge_u32 s94, s13
	s_cselect_b32 s95, -1, 0
	s_cmp_ge_u32 s90, s12
	s_cselect_b32 s96, -1, 0
	s_cmp_eq_u32 s94, s13
	s_wait_alu 0xfffe
	s_cselect_b32 s95, s96, s95
	s_cmp_lg_u32 s92, 0
	s_sub_co_ci_u32 s87, s87, s13
	s_sub_co_u32 s92, s90, s12
	s_cselect_b32 s96, -1, 0
	s_wait_alu 0xfffe
	s_cmp_lg_u32 s96, 0
	s_sub_co_ci_u32 s87, s87, 0
	s_cmp_lg_u32 s95, 0
	s_cselect_b32 s90, s92, s90
	s_wait_alu 0xfffe
	s_cselect_b32 s87, s87, s94
	s_cmp_lg_u32 s24, 0
	s_sub_co_ci_u32 s24, s91, s93
	s_wait_alu 0xfffe
	s_cmp_ge_u32 s24, s13
	s_cselect_b32 s91, -1, 0
	s_cmp_ge_u32 s5, s12
	s_cselect_b32 s12, -1, 0
	s_cmp_eq_u32 s24, s13
	s_wait_alu 0xfffe
	s_cselect_b32 s12, s12, s91
	s_wait_alu 0xfffe
	s_cmp_lg_u32 s12, 0
	s_cselect_b32 s13, s87, s24
	s_cselect_b32 s12, s90, s5
	s_wait_alu 0xfffe
	s_xor_b64 s[12:13], s[12:13], s[88:89]
	s_wait_alu 0xfffe
	s_sub_nc_u64 s[12:13], s[12:13], s[88:89]
	s_cbranch_execnz .LBB46_247
.LBB46_246:                             ;   in Loop: Header=BB46_32 Depth=1
	v_cvt_f32_u32_e32 v2, s68
	s_sub_co_i32 s12, 0, s68
	s_delay_alu instid0(VALU_DEP_1) | instskip(NEXT) | instid1(TRANS32_DEP_1)
	v_rcp_iflag_f32_e32 v2, v2
	v_mul_f32_e32 v2, 0x4f7ffffe, v2
	s_delay_alu instid0(VALU_DEP_1) | instskip(NEXT) | instid1(VALU_DEP_1)
	v_cvt_u32_f32_e32 v2, v2
	v_readfirstlane_b32 s5, v2
	s_wait_alu 0xfffe
	s_mul_i32 s12, s12, s5
	s_wait_alu 0xfffe
	s_mul_hi_u32 s12, s5, s12
	s_wait_alu 0xfffe
	s_add_co_i32 s5, s5, s12
	s_wait_alu 0xfffe
	s_mul_hi_u32 s5, s76, s5
	s_wait_alu 0xfffe
	s_mul_i32 s5, s5, s68
	s_wait_alu 0xfffe
	s_sub_co_i32 s5, s76, s5
	s_wait_alu 0xfffe
	s_sub_co_i32 s12, s5, s68
	s_cmp_ge_u32 s5, s68
	s_wait_alu 0xfffe
	s_cselect_b32 s5, s12, s5
	s_wait_alu 0xfffe
	s_sub_co_i32 s12, s5, s68
	s_cmp_ge_u32 s5, s68
	s_wait_alu 0xfffe
	s_cselect_b32 s24, s12, s5
	s_wait_alu 0xfffe
	s_mov_b64 s[12:13], s[24:25]
.LBB46_247:                             ;   in Loop: Header=BB46_32 Depth=1
	s_wait_alu 0xfffe
	s_sub_nc_u64 s[12:13], s[76:77], s[12:13]
	s_mov_b32 s24, 0
	s_mov_b32 s5, 0
	s_mov_b32 s87, exec_lo
                                        ; implicit-def: $vgpr6_vgpr7
	s_wait_alu 0xfffe
	v_cmpx_gt_i64_e64 s[12:13], v[0:1]
	s_cbranch_execz .LBB46_259
; %bb.248:                              ;   in Loop: Header=BB46_32 Depth=1
	v_dual_mov_b32 v8, v16 :: v_dual_mov_b32 v9, v17
	v_dual_mov_b32 v13, v1 :: v_dual_mov_b32 v12, v0
	s_mov_b32 s88, 0
                                        ; implicit-def: $sgpr89
	s_branch .LBB46_252
.LBB46_249:                             ;   in Loop: Header=BB46_252 Depth=2
	s_wait_alu 0xfffe
	s_or_b32 exec_lo, exec_lo, s5
	s_wait_loadcnt_dscnt 0x0
	s_barrier_signal -1
	s_barrier_wait -1
	global_inv scope:SCOPE_SE
	ds_load_b128 v[4:7], v19 offset:3072
	s_wait_loadcnt_dscnt 0x0
	s_barrier_signal -1
	s_barrier_wait -1
	global_inv scope:SCOPE_SE
	v_cmp_neq_f64_e32 vcc_lo, 0, v[4:5]
	s_cbranch_vccnz .LBB46_255
; %bb.250:                              ;   in Loop: Header=BB46_252 Depth=2
	v_add_co_u32 v12, vcc_lo, v12, s68
	s_wait_alu 0xfffd
	v_add_co_ci_u32_e64 v13, null, 0, v13, vcc_lo
	v_add_co_u32 v8, s5, v8, s70
	s_wait_alu 0xf1ff
	v_add_co_ci_u32_e64 v9, null, s71, v9, s5
	s_delay_alu instid0(VALU_DEP_3)
	v_cmp_le_i64_e32 vcc_lo, s[12:13], v[12:13]
	s_mov_b32 s5, 0
	s_or_not1_b32 s90, vcc_lo, exec_lo
.LBB46_251:                             ;   in Loop: Header=BB46_252 Depth=2
	s_wait_alu 0xfffe
	s_and_b32 s90, exec_lo, s90
	s_wait_alu 0xfffe
	s_or_b32 s88, s90, s88
	s_and_not1_b32 s89, s89, exec_lo
	s_and_b32 s5, s5, exec_lo
	s_wait_alu 0xfffe
	s_or_b32 s89, s89, s5
	s_and_not1_b32 exec_lo, exec_lo, s88
	s_cbranch_execz .LBB46_258
.LBB46_252:                             ;   Parent Loop BB46_32 Depth=1
                                        ; =>  This Inner Loop Header: Depth=2
	s_mov_b32 s5, exec_lo
	s_delay_alu instid0(VALU_DEP_1)
	v_cmpx_gt_i64_e64 s[36:37], v[12:13]
	s_cbranch_execz .LBB46_249
; %bb.253:                              ;   in Loop: Header=BB46_252 Depth=2
	global_load_b64 v[4:5], v[8:9], off
	s_wait_loadcnt 0x0
	v_cmp_o_f64_e32 vcc_lo, v[4:5], v[4:5]
	v_ashrrev_i32_e32 v2, 31, v5
	s_delay_alu instid0(VALU_DEP_1) | instskip(SKIP_1) | instid1(VALU_DEP_2)
	v_or_b32_e32 v6, 0x80000000, v2
	v_xor_b32_e32 v2, v2, v4
	v_xor_b32_e32 v6, v6, v5
	s_wait_alu 0xfffd
	s_delay_alu instid0(VALU_DEP_1) | instskip(NEXT) | instid1(VALU_DEP_3)
	v_cndmask_b32_e32 v6, -1, v6, vcc_lo
	v_cndmask_b32_e32 v2, -1, v2, vcc_lo
	s_delay_alu instid0(VALU_DEP_2) | instskip(NEXT) | instid1(VALU_DEP_2)
	v_and_b32_e32 v7, v6, v34
	v_and_b32_e32 v6, v2, v33
	s_delay_alu instid0(VALU_DEP_1)
	v_cmp_eq_u64_e32 vcc_lo, v[6:7], v[29:30]
	s_and_b32 exec_lo, exec_lo, vcc_lo
	s_cbranch_execz .LBB46_249
; %bb.254:                              ;   in Loop: Header=BB46_252 Depth=2
	v_mov_b32_e32 v2, v19
	ds_store_b128 v19, v[2:5] offset:3072
	s_branch .LBB46_249
.LBB46_255:                             ;   in Loop: Header=BB46_252 Depth=2
	s_mov_b32 s90, -1
	s_mov_b32 s5, -1
                                        ; implicit-def: $vgpr12_vgpr13
                                        ; implicit-def: $vgpr8_vgpr9
	s_branch .LBB46_251
.LBB46_256:                             ;   in Loop: Header=BB46_32 Depth=1
                                        ; implicit-def: $sgpr16_sgpr17
	s_branch .LBB46_199
.LBB46_257:                             ;   in Loop: Header=BB46_32 Depth=1
                                        ; implicit-def: $sgpr18_sgpr19
	s_branch .LBB46_216
.LBB46_258:                             ;   in Loop: Header=BB46_32 Depth=1
	s_or_b32 exec_lo, exec_lo, s88
	s_wait_alu 0xfffe
	s_and_b32 s5, s89, exec_lo
.LBB46_259:                             ;   in Loop: Header=BB46_32 Depth=1
	s_or_b32 exec_lo, exec_lo, s87
.LBB46_260:                             ;   in Loop: Header=BB46_32 Depth=1
	s_delay_alu instid0(SALU_CYCLE_1)
	s_and_b32 vcc_lo, exec_lo, s24
	s_wait_alu 0xfffe
	s_cbranch_vccz .LBB46_275
; %bb.261:                              ;   in Loop: Header=BB46_32 Depth=1
	s_add_nc_u64 s[12:13], s[10:11], s[74:75]
	s_mov_b32 s14, s25
	s_wait_alu 0xfffe
	s_mov_b32 s15, s13
	s_wait_alu 0xfffe
	s_cmp_lg_u64 s[14:15], 0
	s_cbranch_scc0 .LBB46_296
; %bb.262:                              ;   in Loop: Header=BB46_32 Depth=1
	s_add_nc_u64 s[14:15], s[68:69], 0
	s_wait_alu 0xfffe
	s_xor_b64 s[14:15], s[14:15], 0
	s_wait_alu 0xfffe
	s_cvt_f32_u32 s24, s14
	s_cvt_f32_u32 s87, s15
	s_sub_nc_u64 s[90:91], 0, s[14:15]
	s_wait_alu 0xfffe
	s_delay_alu instid0(SALU_CYCLE_1) | instskip(SKIP_1) | instid1(SALU_CYCLE_2)
	s_fmamk_f32 s24, s87, 0x4f800000, s24
	s_wait_alu 0xfffe
	v_s_rcp_f32 s24, s24
	s_delay_alu instid0(TRANS32_DEP_1) | instskip(SKIP_1) | instid1(SALU_CYCLE_2)
	s_mul_f32 s24, s24, 0x5f7ffffc
	s_wait_alu 0xfffe
	s_mul_f32 s87, s24, 0x2f800000
	s_wait_alu 0xfffe
	s_delay_alu instid0(SALU_CYCLE_2) | instskip(SKIP_1) | instid1(SALU_CYCLE_2)
	s_trunc_f32 s87, s87
	s_wait_alu 0xfffe
	s_fmamk_f32 s24, s87, 0xcf800000, s24
	s_cvt_u32_f32 s89, s87
	s_wait_alu 0xfffe
	s_delay_alu instid0(SALU_CYCLE_1) | instskip(SKIP_1) | instid1(SALU_CYCLE_2)
	s_cvt_u32_f32 s88, s24
	s_wait_alu 0xfffe
	s_mul_u64 s[92:93], s[90:91], s[88:89]
	s_wait_alu 0xfffe
	s_mul_hi_u32 s95, s88, s93
	s_mul_i32 s94, s88, s93
	s_mul_hi_u32 s24, s88, s92
	s_mul_i32 s96, s89, s92
	s_wait_alu 0xfffe
	s_add_nc_u64 s[94:95], s[24:25], s[94:95]
	s_mul_hi_u32 s87, s89, s92
	s_mul_hi_u32 s97, s89, s93
	s_wait_alu 0xfffe
	s_add_co_u32 s24, s94, s96
	s_add_co_ci_u32 s24, s95, s87
	s_mul_i32 s92, s89, s93
	s_add_co_ci_u32 s93, s97, 0
	s_wait_alu 0xfffe
	s_add_nc_u64 s[92:93], s[24:25], s[92:93]
	s_wait_alu 0xfffe
	s_add_co_u32 s88, s88, s92
	s_cselect_b32 s24, -1, 0
	s_wait_alu 0xfffe
	s_cmp_lg_u32 s24, 0
	s_add_co_ci_u32 s89, s89, s93
	s_wait_alu 0xfffe
	s_mul_u64 s[90:91], s[90:91], s[88:89]
	s_wait_alu 0xfffe
	s_mul_hi_u32 s93, s88, s91
	s_mul_i32 s92, s88, s91
	s_mul_hi_u32 s24, s88, s90
	s_mul_i32 s94, s89, s90
	s_wait_alu 0xfffe
	s_add_nc_u64 s[92:93], s[24:25], s[92:93]
	s_mul_hi_u32 s87, s89, s90
	s_mul_hi_u32 s95, s89, s91
	s_wait_alu 0xfffe
	s_add_co_u32 s24, s92, s94
	s_add_co_ci_u32 s24, s93, s87
	s_mul_i32 s90, s89, s91
	s_add_co_ci_u32 s91, s95, 0
	s_wait_alu 0xfffe
	s_add_nc_u64 s[90:91], s[24:25], s[90:91]
	s_wait_alu 0xfffe
	s_add_co_u32 s87, s88, s90
	s_cselect_b32 s24, -1, 0
	s_wait_alu 0xfffe
	s_cmp_lg_u32 s24, 0
	s_add_co_ci_u32 s94, s89, s91
	s_ashr_i32 s88, s13, 31
	s_wait_alu 0xfffe
	s_mov_b32 s89, s88
	s_wait_alu 0xfffe
	s_add_nc_u64 s[90:91], s[12:13], s[88:89]
	s_wait_alu 0xfffe
	s_xor_b64 s[90:91], s[90:91], s[88:89]
	s_wait_alu 0xfffe
	s_mul_hi_u32 s93, s90, s94
	s_mul_i32 s92, s90, s94
	s_mul_hi_u32 s24, s90, s87
	s_mul_hi_u32 s96, s91, s87
	s_mul_i32 s87, s91, s87
	s_wait_alu 0xfffe
	s_add_nc_u64 s[92:93], s[24:25], s[92:93]
	s_mul_hi_u32 s95, s91, s94
	s_wait_alu 0xfffe
	s_add_co_u32 s24, s92, s87
	s_add_co_ci_u32 s24, s93, s96
	s_mul_i32 s94, s91, s94
	s_add_co_ci_u32 s95, s95, 0
	s_wait_alu 0xfffe
	s_add_nc_u64 s[92:93], s[24:25], s[94:95]
	s_wait_alu 0xfffe
	s_mul_u64 s[92:93], s[14:15], s[92:93]
	s_wait_alu 0xfffe
	s_sub_co_u32 s24, s90, s92
	s_cselect_b32 s87, -1, 0
	s_sub_co_i32 s90, s91, s93
	s_wait_alu 0xfffe
	s_cmp_lg_u32 s87, 0
	s_sub_co_ci_u32 s90, s90, s15
	s_sub_co_u32 s92, s24, s14
	s_cselect_b32 s94, -1, 0
	s_wait_alu 0xfffe
	s_cmp_lg_u32 s94, 0
	s_sub_co_ci_u32 s95, s90, 0
	s_wait_alu 0xfffe
	s_cmp_ge_u32 s95, s15
	s_cselect_b32 s96, -1, 0
	s_cmp_ge_u32 s92, s14
	s_cselect_b32 s97, -1, 0
	s_cmp_eq_u32 s95, s15
	s_wait_alu 0xfffe
	s_cselect_b32 s96, s97, s96
	s_cmp_lg_u32 s94, 0
	s_sub_co_ci_u32 s90, s90, s15
	s_sub_co_u32 s94, s92, s14
	s_cselect_b32 s97, -1, 0
	s_wait_alu 0xfffe
	s_cmp_lg_u32 s97, 0
	s_sub_co_ci_u32 s90, s90, 0
	s_cmp_lg_u32 s96, 0
	s_cselect_b32 s92, s94, s92
	s_wait_alu 0xfffe
	s_cselect_b32 s90, s90, s95
	s_cmp_lg_u32 s87, 0
	s_sub_co_ci_u32 s87, s91, s93
	s_wait_alu 0xfffe
	s_cmp_ge_u32 s87, s15
	s_cselect_b32 s91, -1, 0
	s_cmp_ge_u32 s24, s14
	s_cselect_b32 s14, -1, 0
	s_cmp_eq_u32 s87, s15
	s_wait_alu 0xfffe
	s_cselect_b32 s14, s14, s91
	s_wait_alu 0xfffe
	s_cmp_lg_u32 s14, 0
	s_cselect_b32 s15, s90, s87
	s_cselect_b32 s14, s92, s24
	s_wait_alu 0xfffe
	s_xor_b64 s[14:15], s[14:15], s[88:89]
	s_wait_alu 0xfffe
	s_sub_nc_u64 s[14:15], s[14:15], s[88:89]
	s_cbranch_execnz .LBB46_264
.LBB46_263:                             ;   in Loop: Header=BB46_32 Depth=1
	v_cvt_f32_u32_e32 v2, s68
	s_sub_co_i32 s15, 0, s68
	s_delay_alu instid0(VALU_DEP_1) | instskip(NEXT) | instid1(TRANS32_DEP_1)
	v_rcp_iflag_f32_e32 v2, v2
	v_mul_f32_e32 v2, 0x4f7ffffe, v2
	s_delay_alu instid0(VALU_DEP_1) | instskip(NEXT) | instid1(VALU_DEP_1)
	v_cvt_u32_f32_e32 v2, v2
	v_readfirstlane_b32 s14, v2
	s_wait_alu 0xfffe
	s_mul_i32 s15, s15, s14
	s_wait_alu 0xfffe
	s_mul_hi_u32 s15, s14, s15
	s_wait_alu 0xfffe
	s_add_co_i32 s14, s14, s15
	s_wait_alu 0xfffe
	s_mul_hi_u32 s14, s12, s14
	s_wait_alu 0xfffe
	s_mul_i32 s14, s14, s68
	s_wait_alu 0xfffe
	s_sub_co_i32 s14, s12, s14
	s_wait_alu 0xfffe
	s_sub_co_i32 s15, s14, s68
	s_cmp_ge_u32 s14, s68
	s_wait_alu 0xfffe
	s_cselect_b32 s14, s15, s14
	s_wait_alu 0xfffe
	s_sub_co_i32 s15, s14, s68
	s_cmp_ge_u32 s14, s68
	s_wait_alu 0xfffe
	s_cselect_b32 s24, s15, s14
	s_wait_alu 0xfffe
	s_mov_b64 s[14:15], s[24:25]
.LBB46_264:                             ;   in Loop: Header=BB46_32 Depth=1
	s_wait_alu 0xfffe
	s_sub_nc_u64 s[12:13], s[12:13], s[14:15]
	s_mov_b32 s14, exec_lo
                                        ; implicit-def: $vgpr6_vgpr7
	s_wait_alu 0xfffe
	v_cmpx_gt_i64_e64 s[12:13], v[0:1]
	s_cbranch_execz .LBB46_274
; %bb.265:                              ;   in Loop: Header=BB46_32 Depth=1
	v_dual_mov_b32 v12, v44 :: v_dual_mov_b32 v9, v1
	v_mov_b32_e32 v8, v0
	s_mov_b32 s15, 0
                                        ; implicit-def: $sgpr24
	s_branch .LBB46_269
.LBB46_266:                             ;   in Loop: Header=BB46_269 Depth=2
	s_wait_alu 0xfffe
	s_or_b32 exec_lo, exec_lo, s87
	s_wait_loadcnt_dscnt 0x0
	s_barrier_signal -1
	s_barrier_wait -1
	global_inv scope:SCOPE_SE
	ds_load_b128 v[4:7], v19 offset:3072
	s_wait_loadcnt_dscnt 0x0
	s_barrier_signal -1
	s_barrier_wait -1
	global_inv scope:SCOPE_SE
	v_cmp_eq_f64_e32 vcc_lo, 0, v[4:5]
	s_cbranch_vccz .LBB46_272
; %bb.267:                              ;   in Loop: Header=BB46_269 Depth=2
	v_add_co_u32 v8, vcc_lo, v8, s68
	s_wait_alu 0xfffd
	v_add_co_ci_u32_e64 v9, null, 0, v9, vcc_lo
	v_add_nc_u32_e32 v12, s58, v12
	s_mov_b32 s87, 0
	s_delay_alu instid0(VALU_DEP_2)
	v_cmp_le_i64_e32 vcc_lo, s[12:13], v[8:9]
	s_or_not1_b32 s88, vcc_lo, exec_lo
.LBB46_268:                             ;   in Loop: Header=BB46_269 Depth=2
	s_wait_alu 0xfffe
	s_and_b32 s88, exec_lo, s88
	s_wait_alu 0xfffe
	s_or_b32 s15, s88, s15
	s_and_not1_b32 s24, s24, exec_lo
	s_and_b32 s87, s87, exec_lo
	s_wait_alu 0xfffe
	s_or_b32 s24, s24, s87
	s_and_not1_b32 exec_lo, exec_lo, s15
	s_cbranch_execz .LBB46_273
.LBB46_269:                             ;   Parent Loop BB46_32 Depth=1
                                        ; =>  This Inner Loop Header: Depth=2
	s_mov_b32 s87, exec_lo
	s_delay_alu instid0(VALU_DEP_1)
	v_cmpx_gt_u64_e64 s[10:11], v[8:9]
	s_cbranch_execz .LBB46_266
; %bb.270:                              ;   in Loop: Header=BB46_269 Depth=2
	ds_load_b64 v[4:5], v12
	s_wait_dscnt 0x0
	v_cmp_o_f64_e32 vcc_lo, v[4:5], v[4:5]
	v_ashrrev_i32_e32 v2, 31, v5
	s_delay_alu instid0(VALU_DEP_1) | instskip(SKIP_1) | instid1(VALU_DEP_2)
	v_or_b32_e32 v6, 0x80000000, v2
	v_xor_b32_e32 v2, v2, v4
	v_xor_b32_e32 v6, v6, v5
	s_wait_alu 0xfffd
	s_delay_alu instid0(VALU_DEP_1) | instskip(NEXT) | instid1(VALU_DEP_3)
	v_cndmask_b32_e32 v6, -1, v6, vcc_lo
	v_cndmask_b32_e32 v2, -1, v2, vcc_lo
	s_delay_alu instid0(VALU_DEP_2) | instskip(NEXT) | instid1(VALU_DEP_2)
	v_and_b32_e32 v7, v6, v34
	v_and_b32_e32 v6, v2, v33
	s_delay_alu instid0(VALU_DEP_1)
	v_cmp_eq_u64_e32 vcc_lo, v[6:7], v[29:30]
	s_and_b32 exec_lo, exec_lo, vcc_lo
	s_cbranch_execz .LBB46_266
; %bb.271:                              ;   in Loop: Header=BB46_269 Depth=2
	v_mov_b32_e32 v2, v19
	ds_store_b128 v19, v[2:5] offset:3072
	s_branch .LBB46_266
.LBB46_272:                             ;   in Loop: Header=BB46_269 Depth=2
	s_mov_b32 s88, -1
	s_mov_b32 s87, -1
                                        ; implicit-def: $vgpr8_vgpr9
                                        ; implicit-def: $vgpr12
	s_branch .LBB46_268
.LBB46_273:                             ;   in Loop: Header=BB46_32 Depth=1
	s_or_b32 exec_lo, exec_lo, s15
	s_delay_alu instid0(SALU_CYCLE_1)
	s_and_not1_b32 s5, s5, exec_lo
	s_wait_alu 0xfffe
	s_and_b32 s10, s24, exec_lo
	s_wait_alu 0xfffe
	s_or_b32 s5, s5, s10
.LBB46_274:                             ;   in Loop: Header=BB46_32 Depth=1
	s_or_b32 exec_lo, exec_lo, s14
	s_mov_b32 s14, 0
	s_mov_b32 s15, -1
.LBB46_275:                             ;   in Loop: Header=BB46_32 Depth=1
	s_wait_alu 0xfffe
	s_or_not1_b32 s10, s5, exec_lo
.LBB46_276:                             ;   in Loop: Header=BB46_32 Depth=1
	s_wait_alu 0xfffe
	s_or_b32 exec_lo, exec_lo, s86
	s_mov_b32 s11, 0
	s_and_saveexec_b32 s5, s10
	s_cbranch_execz .LBB46_287
; %bb.277:                              ;   in Loop: Header=BB46_32 Depth=1
	v_dual_mov_b32 v4, 1 :: v_dual_mov_b32 v37, 1
	v_mov_b32_e32 v5, 0
	s_xor_b32 s11, s85, -1
	s_wait_alu 0xfffe
	s_and_saveexec_b32 s10, s11
	s_cbranch_execz .LBB46_286
; %bb.278:                              ;   in Loop: Header=BB46_32 Depth=1
	s_mov_b32 s11, exec_lo
	v_cmpx_ge_i64_e64 s[6:7], v[10:11]
	s_wait_alu 0xfffe
	s_xor_b32 s11, exec_lo, s11
	s_cbranch_execz .LBB46_283
; %bb.279:                              ;   in Loop: Header=BB46_32 Depth=1
	ds_load_b64 v[4:5], v19 offset:5120
	v_or_b32_e32 v30, s9, v30
	v_or_b32_e32 v29, s8, v29
	;; [unrolled: 1-line block ×4, first 2 shown]
	s_wait_dscnt 0x0
	v_cmp_ne_u64_e32 vcc_lo, 0, v[4:5]
	s_cbranch_vccnz .LBB46_283
; %bb.280:                              ;   in Loop: Header=BB46_32 Depth=1
	s_and_saveexec_b32 s8, s2
; %bb.281:                              ;   in Loop: Header=BB46_32 Depth=1
	v_dual_mov_b32 v4, s6 :: v_dual_mov_b32 v5, s7
	ds_store_b64 v19, v[4:5] offset:5128
; %bb.282:                              ;   in Loop: Header=BB46_32 Depth=1
	s_wait_alu 0xfffe
	s_or_b32 exec_lo, exec_lo, s8
	s_wait_loadcnt_dscnt 0x0
	s_barrier_signal -1
	s_barrier_wait -1
	global_inv scope:SCOPE_SE
.LBB46_283:                             ;   in Loop: Header=BB46_32 Depth=1
	s_wait_alu 0xfffe
	s_and_not1_saveexec_b32 s8, s11
; %bb.284:                              ;   in Loop: Header=BB46_32 Depth=1
	v_sub_co_u32 v10, vcc_lo, v10, s6
	s_wait_alu 0xfffd
	v_subrev_co_ci_u32_e64 v11, null, s7, v11, vcc_lo
; %bb.285:                              ;   in Loop: Header=BB46_32 Depth=1
	s_wait_alu 0xfffe
	s_or_b32 exec_lo, exec_lo, s8
	v_dual_mov_b32 v37, 8 :: v_dual_mov_b32 v4, v10
	s_delay_alu instid0(VALU_DEP_2)
	v_mov_b32_e32 v5, v11
.LBB46_286:                             ;   in Loop: Header=BB46_32 Depth=1
	s_wait_alu 0xfffe
	s_or_b32 exec_lo, exec_lo, s10
	s_delay_alu instid0(VALU_DEP_1)
	v_dual_mov_b32 v11, v5 :: v_dual_mov_b32 v10, v4
	s_mov_b32 s11, exec_lo
.LBB46_287:                             ;   in Loop: Header=BB46_32 Depth=1
	s_wait_alu 0xfffe
	s_or_b32 exec_lo, exec_lo, s5
	s_delay_alu instid0(SALU_CYCLE_1)
	s_or_not1_b32 s5, s11, exec_lo
.LBB46_288:                             ;   in Loop: Header=BB46_32 Depth=1
	s_wait_alu 0xfffe
	s_or_b32 exec_lo, exec_lo, s17
	v_dual_mov_b32 v8, v10 :: v_dual_mov_b32 v9, v11
	s_and_not1_b32 s6, s19, exec_lo
	s_and_b32 s7, s15, exec_lo
	s_and_not1_b32 s8, s18, exec_lo
	s_and_b32 s9, s14, exec_lo
	s_wait_alu 0xfffe
	s_or_b32 s19, s6, s7
	s_or_b32 s18, s8, s9
	s_and_b32 s14, s5, exec_lo
.LBB46_289:                             ;   in Loop: Header=BB46_32 Depth=1
	s_wait_alu 0xfffe
	s_or_b32 exec_lo, exec_lo, s16
	s_delay_alu instid0(SALU_CYCLE_1)
	s_or_not1_b32 s5, s14, exec_lo
.LBB46_290:                             ;   in Loop: Header=BB46_32 Depth=1
	s_wait_alu 0xfffe
	s_or_b32 exec_lo, exec_lo, s84
	v_dual_mov_b32 v13, v9 :: v_dual_mov_b32 v12, v8
	s_and_not1_b32 s6, s50, exec_lo
	s_and_b32 s7, s19, exec_lo
	s_and_not1_b32 s8, s23, exec_lo
	s_and_b32 s9, s18, exec_lo
	s_wait_alu 0xfffe
	s_or_b32 s50, s6, s7
	s_or_b32 s23, s8, s9
	s_and_b32 s14, s5, exec_lo
.LBB46_291:                             ;   in Loop: Header=BB46_32 Depth=1
	s_wait_alu 0xfffe
	s_or_b32 exec_lo, exec_lo, s51
	s_delay_alu instid0(SALU_CYCLE_1)
	s_or_not1_b32 s5, s14, exec_lo
.LBB46_292:                             ;   in Loop: Header=BB46_32 Depth=1
	s_wait_alu 0xfffe
	s_or_b32 exec_lo, exec_lo, s22
	s_mov_b32 s6, 0
	s_and_saveexec_b32 s7, s5
	s_wait_alu 0xfffe
	s_xor_b32 s5, exec_lo, s7
	s_cbranch_execz .LBB46_30
; %bb.293:                              ;   in Loop: Header=BB46_32 Depth=1
	v_and_b32_e32 v2, 7, v37
	s_mov_b32 s7, -1
	s_mov_b32 s6, -1
	s_mov_b32 s8, exec_lo
	s_delay_alu instid0(VALU_DEP_1)
	v_cmpx_eq_u32_e32 0, v2
	s_cbranch_execz .LBB46_29
; %bb.294:                              ;   in Loop: Header=BB46_32 Depth=1
	s_xor_b32 s61, s61, 1
	s_add_co_i32 s9, s59, -2
	s_cmp_eq_u32 s59, 0
	s_wait_alu 0xfffe
	s_mov_b32 s59, s9
	s_cselect_b32 s7, -1, 0
	s_xor_b32 s6, exec_lo, -1
	s_wait_alu 0xfffe
	s_or_not1_b32 s7, s7, exec_lo
	s_branch .LBB46_29
.LBB46_295:                             ;   in Loop: Header=BB46_32 Depth=1
                                        ; implicit-def: $sgpr12_sgpr13
	s_branch .LBB46_246
.LBB46_296:                             ;   in Loop: Header=BB46_32 Depth=1
                                        ; implicit-def: $sgpr14_sgpr15
	s_branch .LBB46_263
.LBB46_297:
	s_or_b32 exec_lo, exec_lo, s60
	s_xor_b32 s5, s49, -1
	s_xor_b32 s1, s67, -1
	;; [unrolled: 1-line block ×3, first 2 shown]
	s_mov_b32 s3, 0
	s_wait_alu 0xfffe
	s_and_saveexec_b32 s6, s1
	s_wait_alu 0xfffe
	s_xor_b32 s1, exec_lo, s6
	s_cbranch_execnz .LBB46_302
; %bb.298:
	s_wait_alu 0xfffe
	s_and_not1_saveexec_b32 s0, s1
	s_cbranch_execnz .LBB46_324
.LBB46_299:
	s_wait_alu 0xfffe
	s_or_b32 exec_lo, exec_lo, s0
	s_and_saveexec_b32 s0, s3
.LBB46_300:
	; divergent unreachable
.LBB46_301:
	s_endpgm
.LBB46_302:
	s_and_saveexec_b32 s3, s5
	s_wait_alu 0xfffe
	s_xor_b32 s3, exec_lo, s3
	s_cbranch_execz .LBB46_322
; %bb.303:
	s_and_saveexec_b32 s5, s4
	s_wait_alu 0xfffe
	s_xor_b32 s4, exec_lo, s5
; %bb.304:
	v_lshrrev_b32_e32 v2, 31, v30
	s_delay_alu instid0(VALU_DEP_1) | instskip(SKIP_2) | instid1(VALU_DEP_2)
	v_add_co_u32 v2, s5, v2, -1
	s_wait_alu 0xf1ff
	v_add_co_ci_u32_e64 v3, null, 0, -1, s5
	v_xor_b32_e32 v6, v2, v29
	s_delay_alu instid0(VALU_DEP_2) | instskip(NEXT) | instid1(VALU_DEP_1)
	v_or_b32_e32 v3, 0x80000000, v3
	v_xor_b32_e32 v7, v3, v30
; %bb.305:
	s_wait_alu 0xfffe
	s_or_b32 exec_lo, exec_lo, s4
	s_and_saveexec_b32 s4, s2
; %bb.306:
	v_dual_mov_b32 v2, 0 :: v_dual_mov_b32 v3, s36
	ds_store_b32 v2, v3 offset:5140
; %bb.307:
	s_wait_alu 0xfffe
	s_or_b32 exec_lo, exec_lo, s4
	s_wait_loadcnt_dscnt 0x0
	s_barrier_signal -1
	s_barrier_wait -1
	global_inv scope:SCOPE_SE
	s_and_saveexec_b32 s4, s0
	s_cbranch_execz .LBB46_319
; %bb.308:
	v_cmp_u_f64_e32 vcc_lo, v[6:7], v[6:7]
	v_mov_b32_e32 v2, 0
	s_mov_b32 s5, 0
                                        ; implicit-def: $sgpr7
                                        ; implicit-def: $sgpr8
                                        ; implicit-def: $sgpr9
	ds_load_b32 v4, v2 offset:5140
	s_wait_dscnt 0x0
	v_ashrrev_i32_e32 v5, 31, v4
	s_xor_b32 s6, vcc_lo, -1
	s_branch .LBB46_311
.LBB46_309:                             ;   in Loop: Header=BB46_311 Depth=1
	s_wait_alu 0xfffe
	s_or_b32 exec_lo, exec_lo, s13
	s_delay_alu instid0(SALU_CYCLE_1)
	s_and_not1_b32 s0, s9, exec_lo
	s_and_b32 s9, s11, exec_lo
	s_and_not1_b32 s8, s8, exec_lo
	s_and_b32 s11, s12, exec_lo
	s_wait_alu 0xfffe
	s_or_b32 s9, s0, s9
	s_or_b32 s8, s8, s11
.LBB46_310:                             ;   in Loop: Header=BB46_311 Depth=1
	s_wait_alu 0xfffe
	s_or_b32 exec_lo, exec_lo, s10
	s_delay_alu instid0(SALU_CYCLE_1)
	s_and_b32 s0, exec_lo, s8
	s_wait_alu 0xfffe
	s_or_b32 s5, s0, s5
	s_and_not1_b32 s0, s7, exec_lo
	s_and_b32 s7, s9, exec_lo
	s_wait_alu 0xfffe
	s_or_b32 s7, s0, s7
	s_and_not1_b32 exec_lo, exec_lo, s5
	s_cbranch_execz .LBB46_314
.LBB46_311:                             ; =>This Inner Loop Header: Depth=1
	v_dual_mov_b32 v3, v1 :: v_dual_mov_b32 v2, v0
	s_or_b32 s9, s9, exec_lo
	s_or_b32 s8, s8, exec_lo
	s_mov_b32 s10, exec_lo
                                        ; implicit-def: $vgpr0_vgpr1
	s_delay_alu instid0(VALU_DEP_1)
	v_cmpx_lt_i64_e64 v[2:3], v[4:5]
	s_cbranch_execz .LBB46_310
; %bb.312:                              ;   in Loop: Header=BB46_311 Depth=1
	global_load_b64 v[0:1], v[16:17], off
	s_mov_b32 s12, -1
	s_wait_loadcnt 0x0
	v_cmp_o_f64_e32 vcc_lo, v[0:1], v[0:1]
	v_cmp_neq_f64_e64 s0, v[0:1], v[6:7]
                                        ; implicit-def: $vgpr0_vgpr1
	s_wait_alu 0xfffe
	s_or_b32 s11, vcc_lo, s6
	s_wait_alu 0xfffe
	s_and_b32 s0, s0, s11
	s_mov_b32 s11, 0
	s_wait_alu 0xfffe
	s_and_saveexec_b32 s13, s0
	s_cbranch_execz .LBB46_309
; %bb.313:                              ;   in Loop: Header=BB46_311 Depth=1
	v_add_co_u32 v0, vcc_lo, v2, s68
	s_wait_alu 0xfffd
	v_add_co_ci_u32_e64 v1, null, 0, v3, vcc_lo
	v_add_co_u32 v16, s0, v16, s70
	s_wait_alu 0xf1ff
	v_add_co_ci_u32_e64 v17, null, s71, v17, s0
	s_delay_alu instid0(VALU_DEP_3)
	v_cmp_le_i64_e32 vcc_lo, s[36:37], v[0:1]
	s_mov_b32 s11, exec_lo
	s_or_not1_b32 s12, vcc_lo, exec_lo
	s_branch .LBB46_309
.LBB46_314:
	s_or_b32 exec_lo, exec_lo, s5
	s_wait_alu 0xfffe
	s_xor_b32 s0, s7, -1
	s_wait_alu 0xfffe
	s_and_saveexec_b32 s5, s0
	s_wait_alu 0xfffe
	s_xor_b32 s5, exec_lo, s5
	s_cbranch_execz .LBB46_319
; %bb.315:
	s_mov_b32 s5, exec_lo
	s_brev_b32 s0, -2
.LBB46_316:                             ; =>This Inner Loop Header: Depth=1
	s_wait_alu 0xfffe
	s_ctz_i32_b32 s6, s5
	s_wait_alu 0xfffe
	v_readlane_b32 s7, v2, s6
	s_lshl_b32 s6, 1, s6
	s_wait_alu 0xfffe
	s_and_not1_b32 s5, s5, s6
	s_min_i32 s0, s0, s7
	s_wait_alu 0xfffe
	s_cmp_lg_u32 s5, 0
	s_cbranch_scc1 .LBB46_316
; %bb.317:
	v_mbcnt_lo_u32_b32 v0, exec_lo, 0
	s_mov_b32 s5, exec_lo
	s_delay_alu instid0(VALU_DEP_1)
	v_cmpx_eq_u32_e32 0, v0
	s_wait_alu 0xfffe
	s_xor_b32 s5, exec_lo, s5
; %bb.318:
	v_dual_mov_b32 v0, 0 :: v_dual_mov_b32 v1, s0
	ds_min_i32 v0, v1 offset:5140
.LBB46_319:
	s_wait_alu 0xfffe
	s_or_b32 exec_lo, exec_lo, s4
	s_wait_loadcnt_dscnt 0x0
	s_barrier_signal -1
	s_barrier_wait -1
	global_inv scope:SCOPE_SE
	s_and_saveexec_b32 s0, s2
	s_cbranch_execz .LBB46_321
; %bb.320:
	v_readlane_b32 s16, v59, 2
	v_readlane_b32 s17, v59, 3
	v_mov_b32_e32 v2, 0
	s_mul_u64 s[4:5], s[56:57], s[46:47]
	s_mul_u64 s[10:11], s[34:35], s[30:31]
	s_wait_alu 0xfffe
	s_sub_nc_u64 s[4:5], s[26:27], s[4:5]
	s_mul_u64 s[14:15], s[62:63], s[16:17]
	v_readlane_b32 s16, v59, 0
	v_readlane_b32 s17, v59, 1
	ds_load_b32 v0, v2 offset:5140
	s_sub_nc_u64 s[10:11], s[26:27], s[10:11]
	s_mul_u64 s[8:9], s[40:41], s[52:53]
	v_readlane_b32 s18, v59, 4
	s_wait_alu 0xfffe
	s_mul_u64 s[4:5], s[4:5], s[16:17]
	v_readlane_b32 s16, v59, 6
	v_readlane_b32 s17, v59, 7
	s_lshl_b64 s[8:9], s[8:9], 3
	v_readlane_b32 s19, v59, 5
	s_mul_u64 s[12:13], s[62:63], s[44:45]
	s_mul_u64 s[6:7], s[40:41], s[28:29]
	;; [unrolled: 1-line block ×3, first 2 shown]
	v_readlane_b32 s16, v59, 10
	v_readlane_b32 s17, v59, 11
	s_wait_alu 0xfffe
	s_sub_nc_u64 s[12:13], s[56:57], s[12:13]
	s_sub_nc_u64 s[6:7], s[34:35], s[6:7]
	s_lshl_b64 s[14:15], s[14:15], 3
	s_wait_alu 0xfffe
	s_mul_u64 s[12:13], s[12:13], s[18:19]
	s_add_nc_u64 s[8:9], s[16:17], s[8:9]
	v_readlane_b32 s16, v59, 8
	v_readlane_b32 s17, v59, 9
	s_mul_u64 s[6:7], s[6:7], s[54:55]
	s_wait_alu 0xfffe
	s_lshl_b64 s[12:13], s[12:13], 3
	s_lshl_b64 s[6:7], s[6:7], 3
	s_wait_dscnt 0x0
	v_ashrrev_i32_e32 v1, 31, v0
	s_add_nc_u64 s[14:15], s[16:17], s[14:15]
	s_lshl_b64 s[4:5], s[4:5], 3
	s_wait_alu 0xfffe
	s_add_nc_u64 s[12:13], s[14:15], s[12:13]
	s_lshl_b64 s[10:11], s[10:11], 3
	s_add_nc_u64 s[6:7], s[8:9], s[6:7]
	s_wait_alu 0xfffe
	s_add_nc_u64 s[4:5], s[12:13], s[4:5]
	s_add_nc_u64 s[6:7], s[6:7], s[10:11]
	s_clause 0x1
	global_store_b64 v2, v[0:1], s[4:5]
	global_store_b64 v2, v[6:7], s[6:7]
.LBB46_321:
	s_wait_alu 0xfffe
	s_or_b32 exec_lo, exec_lo, s0
.LBB46_322:
	s_wait_alu 0xfffe
	s_or_saveexec_b32 s0, s3
	s_mov_b32 s2, 0
	s_wait_alu 0xfffe
	s_xor_b32 exec_lo, exec_lo, s0
	s_cbranch_execnz .LBB46_325
.LBB46_323:
	s_or_b32 exec_lo, exec_lo, s0
	s_wait_alu 0xfffe
	s_and_b32 s3, s2, exec_lo
	s_and_not1_saveexec_b32 s0, s1
	s_cbranch_execz .LBB46_299
.LBB46_324:
	s_wait_alu 0xfffe
	s_or_b32 s3, s3, exec_lo
	s_trap 2
	s_or_b32 exec_lo, exec_lo, s0
	s_wait_alu 0xfffe
	s_and_saveexec_b32 s0, s3
	s_cbranch_execnz .LBB46_300
	s_branch .LBB46_301
.LBB46_325:
	s_mov_b32 s2, exec_lo
	s_trap 2
	s_branch .LBB46_323
	.section	.rodata,"a",@progbits
	.p2align	6, 0x0
	.amdhsa_kernel _ZN2at6native12_GLOBAL__N_114gatherKthValueIdlLi3EEEvNS_4cuda6detail10TensorInfoIKT_T0_EES8_S8_S8_S8_NS5_IS6_S8_EENS5_IlS8_EE
		.amdhsa_group_segment_fixed_size 5144
		.amdhsa_private_segment_fixed_size 0
		.amdhsa_kernarg_size 1536
		.amdhsa_user_sgpr_count 2
		.amdhsa_user_sgpr_dispatch_ptr 0
		.amdhsa_user_sgpr_queue_ptr 0
		.amdhsa_user_sgpr_kernarg_segment_ptr 1
		.amdhsa_user_sgpr_dispatch_id 0
		.amdhsa_user_sgpr_private_segment_size 0
		.amdhsa_wavefront_size32 1
		.amdhsa_uses_dynamic_stack 0
		.amdhsa_enable_private_segment 0
		.amdhsa_system_sgpr_workgroup_id_x 1
		.amdhsa_system_sgpr_workgroup_id_y 1
		.amdhsa_system_sgpr_workgroup_id_z 1
		.amdhsa_system_sgpr_workgroup_info 0
		.amdhsa_system_vgpr_workitem_id 0
		.amdhsa_next_free_vgpr 60
		.amdhsa_next_free_sgpr 105
		.amdhsa_reserve_vcc 1
		.amdhsa_float_round_mode_32 0
		.amdhsa_float_round_mode_16_64 0
		.amdhsa_float_denorm_mode_32 3
		.amdhsa_float_denorm_mode_16_64 3
		.amdhsa_fp16_overflow 0
		.amdhsa_workgroup_processor_mode 1
		.amdhsa_memory_ordered 1
		.amdhsa_forward_progress 1
		.amdhsa_inst_pref_size 191
		.amdhsa_round_robin_scheduling 0
		.amdhsa_exception_fp_ieee_invalid_op 0
		.amdhsa_exception_fp_denorm_src 0
		.amdhsa_exception_fp_ieee_div_zero 0
		.amdhsa_exception_fp_ieee_overflow 0
		.amdhsa_exception_fp_ieee_underflow 0
		.amdhsa_exception_fp_ieee_inexact 0
		.amdhsa_exception_int_div_zero 0
	.end_amdhsa_kernel
	.section	.text._ZN2at6native12_GLOBAL__N_114gatherKthValueIdlLi3EEEvNS_4cuda6detail10TensorInfoIKT_T0_EES8_S8_S8_S8_NS5_IS6_S8_EENS5_IlS8_EE,"axG",@progbits,_ZN2at6native12_GLOBAL__N_114gatherKthValueIdlLi3EEEvNS_4cuda6detail10TensorInfoIKT_T0_EES8_S8_S8_S8_NS5_IS6_S8_EENS5_IlS8_EE,comdat
.Lfunc_end46:
	.size	_ZN2at6native12_GLOBAL__N_114gatherKthValueIdlLi3EEEvNS_4cuda6detail10TensorInfoIKT_T0_EES8_S8_S8_S8_NS5_IS6_S8_EENS5_IlS8_EE, .Lfunc_end46-_ZN2at6native12_GLOBAL__N_114gatherKthValueIdlLi3EEEvNS_4cuda6detail10TensorInfoIKT_T0_EES8_S8_S8_S8_NS5_IS6_S8_EENS5_IlS8_EE
                                        ; -- End function
	.set _ZN2at6native12_GLOBAL__N_114gatherKthValueIdlLi3EEEvNS_4cuda6detail10TensorInfoIKT_T0_EES8_S8_S8_S8_NS5_IS6_S8_EENS5_IlS8_EE.num_vgpr, 60
	.set _ZN2at6native12_GLOBAL__N_114gatherKthValueIdlLi3EEEvNS_4cuda6detail10TensorInfoIKT_T0_EES8_S8_S8_S8_NS5_IS6_S8_EENS5_IlS8_EE.num_agpr, 0
	.set _ZN2at6native12_GLOBAL__N_114gatherKthValueIdlLi3EEEvNS_4cuda6detail10TensorInfoIKT_T0_EES8_S8_S8_S8_NS5_IS6_S8_EENS5_IlS8_EE.numbered_sgpr, 105
	.set _ZN2at6native12_GLOBAL__N_114gatherKthValueIdlLi3EEEvNS_4cuda6detail10TensorInfoIKT_T0_EES8_S8_S8_S8_NS5_IS6_S8_EENS5_IlS8_EE.num_named_barrier, 0
	.set _ZN2at6native12_GLOBAL__N_114gatherKthValueIdlLi3EEEvNS_4cuda6detail10TensorInfoIKT_T0_EES8_S8_S8_S8_NS5_IS6_S8_EENS5_IlS8_EE.private_seg_size, 0
	.set _ZN2at6native12_GLOBAL__N_114gatherKthValueIdlLi3EEEvNS_4cuda6detail10TensorInfoIKT_T0_EES8_S8_S8_S8_NS5_IS6_S8_EENS5_IlS8_EE.uses_vcc, 1
	.set _ZN2at6native12_GLOBAL__N_114gatherKthValueIdlLi3EEEvNS_4cuda6detail10TensorInfoIKT_T0_EES8_S8_S8_S8_NS5_IS6_S8_EENS5_IlS8_EE.uses_flat_scratch, 0
	.set _ZN2at6native12_GLOBAL__N_114gatherKthValueIdlLi3EEEvNS_4cuda6detail10TensorInfoIKT_T0_EES8_S8_S8_S8_NS5_IS6_S8_EENS5_IlS8_EE.has_dyn_sized_stack, 0
	.set _ZN2at6native12_GLOBAL__N_114gatherKthValueIdlLi3EEEvNS_4cuda6detail10TensorInfoIKT_T0_EES8_S8_S8_S8_NS5_IS6_S8_EENS5_IlS8_EE.has_recursion, 0
	.set _ZN2at6native12_GLOBAL__N_114gatherKthValueIdlLi3EEEvNS_4cuda6detail10TensorInfoIKT_T0_EES8_S8_S8_S8_NS5_IS6_S8_EENS5_IlS8_EE.has_indirect_call, 0
	.section	.AMDGPU.csdata,"",@progbits
; Kernel info:
; codeLenInByte = 24412
; TotalNumSgprs: 107
; NumVgprs: 60
; ScratchSize: 0
; MemoryBound: 0
; FloatMode: 240
; IeeeMode: 1
; LDSByteSize: 5144 bytes/workgroup (compile time only)
; SGPRBlocks: 0
; VGPRBlocks: 7
; NumSGPRsForWavesPerEU: 107
; NumVGPRsForWavesPerEU: 60
; Occupancy: 16
; WaveLimiterHint : 1
; COMPUTE_PGM_RSRC2:SCRATCH_EN: 0
; COMPUTE_PGM_RSRC2:USER_SGPR: 2
; COMPUTE_PGM_RSRC2:TRAP_HANDLER: 0
; COMPUTE_PGM_RSRC2:TGID_X_EN: 1
; COMPUTE_PGM_RSRC2:TGID_Y_EN: 1
; COMPUTE_PGM_RSRC2:TGID_Z_EN: 1
; COMPUTE_PGM_RSRC2:TIDIG_COMP_CNT: 0
	.section	.text._ZN2at6native12_GLOBAL__N_114gatherKthValueIdlLin1EEEvNS_4cuda6detail10TensorInfoIKT_T0_EES8_S8_S8_S8_NS5_IS6_S8_EENS5_IlS8_EE,"axG",@progbits,_ZN2at6native12_GLOBAL__N_114gatherKthValueIdlLin1EEEvNS_4cuda6detail10TensorInfoIKT_T0_EES8_S8_S8_S8_NS5_IS6_S8_EENS5_IlS8_EE,comdat
	.globl	_ZN2at6native12_GLOBAL__N_114gatherKthValueIdlLin1EEEvNS_4cuda6detail10TensorInfoIKT_T0_EES8_S8_S8_S8_NS5_IS6_S8_EENS5_IlS8_EE ; -- Begin function _ZN2at6native12_GLOBAL__N_114gatherKthValueIdlLin1EEEvNS_4cuda6detail10TensorInfoIKT_T0_EES8_S8_S8_S8_NS5_IS6_S8_EENS5_IlS8_EE
	.p2align	8
	.type	_ZN2at6native12_GLOBAL__N_114gatherKthValueIdlLin1EEEvNS_4cuda6detail10TensorInfoIKT_T0_EES8_S8_S8_S8_NS5_IS6_S8_EENS5_IlS8_EE,@function
_ZN2at6native12_GLOBAL__N_114gatherKthValueIdlLin1EEEvNS_4cuda6detail10TensorInfoIKT_T0_EES8_S8_S8_S8_NS5_IS6_S8_EENS5_IlS8_EE: ; @_ZN2at6native12_GLOBAL__N_114gatherKthValueIdlLin1EEEvNS_4cuda6detail10TensorInfoIKT_T0_EES8_S8_S8_S8_NS5_IS6_S8_EENS5_IlS8_EE
; %bb.0:
	s_clause 0x1
	s_load_b64 s[6:7], s[0:1], 0x500
	s_load_b256 s[36:43], s[0:1], 0x1a0
	s_lshr_b32 s2, ttmp7, 16
	s_and_b32 s3, ttmp7, 0xffff
	s_wait_kmcnt 0x0
	s_mul_i32 s2, s7, s2
	s_delay_alu instid0(SALU_CYCLE_1) | instskip(SKIP_2) | instid1(SALU_CYCLE_1)
	s_add_co_i32 s2, s2, s3
	s_mov_b32 s3, 0
	s_mul_i32 s2, s2, s6
	s_add_co_i32 s2, s2, ttmp9
	s_delay_alu instid0(SALU_CYCLE_1)
	v_cmp_le_i64_e64 s4, s[40:41], s[2:3]
	s_and_b32 vcc_lo, exec_lo, s4
	s_cbranch_vccnz .LBB47_301
; %bb.1:
	s_load_b32 s7, s[0:1], 0x198
	s_mov_b64 s[4:5], 0
	s_mov_b64 s[10:11], s[2:3]
	s_wait_kmcnt 0x0
	s_cmp_lt_i32 s7, 2
	s_cbranch_scc1 .LBB47_9
; %bb.2:
	s_mov_b32 s8, 0
	s_add_co_i32 s4, s7, -1
	s_mov_b32 s5, s8
	s_add_co_i32 s7, s7, 1
	s_lshl_b64 s[4:5], s[4:5], 3
	s_mov_b64 s[14:15], s[2:3]
	s_add_nc_u64 s[10:11], s[0:1], s[4:5]
	s_mov_b64 s[4:5], 0
	s_add_nc_u64 s[12:13], s[10:11], 8
.LBB47_3:                               ; =>This Inner Loop Header: Depth=1
	s_load_b64 s[16:17], s[12:13], 0x0
	s_wait_kmcnt 0x0
	s_or_b64 s[10:11], s[14:15], s[16:17]
	s_delay_alu instid0(SALU_CYCLE_1)
	s_mov_b32 s9, s11
                                        ; implicit-def: $sgpr10_sgpr11
	s_wait_alu 0xfffe
	s_cmp_lg_u64 s[8:9], 0
	s_mov_b32 s9, -1
	s_cbranch_scc0 .LBB47_5
; %bb.4:                                ;   in Loop: Header=BB47_3 Depth=1
	s_ashr_i32 s10, s17, 31
	s_mov_b32 s25, s8
	s_mov_b32 s11, s10
	;; [unrolled: 1-line block ×3, first 2 shown]
	s_add_nc_u64 s[18:19], s[16:17], s[10:11]
	s_delay_alu instid0(SALU_CYCLE_1) | instskip(NEXT) | instid1(SALU_CYCLE_1)
	s_xor_b64 s[18:19], s[18:19], s[10:11]
	s_cvt_f32_u32 s9, s18
	s_cvt_f32_u32 s20, s19
	s_sub_nc_u64 s[22:23], 0, s[18:19]
	s_wait_alu 0xfffe
	s_delay_alu instid0(SALU_CYCLE_1) | instskip(SKIP_1) | instid1(SALU_CYCLE_2)
	s_fmamk_f32 s9, s20, 0x4f800000, s9
	s_wait_alu 0xfffe
	v_s_rcp_f32 s9, s9
	s_delay_alu instid0(TRANS32_DEP_1) | instskip(SKIP_1) | instid1(SALU_CYCLE_2)
	s_mul_f32 s9, s9, 0x5f7ffffc
	s_wait_alu 0xfffe
	s_mul_f32 s20, s9, 0x2f800000
	s_delay_alu instid0(SALU_CYCLE_3) | instskip(NEXT) | instid1(SALU_CYCLE_3)
	s_trunc_f32 s20, s20
	s_fmamk_f32 s9, s20, 0xcf800000, s9
	s_cvt_u32_f32 s21, s20
	s_wait_alu 0xfffe
	s_delay_alu instid0(SALU_CYCLE_1) | instskip(NEXT) | instid1(SALU_CYCLE_3)
	s_cvt_u32_f32 s20, s9
	s_mul_u64 s[26:27], s[22:23], s[20:21]
	s_delay_alu instid0(SALU_CYCLE_1)
	s_mul_hi_u32 s31, s20, s27
	s_mul_i32 s30, s20, s27
	s_mul_hi_u32 s24, s20, s26
	s_mul_i32 s28, s21, s26
	s_add_nc_u64 s[24:25], s[24:25], s[30:31]
	s_mul_hi_u32 s9, s21, s26
	s_mul_hi_u32 s33, s21, s27
	s_add_co_u32 s24, s24, s28
	s_wait_alu 0xfffe
	s_add_co_ci_u32 s28, s25, s9
	s_mul_i32 s26, s21, s27
	s_add_co_ci_u32 s27, s33, 0
	s_delay_alu instid0(SALU_CYCLE_1)
	s_add_nc_u64 s[24:25], s[28:29], s[26:27]
	s_mov_b32 s27, s8
	s_add_co_u32 s20, s20, s24
	s_cselect_b32 s9, -1, 0
	s_wait_alu 0xfffe
	s_cmp_lg_u32 s9, 0
	s_add_co_ci_u32 s21, s21, s25
	s_mov_b32 s25, s8
	s_mul_u64 s[22:23], s[22:23], s[20:21]
	s_delay_alu instid0(SALU_CYCLE_1)
	s_mul_hi_u32 s29, s20, s23
	s_mul_i32 s28, s20, s23
	s_mul_hi_u32 s24, s20, s22
	s_mul_i32 s26, s21, s22
	s_add_nc_u64 s[24:25], s[24:25], s[28:29]
	s_mul_hi_u32 s9, s21, s22
	s_mul_hi_u32 s30, s21, s23
	s_mul_i32 s22, s21, s23
	s_add_co_u32 s23, s24, s26
	s_wait_alu 0xfffe
	s_add_co_ci_u32 s26, s25, s9
	s_add_co_ci_u32 s23, s30, 0
	s_mov_b32 s25, s8
	s_add_nc_u64 s[22:23], s[26:27], s[22:23]
	s_delay_alu instid0(SALU_CYCLE_1) | instskip(SKIP_1) | instid1(SALU_CYCLE_1)
	s_add_co_u32 s9, s20, s22
	s_cselect_b32 s20, -1, 0
	s_cmp_lg_u32 s20, 0
	s_add_co_ci_u32 s26, s21, s23
	s_ashr_i32 s20, s15, 31
	s_delay_alu instid0(SALU_CYCLE_1) | instskip(NEXT) | instid1(SALU_CYCLE_1)
	s_mov_b32 s21, s20
	s_add_nc_u64 s[22:23], s[14:15], s[20:21]
	s_delay_alu instid0(SALU_CYCLE_1) | instskip(NEXT) | instid1(SALU_CYCLE_1)
	s_xor_b64 s[22:23], s[22:23], s[20:21]
	s_mul_hi_u32 s29, s22, s26
	s_mul_i32 s28, s22, s26
	s_wait_alu 0xfffe
	s_mul_hi_u32 s24, s22, s9
	s_mul_hi_u32 s31, s23, s9
	s_mul_i32 s9, s23, s9
	s_add_nc_u64 s[24:25], s[24:25], s[28:29]
	s_mul_hi_u32 s30, s23, s26
	s_wait_alu 0xfffe
	s_add_co_u32 s9, s24, s9
	s_mul_i32 s28, s23, s26
	s_add_co_ci_u32 s26, s25, s31
	s_add_co_ci_u32 s29, s30, 0
	s_delay_alu instid0(SALU_CYCLE_1) | instskip(NEXT) | instid1(SALU_CYCLE_1)
	s_add_nc_u64 s[24:25], s[26:27], s[28:29]
	s_mul_u64 s[26:27], s[18:19], s[24:25]
	s_delay_alu instid0(SALU_CYCLE_1)
	s_sub_co_u32 s9, s22, s26
	s_cselect_b32 s22, -1, 0
	s_sub_co_i32 s26, s23, s27
	s_cmp_lg_u32 s22, 0
	s_sub_co_ci_u32 s26, s26, s19
	s_wait_alu 0xfffe
	s_sub_co_u32 s28, s9, s18
	s_cselect_b32 s29, -1, 0
	s_delay_alu instid0(SALU_CYCLE_1) | instskip(SKIP_1) | instid1(SALU_CYCLE_1)
	s_cmp_lg_u32 s29, 0
	s_sub_co_ci_u32 s26, s26, 0
	s_cmp_ge_u32 s26, s19
	s_cselect_b32 s30, -1, 0
	s_cmp_ge_u32 s28, s18
	s_add_nc_u64 s[28:29], s[24:25], 1
	s_cselect_b32 s31, -1, 0
	s_cmp_eq_u32 s26, s19
	s_cselect_b32 s26, s31, s30
	s_add_nc_u64 s[30:31], s[24:25], 2
	s_cmp_lg_u32 s26, 0
	s_cselect_b32 s26, s30, s28
	s_cselect_b32 s28, s31, s29
	s_cmp_lg_u32 s22, 0
	s_sub_co_ci_u32 s22, s23, s27
	s_delay_alu instid0(SALU_CYCLE_1)
	s_cmp_ge_u32 s22, s19
	s_cselect_b32 s23, -1, 0
	s_cmp_ge_u32 s9, s18
	s_cselect_b32 s9, -1, 0
	s_cmp_eq_u32 s22, s19
	s_wait_alu 0xfffe
	s_cselect_b32 s9, s9, s23
	s_wait_alu 0xfffe
	s_cmp_lg_u32 s9, 0
	s_mov_b32 s9, 0
	s_cselect_b32 s19, s28, s25
	s_cselect_b32 s18, s26, s24
	s_xor_b64 s[10:11], s[20:21], s[10:11]
	s_delay_alu instid0(SALU_CYCLE_1) | instskip(NEXT) | instid1(SALU_CYCLE_1)
	s_xor_b64 s[18:19], s[18:19], s[10:11]
	s_sub_nc_u64 s[10:11], s[18:19], s[10:11]
.LBB47_5:                               ;   in Loop: Header=BB47_3 Depth=1
	s_wait_alu 0xfffe
	s_and_not1_b32 vcc_lo, exec_lo, s9
	s_cbranch_vccnz .LBB47_7
; %bb.6:                                ;   in Loop: Header=BB47_3 Depth=1
	v_cvt_f32_u32_e32 v1, s16
	s_sub_co_i32 s10, 0, s16
	s_delay_alu instid0(VALU_DEP_1) | instskip(NEXT) | instid1(TRANS32_DEP_1)
	v_rcp_iflag_f32_e32 v1, v1
	v_mul_f32_e32 v1, 0x4f7ffffe, v1
	s_delay_alu instid0(VALU_DEP_1) | instskip(NEXT) | instid1(VALU_DEP_1)
	v_cvt_u32_f32_e32 v1, v1
	v_readfirstlane_b32 s9, v1
	s_mul_i32 s10, s10, s9
	s_delay_alu instid0(SALU_CYCLE_1) | instskip(NEXT) | instid1(SALU_CYCLE_1)
	s_mul_hi_u32 s10, s9, s10
	s_add_co_i32 s9, s9, s10
	s_wait_alu 0xfffe
	s_mul_hi_u32 s9, s14, s9
	s_wait_alu 0xfffe
	s_mul_i32 s10, s9, s16
	s_add_co_i32 s11, s9, 1
	s_sub_co_i32 s10, s14, s10
	s_delay_alu instid0(SALU_CYCLE_1)
	s_sub_co_i32 s18, s10, s16
	s_cmp_ge_u32 s10, s16
	s_cselect_b32 s9, s11, s9
	s_cselect_b32 s10, s18, s10
	s_wait_alu 0xfffe
	s_add_co_i32 s11, s9, 1
	s_cmp_ge_u32 s10, s16
	s_cselect_b32 s10, s11, s9
	s_mov_b32 s11, s8
.LBB47_7:                               ;   in Loop: Header=BB47_3 Depth=1
	s_load_b64 s[18:19], s[12:13], 0xc8
	s_mul_u64 s[16:17], s[10:11], s[16:17]
	s_add_co_i32 s7, s7, -1
	s_wait_alu 0xfffe
	s_sub_nc_u64 s[14:15], s[14:15], s[16:17]
	s_cmp_gt_u32 s7, 2
	s_add_nc_u64 s[12:13], s[12:13], -8
	s_wait_kmcnt 0x0
	s_mul_u64 s[14:15], s[18:19], s[14:15]
	s_delay_alu instid0(SALU_CYCLE_1)
	s_add_nc_u64 s[4:5], s[14:15], s[4:5]
	s_cbranch_scc0 .LBB47_9
; %bb.8:                                ;   in Loop: Header=BB47_3 Depth=1
	s_mov_b64 s[14:15], s[10:11]
	s_branch .LBB47_3
.LBB47_9:
	s_load_b32 s7, s[0:1], 0x358
	s_add_nc_u64 s[8:9], s[0:1], 0x500
	s_add_nc_u64 s[12:13], s[0:1], 0x1c0
	s_mov_b64 s[26:27], 0
	s_mov_b64 s[28:29], s[2:3]
	s_wait_kmcnt 0x0
	s_cmp_lt_i32 s7, 2
	s_cbranch_scc1 .LBB47_17
; %bb.10:
	s_mov_b32 s14, 0
	s_add_co_i32 s16, s7, -1
	s_mov_b32 s17, s14
	s_add_co_i32 s7, s7, 1
	s_wait_alu 0xfffe
	s_lshl_b64 s[16:17], s[16:17], 3
	s_mov_b64 s[18:19], s[2:3]
	s_wait_alu 0xfffe
	s_add_nc_u64 s[16:17], s[12:13], s[16:17]
	s_wait_alu 0xfffe
	s_add_nc_u64 s[16:17], s[16:17], 8
.LBB47_11:                              ; =>This Inner Loop Header: Depth=1
	s_load_b64 s[20:21], s[16:17], 0x0
                                        ; implicit-def: $sgpr28_sgpr29
	s_wait_kmcnt 0x0
	s_or_b64 s[22:23], s[18:19], s[20:21]
	s_delay_alu instid0(SALU_CYCLE_1)
	s_mov_b32 s15, s23
	s_wait_alu 0xfffe
	s_cmp_lg_u64 s[14:15], 0
	s_mov_b32 s15, -1
	s_cbranch_scc0 .LBB47_13
; %bb.12:                               ;   in Loop: Header=BB47_11 Depth=1
	s_ashr_i32 s22, s21, 31
	s_mov_b32 s35, s14
	s_mov_b32 s23, s22
	;; [unrolled: 1-line block ×3, first 2 shown]
	s_add_nc_u64 s[24:25], s[20:21], s[22:23]
	s_delay_alu instid0(SALU_CYCLE_1) | instskip(NEXT) | instid1(SALU_CYCLE_1)
	s_xor_b64 s[24:25], s[24:25], s[22:23]
	s_cvt_f32_u32 s15, s24
	s_cvt_f32_u32 s28, s25
	s_sub_nc_u64 s[30:31], 0, s[24:25]
	s_wait_alu 0xfffe
	s_delay_alu instid0(SALU_CYCLE_1) | instskip(SKIP_1) | instid1(SALU_CYCLE_2)
	s_fmamk_f32 s15, s28, 0x4f800000, s15
	s_wait_alu 0xfffe
	v_s_rcp_f32 s15, s15
	s_delay_alu instid0(TRANS32_DEP_1) | instskip(SKIP_1) | instid1(SALU_CYCLE_2)
	s_mul_f32 s15, s15, 0x5f7ffffc
	s_wait_alu 0xfffe
	s_mul_f32 s28, s15, 0x2f800000
	s_delay_alu instid0(SALU_CYCLE_3) | instskip(NEXT) | instid1(SALU_CYCLE_3)
	s_trunc_f32 s28, s28
	s_fmamk_f32 s15, s28, 0xcf800000, s15
	s_cvt_u32_f32 s29, s28
	s_wait_alu 0xfffe
	s_delay_alu instid0(SALU_CYCLE_1) | instskip(NEXT) | instid1(SALU_CYCLE_3)
	s_cvt_u32_f32 s28, s15
	s_mul_u64 s[40:41], s[30:31], s[28:29]
	s_wait_alu 0xfffe
	s_mul_hi_u32 s47, s28, s41
	s_mul_i32 s46, s28, s41
	s_mul_hi_u32 s34, s28, s40
	s_mul_i32 s33, s29, s40
	s_add_nc_u64 s[34:35], s[34:35], s[46:47]
	s_mul_hi_u32 s15, s29, s40
	s_mul_hi_u32 s48, s29, s41
	s_add_co_u32 s33, s34, s33
	s_wait_alu 0xfffe
	s_add_co_ci_u32 s44, s35, s15
	s_mul_i32 s40, s29, s41
	s_add_co_ci_u32 s41, s48, 0
	s_wait_alu 0xfffe
	s_add_nc_u64 s[34:35], s[44:45], s[40:41]
	s_mov_b32 s41, s14
	s_add_co_u32 s28, s28, s34
	s_cselect_b32 s15, -1, 0
	s_wait_alu 0xfffe
	s_cmp_lg_u32 s15, 0
	s_add_co_ci_u32 s29, s29, s35
	s_mov_b32 s35, s14
	s_mul_u64 s[30:31], s[30:31], s[28:29]
	s_delay_alu instid0(SALU_CYCLE_1)
	s_mul_hi_u32 s45, s28, s31
	s_mul_i32 s44, s28, s31
	s_mul_hi_u32 s34, s28, s30
	s_mul_i32 s33, s29, s30
	s_add_nc_u64 s[34:35], s[34:35], s[44:45]
	s_mul_hi_u32 s15, s29, s30
	s_mul_hi_u32 s46, s29, s31
	s_mul_i32 s30, s29, s31
	s_add_co_u32 s31, s34, s33
	s_wait_alu 0xfffe
	s_add_co_ci_u32 s40, s35, s15
	s_add_co_ci_u32 s31, s46, 0
	s_mov_b32 s35, s14
	s_wait_alu 0xfffe
	s_add_nc_u64 s[30:31], s[40:41], s[30:31]
	s_delay_alu instid0(SALU_CYCLE_1) | instskip(SKIP_1) | instid1(SALU_CYCLE_1)
	s_add_co_u32 s15, s28, s30
	s_cselect_b32 s28, -1, 0
	s_cmp_lg_u32 s28, 0
	s_add_co_ci_u32 s33, s29, s31
	s_ashr_i32 s28, s19, 31
	s_delay_alu instid0(SALU_CYCLE_1) | instskip(NEXT) | instid1(SALU_CYCLE_1)
	s_mov_b32 s29, s28
	s_add_nc_u64 s[30:31], s[18:19], s[28:29]
	s_delay_alu instid0(SALU_CYCLE_1) | instskip(NEXT) | instid1(SALU_CYCLE_1)
	s_xor_b64 s[30:31], s[30:31], s[28:29]
	s_mul_hi_u32 s45, s30, s33
	s_mul_i32 s44, s30, s33
	s_wait_alu 0xfffe
	s_mul_hi_u32 s34, s30, s15
	s_mul_hi_u32 s40, s31, s15
	s_mul_i32 s15, s31, s15
	s_add_nc_u64 s[34:35], s[34:35], s[44:45]
	s_mul_hi_u32 s46, s31, s33
	s_wait_alu 0xfffe
	s_add_co_u32 s15, s34, s15
	s_add_co_ci_u32 s40, s35, s40
	s_mul_i32 s44, s31, s33
	s_add_co_ci_u32 s45, s46, 0
	s_wait_alu 0xfffe
	s_add_nc_u64 s[34:35], s[40:41], s[44:45]
	s_delay_alu instid0(SALU_CYCLE_1)
	s_mul_u64 s[40:41], s[24:25], s[34:35]
	s_wait_alu 0xfffe
	s_sub_co_u32 s15, s30, s40
	s_cselect_b32 s30, -1, 0
	s_sub_co_i32 s33, s31, s41
	s_cmp_lg_u32 s30, 0
	s_sub_co_ci_u32 s33, s33, s25
	s_wait_alu 0xfffe
	s_sub_co_u32 s40, s15, s24
	s_cselect_b32 s44, -1, 0
	s_delay_alu instid0(SALU_CYCLE_1) | instskip(SKIP_2) | instid1(SALU_CYCLE_1)
	s_cmp_lg_u32 s44, 0
	s_add_nc_u64 s[44:45], s[34:35], 1
	s_sub_co_ci_u32 s33, s33, 0
	s_cmp_ge_u32 s33, s25
	s_cselect_b32 s46, -1, 0
	s_wait_alu 0xfffe
	s_cmp_ge_u32 s40, s24
	s_cselect_b32 s40, -1, 0
	s_cmp_eq_u32 s33, s25
	s_wait_alu 0xfffe
	s_cselect_b32 s33, s40, s46
	s_add_nc_u64 s[46:47], s[34:35], 2
	s_cmp_lg_u32 s33, 0
	s_cselect_b32 s33, s46, s44
	s_cselect_b32 s40, s47, s45
	s_cmp_lg_u32 s30, 0
	s_sub_co_ci_u32 s30, s31, s41
	s_delay_alu instid0(SALU_CYCLE_1)
	s_cmp_ge_u32 s30, s25
	s_cselect_b32 s31, -1, 0
	s_cmp_ge_u32 s15, s24
	s_cselect_b32 s15, -1, 0
	s_cmp_eq_u32 s30, s25
	s_wait_alu 0xfffe
	s_cselect_b32 s15, s15, s31
	s_wait_alu 0xfffe
	s_cmp_lg_u32 s15, 0
	s_mov_b32 s15, 0
	s_cselect_b32 s25, s40, s35
	s_cselect_b32 s24, s33, s34
	s_xor_b64 s[22:23], s[28:29], s[22:23]
	s_delay_alu instid0(SALU_CYCLE_1) | instskip(NEXT) | instid1(SALU_CYCLE_1)
	s_xor_b64 s[24:25], s[24:25], s[22:23]
	s_sub_nc_u64 s[28:29], s[24:25], s[22:23]
.LBB47_13:                              ;   in Loop: Header=BB47_11 Depth=1
	s_wait_alu 0xfffe
	s_and_not1_b32 vcc_lo, exec_lo, s15
	s_cbranch_vccnz .LBB47_15
; %bb.14:                               ;   in Loop: Header=BB47_11 Depth=1
	v_cvt_f32_u32_e32 v1, s20
	s_sub_co_i32 s22, 0, s20
	s_mov_b32 s29, s14
	s_delay_alu instid0(VALU_DEP_1) | instskip(NEXT) | instid1(TRANS32_DEP_1)
	v_rcp_iflag_f32_e32 v1, v1
	v_mul_f32_e32 v1, 0x4f7ffffe, v1
	s_delay_alu instid0(VALU_DEP_1) | instskip(NEXT) | instid1(VALU_DEP_1)
	v_cvt_u32_f32_e32 v1, v1
	v_readfirstlane_b32 s15, v1
	s_mul_i32 s22, s22, s15
	s_delay_alu instid0(SALU_CYCLE_1) | instskip(NEXT) | instid1(SALU_CYCLE_1)
	s_mul_hi_u32 s22, s15, s22
	s_add_co_i32 s15, s15, s22
	s_wait_alu 0xfffe
	s_mul_hi_u32 s15, s18, s15
	s_wait_alu 0xfffe
	s_mul_i32 s22, s15, s20
	s_add_co_i32 s23, s15, 1
	s_sub_co_i32 s22, s18, s22
	s_delay_alu instid0(SALU_CYCLE_1)
	s_sub_co_i32 s24, s22, s20
	s_cmp_ge_u32 s22, s20
	s_cselect_b32 s15, s23, s15
	s_cselect_b32 s22, s24, s22
	s_wait_alu 0xfffe
	s_add_co_i32 s23, s15, 1
	s_cmp_ge_u32 s22, s20
	s_cselect_b32 s28, s23, s15
.LBB47_15:                              ;   in Loop: Header=BB47_11 Depth=1
	s_load_b64 s[22:23], s[16:17], 0xc8
	s_mul_u64 s[20:21], s[28:29], s[20:21]
	s_add_co_i32 s7, s7, -1
	s_wait_alu 0xfffe
	s_sub_nc_u64 s[18:19], s[18:19], s[20:21]
	s_cmp_gt_u32 s7, 2
	s_add_nc_u64 s[16:17], s[16:17], -8
	s_wait_kmcnt 0x0
	s_mul_u64 s[18:19], s[22:23], s[18:19]
	s_delay_alu instid0(SALU_CYCLE_1)
	s_add_nc_u64 s[26:27], s[18:19], s[26:27]
	s_cbranch_scc0 .LBB47_17
; %bb.16:                               ;   in Loop: Header=BB47_11 Depth=1
	s_mov_b64 s[18:19], s[28:29]
	s_branch .LBB47_11
.LBB47_17:
	s_clause 0x1
	s_load_b64 s[14:15], s[0:1], 0xd0
	s_load_b32 s7, s[0:1], 0x4f8
	s_mov_b64 s[30:31], 0
	s_wait_kmcnt 0x0
	s_cmp_lt_i32 s7, 2
	s_cbranch_scc1 .LBB47_25
; %bb.18:
	s_mov_b32 s16, 0
	s_add_co_i32 s18, s7, -1
	s_wait_alu 0xfffe
	s_mov_b32 s19, s16
	s_add_nc_u64 s[20:21], s[0:1], 0x360
	s_lshl_b64 s[18:19], s[18:19], 3
	s_add_co_i32 s7, s7, 1
	s_wait_alu 0xfffe
	s_add_nc_u64 s[18:19], s[20:21], s[18:19]
	s_delay_alu instid0(SALU_CYCLE_1)
	s_add_nc_u64 s[18:19], s[18:19], 8
.LBB47_19:                              ; =>This Inner Loop Header: Depth=1
	s_load_b64 s[20:21], s[18:19], 0x0
                                        ; implicit-def: $sgpr34_sgpr35
	s_wait_kmcnt 0x0
	s_or_b64 s[22:23], s[2:3], s[20:21]
	s_delay_alu instid0(SALU_CYCLE_1)
	s_mov_b32 s17, s23
	s_wait_alu 0xfffe
	s_cmp_lg_u64 s[16:17], 0
	s_mov_b32 s17, -1
	s_cbranch_scc0 .LBB47_21
; %bb.20:                               ;   in Loop: Header=BB47_19 Depth=1
	s_ashr_i32 s22, s21, 31
	s_mov_b32 s45, s16
	s_mov_b32 s23, s22
	;; [unrolled: 1-line block ×3, first 2 shown]
	s_add_nc_u64 s[24:25], s[20:21], s[22:23]
	s_delay_alu instid0(SALU_CYCLE_1) | instskip(NEXT) | instid1(SALU_CYCLE_1)
	s_xor_b64 s[24:25], s[24:25], s[22:23]
	s_cvt_f32_u32 s17, s24
	s_cvt_f32_u32 s33, s25
	s_sub_nc_u64 s[40:41], 0, s[24:25]
	s_wait_alu 0xfffe
	s_delay_alu instid0(SALU_CYCLE_1) | instskip(SKIP_1) | instid1(SALU_CYCLE_2)
	s_fmamk_f32 s17, s33, 0x4f800000, s17
	s_wait_alu 0xfffe
	v_s_rcp_f32 s17, s17
	s_delay_alu instid0(TRANS32_DEP_1) | instskip(SKIP_1) | instid1(SALU_CYCLE_2)
	s_mul_f32 s17, s17, 0x5f7ffffc
	s_wait_alu 0xfffe
	s_mul_f32 s33, s17, 0x2f800000
	s_delay_alu instid0(SALU_CYCLE_3) | instskip(NEXT) | instid1(SALU_CYCLE_3)
	s_trunc_f32 s33, s33
	s_fmamk_f32 s17, s33, 0xcf800000, s17
	s_cvt_u32_f32 s35, s33
	s_wait_alu 0xfffe
	s_delay_alu instid0(SALU_CYCLE_1) | instskip(NEXT) | instid1(SALU_CYCLE_3)
	s_cvt_u32_f32 s34, s17
	s_mul_u64 s[46:47], s[40:41], s[34:35]
	s_delay_alu instid0(SALU_CYCLE_1)
	s_mul_hi_u32 s51, s34, s47
	s_mul_i32 s50, s34, s47
	s_mul_hi_u32 s44, s34, s46
	s_mul_i32 s33, s35, s46
	s_add_nc_u64 s[44:45], s[44:45], s[50:51]
	s_mul_hi_u32 s17, s35, s46
	s_mul_hi_u32 s52, s35, s47
	s_add_co_u32 s33, s44, s33
	s_wait_alu 0xfffe
	s_add_co_ci_u32 s48, s45, s17
	s_mul_i32 s46, s35, s47
	s_add_co_ci_u32 s47, s52, 0
	s_delay_alu instid0(SALU_CYCLE_1)
	s_add_nc_u64 s[44:45], s[48:49], s[46:47]
	s_mov_b32 s47, s16
	s_add_co_u32 s34, s34, s44
	s_cselect_b32 s17, -1, 0
	s_wait_alu 0xfffe
	s_cmp_lg_u32 s17, 0
	s_add_co_ci_u32 s35, s35, s45
	s_mov_b32 s45, s16
	s_mul_u64 s[40:41], s[40:41], s[34:35]
	s_wait_alu 0xfffe
	s_mul_hi_u32 s49, s34, s41
	s_mul_i32 s48, s34, s41
	s_mul_hi_u32 s44, s34, s40
	s_mul_i32 s33, s35, s40
	s_add_nc_u64 s[44:45], s[44:45], s[48:49]
	s_mul_hi_u32 s17, s35, s40
	s_mul_hi_u32 s50, s35, s41
	s_add_co_u32 s33, s44, s33
	s_wait_alu 0xfffe
	s_add_co_ci_u32 s46, s45, s17
	s_mul_i32 s40, s35, s41
	s_add_co_ci_u32 s41, s50, 0
	s_mov_b32 s45, s16
	s_wait_alu 0xfffe
	s_add_nc_u64 s[40:41], s[46:47], s[40:41]
	s_wait_alu 0xfffe
	s_add_co_u32 s17, s34, s40
	s_cselect_b32 s33, -1, 0
	s_delay_alu instid0(SALU_CYCLE_1) | instskip(SKIP_2) | instid1(SALU_CYCLE_1)
	s_cmp_lg_u32 s33, 0
	s_add_co_ci_u32 s33, s35, s41
	s_ashr_i32 s34, s3, 31
	s_mov_b32 s35, s34
	s_delay_alu instid0(SALU_CYCLE_1)
	s_add_nc_u64 s[40:41], s[2:3], s[34:35]
	s_wait_alu 0xfffe
	s_xor_b64 s[40:41], s[40:41], s[34:35]
	s_wait_alu 0xfffe
	s_mul_hi_u32 s49, s40, s33
	s_mul_i32 s48, s40, s33
	s_mul_hi_u32 s44, s40, s17
	s_mul_hi_u32 s46, s41, s17
	s_mul_i32 s17, s41, s17
	s_add_nc_u64 s[44:45], s[44:45], s[48:49]
	s_mul_hi_u32 s50, s41, s33
	s_wait_alu 0xfffe
	s_add_co_u32 s17, s44, s17
	s_add_co_ci_u32 s46, s45, s46
	s_mul_i32 s48, s41, s33
	s_add_co_ci_u32 s49, s50, 0
	s_delay_alu instid0(SALU_CYCLE_1) | instskip(NEXT) | instid1(SALU_CYCLE_1)
	s_add_nc_u64 s[44:45], s[46:47], s[48:49]
	s_mul_u64 s[46:47], s[24:25], s[44:45]
	s_delay_alu instid0(SALU_CYCLE_1)
	s_sub_co_u32 s17, s40, s46
	s_cselect_b32 s33, -1, 0
	s_sub_co_i32 s40, s41, s47
	s_cmp_lg_u32 s33, 0
	s_wait_alu 0xfffe
	s_sub_co_ci_u32 s40, s40, s25
	s_sub_co_u32 s46, s17, s24
	s_cselect_b32 s48, -1, 0
	s_delay_alu instid0(SALU_CYCLE_1)
	s_cmp_lg_u32 s48, 0
	s_add_nc_u64 s[48:49], s[44:45], 1
	s_wait_alu 0xfffe
	s_sub_co_ci_u32 s40, s40, 0
	s_wait_alu 0xfffe
	s_cmp_ge_u32 s40, s25
	s_cselect_b32 s50, -1, 0
	s_cmp_ge_u32 s46, s24
	s_cselect_b32 s46, -1, 0
	s_cmp_eq_u32 s40, s25
	s_cselect_b32 s40, s46, s50
	s_add_nc_u64 s[50:51], s[44:45], 2
	s_wait_alu 0xfffe
	s_cmp_lg_u32 s40, 0
	s_cselect_b32 s40, s50, s48
	s_cselect_b32 s46, s51, s49
	s_cmp_lg_u32 s33, 0
	s_sub_co_ci_u32 s33, s41, s47
	s_delay_alu instid0(SALU_CYCLE_1)
	s_cmp_ge_u32 s33, s25
	s_cselect_b32 s41, -1, 0
	s_cmp_ge_u32 s17, s24
	s_cselect_b32 s17, -1, 0
	s_cmp_eq_u32 s33, s25
	s_wait_alu 0xfffe
	s_cselect_b32 s17, s17, s41
	s_wait_alu 0xfffe
	s_cmp_lg_u32 s17, 0
	s_mov_b32 s17, 0
	s_cselect_b32 s25, s46, s45
	s_cselect_b32 s24, s40, s44
	s_xor_b64 s[22:23], s[34:35], s[22:23]
	s_delay_alu instid0(SALU_CYCLE_1) | instskip(NEXT) | instid1(SALU_CYCLE_1)
	s_xor_b64 s[24:25], s[24:25], s[22:23]
	s_sub_nc_u64 s[34:35], s[24:25], s[22:23]
.LBB47_21:                              ;   in Loop: Header=BB47_19 Depth=1
	s_wait_alu 0xfffe
	s_and_not1_b32 vcc_lo, exec_lo, s17
	s_cbranch_vccnz .LBB47_23
; %bb.22:                               ;   in Loop: Header=BB47_19 Depth=1
	v_cvt_f32_u32_e32 v1, s20
	s_sub_co_i32 s22, 0, s20
	s_mov_b32 s35, s16
	s_delay_alu instid0(VALU_DEP_1) | instskip(NEXT) | instid1(TRANS32_DEP_1)
	v_rcp_iflag_f32_e32 v1, v1
	v_mul_f32_e32 v1, 0x4f7ffffe, v1
	s_delay_alu instid0(VALU_DEP_1) | instskip(NEXT) | instid1(VALU_DEP_1)
	v_cvt_u32_f32_e32 v1, v1
	v_readfirstlane_b32 s17, v1
	s_mul_i32 s22, s22, s17
	s_delay_alu instid0(SALU_CYCLE_1) | instskip(NEXT) | instid1(SALU_CYCLE_1)
	s_mul_hi_u32 s22, s17, s22
	s_add_co_i32 s17, s17, s22
	s_wait_alu 0xfffe
	s_mul_hi_u32 s17, s2, s17
	s_wait_alu 0xfffe
	s_mul_i32 s22, s17, s20
	s_add_co_i32 s23, s17, 1
	s_sub_co_i32 s22, s2, s22
	s_delay_alu instid0(SALU_CYCLE_1)
	s_sub_co_i32 s24, s22, s20
	s_cmp_ge_u32 s22, s20
	s_cselect_b32 s17, s23, s17
	s_cselect_b32 s22, s24, s22
	s_wait_alu 0xfffe
	s_add_co_i32 s23, s17, 1
	s_cmp_ge_u32 s22, s20
	s_cselect_b32 s34, s23, s17
.LBB47_23:                              ;   in Loop: Header=BB47_19 Depth=1
	s_load_b64 s[22:23], s[18:19], 0xc8
	s_mul_u64 s[20:21], s[34:35], s[20:21]
	s_add_co_i32 s7, s7, -1
	s_wait_alu 0xfffe
	s_sub_nc_u64 s[2:3], s[2:3], s[20:21]
	s_cmp_gt_u32 s7, 2
	s_add_nc_u64 s[18:19], s[18:19], -8
	s_wait_kmcnt 0x0
	s_wait_alu 0xfffe
	s_mul_u64 s[2:3], s[22:23], s[2:3]
	s_wait_alu 0xfffe
	s_add_nc_u64 s[30:31], s[2:3], s[30:31]
	s_cbranch_scc0 .LBB47_26
; %bb.24:                               ;   in Loop: Header=BB47_19 Depth=1
	s_mov_b64 s[2:3], s[34:35]
	s_branch .LBB47_19
.LBB47_25:
	s_mov_b64 s[34:35], s[2:3]
.LBB47_26:
	s_clause 0x1
	s_load_b64 s[40:41], s[12:13], 0xd0
	s_load_b64 s[12:13], s[0:1], 0x0
	v_cmp_eq_u32_e64 s2, 0, v0
	s_mov_b32 s25, 0
	s_and_saveexec_b32 s3, s2
	s_cbranch_execz .LBB47_28
; %bb.27:
	v_dual_mov_b32 v1, 0 :: v_dual_mov_b32 v4, s37
	s_delay_alu instid0(VALU_DEP_1)
	v_dual_mov_b32 v3, s36 :: v_dual_mov_b32 v2, v1
	ds_store_b32 v1, v1 offset:5136
	ds_store_b128 v1, v[1:4] offset:5120
.LBB47_28:
	s_wait_alu 0xfffe
	s_or_b32 exec_lo, exec_lo, s3
	v_dual_mov_b32 v19, 0 :: v_dual_lshlrev_b32 v22, 2, v0
	s_lshl_b64 s[54:55], s[4:5], 3
	s_clause 0x2
	s_load_b64 s[48:49], s[0:1], 0x430
	s_load_b64 s[44:45], s[0:1], 0x1c0
	;; [unrolled: 1-line block ×3, first 2 shown]
	s_wait_dscnt 0x0
	v_dual_mov_b32 v23, v19 :: v_dual_lshlrev_b32 v50, 5, v0
	s_barrier_signal -1
	s_barrier_wait -1
	global_inv scope:SCOPE_SE
	s_load_b32 s5, s[8:9], 0xc
	s_mul_u64 s[10:11], s[14:15], s[10:11]
	v_or_b32_e32 v9, 24, v50
	s_lshl_b64 s[10:11], s[10:11], 3
	v_mbcnt_lo_u32_b32 v46, -1, 0
	s_wait_kmcnt 0x0
	s_add_nc_u64 s[14:15], s[12:13], s[10:11]
	v_or_b32_e32 v11, 16, v50
	v_mad_co_u64_u32 v[2:3], null, s42, v0, 0
	s_wait_alu 0xfffe
	v_mad_co_u64_u32 v[24:25], null, s42, v9, s[14:15]
	v_lshlrev_b64_e64 v[6:7], v46, -1
	v_mad_co_u64_u32 v[26:27], null, s42, v11, s[14:15]
	v_or_b32_e32 v12, 8, v50
	v_lshlrev_b32_e32 v47, 3, v0
	v_cmp_gt_u32_e32 vcc_lo, 32, v0
	v_not_b32_e32 v49, v6
	v_dual_mov_b32 v6, v25 :: v_dual_mov_b32 v1, v3
	s_delay_alu instid0(VALU_DEP_4)
	v_add_nc_u32_e32 v48, 0xc00, v47
	v_cmp_gt_i32_e64 s0, 4, v46
	v_mad_co_u64_u32 v[28:29], null, s42, v12, s[14:15]
	v_dual_mov_b32 v7, v27 :: v_dual_mov_b32 v32, 0
	v_mad_co_u64_u32 v[3:4], null, s43, v0, v[1:2]
	s_and_b32 s50, s5, 0xffff
	s_and_b32 s33, vcc_lo, s0
	s_bfe_u32 s5, s5, 0xb0005
	s_cmp_gt_u32 s50, 31
	v_mad_co_u64_u32 v[9:10], null, s43, v9, v[6:7]
	s_cselect_b32 s85, -1, 0
	s_cmp_lt_u32 ttmp9, s6
	v_dual_mov_b32 v1, v19 :: v_dual_mov_b32 v8, v29
	s_cselect_b32 s24, 12, 18
	s_add_co_i32 s6, s5, -1
	v_lshlrev_b64_e32 v[4:5], 3, v[2:3]
	s_and_b32 s6, s6, 0xffff
	s_bfe_u32 s86, s50, 0x30005
	s_movk_i32 s7, 0x3e0
	s_cmp_gt_u32 s6, 6
	v_mad_co_u64_u32 v[6:7], null, s43, v11, v[7:8]
	v_lshlrev_b64_e32 v[2:3], 5, v[2:3]
	v_mad_co_u64_u32 v[7:8], null, s43, v12, v[8:9]
	s_add_nc_u64 s[56:57], s[14:15], s[54:55]
	v_and_or_b32 v51, v0, s7, 0xc00
	s_cselect_b32 s87, -1, 0
	s_and_b32 s88, s5, 0x7f8
	s_add_nc_u64 s[6:7], s[10:11], s[54:55]
	s_cmp_lg_u32 s86, 0
	v_add_co_u32 v20, vcc_lo, s56, v4
	s_wait_alu 0xfffe
	s_add_nc_u64 s[62:63], s[12:13], s[6:7]
	s_add_nc_u64 s[6:7], s[12:13], s[54:55]
	s_cselect_b32 s89, -1, 0
	s_lshl_b64 s[64:65], s[42:43], 3
	s_lshl_b64 s[66:67], s[42:43], 5
	v_add_co_ci_u32_e64 v21, null, s57, v5, vcc_lo
	v_add_co_u32 v30, vcc_lo, s14, v2
	s_wait_alu 0xfffe
	s_add_nc_u64 s[6:7], s[6:7], s[10:11]
	v_mul_lo_u32 v55, 0, s64
	v_mul_lo_u32 v56, 0, s66
	s_wait_alu 0xfffd
	v_add_co_ci_u32_e64 v31, null, s15, v3, vcc_lo
	v_add_co_u32 v52, s5, s36, v0
	s_wait_alu 0xfffe
	v_add_co_u32 v16, vcc_lo, s6, v4
	v_cmp_lt_i64_e64 s84, 0x180, s[36:37]
	v_cmp_gt_u64_e64 s4, s[36:37], v[0:1]
	v_cmp_gt_i64_e64 s0, s[36:37], v[0:1]
	s_mov_b32 s51, s25
	v_mov_b32_e32 v25, v9
	v_dual_mov_b32 v27, v6 :: v_dual_mov_b32 v36, s38
	v_dual_mov_b32 v29, v7 :: v_dual_mov_b32 v34, 0
	v_mov_b32_e32 v6, 0
	v_cmp_eq_u32_e64 s1, 0, v46
	v_cmp_gt_u32_e64 s3, 2, v0
	v_add_co_ci_u32_e64 v53, null, s37, 0, s5
	v_lshl_or_b32 v54, v46, 3, 0xc00
	s_wait_alu 0xfffd
	v_add_co_ci_u32_e64 v17, null, s7, v5, vcc_lo
	v_mov_b32_e32 v33, 0
	v_mov_b32_e32 v7, 0
	v_mov_b32_e32 v37, s39
	v_mov_b32_e32 v35, 0
	v_mov_b32_e32 v3, 0x3ff00000
	s_add_nc_u64 s[58:59], s[50:51], -1
	s_mul_u64 s[10:11], s[42:43], s[50:51]
	s_add_nc_u64 s[60:61], s[58:59], s[36:37]
	s_lshl_b64 s[52:53], s[10:11], 3
	s_lshl_b32 s90, s50, 3
	s_mov_b32 s91, 62
	s_add_nc_u64 s[38:39], s[8:9], s[24:25]
	s_mov_b32 s92, 0
	s_mov_b32 s93, 0
                                        ; implicit-def: $sgpr97
                                        ; implicit-def: $sgpr99
                                        ; implicit-def: $sgpr94
                                        ; implicit-def: $sgpr96
                                        ; implicit-def: $sgpr98
                                        ; implicit-def: $sgpr95
	s_branch .LBB47_32
.LBB47_29:                              ;   in Loop: Header=BB47_32 Depth=1
	s_wait_alu 0xfffe
	s_or_b32 exec_lo, exec_lo, s8
	s_delay_alu instid0(SALU_CYCLE_1)
	s_and_b32 s6, s6, exec_lo
	s_and_not1_b32 s68, s68, exec_lo
	s_and_not1_b32 s23, s23, exec_lo
	s_or_not1_b32 s21, s7, exec_lo
.LBB47_30:                              ;   in Loop: Header=BB47_32 Depth=1
	s_wait_alu 0xfffe
	s_or_b32 exec_lo, exec_lo, s5
	s_delay_alu instid0(SALU_CYCLE_1)
	s_and_not1_b32 s5, s95, exec_lo
	s_and_b32 s6, s6, exec_lo
	s_and_not1_b32 s7, s96, exec_lo
	s_wait_alu 0xfffe
	s_or_b32 s95, s5, s6
	s_and_not1_b32 s5, s98, exec_lo
	s_and_b32 s6, s68, exec_lo
	s_and_b32 s8, s23, exec_lo
	s_wait_alu 0xfffe
	s_or_b32 s98, s5, s6
	s_or_b32 s96, s7, s8
	s_or_not1_b32 s21, s21, exec_lo
.LBB47_31:                              ;   in Loop: Header=BB47_32 Depth=1
	s_wait_alu 0xfffe
	s_or_b32 exec_lo, exec_lo, s20
	s_delay_alu instid0(SALU_CYCLE_1)
	s_and_b32 s5, exec_lo, s21
	v_dual_mov_b32 v37, v13 :: v_dual_mov_b32 v36, v12
	s_wait_alu 0xfffe
	s_or_b32 s92, s5, s92
	s_and_not1_b32 s5, s94, exec_lo
	s_and_b32 s6, s95, exec_lo
	s_and_not1_b32 s7, s99, exec_lo
	s_wait_alu 0xfffe
	s_or_b32 s94, s5, s6
	s_and_b32 s5, s98, exec_lo
	s_and_not1_b32 s6, s97, exec_lo
	s_and_b32 s8, s96, exec_lo
	s_wait_alu 0xfffe
	s_or_b32 s99, s7, s5
	s_or_b32 s97, s6, s8
	s_and_not1_b32 exec_lo, exec_lo, s92
	s_cbranch_execz .LBB47_297
.LBB47_32:                              ; =>This Loop Header: Depth=1
                                        ;     Child Loop BB47_38 Depth 2
                                        ;     Child Loop BB47_51 Depth 2
	;; [unrolled: 1-line block ×16, first 2 shown]
	ds_load_b128 v[8:11], v19 offset:5120
	s_wait_dscnt 0x0
	v_readfirstlane_b32 s69, v9
	v_readfirstlane_b32 s68, v8
	s_wait_alu 0xf1ff
	s_delay_alu instid0(VALU_DEP_1)
	v_cmp_gt_i64_e64 s5, s[68:69], 0
	s_and_b32 vcc_lo, exec_lo, s5
	s_wait_alu 0xfffe
	s_cbranch_vccnz .LBB47_59
; %bb.33:                               ;   in Loop: Header=BB47_32 Depth=1
	s_and_b32 vcc_lo, exec_lo, s84
	s_wait_alu 0xfffe
	s_cbranch_vccz .LBB47_46
; %bb.34:                               ;   in Loop: Header=BB47_32 Depth=1
	v_cmp_gt_i64_e32 vcc_lo, 0x181, v[10:11]
	s_mov_b32 s7, 0
	s_mov_b32 s5, 0
	s_cbranch_vccz .LBB47_47
; %bb.35:                               ;   in Loop: Header=BB47_32 Depth=1
	s_and_saveexec_b32 s8, s4
	s_cbranch_execz .LBB47_93
; %bb.36:                               ;   in Loop: Header=BB47_32 Depth=1
	global_load_u16 v2, v19, s[38:39]
	global_load_b64 v[8:9], v[20:21], off
	s_mov_b32 s9, 0
	s_wait_loadcnt 0x1
	v_and_b32_e32 v2, 0xffff, v2
	s_delay_alu instid0(VALU_DEP_1) | instskip(SKIP_2) | instid1(VALU_DEP_3)
	v_add_nc_u32_e32 v10, v0, v2
	v_mul_lo_u32 v12, v2, s65
	v_mul_hi_u32 v13, v2, s64
	v_mad_co_u64_u32 v[4:5], null, s64, v10, s[62:63]
	s_delay_alu instid0(VALU_DEP_1) | instskip(NEXT) | instid1(VALU_DEP_4)
	v_mad_co_u64_u32 v[10:11], null, s65, v10, v[5:6]
	v_add_nc_u32_e32 v5, v12, v55
	s_delay_alu instid0(VALU_DEP_1) | instskip(NEXT) | instid1(VALU_DEP_3)
	v_add_nc_u32_e32 v15, v5, v13
	v_mov_b32_e32 v5, v10
	v_mul_lo_u32 v14, v2, s64
	v_dual_mov_b32 v11, v1 :: v_dual_mov_b32 v10, v0
	s_branch .LBB47_38
.LBB47_37:                              ;   in Loop: Header=BB47_38 Depth=2
	s_wait_alu 0xfffe
	s_or_b32 exec_lo, exec_lo, s6
	v_add_co_u32 v4, vcc_lo, v4, v14
	s_wait_alu 0xfffd
	v_add_co_ci_u32_e64 v5, null, v5, v15, vcc_lo
	v_dual_mov_b32 v8, v12 :: v_dual_mov_b32 v9, v13
	s_and_not1_b32 exec_lo, exec_lo, s9
	s_cbranch_execz .LBB47_93
.LBB47_38:                              ;   Parent Loop BB47_32 Depth=1
                                        ; =>  This Inner Loop Header: Depth=2
	s_delay_alu instid0(VALU_DEP_1)
	v_add_co_u32 v10, vcc_lo, v10, v2
	v_mov_b32_e32 v12, 0
	s_wait_alu 0xfffd
	v_add_co_ci_u32_e64 v11, null, 0, v11, vcc_lo
	v_mov_b32_e32 v13, 0
	s_mov_b32 s6, exec_lo
	s_delay_alu instid0(VALU_DEP_2)
	v_cmp_le_i64_e32 vcc_lo, s[36:37], v[10:11]
	v_cmpx_gt_i64_e64 s[36:37], v[10:11]
	s_cbranch_execz .LBB47_40
; %bb.39:                               ;   in Loop: Header=BB47_38 Depth=2
	global_load_b64 v[12:13], v[4:5], off
.LBB47_40:                              ;   in Loop: Header=BB47_38 Depth=2
	s_wait_alu 0xfffe
	s_or_b32 exec_lo, exec_lo, s6
	s_wait_loadcnt 0x0
	v_cmp_o_f64_e64 s5, v[8:9], v[8:9]
	s_wait_dscnt 0x0
	v_ashrrev_i32_e32 v18, 31, v9
	s_delay_alu instid0(VALU_DEP_1) | instskip(SKIP_1) | instid1(VALU_DEP_2)
	v_or_b32_e32 v38, 0x80000000, v18
	v_xor_b32_e32 v18, v18, v8
	v_xor_b32_e32 v38, v38, v9
	s_wait_alu 0xf1ff
	s_delay_alu instid0(VALU_DEP_1) | instskip(NEXT) | instid1(VALU_DEP_3)
	v_cndmask_b32_e64 v38, -1, v38, s5
	v_cndmask_b32_e64 v18, -1, v18, s5
	s_delay_alu instid0(VALU_DEP_2) | instskip(NEXT) | instid1(VALU_DEP_2)
	v_and_b32_e32 v39, v38, v35
	v_and_b32_e32 v38, v18, v34
	v_mov_b32_e32 v18, 0
	s_delay_alu instid0(VALU_DEP_2)
	v_cmp_eq_u64_e64 s5, v[38:39], v[32:33]
	s_cmp_lg_u32 s5, 0
	s_cselect_b32 s6, -1, 0
	s_wait_alu 0xfffe
	s_and_b32 s6, s1, s6
	s_wait_alu 0xfffe
	s_and_saveexec_b32 s10, s6
	s_cbranch_execz .LBB47_44
; %bb.41:                               ;   in Loop: Header=BB47_38 Depth=2
	s_mov_b32 s13, exec_lo
	s_bcnt1_i32_b32 s11, s5
	s_wait_alu 0xfffe
	v_mbcnt_lo_u32_b32 v18, s13, 0
	s_mov_b32 s12, exec_lo
                                        ; implicit-def: $vgpr38
	s_delay_alu instid0(VALU_DEP_1)
	v_cmpx_eq_u32_e32 0, v18
; %bb.42:                               ;   in Loop: Header=BB47_38 Depth=2
	s_bcnt1_i32_b32 s6, s13
	s_wait_alu 0xfffe
	s_mul_i32 s6, s11, s6
	s_wait_alu 0xfffe
	v_mov_b32_e32 v38, s6
	ds_add_rtn_u32 v38, v19, v38 offset:5136
; %bb.43:                               ;   in Loop: Header=BB47_38 Depth=2
	s_or_b32 exec_lo, exec_lo, s12
	s_wait_dscnt 0x0
	v_readfirstlane_b32 s6, v38
	s_wait_alu 0xf1ff
	s_delay_alu instid0(VALU_DEP_1)
	v_mad_u32_u24 v18, s11, v18, s6
.LBB47_44:                              ;   in Loop: Header=BB47_38 Depth=2
	s_wait_alu 0xfffe
	s_or_b32 exec_lo, exec_lo, s10
	ds_bpermute_b32 v18, v19, v18
	s_and_b32 s6, exec_lo, vcc_lo
	s_wait_alu 0xfffe
	s_or_b32 s9, s6, s9
	s_and_saveexec_b32 s6, s5
	s_cbranch_execz .LBB47_37
; %bb.45:                               ;   in Loop: Header=BB47_38 Depth=2
	v_and_b32_e32 v38, s5, v49
	s_delay_alu instid0(VALU_DEP_1) | instskip(NEXT) | instid1(VALU_DEP_1)
	v_bcnt_u32_b32 v38, v38, 0
	v_lshlrev_b32_e32 v38, 3, v38
	s_wait_dscnt 0x0
	s_delay_alu instid0(VALU_DEP_1)
	v_lshl_add_u32 v18, v18, 3, v38
	ds_store_b64 v18, v[8:9]
	s_branch .LBB47_37
.LBB47_46:                              ;   in Loop: Header=BB47_32 Depth=1
	s_mov_b32 s7, -1
	s_mov_b32 s5, 0
.LBB47_47:                              ;   in Loop: Header=BB47_32 Depth=1
	s_wait_alu 0xfffe
	s_and_b32 vcc_lo, exec_lo, s7
	s_wait_alu 0xfffe
	s_cbranch_vccz .LBB47_57
.LBB47_48:                              ;   in Loop: Header=BB47_32 Depth=1
	s_and_saveexec_b32 s6, s0
	s_cbranch_execz .LBB47_54
; %bb.49:                               ;   in Loop: Header=BB47_32 Depth=1
	global_load_u16 v2, v19, s[38:39]
	global_load_b64 v[4:5], v[20:21], off
	v_mov_b32_e32 v8, v0
	s_mov_b32 s7, exec_lo
	s_wait_loadcnt 0x1
	v_and_b32_e32 v2, 0xffff, v2
	s_delay_alu instid0(VALU_DEP_1) | instskip(NEXT) | instid1(VALU_DEP_1)
	v_add_nc_u32_e32 v18, v2, v0
	v_cmpx_gt_i64_e64 s[36:37], v[18:19]
	s_cbranch_execz .LBB47_53
; %bb.50:                               ;   in Loop: Header=BB47_32 Depth=1
	v_mul_lo_u32 v11, v2, s65
	v_mad_co_u64_u32 v[8:9], null, s64, v18, s[62:63]
	v_mul_hi_u32 v12, v2, s64
	v_mul_lo_u32 v38, v2, s64
	v_dual_mov_b32 v15, v1 :: v_dual_mov_b32 v14, v0
	s_mov_b32 s8, 0
	v_add_nc_u32_e32 v13, v11, v55
	v_mad_co_u64_u32 v[9:10], null, s65, v18, v[9:10]
	v_dual_mov_b32 v10, v18 :: v_dual_mov_b32 v11, v19
	s_delay_alu instid0(VALU_DEP_3)
	v_add_nc_u32_e32 v18, v13, v12
.LBB47_51:                              ;   Parent Loop BB47_32 Depth=1
                                        ; =>  This Inner Loop Header: Depth=2
	global_load_b64 v[12:13], v[8:9], off
	v_dual_mov_b32 v40, v11 :: v_dual_mov_b32 v39, v10
	v_lshlrev_b32_e32 v14, 3, v14
	s_delay_alu instid0(VALU_DEP_2) | instskip(SKIP_1) | instid1(VALU_DEP_3)
	v_add_co_u32 v10, vcc_lo, v39, v2
	s_wait_alu 0xfffd
	v_add_co_ci_u32_e64 v11, null, 0, v40, vcc_lo
	v_add_co_u32 v8, vcc_lo, v8, v38
	s_wait_loadcnt 0x1
	ds_store_b64 v14, v[4:5]
	v_cmp_le_i64_e64 s5, s[36:37], v[10:11]
	s_wait_alu 0xfffd
	v_add_co_ci_u32_e64 v9, null, v9, v18, vcc_lo
	v_dual_mov_b32 v14, v39 :: v_dual_mov_b32 v15, v40
	s_wait_alu 0xfffe
	s_delay_alu instid0(VALU_DEP_3)
	s_or_b32 s8, s5, s8
	s_wait_loadcnt 0x0
	v_dual_mov_b32 v4, v12 :: v_dual_mov_b32 v5, v13
	s_wait_alu 0xfffe
	s_and_not1_b32 exec_lo, exec_lo, s8
	s_cbranch_execnz .LBB47_51
; %bb.52:                               ;   in Loop: Header=BB47_32 Depth=1
	s_or_b32 exec_lo, exec_lo, s8
	v_sub_nc_u32_e32 v8, v10, v2
	v_dual_mov_b32 v4, v12 :: v_dual_mov_b32 v5, v13
.LBB47_53:                              ;   in Loop: Header=BB47_32 Depth=1
	s_wait_alu 0xfffe
	s_or_b32 exec_lo, exec_lo, s7
	s_delay_alu instid0(VALU_DEP_2)
	v_lshlrev_b32_e32 v2, 3, v8
	s_wait_loadcnt 0x0
	ds_store_b64 v2, v[4:5]
.LBB47_54:                              ;   in Loop: Header=BB47_32 Depth=1
	s_wait_alu 0xfffe
	s_or_b32 exec_lo, exec_lo, s6
	s_wait_loadcnt_dscnt 0x0
	s_barrier_signal -1
	s_barrier_wait -1
	global_inv scope:SCOPE_SE
	s_and_saveexec_b32 s5, s2
; %bb.55:                               ;   in Loop: Header=BB47_32 Depth=1
	v_dual_mov_b32 v4, s36 :: v_dual_mov_b32 v5, s37
	ds_store_b64 v19, v[4:5] offset:5120
; %bb.56:                               ;   in Loop: Header=BB47_32 Depth=1
	s_wait_alu 0xfffe
	s_or_b32 exec_lo, exec_lo, s5
	s_wait_loadcnt_dscnt 0x0
	s_barrier_signal -1
	s_mov_b32 s5, -1
	s_barrier_wait -1
.LBB47_57:                              ;   in Loop: Header=BB47_32 Depth=1
	s_wait_alu 0xfffe
	s_and_b32 vcc_lo, exec_lo, s5
	s_wait_alu 0xfffe
	s_cbranch_vccz .LBB47_59
; %bb.58:                               ;   in Loop: Header=BB47_32 Depth=1
	s_wait_loadcnt 0x0
	global_inv scope:SCOPE_SE
	ds_load_b64 v[4:5], v19 offset:5120
	s_wait_dscnt 0x0
	v_readfirstlane_b32 s68, v4
.LBB47_59:                              ;   in Loop: Header=BB47_32 Depth=1
	s_delay_alu instid0(VALU_DEP_1)
	s_cmp_lt_i32 s68, 1
	s_mov_b32 s5, -1
                                        ; implicit-def: $vgpr8_vgpr9
                                        ; implicit-def: $vgpr12_vgpr13
	s_cbranch_scc1 .LBB47_69
; %bb.60:                               ;   in Loop: Header=BB47_32 Depth=1
	s_wait_alu 0xfffe
	s_and_b32 vcc_lo, exec_lo, s5
	s_wait_alu 0xfffe
	s_cbranch_vccnz .LBB47_83
.LBB47_61:                              ;   in Loop: Header=BB47_32 Depth=1
	s_lshl_b32 s5, s93, 7
	s_and_saveexec_b32 s6, s1
	s_cbranch_execz .LBB47_63
.LBB47_62:                              ;   in Loop: Header=BB47_32 Depth=1
	s_wait_alu 0xfffe
	v_lshl_add_u32 v2, s5, 3, v51
	ds_store_b128 v2, v[8:11]
	ds_store_b128 v2, v[12:15] offset:16
.LBB47_63:                              ;   in Loop: Header=BB47_32 Depth=1
	s_wait_alu 0xfffe
	s_or_b32 exec_lo, exec_lo, s6
	s_wait_loadcnt_dscnt 0x0
	s_barrier_signal -1
	s_barrier_wait -1
	global_inv scope:SCOPE_SE
	s_and_saveexec_b32 s6, s33
	s_cbranch_execz .LBB47_100
; %bb.64:                               ;   in Loop: Header=BB47_32 Depth=1
	v_mov_b32_e32 v4, 0
	v_mov_b32_e32 v5, 0
	s_and_not1_b32 vcc_lo, exec_lo, s85
	s_wait_alu 0xfffe
	s_cbranch_vccnz .LBB47_99
; %bb.65:                               ;   in Loop: Header=BB47_32 Depth=1
	v_mov_b32_e32 v4, 0
	v_mov_b32_e32 v5, 0
	s_and_not1_b32 vcc_lo, exec_lo, s87
	s_wait_alu 0xfffe
	s_cbranch_vccnz .LBB47_96
; %bb.66:                               ;   in Loop: Header=BB47_32 Depth=1
	v_lshl_add_u32 v2, s93, 10, v54
	s_mov_b32 s7, 0
.LBB47_67:                              ;   Parent Loop BB47_32 Depth=1
                                        ; =>  This Inner Loop Header: Depth=2
	ds_load_2addr_b64 v[8:11], v2 offset1:4
	ds_load_2addr_b64 v[12:15], v2 offset0:8 offset1:12
	ds_load_2addr_b64 v[38:41], v2 offset0:16 offset1:20
	s_wait_alu 0xfffe
	s_add_co_i32 s7, s7, 8
	s_wait_alu 0xfffe
	s_cmp_eq_u32 s88, s7
	s_wait_dscnt 0x2
	v_add_co_u32 v4, vcc_lo, v8, v4
	s_wait_alu 0xfffd
	v_add_co_ci_u32_e64 v5, null, v9, v5, vcc_lo
	s_delay_alu instid0(VALU_DEP_2) | instskip(SKIP_1) | instid1(VALU_DEP_2)
	v_add_co_u32 v4, vcc_lo, v10, v4
	s_wait_alu 0xfffd
	v_add_co_ci_u32_e64 v5, null, v11, v5, vcc_lo
	ds_load_2addr_b64 v[8:11], v2 offset0:24 offset1:28
	s_wait_dscnt 0x2
	v_add_co_u32 v4, vcc_lo, v12, v4
	s_wait_alu 0xfffd
	v_add_co_ci_u32_e64 v5, null, v13, v5, vcc_lo
	v_add_nc_u32_e32 v2, 0x100, v2
	s_delay_alu instid0(VALU_DEP_3) | instskip(SKIP_1) | instid1(VALU_DEP_3)
	v_add_co_u32 v4, vcc_lo, v14, v4
	s_wait_alu 0xfffd
	v_add_co_ci_u32_e64 v5, null, v15, v5, vcc_lo
	s_wait_dscnt 0x1
	s_delay_alu instid0(VALU_DEP_2) | instskip(SKIP_1) | instid1(VALU_DEP_2)
	v_add_co_u32 v4, vcc_lo, v38, v4
	s_wait_alu 0xfffd
	v_add_co_ci_u32_e64 v5, null, v39, v5, vcc_lo
	s_delay_alu instid0(VALU_DEP_2) | instskip(SKIP_1) | instid1(VALU_DEP_2)
	v_add_co_u32 v4, vcc_lo, v40, v4
	s_wait_alu 0xfffd
	v_add_co_ci_u32_e64 v5, null, v41, v5, vcc_lo
	s_wait_dscnt 0x0
	s_delay_alu instid0(VALU_DEP_2) | instskip(SKIP_1) | instid1(VALU_DEP_2)
	v_add_co_u32 v4, vcc_lo, v8, v4
	s_wait_alu 0xfffd
	v_add_co_ci_u32_e64 v5, null, v9, v5, vcc_lo
	s_delay_alu instid0(VALU_DEP_2) | instskip(SKIP_1) | instid1(VALU_DEP_2)
	v_add_co_u32 v4, vcc_lo, v10, v4
	s_wait_alu 0xfffd
	v_add_co_ci_u32_e64 v5, null, v11, v5, vcc_lo
	s_cbranch_scc0 .LBB47_67
; %bb.68:                               ;   in Loop: Header=BB47_32 Depth=1
	s_mov_b32 s7, s88
	s_and_not1_b32 vcc_lo, exec_lo, s89
	s_wait_alu 0xfffe
	s_cbranch_vccz .LBB47_97
	s_branch .LBB47_99
.LBB47_69:                              ;   in Loop: Header=BB47_32 Depth=1
	global_load_u16 v2, v19, s[38:39]
	s_mov_b32 s6, s25
	s_mov_b32 s7, s37
	s_wait_loadcnt 0x0
	v_readfirstlane_b32 s5, v2
	s_wait_alu 0xfffe
	s_and_b32 s5, 0xffff, s5
	s_wait_alu 0xfffe
	s_lshl_b32 s70, s5, 2
	s_cmp_lg_u64 s[6:7], 0
	s_cbranch_scc0 .LBB47_92
; %bb.70:                               ;   in Loop: Header=BB47_32 Depth=1
	s_mov_b32 s71, s25
	s_wait_alu 0xfffe
	s_add_nc_u64 s[6:7], s[70:71], 0
	s_wait_alu 0xfffe
	s_xor_b64 s[6:7], s[6:7], 0
	s_wait_alu 0xfffe
	s_cvt_f32_u32 s5, s6
	s_cvt_f32_u32 s8, s7
	s_sub_nc_u64 s[10:11], 0, s[6:7]
	s_wait_alu 0xfffe
	s_delay_alu instid0(SALU_CYCLE_1) | instskip(SKIP_1) | instid1(SALU_CYCLE_2)
	s_fmamk_f32 s5, s8, 0x4f800000, s5
	s_wait_alu 0xfffe
	v_s_rcp_f32 s5, s5
	s_delay_alu instid0(TRANS32_DEP_1) | instskip(SKIP_1) | instid1(SALU_CYCLE_2)
	s_mul_f32 s5, s5, 0x5f7ffffc
	s_wait_alu 0xfffe
	s_mul_f32 s8, s5, 0x2f800000
	s_wait_alu 0xfffe
	s_delay_alu instid0(SALU_CYCLE_2) | instskip(SKIP_1) | instid1(SALU_CYCLE_2)
	s_trunc_f32 s8, s8
	s_wait_alu 0xfffe
	s_fmamk_f32 s5, s8, 0xcf800000, s5
	s_cvt_u32_f32 s9, s8
	s_wait_alu 0xfffe
	s_delay_alu instid0(SALU_CYCLE_1) | instskip(SKIP_1) | instid1(SALU_CYCLE_2)
	s_cvt_u32_f32 s8, s5
	s_wait_alu 0xfffe
	s_mul_u64 s[12:13], s[10:11], s[8:9]
	s_wait_alu 0xfffe
	s_mul_hi_u32 s15, s8, s13
	s_mul_i32 s14, s8, s13
	s_mul_hi_u32 s24, s8, s12
	s_mul_i32 s16, s9, s12
	s_wait_alu 0xfffe
	s_add_nc_u64 s[14:15], s[24:25], s[14:15]
	s_mul_hi_u32 s5, s9, s12
	s_mul_hi_u32 s17, s9, s13
	s_mul_i32 s12, s9, s13
	s_wait_alu 0xfffe
	s_add_co_u32 s13, s14, s16
	s_add_co_ci_u32 s24, s15, s5
	s_add_co_ci_u32 s13, s17, 0
	s_wait_alu 0xfffe
	s_add_nc_u64 s[12:13], s[24:25], s[12:13]
	s_wait_alu 0xfffe
	s_add_co_u32 s8, s8, s12
	s_cselect_b32 s5, -1, 0
	s_wait_alu 0xfffe
	s_cmp_lg_u32 s5, 0
	s_add_co_ci_u32 s9, s9, s13
	s_wait_alu 0xfffe
	s_mul_u64 s[10:11], s[10:11], s[8:9]
	s_wait_alu 0xfffe
	s_mul_hi_u32 s13, s8, s11
	s_mul_i32 s12, s8, s11
	s_mul_hi_u32 s24, s8, s10
	s_mul_i32 s14, s9, s10
	s_wait_alu 0xfffe
	s_add_nc_u64 s[12:13], s[24:25], s[12:13]
	s_mul_hi_u32 s5, s9, s10
	s_mul_hi_u32 s15, s9, s11
	s_mul_i32 s10, s9, s11
	s_wait_alu 0xfffe
	s_add_co_u32 s11, s12, s14
	s_add_co_ci_u32 s24, s13, s5
	s_add_co_ci_u32 s11, s15, 0
	s_wait_alu 0xfffe
	s_add_nc_u64 s[10:11], s[24:25], s[10:11]
	s_wait_alu 0xfffe
	s_add_co_u32 s5, s8, s10
	s_cselect_b32 s8, -1, 0
	s_wait_alu 0xfffe
	s_cmp_lg_u32 s8, 0
	s_add_co_ci_u32 s14, s9, s11
	s_ashr_i32 s8, s37, 31
	s_wait_alu 0xfffe
	s_mov_b32 s9, s8
	s_wait_alu 0xfffe
	s_add_nc_u64 s[10:11], s[36:37], s[8:9]
	s_wait_alu 0xfffe
	s_xor_b64 s[10:11], s[10:11], s[8:9]
	s_wait_alu 0xfffe
	s_mul_hi_u32 s13, s10, s14
	s_mul_i32 s12, s10, s14
	s_mul_hi_u32 s24, s10, s5
	s_mul_hi_u32 s16, s11, s5
	s_mul_i32 s5, s11, s5
	s_wait_alu 0xfffe
	s_add_nc_u64 s[12:13], s[24:25], s[12:13]
	s_mul_hi_u32 s15, s11, s14
	s_wait_alu 0xfffe
	s_add_co_u32 s5, s12, s5
	s_add_co_ci_u32 s24, s13, s16
	s_mul_i32 s14, s11, s14
	s_add_co_ci_u32 s15, s15, 0
	s_wait_alu 0xfffe
	s_add_nc_u64 s[12:13], s[24:25], s[14:15]
	s_wait_alu 0xfffe
	s_mul_u64 s[12:13], s[6:7], s[12:13]
	s_wait_alu 0xfffe
	s_sub_co_u32 s5, s10, s12
	s_cselect_b32 s10, -1, 0
	s_sub_co_i32 s12, s11, s13
	s_wait_alu 0xfffe
	s_cmp_lg_u32 s10, 0
	s_sub_co_ci_u32 s12, s12, s7
	s_sub_co_u32 s14, s5, s6
	s_cselect_b32 s15, -1, 0
	s_wait_alu 0xfffe
	s_cmp_lg_u32 s15, 0
	s_sub_co_ci_u32 s16, s12, 0
	s_wait_alu 0xfffe
	s_cmp_ge_u32 s16, s7
	s_cselect_b32 s17, -1, 0
	s_cmp_ge_u32 s14, s6
	s_cselect_b32 s18, -1, 0
	s_cmp_eq_u32 s16, s7
	s_wait_alu 0xfffe
	s_cselect_b32 s17, s18, s17
	s_cmp_lg_u32 s15, 0
	s_sub_co_ci_u32 s12, s12, s7
	s_sub_co_u32 s15, s14, s6
	s_cselect_b32 s18, -1, 0
	s_delay_alu instid0(SALU_CYCLE_1)
	s_cmp_lg_u32 s18, 0
	s_wait_alu 0xfffe
	s_sub_co_ci_u32 s12, s12, 0
	s_cmp_lg_u32 s17, 0
	s_cselect_b32 s14, s15, s14
	s_wait_alu 0xfffe
	s_cselect_b32 s12, s12, s16
	s_cmp_lg_u32 s10, 0
	s_sub_co_ci_u32 s10, s11, s13
	s_wait_alu 0xfffe
	s_cmp_ge_u32 s10, s7
	s_cselect_b32 s11, -1, 0
	s_cmp_ge_u32 s5, s6
	s_cselect_b32 s6, -1, 0
	s_cmp_eq_u32 s10, s7
	s_wait_alu 0xfffe
	s_cselect_b32 s6, s6, s11
	s_wait_alu 0xfffe
	s_cmp_lg_u32 s6, 0
	s_cselect_b32 s7, s12, s10
	s_cselect_b32 s6, s14, s5
	s_wait_alu 0xfffe
	s_xor_b64 s[6:7], s[6:7], s[8:9]
	s_wait_alu 0xfffe
	s_sub_nc_u64 s[72:73], s[6:7], s[8:9]
	s_cbranch_execnz .LBB47_72
.LBB47_71:                              ;   in Loop: Header=BB47_32 Depth=1
	s_wait_alu 0xfffe
	v_cvt_f32_u32_e32 v4, s70
	s_sub_co_i32 s6, 0, s70
	s_delay_alu instid0(VALU_DEP_1) | instskip(NEXT) | instid1(TRANS32_DEP_1)
	v_rcp_iflag_f32_e32 v4, v4
	v_mul_f32_e32 v4, 0x4f7ffffe, v4
	s_delay_alu instid0(VALU_DEP_1) | instskip(NEXT) | instid1(VALU_DEP_1)
	v_cvt_u32_f32_e32 v4, v4
	v_readfirstlane_b32 s5, v4
	s_wait_alu 0xfffe
	s_mul_i32 s6, s6, s5
	s_wait_alu 0xfffe
	s_mul_hi_u32 s6, s5, s6
	s_wait_alu 0xfffe
	s_add_co_i32 s5, s5, s6
	s_wait_alu 0xfffe
	s_mul_hi_u32 s5, s36, s5
	s_wait_alu 0xfffe
	s_mul_i32 s5, s5, s70
	s_wait_alu 0xfffe
	s_sub_co_i32 s5, s36, s5
	s_wait_alu 0xfffe
	s_sub_co_i32 s6, s5, s70
	s_cmp_ge_u32 s5, s70
	s_wait_alu 0xfffe
	s_cselect_b32 s5, s6, s5
	s_wait_alu 0xfffe
	s_sub_co_i32 s6, s5, s70
	s_cmp_ge_u32 s5, s70
	s_wait_alu 0xfffe
	s_cselect_b32 s24, s6, s5
	s_wait_alu 0xfffe
	s_mov_b64 s[72:73], s[24:25]
.LBB47_72:                              ;   in Loop: Header=BB47_32 Depth=1
	v_mov_b32_e32 v8, 0
	v_dual_mov_b32 v12, 0 :: v_dual_mov_b32 v9, 0
	v_dual_mov_b32 v10, 0 :: v_dual_mov_b32 v13, 0
	;; [unrolled: 1-line block ×3, first 2 shown]
	v_dual_mov_b32 v15, 0 :: v_dual_and_b32 v2, 0xffff, v2
	s_wait_alu 0xfffe
	s_sub_nc_u64 s[74:75], s[36:37], s[72:73]
	s_mov_b32 s69, exec_lo
	s_wait_alu 0xfffe
	v_cmpx_gt_i64_e64 s[74:75], v[22:23]
	s_cbranch_execz .LBB47_76
; %bb.73:                               ;   in Loop: Header=BB47_32 Depth=1
	v_mul_lo_u32 v4, v2, s67
	v_mul_hi_u32 v8, v2, s66
	v_mul_lo_u32 v57, v2, s66
	v_mov_b32_e32 v39, v29
	v_mov_b32_e32 v41, v27
	v_dual_mov_b32 v43, v25 :: v_dual_mov_b32 v40, v26
	v_mov_b32_e32 v42, v24
	v_dual_mov_b32 v4, v30 :: v_dual_add_nc_u32 v9, v4, v56
	v_dual_mov_b32 v5, v31 :: v_dual_mov_b32 v38, v28
	s_mov_b64 s[76:77], 0
	s_delay_alu instid0(VALU_DEP_2)
	v_dual_mov_b32 v45, v23 :: v_dual_add_nc_u32 v58, v9, v8
	v_mov_b32_e32 v44, v22
	s_mov_b32 s71, 0
	s_mov_b64 s[78:79], 0
	s_mov_b64 s[80:81], 0
	;; [unrolled: 1-line block ×3, first 2 shown]
.LBB47_74:                              ;   Parent Loop BB47_32 Depth=1
                                        ; =>  This Inner Loop Header: Depth=2
	v_add_co_u32 v8, vcc_lo, v4, s54
	s_wait_alu 0xfffd
	v_add_co_ci_u32_e64 v9, null, s55, v5, vcc_lo
	v_add_co_u32 v10, vcc_lo, v38, s54
	s_wait_alu 0xfffd
	v_add_co_ci_u32_e64 v11, null, s55, v39, vcc_lo
	;; [unrolled: 3-line block ×4, first 2 shown]
	global_load_b64 v[8:9], v[8:9], off
	global_load_b64 v[10:11], v[10:11], off
	global_load_b64 v[12:13], v[12:13], off
	global_load_b64 v[14:15], v[14:15], off
	v_add_co_u32 v44, vcc_lo, v44, s70
	s_wait_alu 0xfffd
	v_add_co_ci_u32_e64 v45, null, 0, v45, vcc_lo
	v_add_co_u32 v42, vcc_lo, v42, v57
	s_wait_alu 0xfffd
	v_add_co_ci_u32_e64 v43, null, v43, v58, vcc_lo
	;; [unrolled: 3-line block ×5, first 2 shown]
	v_cmp_le_i64_e32 vcc_lo, s[74:75], v[44:45]
	s_wait_loadcnt 0x3
	v_cmp_o_f64_e64 s5, v[8:9], v[8:9]
	s_wait_loadcnt 0x2
	v_cmp_o_f64_e64 s6, v[10:11], v[10:11]
	;; [unrolled: 2-line block ×4, first 2 shown]
	v_ashrrev_i32_e32 v18, 31, v9
	v_ashrrev_i32_e32 v59, 31, v11
	v_ashrrev_i32_e32 v61, 31, v13
	v_ashrrev_i32_e32 v63, 31, v15
	s_delay_alu instid0(VALU_DEP_4) | instskip(NEXT) | instid1(VALU_DEP_4)
	v_or_b32_e32 v65, 0x80000000, v18
	v_or_b32_e32 v66, 0x80000000, v59
	s_delay_alu instid0(VALU_DEP_4) | instskip(NEXT) | instid1(VALU_DEP_4)
	v_or_b32_e32 v67, 0x80000000, v61
	v_or_b32_e32 v68, 0x80000000, v63
	v_xor_b32_e32 v18, v18, v8
	v_xor_b32_e32 v65, v65, v9
	;; [unrolled: 1-line block ×8, first 2 shown]
	s_wait_alu 0xf1ff
	v_cndmask_b32_e64 v9, -1, v65, s5
	v_cndmask_b32_e64 v11, -1, v8, s6
	;; [unrolled: 1-line block ×7, first 2 shown]
	v_dual_mov_b32 v60, v19 :: v_dual_and_b32 v65, v8, v34
	v_and_b32_e32 v66, v9, v35
	v_lshrrev_b64 v[8:9], s91, v[8:9]
	v_cndmask_b32_e64 v14, -1, v63, s8
	v_dual_mov_b32 v62, v19 :: v_dual_and_b32 v67, v10, v34
	v_lshrrev_b64 v[9:10], s91, v[10:11]
	v_and_b32_e32 v68, v11, v35
	v_lshrrev_b64 v[10:11], s91, v[12:13]
	v_dual_mov_b32 v64, v19 :: v_dual_and_b32 v69, v12, v34
	v_lshrrev_b64 v[11:12], s91, v[14:15]
	v_and_b32_e32 v18, 3, v8
	v_and_b32_e32 v59, 3, v9
	;; [unrolled: 1-line block ×4, first 2 shown]
	v_cmp_eq_u64_e64 s5, v[65:66], v[32:33]
	v_cmp_eq_u64_e64 s9, 0, v[18:19]
	v_and_b32_e32 v72, v15, v35
	v_and_b32_e32 v71, v14, v34
	;; [unrolled: 1-line block ×3, first 2 shown]
	v_cmp_eq_u64_e64 s6, v[67:68], v[32:33]
	v_cmp_eq_u64_e64 s10, 0, v[59:60]
	;; [unrolled: 1-line block ×6, first 2 shown]
	s_and_b32 s9, s5, s9
	v_cmp_eq_u64_e64 s13, 1, v[18:19]
	s_wait_alu 0xfffe
	v_cndmask_b32_e64 v8, 0, 1, s9
	s_and_b32 s9, s6, s10
	v_cmp_eq_u64_e64 s14, 1, v[59:60]
	s_wait_alu 0xfffe
	v_cndmask_b32_e64 v9, 0, 1, s9
	;; [unrolled: 4-line block ×4, first 2 shown]
	s_and_b32 s9, s5, s13
	v_cmp_eq_u64_e64 s17, 2, v[18:19]
	v_cmp_eq_u64_e64 s21, 3, v[18:19]
	s_wait_alu 0xfffe
	v_cndmask_b32_e64 v12, 0, 1, s9
	s_and_b32 s9, s6, s14
	v_cmp_eq_u64_e64 s22, 3, v[59:60]
	s_wait_alu 0xfffe
	v_cndmask_b32_e64 v13, 0, 1, s9
	s_and_b32 s9, s7, s15
	v_cmp_eq_u64_e64 s18, 2, v[59:60]
	v_cmp_eq_u64_e64 s23, 3, v[61:62]
	s_wait_alu 0xfffe
	v_cndmask_b32_e64 v14, 0, 1, s9
	s_and_b32 s9, s8, s16
	v_cmp_eq_u64_e64 s19, 2, v[61:62]
	v_cmp_eq_u64_e64 s24, 3, v[63:64]
	s_wait_alu 0xfffe
	v_cndmask_b32_e64 v15, 0, 1, s9
	s_and_b32 s9, s5, s17
	s_and_b32 s5, s5, s21
	v_cmp_eq_u64_e64 s20, 2, v[63:64]
	s_wait_alu 0xfffe
	v_cndmask_b32_e64 v62, 0, 1, s5
	s_and_b32 s5, s6, s22
	v_cndmask_b32_e64 v18, 0, 1, s9
	s_and_b32 s9, s6, s18
	s_wait_alu 0xfffe
	v_cndmask_b32_e64 v63, 0, 1, s5
	s_and_b32 s5, s7, s23
	v_cndmask_b32_e64 v59, 0, 1, s9
	s_and_b32 s9, s7, s19
	;; [unrolled: 5-line block ×3, first 2 shown]
	s_wait_alu 0xfffe
	v_cndmask_b32_e64 v65, 0, 1, s5
	v_cmp_ne_u32_e64 s5, 0, v8
	v_cmp_ne_u32_e64 s6, 0, v9
	v_cndmask_b32_e64 v61, 0, 1, s9
	v_cmp_ne_u32_e64 s7, 0, v10
	v_cmp_ne_u32_e64 s9, 0, v12
	;; [unrolled: 1-line block ×7, first 2 shown]
	s_bcnt1_i32_b32 s5, s5
	s_bcnt1_i32_b32 s6, s6
	v_cmp_ne_u32_e64 s12, 0, v15
	v_cmp_ne_u32_e64 s15, 0, v60
	;; [unrolled: 1-line block ×4, first 2 shown]
	s_bcnt1_i32_b32 s7, s7
	s_bcnt1_i32_b32 s9, s9
	;; [unrolled: 1-line block ×3, first 2 shown]
	s_wait_alu 0xfffe
	s_add_co_i32 s5, s6, s5
	v_cmp_ne_u32_e64 s16, 0, v61
	v_cmp_ne_u32_e64 s19, 0, v64
	s_bcnt1_i32_b32 s8, s8
	s_bcnt1_i32_b32 s11, s11
	;; [unrolled: 1-line block ×4, first 2 shown]
	s_add_co_i32 s6, s10, s9
	s_wait_alu 0xfffe
	s_add_co_i32 s5, s5, s7
	v_cmp_ne_u32_e64 s20, 0, v65
	s_bcnt1_i32_b32 s12, s12
	s_bcnt1_i32_b32 s15, s15
	;; [unrolled: 1-line block ×4, first 2 shown]
	s_add_co_i32 s9, s14, s13
	s_add_co_i32 s6, s6, s11
	s_wait_alu 0xfffe
	s_add_co_i32 s24, s5, s8
	s_bcnt1_i32_b32 s16, s16
	s_bcnt1_i32_b32 s19, s19
	s_add_co_i32 s10, s18, s17
	s_add_co_i32 s7, s9, s15
	s_wait_alu 0xfffe
	s_add_nc_u64 s[82:83], s[82:83], s[24:25]
	s_add_co_i32 s24, s6, s12
	s_bcnt1_i32_b32 s20, s20
	s_add_co_i32 s9, s10, s19
	s_wait_alu 0xfffe
	s_add_nc_u64 s[80:81], s[80:81], s[24:25]
	s_add_co_i32 s24, s7, s16
	v_mov_b32_e32 v8, s82
	s_wait_alu 0xfffe
	s_add_nc_u64 s[78:79], s[78:79], s[24:25]
	s_add_co_i32 s24, s9, s20
	v_mov_b32_e32 v10, s80
	s_wait_alu 0xfffe
	s_add_nc_u64 s[76:77], s[76:77], s[24:25]
	v_mov_b32_e32 v12, s78
	s_wait_alu 0xfffe
	v_dual_mov_b32 v14, s76 :: v_dual_mov_b32 v9, s83
	v_mov_b32_e32 v11, s81
	v_mov_b32_e32 v13, s79
	;; [unrolled: 1-line block ×3, first 2 shown]
	s_or_b32 s71, vcc_lo, s71
	s_wait_alu 0xfffe
	s_and_not1_b32 exec_lo, exec_lo, s71
	s_cbranch_execnz .LBB47_74
; %bb.75:                               ;   in Loop: Header=BB47_32 Depth=1
	s_or_b32 exec_lo, exec_lo, s71
.LBB47_76:                              ;   in Loop: Header=BB47_32 Depth=1
	s_wait_alu 0xfffe
	s_or_b32 exec_lo, exec_lo, s69
	v_add_co_u32 v4, s5, s74, v0
	s_wait_alu 0xf1ff
	v_add_co_ci_u32_e64 v5, null, s75, 0, s5
	s_mov_b32 s9, exec_lo
	v_cmpx_gt_i64_e64 s[36:37], v[4:5]
	s_cbranch_execz .LBB47_82
; %bb.77:                               ;   in Loop: Header=BB47_32 Depth=1
	v_mul_lo_u32 v18, v5, s42
	v_mul_lo_u32 v40, v4, s43
	v_mad_co_u64_u32 v[38:39], null, v4, s42, 0
	v_mul_lo_u32 v44, v2, s64
	s_mov_b32 s10, 0
	s_delay_alu instid0(VALU_DEP_2) | instskip(SKIP_1) | instid1(VALU_DEP_2)
	v_add3_u32 v39, v39, v40, v18
	v_mul_lo_u32 v40, v2, s65
	v_lshlrev_b64_e32 v[38:39], 3, v[38:39]
	s_delay_alu instid0(VALU_DEP_2) | instskip(NEXT) | instid1(VALU_DEP_2)
	v_add_nc_u32_e32 v40, v40, v55
	v_add_co_u32 v38, vcc_lo, s56, v38
	s_wait_alu 0xfffd
	s_delay_alu instid0(VALU_DEP_3)
	v_add_co_ci_u32_e64 v39, null, s57, v39, vcc_lo
	v_add_co_u32 v18, vcc_lo, v52, v2
	global_load_b64 v[42:43], v[38:39], off
	s_wait_alu 0xfffd
	v_add_co_ci_u32_e64 v38, null, 0, v53, vcc_lo
	v_sub_co_u32 v18, vcc_lo, v18, s72
	s_wait_alu 0xfffd
	s_delay_alu instid0(VALU_DEP_2) | instskip(NEXT) | instid1(VALU_DEP_2)
	v_subrev_co_ci_u32_e64 v38, null, s73, v38, vcc_lo
	v_mul_lo_u32 v45, s65, v18
	s_delay_alu instid0(VALU_DEP_2) | instskip(SKIP_2) | instid1(VALU_DEP_2)
	v_mul_lo_u32 v41, s64, v38
	v_mad_co_u64_u32 v[38:39], null, s64, v18, s[62:63]
	v_mul_hi_u32 v18, v2, s64
	v_add3_u32 v39, v45, v39, v41
	s_delay_alu instid0(VALU_DEP_2)
	v_add_nc_u32_e32 v45, v40, v18
	s_branch .LBB47_79
.LBB47_78:                              ;   in Loop: Header=BB47_79 Depth=2
	s_wait_alu 0xfffe
	s_or_b32 exec_lo, exec_lo, s6
	s_wait_loadcnt 0x0
	v_cmp_o_f64_e64 s5, v[42:43], v[42:43]
	v_ashrrev_i32_e32 v18, 31, v43
	s_and_b32 s7, exec_lo, vcc_lo
	s_wait_alu 0xfffe
	s_or_b32 s10, s7, s10
	s_delay_alu instid0(VALU_DEP_1) | instskip(SKIP_1) | instid1(VALU_DEP_2)
	v_or_b32_e32 v57, 0x80000000, v18
	v_xor_b32_e32 v18, v18, v42
	v_xor_b32_e32 v57, v57, v43
	s_delay_alu instid0(VALU_DEP_1) | instskip(NEXT) | instid1(VALU_DEP_3)
	v_cndmask_b32_e64 v43, -1, v57, s5
	v_cndmask_b32_e64 v42, -1, v18, s5
	s_delay_alu instid0(VALU_DEP_1) | instskip(SKIP_2) | instid1(VALU_DEP_3)
	v_lshrrev_b64 v[57:58], s91, v[42:43]
	v_and_b32_e32 v43, v43, v35
	v_and_b32_e32 v42, v42, v34
	;; [unrolled: 1-line block ×3, first 2 shown]
	s_delay_alu instid0(VALU_DEP_2) | instskip(NEXT) | instid1(VALU_DEP_2)
	v_cmp_eq_u64_e64 s5, v[42:43], v[32:33]
	v_cmp_eq_u64_e64 s6, 0, v[18:19]
	v_cmp_eq_u64_e32 vcc_lo, 1, v[18:19]
	v_cmp_eq_u64_e64 s7, 2, v[18:19]
	v_cmp_eq_u64_e64 s8, 3, v[18:19]
	s_and_b32 s6, s5, s6
	s_wait_alu 0xfffe
	v_cndmask_b32_e64 v18, 0, 1, s6
	s_and_b32 s6, s5, vcc_lo
	s_wait_alu 0xfffe
	v_cndmask_b32_e64 v42, 0, 1, s6
	s_and_b32 s6, s5, s7
	s_and_b32 s5, s5, s8
	s_wait_alu 0xfffe
	v_cndmask_b32_e64 v43, 0, 1, s6
	v_cmp_ne_u32_e32 vcc_lo, 0, v18
	v_cndmask_b32_e64 v57, 0, 1, s5
	v_cmp_ne_u32_e64 s5, 0, v42
	v_add_co_u32 v38, s8, v38, v44
	v_cmp_ne_u32_e64 s6, 0, v43
	s_wait_alu 0xf1ff
	v_add_co_ci_u32_e64 v39, null, v39, v45, s8
	s_bcnt1_i32_b32 s8, vcc_lo
	v_cmp_ne_u32_e64 s7, 0, v57
	s_bcnt1_i32_b32 s5, s5
	s_wait_alu 0xfffe
	v_add_co_u32 v8, vcc_lo, v8, s8
	s_bcnt1_i32_b32 s6, s6
	s_wait_alu 0xfffd
	v_add_co_ci_u32_e64 v9, null, 0, v9, vcc_lo
	v_add_co_u32 v10, vcc_lo, v10, s5
	s_bcnt1_i32_b32 s7, s7
	s_wait_alu 0xfffd
	v_add_co_ci_u32_e64 v11, null, 0, v11, vcc_lo
	s_wait_alu 0xfffe
	v_add_co_u32 v12, vcc_lo, v12, s6
	s_wait_alu 0xfffd
	v_add_co_ci_u32_e64 v13, null, 0, v13, vcc_lo
	v_add_co_u32 v14, vcc_lo, v14, s7
	v_mov_b32_e32 v43, v41
	s_wait_alu 0xfffd
	v_add_co_ci_u32_e64 v15, null, 0, v15, vcc_lo
	v_mov_b32_e32 v42, v40
	s_and_not1_b32 exec_lo, exec_lo, s10
	s_cbranch_execz .LBB47_81
.LBB47_79:                              ;   Parent Loop BB47_32 Depth=1
                                        ; =>  This Inner Loop Header: Depth=2
	v_add_co_u32 v4, vcc_lo, v4, v2
	v_mov_b32_e32 v40, 0
	s_wait_alu 0xfffd
	v_add_co_ci_u32_e64 v5, null, 0, v5, vcc_lo
	v_mov_b32_e32 v41, 0
	s_mov_b32 s6, exec_lo
	s_delay_alu instid0(VALU_DEP_2)
	v_cmp_le_i64_e32 vcc_lo, s[36:37], v[4:5]
	v_cmpx_gt_i64_e64 s[36:37], v[4:5]
	s_cbranch_execz .LBB47_78
; %bb.80:                               ;   in Loop: Header=BB47_79 Depth=2
	global_load_b64 v[40:41], v[38:39], off
	s_branch .LBB47_78
.LBB47_81:                              ;   in Loop: Header=BB47_32 Depth=1
	s_or_b32 exec_lo, exec_lo, s10
.LBB47_82:                              ;   in Loop: Header=BB47_32 Depth=1
	s_wait_alu 0xfffe
	s_or_b32 exec_lo, exec_lo, s9
	s_branch .LBB47_61
.LBB47_83:                              ;   in Loop: Header=BB47_32 Depth=1
	global_load_u16 v2, v19, s[38:39]
	v_mov_b32_e32 v8, 0
	v_mov_b32_e32 v10, 0
	;; [unrolled: 1-line block ×3, first 2 shown]
	v_dual_mov_b32 v14, 0 :: v_dual_mov_b32 v11, 0
	v_mov_b32_e32 v13, 0
	v_mov_b32_e32 v15, 0
	s_mov_b32 s80, exec_lo
	v_mov_b32_e32 v9, 0
	s_wait_loadcnt 0x0
	v_readfirstlane_b32 s5, v2
	v_and_b32_e32 v2, 0xffff, v2
	s_and_b32 s69, 0xffff, s5
	s_wait_alu 0xfffe
	s_lshl_b32 s79, s69, 2
	s_wait_alu 0xfffe
	s_cvt_f32_u32 s5, s79
	s_sub_co_i32 s6, 0, s79
	s_wait_alu 0xfffe
	s_delay_alu instid0(SALU_CYCLE_1) | instskip(NEXT) | instid1(TRANS32_DEP_1)
	v_rcp_iflag_f32_e32 v4, s5
	v_readfirstlane_b32 s5, v4
	s_mul_f32 s5, s5, 0x4f7ffffe
	s_wait_alu 0xfffe
	s_delay_alu instid0(SALU_CYCLE_2) | instskip(SKIP_1) | instid1(SALU_CYCLE_2)
	s_cvt_u32_f32 s5, s5
	s_wait_alu 0xfffe
	s_mul_i32 s6, s6, s5
	s_wait_alu 0xfffe
	s_mul_hi_u32 s6, s5, s6
	s_wait_alu 0xfffe
	s_add_co_i32 s5, s5, s6
	s_wait_alu 0xfffe
	s_mul_hi_u32 s5, s68, s5
	s_wait_alu 0xfffe
	s_mul_i32 s6, s5, s79
	s_add_co_i32 s7, s5, 1
	s_wait_alu 0xfffe
	s_sub_co_i32 s6, s68, s6
	s_wait_alu 0xfffe
	s_sub_co_i32 s8, s6, s79
	s_cmp_ge_u32 s6, s79
	s_cselect_b32 s5, s7, s5
	s_wait_alu 0xfffe
	s_cselect_b32 s6, s8, s6
	s_add_co_i32 s7, s5, 1
	s_wait_alu 0xfffe
	s_cmp_ge_u32 s6, s79
	s_cselect_b32 s78, s7, s5
	s_wait_alu 0xfffe
	v_mul_hi_u32 v5, s78, v2
	v_mul_lo_u32 v4, s78, v2
	s_delay_alu instid0(VALU_DEP_1) | instskip(NEXT) | instid1(VALU_DEP_1)
	v_lshlrev_b64_e32 v[4:5], 2, v[4:5]
	v_cmpx_gt_u64_e64 v[4:5], v[22:23]
	s_cbranch_execz .LBB47_87
; %bb.84:                               ;   in Loop: Header=BB47_32 Depth=1
	v_dual_mov_b32 v40, v50 :: v_dual_mov_b32 v39, v23
	v_mov_b32_e32 v38, v22
	s_lshl_b32 s81, s69, 5
	s_mov_b64 s[70:71], 0
	s_mov_b32 s82, 0
	s_mov_b64 s[72:73], 0
	s_mov_b64 s[74:75], 0
	;; [unrolled: 1-line block ×3, first 2 shown]
.LBB47_85:                              ;   Parent Loop BB47_32 Depth=1
                                        ; =>  This Inner Loop Header: Depth=2
	ds_load_b128 v[8:11], v40
	ds_load_b128 v[12:15], v40 offset:16
	v_add_co_u32 v38, vcc_lo, v38, s79
	s_wait_alu 0xfffd
	v_add_co_ci_u32_e64 v39, null, 0, v39, vcc_lo
	s_delay_alu instid0(VALU_DEP_1)
	v_cmp_ge_u64_e32 vcc_lo, v[38:39], v[4:5]
	s_wait_dscnt 0x1
	v_cmp_o_f64_e64 s5, v[8:9], v[8:9]
	v_cmp_o_f64_e64 s6, v[10:11], v[10:11]
	s_wait_dscnt 0x0
	v_cmp_o_f64_e64 s7, v[12:13], v[12:13]
	v_cmp_o_f64_e64 s8, v[14:15], v[14:15]
	v_ashrrev_i32_e32 v18, 31, v9
	v_ashrrev_i32_e32 v41, 31, v11
	;; [unrolled: 1-line block ×4, first 2 shown]
	s_delay_alu instid0(VALU_DEP_4) | instskip(NEXT) | instid1(VALU_DEP_4)
	v_or_b32_e32 v57, 0x80000000, v18
	v_or_b32_e32 v59, 0x80000000, v41
	s_delay_alu instid0(VALU_DEP_4) | instskip(NEXT) | instid1(VALU_DEP_4)
	v_or_b32_e32 v60, 0x80000000, v43
	v_or_b32_e32 v61, 0x80000000, v45
	v_xor_b32_e32 v18, v18, v8
	v_xor_b32_e32 v57, v57, v9
	;; [unrolled: 1-line block ×8, first 2 shown]
	s_wait_alu 0xf1ff
	v_cndmask_b32_e64 v9, -1, v57, s5
	v_cndmask_b32_e64 v11, -1, v8, s6
	;; [unrolled: 1-line block ×7, first 2 shown]
	v_dual_mov_b32 v42, v19 :: v_dual_and_b32 v59, v8, v34
	v_and_b32_e32 v60, v9, v35
	v_lshrrev_b64 v[8:9], s91, v[8:9]
	v_cndmask_b32_e64 v14, -1, v45, s8
	v_dual_mov_b32 v44, v19 :: v_dual_and_b32 v61, v10, v34
	v_lshrrev_b64 v[9:10], s91, v[10:11]
	v_and_b32_e32 v62, v11, v35
	v_lshrrev_b64 v[10:11], s91, v[12:13]
	v_dual_mov_b32 v58, v19 :: v_dual_and_b32 v63, v12, v34
	v_lshrrev_b64 v[11:12], s91, v[14:15]
	v_and_b32_e32 v18, 3, v8
	v_and_b32_e32 v41, 3, v9
	;; [unrolled: 1-line block ×4, first 2 shown]
	v_cmp_eq_u64_e64 s5, v[59:60], v[32:33]
	v_cmp_eq_u64_e64 s9, 0, v[18:19]
	v_and_b32_e32 v66, v15, v35
	v_and_b32_e32 v65, v14, v34
	;; [unrolled: 1-line block ×3, first 2 shown]
	v_cmp_eq_u64_e64 s6, v[61:62], v[32:33]
	v_cmp_eq_u64_e64 s10, 0, v[41:42]
	v_cmp_eq_u64_e64 s7, v[63:64], v[32:33]
	v_cmp_eq_u64_e64 s11, 0, v[43:44]
	v_cmp_eq_u64_e64 s8, v[65:66], v[32:33]
	v_cmp_eq_u64_e64 s12, 0, v[57:58]
	s_and_b32 s9, s5, s9
	v_cmp_eq_u64_e64 s13, 1, v[18:19]
	s_wait_alu 0xfffe
	v_cndmask_b32_e64 v8, 0, 1, s9
	s_and_b32 s9, s6, s10
	v_cmp_eq_u64_e64 s14, 1, v[41:42]
	s_wait_alu 0xfffe
	v_cndmask_b32_e64 v9, 0, 1, s9
	;; [unrolled: 4-line block ×4, first 2 shown]
	s_and_b32 s9, s5, s13
	v_cmp_eq_u64_e64 s17, 2, v[18:19]
	v_cmp_eq_u64_e64 s21, 3, v[18:19]
	s_wait_alu 0xfffe
	v_cndmask_b32_e64 v12, 0, 1, s9
	s_and_b32 s9, s6, s14
	v_cmp_eq_u64_e64 s22, 3, v[41:42]
	s_wait_alu 0xfffe
	v_cndmask_b32_e64 v13, 0, 1, s9
	s_and_b32 s9, s7, s15
	v_cmp_eq_u64_e64 s18, 2, v[41:42]
	v_cmp_eq_u64_e64 s23, 3, v[43:44]
	s_wait_alu 0xfffe
	v_cndmask_b32_e64 v14, 0, 1, s9
	s_and_b32 s9, s8, s16
	v_cmp_eq_u64_e64 s19, 2, v[43:44]
	v_cmp_eq_u64_e64 s24, 3, v[57:58]
	s_wait_alu 0xfffe
	v_cndmask_b32_e64 v15, 0, 1, s9
	s_and_b32 s9, s5, s17
	s_and_b32 s5, s5, s21
	v_cmp_eq_u64_e64 s20, 2, v[57:58]
	s_wait_alu 0xfffe
	v_cndmask_b32_e64 v44, 0, 1, s5
	s_and_b32 s5, s6, s22
	v_cndmask_b32_e64 v18, 0, 1, s9
	s_and_b32 s9, s6, s18
	s_wait_alu 0xfffe
	v_cndmask_b32_e64 v45, 0, 1, s5
	s_and_b32 s5, s7, s23
	v_cndmask_b32_e64 v41, 0, 1, s9
	s_and_b32 s9, s7, s19
	;; [unrolled: 5-line block ×3, first 2 shown]
	s_wait_alu 0xfffe
	v_cndmask_b32_e64 v58, 0, 1, s5
	v_cmp_ne_u32_e64 s5, 0, v8
	v_cmp_ne_u32_e64 s6, 0, v9
	v_cndmask_b32_e64 v43, 0, 1, s9
	v_cmp_ne_u32_e64 s7, 0, v10
	v_cmp_ne_u32_e64 s9, 0, v12
	;; [unrolled: 1-line block ×7, first 2 shown]
	s_bcnt1_i32_b32 s5, s5
	s_bcnt1_i32_b32 s6, s6
	v_cmp_ne_u32_e64 s12, 0, v15
	v_cmp_ne_u32_e64 s15, 0, v42
	v_cmp_ne_u32_e64 s17, 0, v44
	v_cmp_ne_u32_e64 s18, 0, v45
	s_bcnt1_i32_b32 s7, s7
	s_bcnt1_i32_b32 s9, s9
	;; [unrolled: 1-line block ×3, first 2 shown]
	s_wait_alu 0xfffe
	s_add_co_i32 s5, s6, s5
	v_cmp_ne_u32_e64 s16, 0, v43
	v_cmp_ne_u32_e64 s19, 0, v57
	s_bcnt1_i32_b32 s8, s8
	s_bcnt1_i32_b32 s11, s11
	;; [unrolled: 1-line block ×4, first 2 shown]
	s_add_co_i32 s6, s10, s9
	s_wait_alu 0xfffe
	s_add_co_i32 s5, s5, s7
	v_cmp_ne_u32_e64 s20, 0, v58
	s_bcnt1_i32_b32 s12, s12
	s_bcnt1_i32_b32 s15, s15
	s_bcnt1_i32_b32 s17, s17
	s_bcnt1_i32_b32 s18, s18
	s_add_co_i32 s9, s14, s13
	s_add_co_i32 s6, s6, s11
	s_wait_alu 0xfffe
	s_add_co_i32 s24, s5, s8
	s_bcnt1_i32_b32 s16, s16
	s_bcnt1_i32_b32 s19, s19
	s_add_co_i32 s10, s18, s17
	s_add_co_i32 s7, s9, s15
	s_wait_alu 0xfffe
	s_add_nc_u64 s[76:77], s[76:77], s[24:25]
	s_add_co_i32 s24, s6, s12
	s_bcnt1_i32_b32 s20, s20
	s_add_co_i32 s9, s10, s19
	s_wait_alu 0xfffe
	s_add_nc_u64 s[74:75], s[74:75], s[24:25]
	s_add_co_i32 s24, s7, s16
	v_mov_b32_e32 v8, s76
	s_wait_alu 0xfffe
	s_add_nc_u64 s[72:73], s[72:73], s[24:25]
	s_add_co_i32 s24, s9, s20
	v_mov_b32_e32 v10, s74
	s_wait_alu 0xfffe
	s_add_nc_u64 s[70:71], s[70:71], s[24:25]
	v_mov_b32_e32 v12, s72
	s_wait_alu 0xfffe
	v_mov_b32_e32 v14, s70
	v_dual_mov_b32 v9, s77 :: v_dual_add_nc_u32 v40, s81, v40
	v_mov_b32_e32 v11, s75
	v_mov_b32_e32 v13, s73
	;; [unrolled: 1-line block ×3, first 2 shown]
	s_or_b32 s82, vcc_lo, s82
	s_wait_alu 0xfffe
	s_and_not1_b32 exec_lo, exec_lo, s82
	s_cbranch_execnz .LBB47_85
; %bb.86:                               ;   in Loop: Header=BB47_32 Depth=1
	s_or_b32 exec_lo, exec_lo, s82
.LBB47_87:                              ;   in Loop: Header=BB47_32 Depth=1
	s_delay_alu instid0(SALU_CYCLE_1)
	s_or_b32 exec_lo, exec_lo, s80
	v_add_co_u32 v4, vcc_lo, v4, v0
	s_wait_alu 0xfffd
	v_add_co_ci_u32_e64 v5, null, 0, v5, vcc_lo
	s_and_b32 s24, s68, 0x7fffffff
	s_mov_b32 s10, exec_lo
	s_wait_alu 0xfffe
	v_cmpx_gt_u64_e64 s[24:25], v[4:5]
	s_cbranch_execz .LBB47_91
; %bb.88:                               ;   in Loop: Header=BB47_32 Depth=1
	s_mul_i32 s78, s78, s69
	s_lshl_b32 s12, s69, 3
	s_wait_alu 0xfffe
	v_lshl_add_u32 v38, s78, 5, v47
	s_mov_b32 s11, 0
.LBB47_89:                              ;   Parent Loop BB47_32 Depth=1
                                        ; =>  This Inner Loop Header: Depth=2
	ds_load_b64 v[39:40], v38
	v_add_co_u32 v4, s5, v4, v2
	s_wait_alu 0xf1ff
	v_add_co_ci_u32_e64 v5, null, 0, v5, s5
	v_add_nc_u32_e32 v38, s12, v38
	s_delay_alu instid0(VALU_DEP_2) | instskip(SKIP_3) | instid1(VALU_DEP_1)
	v_cmp_le_u64_e64 s5, s[24:25], v[4:5]
	s_wait_dscnt 0x0
	v_cmp_o_f64_e32 vcc_lo, v[39:40], v[39:40]
	v_ashrrev_i32_e32 v18, 31, v40
	v_or_b32_e32 v41, 0x80000000, v18
	v_xor_b32_e32 v18, v18, v39
	s_delay_alu instid0(VALU_DEP_2) | instskip(SKIP_1) | instid1(VALU_DEP_1)
	v_xor_b32_e32 v41, v41, v40
	s_wait_alu 0xfffd
	v_dual_cndmask_b32 v40, -1, v41 :: v_dual_cndmask_b32 v39, -1, v18
	s_delay_alu instid0(VALU_DEP_1) | instskip(NEXT) | instid1(VALU_DEP_2)
	v_and_b32_e32 v42, v40, v35
	v_and_b32_e32 v41, v39, v34
	v_lshrrev_b64 v[39:40], s91, v[39:40]
	s_delay_alu instid0(VALU_DEP_2) | instskip(NEXT) | instid1(VALU_DEP_2)
	v_cmp_eq_u64_e32 vcc_lo, v[41:42], v[32:33]
	v_and_b32_e32 v18, 3, v39
	s_delay_alu instid0(VALU_DEP_1)
	v_cmp_eq_u64_e64 s6, 0, v[18:19]
	v_cmp_eq_u64_e64 s7, 1, v[18:19]
	;; [unrolled: 1-line block ×4, first 2 shown]
	s_and_b32 s6, vcc_lo, s6
	s_wait_alu 0xfffe
	v_cndmask_b32_e64 v18, 0, 1, s6
	s_and_b32 s6, vcc_lo, s7
	s_wait_alu 0xfffe
	v_cndmask_b32_e64 v39, 0, 1, s6
	;; [unrolled: 3-line block ×3, first 2 shown]
	s_and_b32 s6, vcc_lo, s9
	v_cmp_ne_u32_e32 vcc_lo, 0, v18
	s_wait_alu 0xfffe
	v_cndmask_b32_e64 v41, 0, 1, s6
	v_cmp_ne_u32_e64 s6, 0, v39
	v_cmp_ne_u32_e64 s7, 0, v40
	s_bcnt1_i32_b32 s9, vcc_lo
	v_cmp_ne_u32_e64 s8, 0, v41
	s_bcnt1_i32_b32 s6, s6
	s_wait_alu 0xfffe
	v_add_co_u32 v8, vcc_lo, v8, s9
	s_bcnt1_i32_b32 s7, s7
	s_wait_alu 0xfffd
	v_add_co_ci_u32_e64 v9, null, 0, v9, vcc_lo
	v_add_co_u32 v10, vcc_lo, v10, s6
	s_bcnt1_i32_b32 s8, s8
	s_wait_alu 0xfffd
	v_add_co_ci_u32_e64 v11, null, 0, v11, vcc_lo
	s_wait_alu 0xfffe
	v_add_co_u32 v12, vcc_lo, v12, s7
	s_wait_alu 0xfffd
	v_add_co_ci_u32_e64 v13, null, 0, v13, vcc_lo
	v_add_co_u32 v14, vcc_lo, v14, s8
	s_wait_alu 0xfffd
	v_add_co_ci_u32_e64 v15, null, 0, v15, vcc_lo
	s_or_b32 s11, s5, s11
	s_wait_alu 0xfffe
	s_and_not1_b32 exec_lo, exec_lo, s11
	s_cbranch_execnz .LBB47_89
; %bb.90:                               ;   in Loop: Header=BB47_32 Depth=1
	s_or_b32 exec_lo, exec_lo, s11
.LBB47_91:                              ;   in Loop: Header=BB47_32 Depth=1
	s_wait_alu 0xfffe
	s_or_b32 exec_lo, exec_lo, s10
	s_lshl_b32 s5, s93, 7
	s_and_saveexec_b32 s6, s1
	s_cbranch_execnz .LBB47_62
	s_branch .LBB47_63
.LBB47_92:                              ;   in Loop: Header=BB47_32 Depth=1
                                        ; implicit-def: $sgpr72_sgpr73
	s_branch .LBB47_71
.LBB47_93:                              ;   in Loop: Header=BB47_32 Depth=1
	s_wait_alu 0xfffe
	s_or_b32 exec_lo, exec_lo, s8
	s_wait_loadcnt_dscnt 0x0
	s_barrier_signal -1
	s_barrier_wait -1
	global_inv scope:SCOPE_SE
	s_and_saveexec_b32 s5, s2
	s_cbranch_execz .LBB47_95
; %bb.94:                               ;   in Loop: Header=BB47_32 Depth=1
	ds_load_b32 v4, v19 offset:5136
	s_wait_dscnt 0x0
	v_ashrrev_i32_e32 v5, 31, v4
	ds_store_b64 v19, v[4:5] offset:5120
.LBB47_95:                              ;   in Loop: Header=BB47_32 Depth=1
	s_wait_alu 0xfffe
	s_or_b32 exec_lo, exec_lo, s5
	s_wait_loadcnt_dscnt 0x0
	s_barrier_signal -1
	s_mov_b32 s5, -1
	s_barrier_wait -1
	s_and_b32 vcc_lo, exec_lo, s7
	s_wait_alu 0xfffe
	s_cbranch_vccnz .LBB47_48
	s_branch .LBB47_57
.LBB47_96:                              ;   in Loop: Header=BB47_32 Depth=1
	s_mov_b32 s7, 0
	s_and_not1_b32 vcc_lo, exec_lo, s89
	s_wait_alu 0xfffe
	s_cbranch_vccnz .LBB47_99
.LBB47_97:                              ;   in Loop: Header=BB47_32 Depth=1
	s_lshl_b32 s8, s93, 10
	s_lshl_b32 s7, s7, 5
	s_wait_alu 0xfffe
	v_add3_u32 v2, s8, s7, v54
	s_mov_b32 s7, s86
.LBB47_98:                              ;   Parent Loop BB47_32 Depth=1
                                        ; =>  This Inner Loop Header: Depth=2
	ds_load_b64 v[8:9], v2
	v_add_nc_u32_e32 v2, 32, v2
	s_wait_alu 0xfffe
	s_add_co_i32 s7, s7, -1
	s_wait_alu 0xfffe
	s_cmp_lg_u32 s7, 0
	s_wait_dscnt 0x0
	v_add_co_u32 v4, vcc_lo, v8, v4
	s_wait_alu 0xfffd
	v_add_co_ci_u32_e64 v5, null, v9, v5, vcc_lo
	s_cbranch_scc1 .LBB47_98
.LBB47_99:                              ;   in Loop: Header=BB47_32 Depth=1
	v_add_lshl_u32 v2, s5, v46, 3
	ds_store_b64 v2, v[4:5] offset:3072
.LBB47_100:                             ;   in Loop: Header=BB47_32 Depth=1
	s_wait_alu 0xfffe
	s_or_b32 exec_lo, exec_lo, s6
	s_lshl_b32 s5, s5, 3
	s_wait_loadcnt_dscnt 0x0
	s_wait_alu 0xfffe
	v_mov_b32_e32 v2, s5
	s_barrier_signal -1
	s_barrier_wait -1
	global_inv scope:SCOPE_SE
	v_cmp_eq_u64_e32 vcc_lo, 1, v[36:37]
	ds_load_b128 v[8:11], v2 offset:3072
	ds_load_b128 v[12:15], v2 offset:3088
	s_lshl_b64 s[8:9], 3, s91
	s_mov_b32 s21, -1
	s_wait_alu 0xfffe
	s_not_b64 s[12:13], s[8:9]
                                        ; implicit-def: $sgpr19
                                        ; implicit-def: $sgpr18
	s_wait_dscnt 0x1
	v_cmp_eq_u64_e64 s5, 1, v[8:9]
	s_wait_dscnt 0x0
	v_readfirstlane_b32 s10, v12
	v_readfirstlane_b32 s11, v13
	;; [unrolled: 1-line block ×4, first 2 shown]
	s_and_b32 s22, s5, vcc_lo
	s_mov_b32 s5, -1
	s_wait_alu 0xfffe
	s_and_saveexec_b32 s20, s22
	s_cbranch_execz .LBB47_134
; %bb.101:                              ;   in Loop: Header=BB47_32 Depth=1
	ds_load_b64 v[4:5], v19 offset:5120
	s_wait_loadcnt_dscnt 0x0
	s_barrier_signal -1
	s_barrier_wait -1
	global_inv scope:SCOPE_SE
	v_readfirstlane_b32 s14, v4
	v_readfirstlane_b32 s15, v5
	s_and_saveexec_b32 s5, s3
; %bb.102:                              ;   in Loop: Header=BB47_32 Depth=1
	v_mov_b32_e32 v18, v19
	ds_store_b64 v48, v[18:19]
; %bb.103:                              ;   in Loop: Header=BB47_32 Depth=1
	s_wait_alu 0xfffe
	s_or_b32 exec_lo, exec_lo, s5
	v_cmp_lt_i64_e64 s5, s[14:15], 1
	v_and_b32_e32 v33, s13, v33
	v_and_b32_e32 v32, s12, v32
	v_or_b32_e32 v35, s9, v35
	v_or_b32_e32 v34, s8, v34
	s_mov_b32 s18, -1
	s_mov_b32 s19, 0
	s_and_b32 vcc_lo, exec_lo, s5
	s_mov_b32 s5, 0
	s_mov_b32 s23, -1
	s_wait_loadcnt_dscnt 0x0
	s_barrier_signal -1
	s_barrier_wait -1
	global_inv scope:SCOPE_SE
                                        ; implicit-def: $vgpr6_vgpr7
	s_wait_alu 0xfffe
	s_cbranch_vccz .LBB47_118
; %bb.104:                              ;   in Loop: Header=BB47_32 Depth=1
	s_mov_b32 s16, s25
	s_mov_b32 s17, s61
	s_wait_alu 0xfffe
	s_cmp_lg_u64 s[16:17], 0
	s_cbranch_scc0 .LBB47_161
; %bb.105:                              ;   in Loop: Header=BB47_32 Depth=1
	s_add_nc_u64 s[16:17], s[50:51], 0
	s_wait_alu 0xfffe
	s_xor_b64 s[16:17], s[16:17], 0
	s_wait_alu 0xfffe
	s_cvt_f32_u32 s5, s16
	s_cvt_f32_u32 s23, s17
	s_sub_nc_u64 s[70:71], 0, s[16:17]
	s_wait_alu 0xfffe
	s_delay_alu instid0(SALU_CYCLE_1) | instskip(SKIP_1) | instid1(SALU_CYCLE_2)
	s_fmamk_f32 s5, s23, 0x4f800000, s5
	s_wait_alu 0xfffe
	v_s_rcp_f32 s5, s5
	s_delay_alu instid0(TRANS32_DEP_1) | instskip(SKIP_1) | instid1(SALU_CYCLE_2)
	s_mul_f32 s5, s5, 0x5f7ffffc
	s_wait_alu 0xfffe
	s_mul_f32 s23, s5, 0x2f800000
	s_wait_alu 0xfffe
	s_delay_alu instid0(SALU_CYCLE_2) | instskip(SKIP_1) | instid1(SALU_CYCLE_2)
	s_trunc_f32 s23, s23
	s_wait_alu 0xfffe
	s_fmamk_f32 s5, s23, 0xcf800000, s5
	s_cvt_u32_f32 s69, s23
	s_wait_alu 0xfffe
	s_delay_alu instid0(SALU_CYCLE_1) | instskip(SKIP_1) | instid1(SALU_CYCLE_2)
	s_cvt_u32_f32 s68, s5
	s_wait_alu 0xfffe
	s_mul_u64 s[72:73], s[70:71], s[68:69]
	s_wait_alu 0xfffe
	s_mul_hi_u32 s75, s68, s73
	s_mul_i32 s74, s68, s73
	s_mul_hi_u32 s24, s68, s72
	s_mul_i32 s23, s69, s72
	s_wait_alu 0xfffe
	s_add_nc_u64 s[74:75], s[24:25], s[74:75]
	s_mul_hi_u32 s5, s69, s72
	s_mul_hi_u32 s76, s69, s73
	s_wait_alu 0xfffe
	s_add_co_u32 s23, s74, s23
	s_add_co_ci_u32 s24, s75, s5
	s_mul_i32 s72, s69, s73
	s_add_co_ci_u32 s73, s76, 0
	s_wait_alu 0xfffe
	s_add_nc_u64 s[72:73], s[24:25], s[72:73]
	s_wait_alu 0xfffe
	s_add_co_u32 s68, s68, s72
	s_cselect_b32 s5, -1, 0
	s_wait_alu 0xfffe
	s_cmp_lg_u32 s5, 0
	s_add_co_ci_u32 s69, s69, s73
	s_wait_alu 0xfffe
	s_mul_u64 s[70:71], s[70:71], s[68:69]
	s_wait_alu 0xfffe
	s_mul_hi_u32 s73, s68, s71
	s_mul_i32 s72, s68, s71
	s_mul_hi_u32 s24, s68, s70
	s_mul_i32 s23, s69, s70
	s_wait_alu 0xfffe
	s_add_nc_u64 s[72:73], s[24:25], s[72:73]
	s_mul_hi_u32 s5, s69, s70
	s_mul_hi_u32 s74, s69, s71
	s_wait_alu 0xfffe
	s_add_co_u32 s23, s72, s23
	s_add_co_ci_u32 s24, s73, s5
	s_mul_i32 s70, s69, s71
	s_add_co_ci_u32 s71, s74, 0
	s_wait_alu 0xfffe
	s_add_nc_u64 s[70:71], s[24:25], s[70:71]
	s_wait_alu 0xfffe
	s_add_co_u32 s5, s68, s70
	s_cselect_b32 s23, -1, 0
	s_wait_alu 0xfffe
	s_cmp_lg_u32 s23, 0
	s_add_co_ci_u32 s23, s69, s71
	s_ashr_i32 s68, s61, 31
	s_wait_alu 0xfffe
	s_mov_b32 s69, s68
	s_wait_alu 0xfffe
	s_add_nc_u64 s[70:71], s[60:61], s[68:69]
	s_wait_alu 0xfffe
	s_xor_b64 s[70:71], s[70:71], s[68:69]
	s_wait_alu 0xfffe
	s_mul_hi_u32 s73, s70, s23
	s_mul_i32 s72, s70, s23
	s_mul_hi_u32 s24, s70, s5
	s_mul_hi_u32 s76, s71, s5
	s_mul_i32 s5, s71, s5
	s_wait_alu 0xfffe
	s_add_nc_u64 s[72:73], s[24:25], s[72:73]
	s_mul_hi_u32 s75, s71, s23
	s_wait_alu 0xfffe
	s_add_co_u32 s5, s72, s5
	s_add_co_ci_u32 s24, s73, s76
	s_mul_i32 s74, s71, s23
	s_add_co_ci_u32 s75, s75, 0
	s_wait_alu 0xfffe
	s_add_nc_u64 s[72:73], s[24:25], s[74:75]
	s_wait_alu 0xfffe
	s_mul_u64 s[72:73], s[16:17], s[72:73]
	s_wait_alu 0xfffe
	s_sub_co_u32 s5, s70, s72
	s_cselect_b32 s23, -1, 0
	s_sub_co_i32 s24, s71, s73
	s_wait_alu 0xfffe
	s_cmp_lg_u32 s23, 0
	s_sub_co_ci_u32 s24, s24, s17
	s_sub_co_u32 s70, s5, s16
	s_cselect_b32 s72, -1, 0
	s_wait_alu 0xfffe
	s_cmp_lg_u32 s72, 0
	s_sub_co_ci_u32 s74, s24, 0
	s_wait_alu 0xfffe
	s_cmp_ge_u32 s74, s17
	s_cselect_b32 s75, -1, 0
	s_cmp_ge_u32 s70, s16
	s_cselect_b32 s76, -1, 0
	s_cmp_eq_u32 s74, s17
	s_wait_alu 0xfffe
	s_cselect_b32 s75, s76, s75
	s_cmp_lg_u32 s72, 0
	s_sub_co_ci_u32 s24, s24, s17
	s_sub_co_u32 s72, s70, s16
	s_cselect_b32 s76, -1, 0
	s_wait_alu 0xfffe
	s_cmp_lg_u32 s76, 0
	s_sub_co_ci_u32 s24, s24, 0
	s_cmp_lg_u32 s75, 0
	s_cselect_b32 s70, s72, s70
	s_wait_alu 0xfffe
	s_cselect_b32 s24, s24, s74
	s_cmp_lg_u32 s23, 0
	s_sub_co_ci_u32 s23, s71, s73
	s_wait_alu 0xfffe
	s_cmp_ge_u32 s23, s17
	s_cselect_b32 s71, -1, 0
	s_cmp_ge_u32 s5, s16
	s_cselect_b32 s16, -1, 0
	s_cmp_eq_u32 s23, s17
	s_wait_alu 0xfffe
	s_cselect_b32 s16, s16, s71
	s_wait_alu 0xfffe
	s_cmp_lg_u32 s16, 0
	s_cselect_b32 s17, s24, s23
	s_cselect_b32 s16, s70, s5
	s_wait_alu 0xfffe
	s_xor_b64 s[16:17], s[16:17], s[68:69]
	s_wait_alu 0xfffe
	s_sub_nc_u64 s[16:17], s[16:17], s[68:69]
	s_cbranch_execnz .LBB47_107
.LBB47_106:                             ;   in Loop: Header=BB47_32 Depth=1
	v_cvt_f32_u32_e32 v2, s50
	s_sub_co_i32 s16, 0, s50
	s_delay_alu instid0(VALU_DEP_1) | instskip(NEXT) | instid1(TRANS32_DEP_1)
	v_rcp_iflag_f32_e32 v2, v2
	v_mul_f32_e32 v2, 0x4f7ffffe, v2
	s_delay_alu instid0(VALU_DEP_1) | instskip(NEXT) | instid1(VALU_DEP_1)
	v_cvt_u32_f32_e32 v2, v2
	v_readfirstlane_b32 s5, v2
	s_wait_alu 0xfffe
	s_mul_i32 s16, s16, s5
	s_wait_alu 0xfffe
	s_mul_hi_u32 s16, s5, s16
	s_wait_alu 0xfffe
	s_add_co_i32 s5, s5, s16
	s_wait_alu 0xfffe
	s_mul_hi_u32 s5, s60, s5
	s_wait_alu 0xfffe
	s_mul_i32 s5, s5, s50
	s_wait_alu 0xfffe
	s_sub_co_i32 s5, s60, s5
	s_wait_alu 0xfffe
	s_sub_co_i32 s16, s5, s50
	s_cmp_ge_u32 s5, s50
	s_wait_alu 0xfffe
	s_cselect_b32 s5, s16, s5
	s_wait_alu 0xfffe
	s_sub_co_i32 s16, s5, s50
	s_cmp_ge_u32 s5, s50
	s_wait_alu 0xfffe
	s_cselect_b32 s24, s16, s5
	s_wait_alu 0xfffe
	s_mov_b64 s[16:17], s[24:25]
.LBB47_107:                             ;   in Loop: Header=BB47_32 Depth=1
	s_wait_alu 0xfffe
	s_sub_nc_u64 s[16:17], s[60:61], s[16:17]
	s_mov_b32 s23, 0
	s_mov_b32 s5, 0
	s_mov_b32 s24, exec_lo
                                        ; implicit-def: $vgpr6_vgpr7
	s_wait_alu 0xfffe
	v_cmpx_gt_i64_e64 s[16:17], v[0:1]
	s_cbranch_execz .LBB47_117
; %bb.108:                              ;   in Loop: Header=BB47_32 Depth=1
	v_dual_mov_b32 v12, v16 :: v_dual_mov_b32 v13, v17
	v_dual_mov_b32 v15, v1 :: v_dual_mov_b32 v14, v0
	s_mov_b32 s68, 0
                                        ; implicit-def: $sgpr69
	s_branch .LBB47_112
.LBB47_109:                             ;   in Loop: Header=BB47_112 Depth=2
	s_wait_alu 0xfffe
	s_or_b32 exec_lo, exec_lo, s5
	s_wait_loadcnt_dscnt 0x0
	s_barrier_signal -1
	s_barrier_wait -1
	global_inv scope:SCOPE_SE
	ds_load_b128 v[4:7], v19 offset:3072
	s_wait_loadcnt_dscnt 0x0
	s_barrier_signal -1
	s_barrier_wait -1
	global_inv scope:SCOPE_SE
	v_cmp_neq_f64_e32 vcc_lo, 0, v[4:5]
	s_cbranch_vccnz .LBB47_115
; %bb.110:                              ;   in Loop: Header=BB47_112 Depth=2
	v_add_co_u32 v14, vcc_lo, v14, s50
	s_wait_alu 0xfffd
	v_add_co_ci_u32_e64 v15, null, 0, v15, vcc_lo
	v_add_co_u32 v12, s5, v12, s52
	s_wait_alu 0xf1ff
	v_add_co_ci_u32_e64 v13, null, s53, v13, s5
	s_delay_alu instid0(VALU_DEP_3)
	v_cmp_le_i64_e32 vcc_lo, s[16:17], v[14:15]
	s_mov_b32 s5, 0
	s_or_not1_b32 s70, vcc_lo, exec_lo
.LBB47_111:                             ;   in Loop: Header=BB47_112 Depth=2
	s_wait_alu 0xfffe
	s_and_b32 s70, exec_lo, s70
	s_wait_alu 0xfffe
	s_or_b32 s68, s70, s68
	s_and_not1_b32 s69, s69, exec_lo
	s_and_b32 s5, s5, exec_lo
	s_wait_alu 0xfffe
	s_or_b32 s69, s69, s5
	s_and_not1_b32 exec_lo, exec_lo, s68
	s_cbranch_execz .LBB47_116
.LBB47_112:                             ;   Parent Loop BB47_32 Depth=1
                                        ; =>  This Inner Loop Header: Depth=2
	s_mov_b32 s5, exec_lo
	s_delay_alu instid0(VALU_DEP_1)
	v_cmpx_gt_i64_e64 s[36:37], v[14:15]
	s_cbranch_execz .LBB47_109
; %bb.113:                              ;   in Loop: Header=BB47_112 Depth=2
	global_load_b64 v[4:5], v[12:13], off
	s_wait_loadcnt 0x0
	v_cmp_o_f64_e32 vcc_lo, v[4:5], v[4:5]
	v_ashrrev_i32_e32 v2, 31, v5
	s_delay_alu instid0(VALU_DEP_1) | instskip(SKIP_1) | instid1(VALU_DEP_2)
	v_or_b32_e32 v6, 0x80000000, v2
	v_xor_b32_e32 v2, v2, v4
	v_xor_b32_e32 v6, v6, v5
	s_wait_alu 0xfffd
	s_delay_alu instid0(VALU_DEP_1) | instskip(NEXT) | instid1(VALU_DEP_1)
	v_cndmask_b32_e32 v6, -1, v6, vcc_lo
	v_dual_cndmask_b32 v2, -1, v2 :: v_dual_and_b32 v7, v6, v35
	s_delay_alu instid0(VALU_DEP_1) | instskip(NEXT) | instid1(VALU_DEP_1)
	v_and_b32_e32 v6, v2, v34
	v_cmp_eq_u64_e32 vcc_lo, v[6:7], v[32:33]
	s_and_b32 exec_lo, exec_lo, vcc_lo
	s_cbranch_execz .LBB47_109
; %bb.114:                              ;   in Loop: Header=BB47_112 Depth=2
	v_mov_b32_e32 v2, v19
	ds_store_b128 v19, v[2:5] offset:3072
	s_branch .LBB47_109
.LBB47_115:                             ;   in Loop: Header=BB47_112 Depth=2
	s_mov_b32 s70, -1
	s_mov_b32 s5, -1
                                        ; implicit-def: $vgpr14_vgpr15
                                        ; implicit-def: $vgpr12_vgpr13
	s_branch .LBB47_111
.LBB47_116:                             ;   in Loop: Header=BB47_32 Depth=1
	s_or_b32 exec_lo, exec_lo, s68
	s_wait_alu 0xfffe
	s_and_b32 s5, s69, exec_lo
.LBB47_117:                             ;   in Loop: Header=BB47_32 Depth=1
	s_or_b32 exec_lo, exec_lo, s24
.LBB47_118:                             ;   in Loop: Header=BB47_32 Depth=1
	s_delay_alu instid0(SALU_CYCLE_1)
	s_and_b32 vcc_lo, exec_lo, s23
	s_wait_alu 0xfffe
	s_cbranch_vccz .LBB47_133
; %bb.119:                              ;   in Loop: Header=BB47_32 Depth=1
	s_add_nc_u64 s[16:17], s[14:15], s[58:59]
	s_mov_b32 s18, s25
	s_wait_alu 0xfffe
	s_mov_b32 s19, s17
	s_delay_alu instid0(SALU_CYCLE_1)
	s_cmp_lg_u64 s[18:19], 0
	s_cbranch_scc0 .LBB47_162
; %bb.120:                              ;   in Loop: Header=BB47_32 Depth=1
	s_add_nc_u64 s[18:19], s[50:51], 0
	s_delay_alu instid0(SALU_CYCLE_1) | instskip(NEXT) | instid1(SALU_CYCLE_1)
	s_xor_b64 s[18:19], s[18:19], 0
	s_cvt_f32_u32 s23, s18
	s_cvt_f32_u32 s24, s19
	s_sub_nc_u64 s[70:71], 0, s[18:19]
	s_wait_alu 0xfffe
	s_delay_alu instid0(SALU_CYCLE_1) | instskip(SKIP_1) | instid1(SALU_CYCLE_2)
	s_fmamk_f32 s23, s24, 0x4f800000, s23
	s_wait_alu 0xfffe
	v_s_rcp_f32 s23, s23
	s_delay_alu instid0(TRANS32_DEP_1) | instskip(SKIP_1) | instid1(SALU_CYCLE_2)
	s_mul_f32 s23, s23, 0x5f7ffffc
	s_wait_alu 0xfffe
	s_mul_f32 s24, s23, 0x2f800000
	s_wait_alu 0xfffe
	s_delay_alu instid0(SALU_CYCLE_2) | instskip(SKIP_1) | instid1(SALU_CYCLE_2)
	s_trunc_f32 s24, s24
	s_wait_alu 0xfffe
	s_fmamk_f32 s23, s24, 0xcf800000, s23
	s_cvt_u32_f32 s69, s24
	s_wait_alu 0xfffe
	s_delay_alu instid0(SALU_CYCLE_1) | instskip(SKIP_1) | instid1(SALU_CYCLE_2)
	s_cvt_u32_f32 s68, s23
	s_wait_alu 0xfffe
	s_mul_u64 s[72:73], s[70:71], s[68:69]
	s_wait_alu 0xfffe
	s_mul_hi_u32 s75, s68, s73
	s_mul_i32 s74, s68, s73
	s_mul_hi_u32 s24, s68, s72
	s_mul_i32 s76, s69, s72
	s_wait_alu 0xfffe
	s_add_nc_u64 s[74:75], s[24:25], s[74:75]
	s_mul_hi_u32 s23, s69, s72
	s_mul_hi_u32 s77, s69, s73
	s_wait_alu 0xfffe
	s_add_co_u32 s24, s74, s76
	s_add_co_ci_u32 s24, s75, s23
	s_mul_i32 s72, s69, s73
	s_add_co_ci_u32 s73, s77, 0
	s_wait_alu 0xfffe
	s_add_nc_u64 s[72:73], s[24:25], s[72:73]
	s_wait_alu 0xfffe
	s_add_co_u32 s68, s68, s72
	s_cselect_b32 s23, -1, 0
	s_wait_alu 0xfffe
	s_cmp_lg_u32 s23, 0
	s_add_co_ci_u32 s69, s69, s73
	s_wait_alu 0xfffe
	s_mul_u64 s[70:71], s[70:71], s[68:69]
	s_wait_alu 0xfffe
	s_mul_hi_u32 s73, s68, s71
	s_mul_i32 s72, s68, s71
	s_mul_hi_u32 s24, s68, s70
	s_mul_i32 s74, s69, s70
	s_wait_alu 0xfffe
	s_add_nc_u64 s[72:73], s[24:25], s[72:73]
	s_mul_hi_u32 s23, s69, s70
	s_mul_hi_u32 s75, s69, s71
	s_wait_alu 0xfffe
	s_add_co_u32 s24, s72, s74
	s_add_co_ci_u32 s24, s73, s23
	s_mul_i32 s70, s69, s71
	s_add_co_ci_u32 s71, s75, 0
	s_wait_alu 0xfffe
	s_add_nc_u64 s[70:71], s[24:25], s[70:71]
	s_wait_alu 0xfffe
	s_add_co_u32 s23, s68, s70
	s_cselect_b32 s24, -1, 0
	s_wait_alu 0xfffe
	s_cmp_lg_u32 s24, 0
	s_add_co_ci_u32 s74, s69, s71
	s_ashr_i32 s68, s17, 31
	s_wait_alu 0xfffe
	s_mov_b32 s69, s68
	s_wait_alu 0xfffe
	s_add_nc_u64 s[70:71], s[16:17], s[68:69]
	s_wait_alu 0xfffe
	s_xor_b64 s[70:71], s[70:71], s[68:69]
	s_wait_alu 0xfffe
	s_mul_hi_u32 s73, s70, s74
	s_mul_i32 s72, s70, s74
	s_mul_hi_u32 s24, s70, s23
	s_mul_hi_u32 s76, s71, s23
	s_mul_i32 s23, s71, s23
	s_wait_alu 0xfffe
	s_add_nc_u64 s[72:73], s[24:25], s[72:73]
	s_mul_hi_u32 s75, s71, s74
	s_wait_alu 0xfffe
	s_add_co_u32 s23, s72, s23
	s_add_co_ci_u32 s24, s73, s76
	s_mul_i32 s74, s71, s74
	s_add_co_ci_u32 s75, s75, 0
	s_wait_alu 0xfffe
	s_add_nc_u64 s[72:73], s[24:25], s[74:75]
	s_wait_alu 0xfffe
	s_mul_u64 s[72:73], s[18:19], s[72:73]
	s_wait_alu 0xfffe
	s_sub_co_u32 s23, s70, s72
	s_cselect_b32 s24, -1, 0
	s_sub_co_i32 s70, s71, s73
	s_wait_alu 0xfffe
	s_cmp_lg_u32 s24, 0
	s_sub_co_ci_u32 s70, s70, s19
	s_sub_co_u32 s72, s23, s18
	s_cselect_b32 s74, -1, 0
	s_wait_alu 0xfffe
	s_cmp_lg_u32 s74, 0
	s_sub_co_ci_u32 s75, s70, 0
	s_wait_alu 0xfffe
	s_cmp_ge_u32 s75, s19
	s_cselect_b32 s76, -1, 0
	s_cmp_ge_u32 s72, s18
	s_cselect_b32 s77, -1, 0
	s_cmp_eq_u32 s75, s19
	s_wait_alu 0xfffe
	s_cselect_b32 s76, s77, s76
	s_cmp_lg_u32 s74, 0
	s_sub_co_ci_u32 s70, s70, s19
	s_sub_co_u32 s74, s72, s18
	s_cselect_b32 s77, -1, 0
	s_wait_alu 0xfffe
	s_cmp_lg_u32 s77, 0
	s_sub_co_ci_u32 s70, s70, 0
	s_cmp_lg_u32 s76, 0
	s_cselect_b32 s72, s74, s72
	s_wait_alu 0xfffe
	s_cselect_b32 s70, s70, s75
	s_cmp_lg_u32 s24, 0
	s_sub_co_ci_u32 s24, s71, s73
	s_wait_alu 0xfffe
	s_cmp_ge_u32 s24, s19
	s_cselect_b32 s71, -1, 0
	s_cmp_ge_u32 s23, s18
	s_cselect_b32 s18, -1, 0
	s_cmp_eq_u32 s24, s19
	s_wait_alu 0xfffe
	s_cselect_b32 s18, s18, s71
	s_delay_alu instid0(SALU_CYCLE_1) | instskip(SKIP_2) | instid1(SALU_CYCLE_1)
	s_cmp_lg_u32 s18, 0
	s_cselect_b32 s19, s70, s24
	s_cselect_b32 s18, s72, s23
	s_xor_b64 s[18:19], s[18:19], s[68:69]
	s_delay_alu instid0(SALU_CYCLE_1)
	s_sub_nc_u64 s[18:19], s[18:19], s[68:69]
	s_cbranch_execnz .LBB47_122
.LBB47_121:                             ;   in Loop: Header=BB47_32 Depth=1
	v_cvt_f32_u32_e32 v2, s50
	s_sub_co_i32 s19, 0, s50
	s_delay_alu instid0(VALU_DEP_1) | instskip(NEXT) | instid1(TRANS32_DEP_1)
	v_rcp_iflag_f32_e32 v2, v2
	v_mul_f32_e32 v2, 0x4f7ffffe, v2
	s_delay_alu instid0(VALU_DEP_1) | instskip(NEXT) | instid1(VALU_DEP_1)
	v_cvt_u32_f32_e32 v2, v2
	v_readfirstlane_b32 s18, v2
	s_mul_i32 s19, s19, s18
	s_delay_alu instid0(SALU_CYCLE_1) | instskip(NEXT) | instid1(SALU_CYCLE_1)
	s_mul_hi_u32 s19, s18, s19
	s_add_co_i32 s18, s18, s19
	s_delay_alu instid0(SALU_CYCLE_1) | instskip(NEXT) | instid1(SALU_CYCLE_1)
	s_mul_hi_u32 s18, s16, s18
	s_mul_i32 s18, s18, s50
	s_delay_alu instid0(SALU_CYCLE_1) | instskip(NEXT) | instid1(SALU_CYCLE_1)
	s_sub_co_i32 s18, s16, s18
	s_sub_co_i32 s19, s18, s50
	s_cmp_ge_u32 s18, s50
	s_cselect_b32 s18, s19, s18
	s_delay_alu instid0(SALU_CYCLE_1)
	s_sub_co_i32 s19, s18, s50
	s_cmp_ge_u32 s18, s50
	s_cselect_b32 s24, s19, s18
	s_wait_alu 0xfffe
	s_mov_b64 s[18:19], s[24:25]
.LBB47_122:                             ;   in Loop: Header=BB47_32 Depth=1
	s_delay_alu instid0(SALU_CYCLE_1)
	s_sub_nc_u64 s[16:17], s[16:17], s[18:19]
	s_mov_b32 s18, exec_lo
                                        ; implicit-def: $vgpr6_vgpr7
	s_wait_alu 0xfffe
	v_cmpx_gt_i64_e64 s[16:17], v[0:1]
	s_cbranch_execz .LBB47_132
; %bb.123:                              ;   in Loop: Header=BB47_32 Depth=1
	v_dual_mov_b32 v14, v47 :: v_dual_mov_b32 v13, v1
	v_mov_b32_e32 v12, v0
	s_mov_b32 s23, 0
                                        ; implicit-def: $sgpr19
	s_branch .LBB47_127
.LBB47_124:                             ;   in Loop: Header=BB47_127 Depth=2
	s_wait_alu 0xfffe
	s_or_b32 exec_lo, exec_lo, s24
	s_wait_loadcnt_dscnt 0x0
	s_barrier_signal -1
	s_barrier_wait -1
	global_inv scope:SCOPE_SE
	ds_load_b128 v[4:7], v19 offset:3072
	s_wait_loadcnt_dscnt 0x0
	s_barrier_signal -1
	s_barrier_wait -1
	global_inv scope:SCOPE_SE
	v_cmp_neq_f64_e32 vcc_lo, 0, v[4:5]
	s_cbranch_vccnz .LBB47_130
; %bb.125:                              ;   in Loop: Header=BB47_127 Depth=2
	v_add_co_u32 v12, vcc_lo, v12, s50
	s_wait_alu 0xfffd
	v_add_co_ci_u32_e64 v13, null, 0, v13, vcc_lo
	v_add_nc_u32_e32 v14, s90, v14
	s_mov_b32 s24, 0
	s_delay_alu instid0(VALU_DEP_2)
	v_cmp_le_i64_e32 vcc_lo, s[16:17], v[12:13]
	s_or_not1_b32 s68, vcc_lo, exec_lo
.LBB47_126:                             ;   in Loop: Header=BB47_127 Depth=2
	s_wait_alu 0xfffe
	s_and_b32 s68, exec_lo, s68
	s_wait_alu 0xfffe
	s_or_b32 s23, s68, s23
	s_and_not1_b32 s19, s19, exec_lo
	s_and_b32 s24, s24, exec_lo
	s_wait_alu 0xfffe
	s_or_b32 s19, s19, s24
	s_and_not1_b32 exec_lo, exec_lo, s23
	s_cbranch_execz .LBB47_131
.LBB47_127:                             ;   Parent Loop BB47_32 Depth=1
                                        ; =>  This Inner Loop Header: Depth=2
	s_mov_b32 s24, exec_lo
	s_delay_alu instid0(VALU_DEP_1)
	v_cmpx_gt_u64_e64 s[14:15], v[12:13]
	s_cbranch_execz .LBB47_124
; %bb.128:                              ;   in Loop: Header=BB47_127 Depth=2
	ds_load_b64 v[4:5], v14
	s_wait_dscnt 0x0
	v_cmp_o_f64_e32 vcc_lo, v[4:5], v[4:5]
	v_ashrrev_i32_e32 v2, 31, v5
	s_delay_alu instid0(VALU_DEP_1) | instskip(SKIP_1) | instid1(VALU_DEP_2)
	v_or_b32_e32 v6, 0x80000000, v2
	v_xor_b32_e32 v2, v2, v4
	v_xor_b32_e32 v6, v6, v5
	s_wait_alu 0xfffd
	s_delay_alu instid0(VALU_DEP_1) | instskip(NEXT) | instid1(VALU_DEP_1)
	v_cndmask_b32_e32 v6, -1, v6, vcc_lo
	v_dual_cndmask_b32 v2, -1, v2 :: v_dual_and_b32 v7, v6, v35
	s_delay_alu instid0(VALU_DEP_1) | instskip(NEXT) | instid1(VALU_DEP_1)
	v_and_b32_e32 v6, v2, v34
	v_cmp_eq_u64_e32 vcc_lo, v[6:7], v[32:33]
	s_and_b32 exec_lo, exec_lo, vcc_lo
	s_cbranch_execz .LBB47_124
; %bb.129:                              ;   in Loop: Header=BB47_127 Depth=2
	v_mov_b32_e32 v2, v19
	ds_store_b128 v19, v[2:5] offset:3072
	s_branch .LBB47_124
.LBB47_130:                             ;   in Loop: Header=BB47_127 Depth=2
	s_mov_b32 s68, -1
	s_mov_b32 s24, -1
                                        ; implicit-def: $vgpr12_vgpr13
                                        ; implicit-def: $vgpr14
	s_branch .LBB47_126
.LBB47_131:                             ;   in Loop: Header=BB47_32 Depth=1
	s_or_b32 exec_lo, exec_lo, s23
	s_delay_alu instid0(SALU_CYCLE_1)
	s_and_not1_b32 s5, s5, exec_lo
	s_and_b32 s14, s19, exec_lo
	s_wait_alu 0xfffe
	s_or_b32 s5, s5, s14
.LBB47_132:                             ;   in Loop: Header=BB47_32 Depth=1
	s_or_b32 exec_lo, exec_lo, s18
	s_mov_b32 s18, 0
	s_mov_b32 s19, -1
.LBB47_133:                             ;   in Loop: Header=BB47_32 Depth=1
	s_wait_alu 0xfffe
	s_or_not1_b32 s5, s5, exec_lo
.LBB47_134:                             ;   in Loop: Header=BB47_32 Depth=1
	s_wait_alu 0xfffe
	s_or_b32 exec_lo, exec_lo, s20
	s_delay_alu instid0(SALU_CYCLE_1)
	s_and_not1_b32 s14, s98, exec_lo
	s_and_b32 s15, s19, exec_lo
	s_and_not1_b32 s16, s96, exec_lo
	s_and_b32 s17, s18, exec_lo
	s_and_not1_b32 s95, s95, exec_lo
	s_wait_alu 0xfffe
	s_or_b32 s98, s14, s15
	s_or_b32 s96, s16, s17
                                        ; implicit-def: $vgpr12_vgpr13
	s_and_saveexec_b32 s20, s5
	s_cbranch_execz .LBB47_31
; %bb.135:                              ;   in Loop: Header=BB47_32 Depth=1
	v_mov_b32_e32 v12, 1
	v_dual_mov_b32 v13, 0 :: v_dual_mov_b32 v38, 1
	s_xor_b32 s15, s22, -1
	s_mov_b32 s14, 0
	s_wait_alu 0xfffe
	s_and_saveexec_b32 s5, s15
	s_cbranch_execz .LBB47_144
; %bb.136:                              ;   in Loop: Header=BB47_32 Depth=1
	s_mov_b32 s14, exec_lo
	v_cmpx_le_i64_e64 v[36:37], v[8:9]
	s_wait_alu 0xfffe
	s_xor_b32 s14, exec_lo, s14
	s_cbranch_execz .LBB47_141
; %bb.137:                              ;   in Loop: Header=BB47_32 Depth=1
	ds_load_b64 v[4:5], v19 offset:5120
	v_and_b32_e32 v33, s13, v33
	v_and_b32_e32 v32, s12, v32
	v_or_b32_e32 v35, s9, v35
	v_or_b32_e32 v34, s8, v34
	s_wait_dscnt 0x0
	v_cmp_ne_u64_e32 vcc_lo, 0, v[4:5]
	s_cbranch_vccnz .LBB47_141
; %bb.138:                              ;   in Loop: Header=BB47_32 Depth=1
	s_and_saveexec_b32 s15, s2
; %bb.139:                              ;   in Loop: Header=BB47_32 Depth=1
	ds_store_b64 v19, v[8:9] offset:5128
; %bb.140:                              ;   in Loop: Header=BB47_32 Depth=1
	s_wait_alu 0xfffe
	s_or_b32 exec_lo, exec_lo, s15
	s_wait_loadcnt_dscnt 0x0
	s_barrier_signal -1
	s_barrier_wait -1
	global_inv scope:SCOPE_SE
.LBB47_141:                             ;   in Loop: Header=BB47_32 Depth=1
	s_wait_alu 0xfffe
	s_or_saveexec_b32 s14, s14
	v_mov_b32_e32 v38, 8
	s_mov_b32 s15, 0
	s_wait_alu 0xfffe
	s_xor_b32 exec_lo, exec_lo, s14
; %bb.142:                              ;   in Loop: Header=BB47_32 Depth=1
	v_sub_co_u32 v36, vcc_lo, v36, v8
	s_wait_alu 0xfffd
	v_sub_co_ci_u32_e64 v37, null, v37, v9, vcc_lo
	v_mov_b32_e32 v38, 0
	s_mov_b32 s15, exec_lo
; %bb.143:                              ;   in Loop: Header=BB47_32 Depth=1
	s_or_b32 exec_lo, exec_lo, s14
	s_delay_alu instid0(VALU_DEP_2)
	v_dual_mov_b32 v12, v36 :: v_dual_mov_b32 v13, v37
	s_wait_alu 0xfffe
	s_and_b32 s14, s15, exec_lo
.LBB47_144:                             ;   in Loop: Header=BB47_32 Depth=1
	s_wait_alu 0xfffe
	s_or_b32 exec_lo, exec_lo, s5
	s_mov_b32 s21, -1
	s_mov_b32 s5, -1
                                        ; implicit-def: $sgpr23
                                        ; implicit-def: $sgpr68
	s_and_saveexec_b32 s15, s14
	s_wait_alu 0xfffe
	s_xor_b32 s22, exec_lo, s15
	s_cbranch_execz .LBB47_292
; %bb.145:                              ;   in Loop: Header=BB47_32 Depth=1
	v_cmp_eq_u64_e32 vcc_lo, 1, v[10:11]
	v_cmp_eq_u64_e64 s5, 1, v[12:13]
                                        ; implicit-def: $sgpr68
                                        ; implicit-def: $sgpr23
	s_and_b32 s70, vcc_lo, s5
	s_mov_b32 s5, -1
	s_wait_alu 0xfffe
	s_and_saveexec_b32 s69, s70
	s_cbranch_execz .LBB47_181
; %bb.146:                              ;   in Loop: Header=BB47_32 Depth=1
	ds_load_b64 v[4:5], v19 offset:5120
	s_wait_loadcnt_dscnt 0x0
	s_barrier_signal -1
	s_barrier_wait -1
	global_inv scope:SCOPE_SE
	v_readfirstlane_b32 s14, v4
	v_readfirstlane_b32 s15, v5
	s_and_saveexec_b32 s5, s3
; %bb.147:                              ;   in Loop: Header=BB47_32 Depth=1
	v_mov_b32_e32 v18, v19
	ds_store_b64 v48, v[18:19]
; %bb.148:                              ;   in Loop: Header=BB47_32 Depth=1
	s_wait_alu 0xfffe
	s_or_b32 exec_lo, exec_lo, s5
	v_and_b32_e32 v2, s13, v33
	v_and_b32_e32 v4, s12, v32
	v_cmp_gt_i64_e64 s5, s[14:15], 0
	s_lshl_b64 s[16:17], 1, s91
	v_or_b32_e32 v35, s9, v35
	s_wait_alu 0xfffe
	v_or_b32_e32 v33, s17, v2
	v_or_b32_e32 v32, s16, v4
	;; [unrolled: 1-line block ×3, first 2 shown]
	s_mov_b32 s23, -1
	s_mov_b32 s68, 0
	s_and_b32 vcc_lo, exec_lo, s5
	s_mov_b32 s5, 0
	s_mov_b32 s18, -1
	s_wait_loadcnt_dscnt 0x0
	s_barrier_signal -1
	s_barrier_wait -1
	global_inv scope:SCOPE_SE
                                        ; implicit-def: $vgpr6_vgpr7
	s_wait_alu 0xfffe
	s_cbranch_vccnz .LBB47_165
; %bb.149:                              ;   in Loop: Header=BB47_32 Depth=1
	s_mov_b32 s16, s25
	s_mov_b32 s17, s61
	s_wait_alu 0xfffe
	s_cmp_lg_u64 s[16:17], 0
	s_cbranch_scc0 .LBB47_209
; %bb.150:                              ;   in Loop: Header=BB47_32 Depth=1
	s_add_nc_u64 s[16:17], s[50:51], 0
	s_wait_alu 0xfffe
	s_xor_b64 s[16:17], s[16:17], 0
	s_wait_alu 0xfffe
	s_cvt_f32_u32 s5, s16
	s_cvt_f32_u32 s18, s17
	s_sub_nc_u64 s[72:73], 0, s[16:17]
	s_wait_alu 0xfffe
	s_delay_alu instid0(SALU_CYCLE_1) | instskip(SKIP_1) | instid1(SALU_CYCLE_2)
	s_fmamk_f32 s5, s18, 0x4f800000, s5
	s_wait_alu 0xfffe
	v_s_rcp_f32 s5, s5
	s_delay_alu instid0(TRANS32_DEP_1) | instskip(SKIP_1) | instid1(SALU_CYCLE_2)
	s_mul_f32 s5, s5, 0x5f7ffffc
	s_wait_alu 0xfffe
	s_mul_f32 s18, s5, 0x2f800000
	s_delay_alu instid0(SALU_CYCLE_3) | instskip(NEXT) | instid1(SALU_CYCLE_3)
	s_trunc_f32 s18, s18
	s_fmamk_f32 s5, s18, 0xcf800000, s5
	s_cvt_u32_f32 s19, s18
	s_wait_alu 0xfffe
	s_delay_alu instid0(SALU_CYCLE_1) | instskip(NEXT) | instid1(SALU_CYCLE_3)
	s_cvt_u32_f32 s18, s5
	s_mul_u64 s[74:75], s[72:73], s[18:19]
	s_wait_alu 0xfffe
	s_mul_hi_u32 s77, s18, s75
	s_mul_i32 s76, s18, s75
	s_mul_hi_u32 s24, s18, s74
	s_mul_i32 s71, s19, s74
	s_wait_alu 0xfffe
	s_add_nc_u64 s[76:77], s[24:25], s[76:77]
	s_mul_hi_u32 s5, s19, s74
	s_mul_hi_u32 s78, s19, s75
	s_wait_alu 0xfffe
	s_add_co_u32 s24, s76, s71
	s_add_co_ci_u32 s24, s77, s5
	s_mul_i32 s74, s19, s75
	s_add_co_ci_u32 s75, s78, 0
	s_wait_alu 0xfffe
	s_add_nc_u64 s[74:75], s[24:25], s[74:75]
	s_wait_alu 0xfffe
	s_add_co_u32 s18, s18, s74
	s_cselect_b32 s5, -1, 0
	s_wait_alu 0xfffe
	s_cmp_lg_u32 s5, 0
	s_add_co_ci_u32 s19, s19, s75
	s_delay_alu instid0(SALU_CYCLE_1)
	s_mul_u64 s[72:73], s[72:73], s[18:19]
	s_wait_alu 0xfffe
	s_mul_hi_u32 s75, s18, s73
	s_mul_i32 s74, s18, s73
	s_mul_hi_u32 s24, s18, s72
	s_mul_i32 s71, s19, s72
	s_wait_alu 0xfffe
	s_add_nc_u64 s[74:75], s[24:25], s[74:75]
	s_mul_hi_u32 s5, s19, s72
	s_mul_hi_u32 s76, s19, s73
	s_wait_alu 0xfffe
	s_add_co_u32 s24, s74, s71
	s_add_co_ci_u32 s24, s75, s5
	s_mul_i32 s72, s19, s73
	s_add_co_ci_u32 s73, s76, 0
	s_wait_alu 0xfffe
	s_add_nc_u64 s[72:73], s[24:25], s[72:73]
	s_wait_alu 0xfffe
	s_add_co_u32 s5, s18, s72
	s_cselect_b32 s18, -1, 0
	s_delay_alu instid0(SALU_CYCLE_1) | instskip(SKIP_2) | instid1(SALU_CYCLE_1)
	s_cmp_lg_u32 s18, 0
	s_add_co_ci_u32 s71, s19, s73
	s_ashr_i32 s18, s61, 31
	s_mov_b32 s19, s18
	s_delay_alu instid0(SALU_CYCLE_1)
	s_add_nc_u64 s[72:73], s[60:61], s[18:19]
	s_wait_alu 0xfffe
	s_xor_b64 s[72:73], s[72:73], s[18:19]
	s_wait_alu 0xfffe
	s_mul_hi_u32 s75, s72, s71
	s_mul_i32 s74, s72, s71
	s_mul_hi_u32 s24, s72, s5
	s_mul_hi_u32 s78, s73, s5
	s_mul_i32 s5, s73, s5
	s_wait_alu 0xfffe
	s_add_nc_u64 s[74:75], s[24:25], s[74:75]
	s_mul_hi_u32 s77, s73, s71
	s_wait_alu 0xfffe
	s_add_co_u32 s5, s74, s5
	s_add_co_ci_u32 s24, s75, s78
	s_mul_i32 s76, s73, s71
	s_add_co_ci_u32 s77, s77, 0
	s_wait_alu 0xfffe
	s_add_nc_u64 s[74:75], s[24:25], s[76:77]
	s_wait_alu 0xfffe
	s_mul_u64 s[74:75], s[16:17], s[74:75]
	s_wait_alu 0xfffe
	s_sub_co_u32 s5, s72, s74
	s_cselect_b32 s24, -1, 0
	s_sub_co_i32 s71, s73, s75
	s_wait_alu 0xfffe
	s_cmp_lg_u32 s24, 0
	s_sub_co_ci_u32 s71, s71, s17
	s_sub_co_u32 s72, s5, s16
	s_cselect_b32 s74, -1, 0
	s_wait_alu 0xfffe
	s_cmp_lg_u32 s74, 0
	s_sub_co_ci_u32 s76, s71, 0
	s_wait_alu 0xfffe
	s_cmp_ge_u32 s76, s17
	s_cselect_b32 s77, -1, 0
	s_cmp_ge_u32 s72, s16
	s_cselect_b32 s78, -1, 0
	s_cmp_eq_u32 s76, s17
	s_wait_alu 0xfffe
	s_cselect_b32 s77, s78, s77
	s_cmp_lg_u32 s74, 0
	s_sub_co_ci_u32 s71, s71, s17
	s_sub_co_u32 s74, s72, s16
	s_cselect_b32 s78, -1, 0
	s_wait_alu 0xfffe
	s_cmp_lg_u32 s78, 0
	s_sub_co_ci_u32 s71, s71, 0
	s_cmp_lg_u32 s77, 0
	s_cselect_b32 s72, s74, s72
	s_wait_alu 0xfffe
	s_cselect_b32 s71, s71, s76
	s_cmp_lg_u32 s24, 0
	s_sub_co_ci_u32 s24, s73, s75
	s_wait_alu 0xfffe
	s_cmp_ge_u32 s24, s17
	s_cselect_b32 s73, -1, 0
	s_cmp_ge_u32 s5, s16
	s_cselect_b32 s16, -1, 0
	s_cmp_eq_u32 s24, s17
	s_wait_alu 0xfffe
	s_cselect_b32 s16, s16, s73
	s_wait_alu 0xfffe
	s_cmp_lg_u32 s16, 0
	s_cselect_b32 s17, s71, s24
	s_cselect_b32 s16, s72, s5
	s_wait_alu 0xfffe
	s_xor_b64 s[16:17], s[16:17], s[18:19]
	s_wait_alu 0xfffe
	s_sub_nc_u64 s[16:17], s[16:17], s[18:19]
	s_cbranch_execnz .LBB47_152
.LBB47_151:                             ;   in Loop: Header=BB47_32 Depth=1
	v_cvt_f32_u32_e32 v2, s50
	s_sub_co_i32 s16, 0, s50
	s_delay_alu instid0(VALU_DEP_1) | instskip(NEXT) | instid1(TRANS32_DEP_1)
	v_rcp_iflag_f32_e32 v2, v2
	v_mul_f32_e32 v2, 0x4f7ffffe, v2
	s_delay_alu instid0(VALU_DEP_1) | instskip(NEXT) | instid1(VALU_DEP_1)
	v_cvt_u32_f32_e32 v2, v2
	v_readfirstlane_b32 s5, v2
	s_wait_alu 0xfffe
	s_mul_i32 s16, s16, s5
	s_wait_alu 0xfffe
	s_mul_hi_u32 s16, s5, s16
	s_wait_alu 0xfffe
	s_add_co_i32 s5, s5, s16
	s_wait_alu 0xfffe
	s_mul_hi_u32 s5, s60, s5
	s_wait_alu 0xfffe
	s_mul_i32 s5, s5, s50
	s_wait_alu 0xfffe
	s_sub_co_i32 s5, s60, s5
	s_wait_alu 0xfffe
	s_sub_co_i32 s16, s5, s50
	s_cmp_ge_u32 s5, s50
	s_wait_alu 0xfffe
	s_cselect_b32 s5, s16, s5
	s_wait_alu 0xfffe
	s_sub_co_i32 s16, s5, s50
	s_cmp_ge_u32 s5, s50
	s_wait_alu 0xfffe
	s_cselect_b32 s24, s16, s5
	s_wait_alu 0xfffe
	s_mov_b64 s[16:17], s[24:25]
.LBB47_152:                             ;   in Loop: Header=BB47_32 Depth=1
	s_wait_alu 0xfffe
	s_sub_nc_u64 s[16:17], s[60:61], s[16:17]
	s_mov_b32 s18, 0
	s_mov_b32 s5, 0
	s_mov_b32 s19, exec_lo
                                        ; implicit-def: $vgpr6_vgpr7
	s_wait_alu 0xfffe
	v_cmpx_gt_i64_e64 s[16:17], v[0:1]
	s_cbranch_execz .LBB47_164
; %bb.153:                              ;   in Loop: Header=BB47_32 Depth=1
	v_dual_mov_b32 v8, v16 :: v_dual_mov_b32 v9, v17
	v_dual_mov_b32 v15, v1 :: v_dual_mov_b32 v14, v0
	s_mov_b32 s24, 0
                                        ; implicit-def: $sgpr71
	s_branch .LBB47_157
.LBB47_154:                             ;   in Loop: Header=BB47_157 Depth=2
	s_wait_alu 0xfffe
	s_or_b32 exec_lo, exec_lo, s5
	s_wait_loadcnt_dscnt 0x0
	s_barrier_signal -1
	s_barrier_wait -1
	global_inv scope:SCOPE_SE
	ds_load_b128 v[4:7], v19 offset:3072
	s_wait_loadcnt_dscnt 0x0
	s_barrier_signal -1
	s_barrier_wait -1
	global_inv scope:SCOPE_SE
	v_cmp_neq_f64_e32 vcc_lo, 0, v[4:5]
	s_cbranch_vccnz .LBB47_160
; %bb.155:                              ;   in Loop: Header=BB47_157 Depth=2
	v_add_co_u32 v14, vcc_lo, v14, s50
	s_wait_alu 0xfffd
	v_add_co_ci_u32_e64 v15, null, 0, v15, vcc_lo
	v_add_co_u32 v8, s5, v8, s52
	s_wait_alu 0xf1ff
	v_add_co_ci_u32_e64 v9, null, s53, v9, s5
	s_delay_alu instid0(VALU_DEP_3)
	v_cmp_le_i64_e32 vcc_lo, s[16:17], v[14:15]
	s_mov_b32 s5, 0
	s_or_not1_b32 s72, vcc_lo, exec_lo
.LBB47_156:                             ;   in Loop: Header=BB47_157 Depth=2
	s_wait_alu 0xfffe
	s_and_b32 s72, exec_lo, s72
	s_wait_alu 0xfffe
	s_or_b32 s24, s72, s24
	s_and_not1_b32 s71, s71, exec_lo
	s_and_b32 s5, s5, exec_lo
	s_wait_alu 0xfffe
	s_or_b32 s71, s71, s5
	s_and_not1_b32 exec_lo, exec_lo, s24
	s_cbranch_execz .LBB47_163
.LBB47_157:                             ;   Parent Loop BB47_32 Depth=1
                                        ; =>  This Inner Loop Header: Depth=2
	s_mov_b32 s5, exec_lo
	s_delay_alu instid0(VALU_DEP_1)
	v_cmpx_gt_i64_e64 s[36:37], v[14:15]
	s_cbranch_execz .LBB47_154
; %bb.158:                              ;   in Loop: Header=BB47_157 Depth=2
	global_load_b64 v[4:5], v[8:9], off
	s_wait_loadcnt 0x0
	v_cmp_o_f64_e32 vcc_lo, v[4:5], v[4:5]
	v_ashrrev_i32_e32 v2, 31, v5
	s_delay_alu instid0(VALU_DEP_1) | instskip(SKIP_1) | instid1(VALU_DEP_2)
	v_or_b32_e32 v6, 0x80000000, v2
	v_xor_b32_e32 v2, v2, v4
	v_xor_b32_e32 v6, v6, v5
	s_wait_alu 0xfffd
	s_delay_alu instid0(VALU_DEP_1) | instskip(NEXT) | instid1(VALU_DEP_1)
	v_cndmask_b32_e32 v6, -1, v6, vcc_lo
	v_dual_cndmask_b32 v2, -1, v2 :: v_dual_and_b32 v7, v6, v35
	s_delay_alu instid0(VALU_DEP_1) | instskip(NEXT) | instid1(VALU_DEP_1)
	v_and_b32_e32 v6, v2, v34
	v_cmp_eq_u64_e32 vcc_lo, v[6:7], v[32:33]
	s_and_b32 exec_lo, exec_lo, vcc_lo
	s_cbranch_execz .LBB47_154
; %bb.159:                              ;   in Loop: Header=BB47_157 Depth=2
	v_mov_b32_e32 v2, v19
	ds_store_b128 v19, v[2:5] offset:3072
	s_branch .LBB47_154
.LBB47_160:                             ;   in Loop: Header=BB47_157 Depth=2
	s_mov_b32 s72, -1
	s_mov_b32 s5, -1
                                        ; implicit-def: $vgpr14_vgpr15
                                        ; implicit-def: $vgpr8_vgpr9
	s_branch .LBB47_156
.LBB47_161:                             ;   in Loop: Header=BB47_32 Depth=1
                                        ; implicit-def: $sgpr16_sgpr17
	s_branch .LBB47_106
.LBB47_162:                             ;   in Loop: Header=BB47_32 Depth=1
                                        ; implicit-def: $sgpr18_sgpr19
	s_branch .LBB47_121
.LBB47_163:                             ;   in Loop: Header=BB47_32 Depth=1
	s_or_b32 exec_lo, exec_lo, s24
	s_wait_alu 0xfffe
	s_and_b32 s5, s71, exec_lo
.LBB47_164:                             ;   in Loop: Header=BB47_32 Depth=1
	s_or_b32 exec_lo, exec_lo, s19
.LBB47_165:                             ;   in Loop: Header=BB47_32 Depth=1
	s_delay_alu instid0(SALU_CYCLE_1)
	s_and_b32 vcc_lo, exec_lo, s18
	s_wait_alu 0xfffe
	s_cbranch_vccz .LBB47_180
; %bb.166:                              ;   in Loop: Header=BB47_32 Depth=1
	s_add_nc_u64 s[16:17], s[14:15], s[58:59]
	s_mov_b32 s18, s25
	s_wait_alu 0xfffe
	s_mov_b32 s19, s17
	s_delay_alu instid0(SALU_CYCLE_1)
	s_cmp_lg_u64 s[18:19], 0
	s_cbranch_scc0 .LBB47_210
; %bb.167:                              ;   in Loop: Header=BB47_32 Depth=1
	s_add_nc_u64 s[18:19], s[50:51], 0
	s_delay_alu instid0(SALU_CYCLE_1) | instskip(NEXT) | instid1(SALU_CYCLE_1)
	s_xor_b64 s[18:19], s[18:19], 0
	s_cvt_f32_u32 s23, s18
	s_cvt_f32_u32 s24, s19
	s_sub_nc_u64 s[74:75], 0, s[18:19]
	s_wait_alu 0xfffe
	s_delay_alu instid0(SALU_CYCLE_1) | instskip(SKIP_1) | instid1(SALU_CYCLE_2)
	s_fmamk_f32 s23, s24, 0x4f800000, s23
	s_wait_alu 0xfffe
	v_s_rcp_f32 s23, s23
	s_delay_alu instid0(TRANS32_DEP_1) | instskip(SKIP_1) | instid1(SALU_CYCLE_2)
	s_mul_f32 s23, s23, 0x5f7ffffc
	s_wait_alu 0xfffe
	s_mul_f32 s24, s23, 0x2f800000
	s_wait_alu 0xfffe
	s_delay_alu instid0(SALU_CYCLE_2) | instskip(SKIP_1) | instid1(SALU_CYCLE_2)
	s_trunc_f32 s24, s24
	s_wait_alu 0xfffe
	s_fmamk_f32 s23, s24, 0xcf800000, s23
	s_cvt_u32_f32 s73, s24
	s_wait_alu 0xfffe
	s_delay_alu instid0(SALU_CYCLE_1) | instskip(SKIP_1) | instid1(SALU_CYCLE_2)
	s_cvt_u32_f32 s72, s23
	s_wait_alu 0xfffe
	s_mul_u64 s[76:77], s[74:75], s[72:73]
	s_wait_alu 0xfffe
	s_mul_hi_u32 s79, s72, s77
	s_mul_i32 s78, s72, s77
	s_mul_hi_u32 s24, s72, s76
	s_mul_i32 s68, s73, s76
	s_wait_alu 0xfffe
	s_add_nc_u64 s[78:79], s[24:25], s[78:79]
	s_mul_hi_u32 s23, s73, s76
	s_mul_hi_u32 s71, s73, s77
	s_wait_alu 0xfffe
	s_add_co_u32 s24, s78, s68
	s_add_co_ci_u32 s24, s79, s23
	s_mul_i32 s76, s73, s77
	s_add_co_ci_u32 s77, s71, 0
	s_wait_alu 0xfffe
	s_add_nc_u64 s[76:77], s[24:25], s[76:77]
	s_wait_alu 0xfffe
	s_add_co_u32 s72, s72, s76
	s_cselect_b32 s23, -1, 0
	s_wait_alu 0xfffe
	s_cmp_lg_u32 s23, 0
	s_add_co_ci_u32 s73, s73, s77
	s_wait_alu 0xfffe
	s_mul_u64 s[74:75], s[74:75], s[72:73]
	s_wait_alu 0xfffe
	s_mul_hi_u32 s77, s72, s75
	s_mul_i32 s76, s72, s75
	s_mul_hi_u32 s24, s72, s74
	s_mul_i32 s68, s73, s74
	s_wait_alu 0xfffe
	s_add_nc_u64 s[76:77], s[24:25], s[76:77]
	s_mul_hi_u32 s23, s73, s74
	s_mul_hi_u32 s71, s73, s75
	s_wait_alu 0xfffe
	s_add_co_u32 s24, s76, s68
	s_add_co_ci_u32 s24, s77, s23
	s_mul_i32 s74, s73, s75
	s_add_co_ci_u32 s75, s71, 0
	s_wait_alu 0xfffe
	s_add_nc_u64 s[74:75], s[24:25], s[74:75]
	s_wait_alu 0xfffe
	s_add_co_u32 s23, s72, s74
	s_cselect_b32 s24, -1, 0
	s_wait_alu 0xfffe
	s_cmp_lg_u32 s24, 0
	s_add_co_ci_u32 s68, s73, s75
	s_ashr_i32 s72, s17, 31
	s_wait_alu 0xfffe
	s_mov_b32 s73, s72
	s_wait_alu 0xfffe
	s_add_nc_u64 s[74:75], s[16:17], s[72:73]
	s_wait_alu 0xfffe
	s_xor_b64 s[74:75], s[74:75], s[72:73]
	s_wait_alu 0xfffe
	s_mul_hi_u32 s77, s74, s68
	s_mul_i32 s76, s74, s68
	s_mul_hi_u32 s24, s74, s23
	s_mul_hi_u32 s79, s75, s23
	s_mul_i32 s23, s75, s23
	s_wait_alu 0xfffe
	s_add_nc_u64 s[76:77], s[24:25], s[76:77]
	s_mul_hi_u32 s71, s75, s68
	s_wait_alu 0xfffe
	s_add_co_u32 s23, s76, s23
	s_add_co_ci_u32 s24, s77, s79
	s_mul_i32 s78, s75, s68
	s_add_co_ci_u32 s79, s71, 0
	s_wait_alu 0xfffe
	s_add_nc_u64 s[76:77], s[24:25], s[78:79]
	s_wait_alu 0xfffe
	s_mul_u64 s[76:77], s[18:19], s[76:77]
	s_wait_alu 0xfffe
	s_sub_co_u32 s23, s74, s76
	s_cselect_b32 s24, -1, 0
	s_sub_co_i32 s68, s75, s77
	s_wait_alu 0xfffe
	s_cmp_lg_u32 s24, 0
	s_sub_co_ci_u32 s68, s68, s19
	s_sub_co_u32 s71, s23, s18
	s_cselect_b32 s74, -1, 0
	s_wait_alu 0xfffe
	s_cmp_lg_u32 s74, 0
	s_sub_co_ci_u32 s76, s68, 0
	s_wait_alu 0xfffe
	s_cmp_ge_u32 s76, s19
	s_cselect_b32 s78, -1, 0
	s_cmp_ge_u32 s71, s18
	s_cselect_b32 s79, -1, 0
	s_cmp_eq_u32 s76, s19
	s_wait_alu 0xfffe
	s_cselect_b32 s78, s79, s78
	s_cmp_lg_u32 s74, 0
	s_sub_co_ci_u32 s68, s68, s19
	s_sub_co_u32 s74, s71, s18
	s_cselect_b32 s79, -1, 0
	s_wait_alu 0xfffe
	s_cmp_lg_u32 s79, 0
	s_sub_co_ci_u32 s68, s68, 0
	s_cmp_lg_u32 s78, 0
	s_cselect_b32 s71, s74, s71
	s_wait_alu 0xfffe
	s_cselect_b32 s68, s68, s76
	s_cmp_lg_u32 s24, 0
	s_sub_co_ci_u32 s24, s75, s77
	s_wait_alu 0xfffe
	s_cmp_ge_u32 s24, s19
	s_cselect_b32 s74, -1, 0
	s_cmp_ge_u32 s23, s18
	s_cselect_b32 s18, -1, 0
	s_cmp_eq_u32 s24, s19
	s_wait_alu 0xfffe
	s_cselect_b32 s18, s18, s74
	s_delay_alu instid0(SALU_CYCLE_1) | instskip(SKIP_2) | instid1(SALU_CYCLE_1)
	s_cmp_lg_u32 s18, 0
	s_cselect_b32 s19, s68, s24
	s_cselect_b32 s18, s71, s23
	s_xor_b64 s[18:19], s[18:19], s[72:73]
	s_delay_alu instid0(SALU_CYCLE_1)
	s_sub_nc_u64 s[18:19], s[18:19], s[72:73]
	s_cbranch_execnz .LBB47_169
.LBB47_168:                             ;   in Loop: Header=BB47_32 Depth=1
	v_cvt_f32_u32_e32 v2, s50
	s_sub_co_i32 s19, 0, s50
	s_delay_alu instid0(VALU_DEP_1) | instskip(NEXT) | instid1(TRANS32_DEP_1)
	v_rcp_iflag_f32_e32 v2, v2
	v_mul_f32_e32 v2, 0x4f7ffffe, v2
	s_delay_alu instid0(VALU_DEP_1) | instskip(NEXT) | instid1(VALU_DEP_1)
	v_cvt_u32_f32_e32 v2, v2
	v_readfirstlane_b32 s18, v2
	s_mul_i32 s19, s19, s18
	s_delay_alu instid0(SALU_CYCLE_1) | instskip(NEXT) | instid1(SALU_CYCLE_1)
	s_mul_hi_u32 s19, s18, s19
	s_add_co_i32 s18, s18, s19
	s_delay_alu instid0(SALU_CYCLE_1) | instskip(NEXT) | instid1(SALU_CYCLE_1)
	s_mul_hi_u32 s18, s16, s18
	s_mul_i32 s18, s18, s50
	s_delay_alu instid0(SALU_CYCLE_1) | instskip(NEXT) | instid1(SALU_CYCLE_1)
	s_sub_co_i32 s18, s16, s18
	s_sub_co_i32 s19, s18, s50
	s_cmp_ge_u32 s18, s50
	s_cselect_b32 s18, s19, s18
	s_delay_alu instid0(SALU_CYCLE_1)
	s_sub_co_i32 s19, s18, s50
	s_cmp_ge_u32 s18, s50
	s_cselect_b32 s24, s19, s18
	s_wait_alu 0xfffe
	s_mov_b64 s[18:19], s[24:25]
.LBB47_169:                             ;   in Loop: Header=BB47_32 Depth=1
	s_delay_alu instid0(SALU_CYCLE_1)
	s_sub_nc_u64 s[16:17], s[16:17], s[18:19]
	s_mov_b32 s18, exec_lo
                                        ; implicit-def: $vgpr6_vgpr7
	s_wait_alu 0xfffe
	v_cmpx_gt_i64_e64 s[16:17], v[0:1]
	s_cbranch_execz .LBB47_179
; %bb.170:                              ;   in Loop: Header=BB47_32 Depth=1
	v_dual_mov_b32 v14, v47 :: v_dual_mov_b32 v9, v1
	v_mov_b32_e32 v8, v0
	s_mov_b32 s19, 0
                                        ; implicit-def: $sgpr23
	s_branch .LBB47_174
.LBB47_171:                             ;   in Loop: Header=BB47_174 Depth=2
	s_wait_alu 0xfffe
	s_or_b32 exec_lo, exec_lo, s24
	s_wait_loadcnt_dscnt 0x0
	s_barrier_signal -1
	s_barrier_wait -1
	global_inv scope:SCOPE_SE
	ds_load_b128 v[4:7], v19 offset:3072
	s_wait_loadcnt_dscnt 0x0
	s_barrier_signal -1
	s_barrier_wait -1
	global_inv scope:SCOPE_SE
	v_cmp_eq_f64_e32 vcc_lo, 0, v[4:5]
	s_cbranch_vccz .LBB47_177
; %bb.172:                              ;   in Loop: Header=BB47_174 Depth=2
	v_add_co_u32 v8, vcc_lo, v8, s50
	s_wait_alu 0xfffd
	v_add_co_ci_u32_e64 v9, null, 0, v9, vcc_lo
	v_add_nc_u32_e32 v14, s90, v14
	s_mov_b32 s24, 0
	s_delay_alu instid0(VALU_DEP_2)
	v_cmp_le_i64_e32 vcc_lo, s[16:17], v[8:9]
	s_or_not1_b32 s68, vcc_lo, exec_lo
.LBB47_173:                             ;   in Loop: Header=BB47_174 Depth=2
	s_wait_alu 0xfffe
	s_and_b32 s68, exec_lo, s68
	s_wait_alu 0xfffe
	s_or_b32 s19, s68, s19
	s_and_not1_b32 s23, s23, exec_lo
	s_and_b32 s24, s24, exec_lo
	s_wait_alu 0xfffe
	s_or_b32 s23, s23, s24
	s_and_not1_b32 exec_lo, exec_lo, s19
	s_cbranch_execz .LBB47_178
.LBB47_174:                             ;   Parent Loop BB47_32 Depth=1
                                        ; =>  This Inner Loop Header: Depth=2
	s_mov_b32 s24, exec_lo
	s_delay_alu instid0(VALU_DEP_1)
	v_cmpx_gt_u64_e64 s[14:15], v[8:9]
	s_cbranch_execz .LBB47_171
; %bb.175:                              ;   in Loop: Header=BB47_174 Depth=2
	ds_load_b64 v[4:5], v14
	s_wait_dscnt 0x0
	v_cmp_o_f64_e32 vcc_lo, v[4:5], v[4:5]
	v_ashrrev_i32_e32 v2, 31, v5
	s_delay_alu instid0(VALU_DEP_1) | instskip(SKIP_1) | instid1(VALU_DEP_2)
	v_or_b32_e32 v6, 0x80000000, v2
	v_xor_b32_e32 v2, v2, v4
	v_xor_b32_e32 v6, v6, v5
	s_wait_alu 0xfffd
	s_delay_alu instid0(VALU_DEP_1) | instskip(NEXT) | instid1(VALU_DEP_1)
	v_cndmask_b32_e32 v6, -1, v6, vcc_lo
	v_dual_cndmask_b32 v2, -1, v2 :: v_dual_and_b32 v7, v6, v35
	s_delay_alu instid0(VALU_DEP_1) | instskip(NEXT) | instid1(VALU_DEP_1)
	v_and_b32_e32 v6, v2, v34
	v_cmp_eq_u64_e32 vcc_lo, v[6:7], v[32:33]
	s_and_b32 exec_lo, exec_lo, vcc_lo
	s_cbranch_execz .LBB47_171
; %bb.176:                              ;   in Loop: Header=BB47_174 Depth=2
	v_mov_b32_e32 v2, v19
	ds_store_b128 v19, v[2:5] offset:3072
	s_branch .LBB47_171
.LBB47_177:                             ;   in Loop: Header=BB47_174 Depth=2
	s_mov_b32 s68, -1
	s_mov_b32 s24, -1
                                        ; implicit-def: $vgpr8_vgpr9
                                        ; implicit-def: $vgpr14
	s_branch .LBB47_173
.LBB47_178:                             ;   in Loop: Header=BB47_32 Depth=1
	s_or_b32 exec_lo, exec_lo, s19
	s_delay_alu instid0(SALU_CYCLE_1)
	s_and_not1_b32 s5, s5, exec_lo
	s_wait_alu 0xfffe
	s_and_b32 s14, s23, exec_lo
	s_wait_alu 0xfffe
	s_or_b32 s5, s5, s14
.LBB47_179:                             ;   in Loop: Header=BB47_32 Depth=1
	s_or_b32 exec_lo, exec_lo, s18
	s_mov_b32 s23, 0
	s_mov_b32 s68, -1
.LBB47_180:                             ;   in Loop: Header=BB47_32 Depth=1
	s_wait_alu 0xfffe
	s_or_not1_b32 s5, s5, exec_lo
.LBB47_181:                             ;   in Loop: Header=BB47_32 Depth=1
	s_wait_alu 0xfffe
	s_or_b32 exec_lo, exec_lo, s69
	s_mov_b32 s14, 0
	s_and_saveexec_b32 s69, s5
	s_cbranch_execz .LBB47_291
; %bb.182:                              ;   in Loop: Header=BB47_32 Depth=1
	v_mov_b32_e32 v8, 1
	v_dual_mov_b32 v9, 0 :: v_dual_mov_b32 v38, 1
	s_xor_b32 s15, s70, -1
	s_wait_alu 0xfffe
	s_and_saveexec_b32 s5, s15
	s_cbranch_execz .LBB47_192
; %bb.183:                              ;   in Loop: Header=BB47_32 Depth=1
	s_mov_b32 s14, exec_lo
	v_cmpx_le_i64_e64 v[12:13], v[10:11]
	s_wait_alu 0xfffe
	s_xor_b32 s14, exec_lo, s14
	s_cbranch_execz .LBB47_189
; %bb.184:                              ;   in Loop: Header=BB47_32 Depth=1
	ds_load_b64 v[4:5], v19 offset:5120
	v_and_b32_e32 v2, s13, v33
	v_and_b32_e32 v8, s12, v32
	s_lshl_b64 s[16:17], 1, s91
	v_or_b32_e32 v35, s9, v35
	v_or_b32_e32 v34, s8, v34
	s_wait_alu 0xfffe
	v_or_b32_e32 v33, s17, v2
	v_or_b32_e32 v32, s16, v8
	s_wait_dscnt 0x0
	v_cmp_ne_u64_e32 vcc_lo, 0, v[4:5]
	s_cbranch_vccnz .LBB47_188
; %bb.185:                              ;   in Loop: Header=BB47_32 Depth=1
	s_and_saveexec_b32 s15, s2
; %bb.186:                              ;   in Loop: Header=BB47_32 Depth=1
	ds_store_b64 v19, v[10:11] offset:5128
; %bb.187:                              ;   in Loop: Header=BB47_32 Depth=1
	s_wait_alu 0xfffe
	s_or_b32 exec_lo, exec_lo, s15
	s_wait_loadcnt_dscnt 0x0
	s_barrier_signal -1
	s_barrier_wait -1
	global_inv scope:SCOPE_SE
.LBB47_188:                             ;   in Loop: Header=BB47_32 Depth=1
                                        ; implicit-def: $vgpr8_vgpr9_vgpr10_vgpr11
.LBB47_189:                             ;   in Loop: Header=BB47_32 Depth=1
	s_wait_alu 0xfffe
	s_or_saveexec_b32 s14, s14
	v_mov_b32_e32 v38, 8
	s_mov_b32 s15, 0
	s_wait_alu 0xfffe
	s_xor_b32 exec_lo, exec_lo, s14
; %bb.190:                              ;   in Loop: Header=BB47_32 Depth=1
	v_sub_co_u32 v12, vcc_lo, v12, v10
	s_wait_alu 0xfffd
	v_sub_co_ci_u32_e64 v13, null, v13, v11, vcc_lo
	v_mov_b32_e32 v38, 0
	s_mov_b32 s15, exec_lo
; %bb.191:                              ;   in Loop: Header=BB47_32 Depth=1
	s_or_b32 exec_lo, exec_lo, s14
	s_delay_alu instid0(VALU_DEP_2)
	v_dual_mov_b32 v8, v12 :: v_dual_mov_b32 v9, v13
	s_wait_alu 0xfffe
	s_and_b32 s14, s15, exec_lo
.LBB47_192:                             ;   in Loop: Header=BB47_32 Depth=1
	s_wait_alu 0xfffe
	s_or_b32 exec_lo, exec_lo, s5
	s_mov_b32 s5, -1
                                        ; implicit-def: $sgpr18
                                        ; implicit-def: $sgpr19
	s_and_saveexec_b32 s70, s14
	s_cbranch_execz .LBB47_290
; %bb.193:                              ;   in Loop: Header=BB47_32 Depth=1
	v_cmp_eq_u64_e32 vcc_lo, 1, v[8:9]
	s_cmp_eq_u64 s[10:11], 1
                                        ; implicit-def: $sgpr19
                                        ; implicit-def: $sgpr18
	s_cselect_b32 s5, -1, 0
	s_wait_alu 0xfffe
	s_and_b32 s71, s5, vcc_lo
	s_mov_b32 s5, -1
	s_wait_alu 0xfffe
	s_and_saveexec_b32 s72, s71
	s_cbranch_execz .LBB47_229
; %bb.194:                              ;   in Loop: Header=BB47_32 Depth=1
	ds_load_b64 v[4:5], v19 offset:5120
	s_wait_loadcnt_dscnt 0x0
	s_barrier_signal -1
	s_barrier_wait -1
	global_inv scope:SCOPE_SE
	v_readfirstlane_b32 s14, v4
	v_readfirstlane_b32 s15, v5
	s_and_saveexec_b32 s5, s3
; %bb.195:                              ;   in Loop: Header=BB47_32 Depth=1
	v_mov_b32_e32 v18, v19
	ds_store_b64 v48, v[18:19]
; %bb.196:                              ;   in Loop: Header=BB47_32 Depth=1
	s_wait_alu 0xfffe
	s_or_b32 exec_lo, exec_lo, s5
	v_and_b32_e32 v2, s13, v33
	v_and_b32_e32 v4, s12, v32
	v_cmp_gt_i64_e64 s5, s[14:15], 0
	s_lshl_b64 s[16:17], 2, s91
	v_or_b32_e32 v35, s9, v35
	s_wait_alu 0xfffe
	v_or_b32_e32 v33, s17, v2
	v_or_b32_e32 v32, s16, v4
	;; [unrolled: 1-line block ×3, first 2 shown]
	s_mov_b32 s18, -1
	s_mov_b32 s19, 0
	s_and_b32 vcc_lo, exec_lo, s5
	s_mov_b32 s5, 0
	s_mov_b32 s24, -1
	s_wait_loadcnt_dscnt 0x0
	s_barrier_signal -1
	s_barrier_wait -1
	global_inv scope:SCOPE_SE
                                        ; implicit-def: $vgpr6_vgpr7
	s_wait_alu 0xfffe
	s_cbranch_vccnz .LBB47_213
; %bb.197:                              ;   in Loop: Header=BB47_32 Depth=1
	s_mov_b32 s16, s25
	s_mov_b32 s17, s61
	s_wait_alu 0xfffe
	s_cmp_lg_u64 s[16:17], 0
	s_cbranch_scc0 .LBB47_256
; %bb.198:                              ;   in Loop: Header=BB47_32 Depth=1
	s_add_nc_u64 s[16:17], s[50:51], 0
	s_wait_alu 0xfffe
	s_xor_b64 s[16:17], s[16:17], 0
	s_wait_alu 0xfffe
	s_cvt_f32_u32 s5, s16
	s_cvt_f32_u32 s24, s17
	s_sub_nc_u64 s[76:77], 0, s[16:17]
	s_wait_alu 0xfffe
	s_delay_alu instid0(SALU_CYCLE_1) | instskip(SKIP_1) | instid1(SALU_CYCLE_2)
	s_fmamk_f32 s5, s24, 0x4f800000, s5
	s_wait_alu 0xfffe
	v_s_rcp_f32 s5, s5
	s_delay_alu instid0(TRANS32_DEP_1) | instskip(SKIP_1) | instid1(SALU_CYCLE_2)
	s_mul_f32 s5, s5, 0x5f7ffffc
	s_wait_alu 0xfffe
	s_mul_f32 s24, s5, 0x2f800000
	s_wait_alu 0xfffe
	s_delay_alu instid0(SALU_CYCLE_2) | instskip(SKIP_1) | instid1(SALU_CYCLE_2)
	s_trunc_f32 s24, s24
	s_wait_alu 0xfffe
	s_fmamk_f32 s5, s24, 0xcf800000, s5
	s_cvt_u32_f32 s75, s24
	s_wait_alu 0xfffe
	s_delay_alu instid0(SALU_CYCLE_1) | instskip(SKIP_1) | instid1(SALU_CYCLE_2)
	s_cvt_u32_f32 s74, s5
	s_wait_alu 0xfffe
	s_mul_u64 s[78:79], s[76:77], s[74:75]
	s_wait_alu 0xfffe
	s_mul_hi_u32 s81, s74, s79
	s_mul_i32 s80, s74, s79
	s_mul_hi_u32 s24, s74, s78
	s_mul_i32 s73, s75, s78
	s_wait_alu 0xfffe
	s_add_nc_u64 s[80:81], s[24:25], s[80:81]
	s_mul_hi_u32 s5, s75, s78
	s_mul_hi_u32 s82, s75, s79
	s_wait_alu 0xfffe
	s_add_co_u32 s24, s80, s73
	s_add_co_ci_u32 s24, s81, s5
	s_mul_i32 s78, s75, s79
	s_add_co_ci_u32 s79, s82, 0
	s_wait_alu 0xfffe
	s_add_nc_u64 s[78:79], s[24:25], s[78:79]
	s_wait_alu 0xfffe
	s_add_co_u32 s74, s74, s78
	s_cselect_b32 s5, -1, 0
	s_wait_alu 0xfffe
	s_cmp_lg_u32 s5, 0
	s_add_co_ci_u32 s75, s75, s79
	s_wait_alu 0xfffe
	s_mul_u64 s[76:77], s[76:77], s[74:75]
	s_wait_alu 0xfffe
	s_mul_hi_u32 s79, s74, s77
	s_mul_i32 s78, s74, s77
	s_mul_hi_u32 s24, s74, s76
	s_mul_i32 s73, s75, s76
	s_wait_alu 0xfffe
	s_add_nc_u64 s[78:79], s[24:25], s[78:79]
	s_mul_hi_u32 s5, s75, s76
	s_mul_hi_u32 s80, s75, s77
	s_wait_alu 0xfffe
	s_add_co_u32 s24, s78, s73
	s_add_co_ci_u32 s24, s79, s5
	s_mul_i32 s76, s75, s77
	s_add_co_ci_u32 s77, s80, 0
	s_wait_alu 0xfffe
	s_add_nc_u64 s[76:77], s[24:25], s[76:77]
	s_wait_alu 0xfffe
	s_add_co_u32 s5, s74, s76
	s_cselect_b32 s24, -1, 0
	s_wait_alu 0xfffe
	s_cmp_lg_u32 s24, 0
	s_add_co_ci_u32 s73, s75, s77
	s_ashr_i32 s74, s61, 31
	s_wait_alu 0xfffe
	s_mov_b32 s75, s74
	s_wait_alu 0xfffe
	s_add_nc_u64 s[76:77], s[60:61], s[74:75]
	s_wait_alu 0xfffe
	s_xor_b64 s[76:77], s[76:77], s[74:75]
	s_wait_alu 0xfffe
	s_mul_hi_u32 s79, s76, s73
	s_mul_i32 s78, s76, s73
	s_mul_hi_u32 s24, s76, s5
	s_mul_hi_u32 s82, s77, s5
	s_mul_i32 s5, s77, s5
	s_wait_alu 0xfffe
	s_add_nc_u64 s[78:79], s[24:25], s[78:79]
	s_mul_hi_u32 s81, s77, s73
	s_wait_alu 0xfffe
	s_add_co_u32 s5, s78, s5
	s_add_co_ci_u32 s24, s79, s82
	s_mul_i32 s80, s77, s73
	s_add_co_ci_u32 s81, s81, 0
	s_wait_alu 0xfffe
	s_add_nc_u64 s[78:79], s[24:25], s[80:81]
	s_wait_alu 0xfffe
	s_mul_u64 s[78:79], s[16:17], s[78:79]
	s_wait_alu 0xfffe
	s_sub_co_u32 s5, s76, s78
	s_cselect_b32 s24, -1, 0
	s_sub_co_i32 s73, s77, s79
	s_wait_alu 0xfffe
	s_cmp_lg_u32 s24, 0
	s_sub_co_ci_u32 s73, s73, s17
	s_sub_co_u32 s76, s5, s16
	s_cselect_b32 s78, -1, 0
	s_wait_alu 0xfffe
	s_cmp_lg_u32 s78, 0
	s_sub_co_ci_u32 s80, s73, 0
	s_wait_alu 0xfffe
	s_cmp_ge_u32 s80, s17
	s_cselect_b32 s81, -1, 0
	s_cmp_ge_u32 s76, s16
	s_cselect_b32 s82, -1, 0
	s_cmp_eq_u32 s80, s17
	s_wait_alu 0xfffe
	s_cselect_b32 s81, s82, s81
	s_cmp_lg_u32 s78, 0
	s_sub_co_ci_u32 s73, s73, s17
	s_sub_co_u32 s78, s76, s16
	s_cselect_b32 s82, -1, 0
	s_wait_alu 0xfffe
	s_cmp_lg_u32 s82, 0
	s_sub_co_ci_u32 s73, s73, 0
	s_cmp_lg_u32 s81, 0
	s_cselect_b32 s76, s78, s76
	s_wait_alu 0xfffe
	s_cselect_b32 s73, s73, s80
	s_cmp_lg_u32 s24, 0
	s_sub_co_ci_u32 s24, s77, s79
	s_wait_alu 0xfffe
	s_cmp_ge_u32 s24, s17
	s_cselect_b32 s77, -1, 0
	s_cmp_ge_u32 s5, s16
	s_cselect_b32 s16, -1, 0
	s_cmp_eq_u32 s24, s17
	s_wait_alu 0xfffe
	s_cselect_b32 s16, s16, s77
	s_wait_alu 0xfffe
	s_cmp_lg_u32 s16, 0
	s_cselect_b32 s17, s73, s24
	s_cselect_b32 s16, s76, s5
	s_wait_alu 0xfffe
	s_xor_b64 s[16:17], s[16:17], s[74:75]
	s_wait_alu 0xfffe
	s_sub_nc_u64 s[16:17], s[16:17], s[74:75]
	s_cbranch_execnz .LBB47_200
.LBB47_199:                             ;   in Loop: Header=BB47_32 Depth=1
	v_cvt_f32_u32_e32 v2, s50
	s_sub_co_i32 s16, 0, s50
	s_delay_alu instid0(VALU_DEP_1) | instskip(NEXT) | instid1(TRANS32_DEP_1)
	v_rcp_iflag_f32_e32 v2, v2
	v_mul_f32_e32 v2, 0x4f7ffffe, v2
	s_delay_alu instid0(VALU_DEP_1) | instskip(NEXT) | instid1(VALU_DEP_1)
	v_cvt_u32_f32_e32 v2, v2
	v_readfirstlane_b32 s5, v2
	s_wait_alu 0xfffe
	s_mul_i32 s16, s16, s5
	s_wait_alu 0xfffe
	s_mul_hi_u32 s16, s5, s16
	s_wait_alu 0xfffe
	s_add_co_i32 s5, s5, s16
	s_wait_alu 0xfffe
	s_mul_hi_u32 s5, s60, s5
	s_wait_alu 0xfffe
	s_mul_i32 s5, s5, s50
	s_wait_alu 0xfffe
	s_sub_co_i32 s5, s60, s5
	s_wait_alu 0xfffe
	s_sub_co_i32 s16, s5, s50
	s_cmp_ge_u32 s5, s50
	s_wait_alu 0xfffe
	s_cselect_b32 s5, s16, s5
	s_wait_alu 0xfffe
	s_sub_co_i32 s16, s5, s50
	s_cmp_ge_u32 s5, s50
	s_wait_alu 0xfffe
	s_cselect_b32 s24, s16, s5
	s_wait_alu 0xfffe
	s_mov_b64 s[16:17], s[24:25]
.LBB47_200:                             ;   in Loop: Header=BB47_32 Depth=1
	s_wait_alu 0xfffe
	s_sub_nc_u64 s[16:17], s[60:61], s[16:17]
	s_mov_b32 s24, 0
	s_mov_b32 s5, 0
	s_mov_b32 s73, exec_lo
                                        ; implicit-def: $vgpr6_vgpr7
	s_wait_alu 0xfffe
	v_cmpx_gt_i64_e64 s[16:17], v[0:1]
	s_cbranch_execz .LBB47_212
; %bb.201:                              ;   in Loop: Header=BB47_32 Depth=1
	v_dual_mov_b32 v10, v16 :: v_dual_mov_b32 v11, v17
	v_dual_mov_b32 v13, v1 :: v_dual_mov_b32 v12, v0
	s_mov_b32 s74, 0
                                        ; implicit-def: $sgpr75
	s_branch .LBB47_205
.LBB47_202:                             ;   in Loop: Header=BB47_205 Depth=2
	s_wait_alu 0xfffe
	s_or_b32 exec_lo, exec_lo, s5
	s_wait_loadcnt_dscnt 0x0
	s_barrier_signal -1
	s_barrier_wait -1
	global_inv scope:SCOPE_SE
	ds_load_b128 v[4:7], v19 offset:3072
	s_wait_loadcnt_dscnt 0x0
	s_barrier_signal -1
	s_barrier_wait -1
	global_inv scope:SCOPE_SE
	v_cmp_neq_f64_e32 vcc_lo, 0, v[4:5]
	s_cbranch_vccnz .LBB47_208
; %bb.203:                              ;   in Loop: Header=BB47_205 Depth=2
	v_add_co_u32 v12, vcc_lo, v12, s50
	s_wait_alu 0xfffd
	v_add_co_ci_u32_e64 v13, null, 0, v13, vcc_lo
	v_add_co_u32 v10, s5, v10, s52
	s_wait_alu 0xf1ff
	v_add_co_ci_u32_e64 v11, null, s53, v11, s5
	s_delay_alu instid0(VALU_DEP_3)
	v_cmp_le_i64_e32 vcc_lo, s[16:17], v[12:13]
	s_mov_b32 s5, 0
	s_or_not1_b32 s76, vcc_lo, exec_lo
.LBB47_204:                             ;   in Loop: Header=BB47_205 Depth=2
	s_wait_alu 0xfffe
	s_and_b32 s76, exec_lo, s76
	s_wait_alu 0xfffe
	s_or_b32 s74, s76, s74
	s_and_not1_b32 s75, s75, exec_lo
	s_and_b32 s5, s5, exec_lo
	s_wait_alu 0xfffe
	s_or_b32 s75, s75, s5
	s_and_not1_b32 exec_lo, exec_lo, s74
	s_cbranch_execz .LBB47_211
.LBB47_205:                             ;   Parent Loop BB47_32 Depth=1
                                        ; =>  This Inner Loop Header: Depth=2
	s_mov_b32 s5, exec_lo
	s_delay_alu instid0(VALU_DEP_1)
	v_cmpx_gt_i64_e64 s[36:37], v[12:13]
	s_cbranch_execz .LBB47_202
; %bb.206:                              ;   in Loop: Header=BB47_205 Depth=2
	global_load_b64 v[4:5], v[10:11], off
	s_wait_loadcnt 0x0
	v_cmp_o_f64_e32 vcc_lo, v[4:5], v[4:5]
	v_ashrrev_i32_e32 v2, 31, v5
	s_delay_alu instid0(VALU_DEP_1) | instskip(SKIP_1) | instid1(VALU_DEP_2)
	v_or_b32_e32 v6, 0x80000000, v2
	v_xor_b32_e32 v2, v2, v4
	v_xor_b32_e32 v6, v6, v5
	s_wait_alu 0xfffd
	s_delay_alu instid0(VALU_DEP_1) | instskip(NEXT) | instid1(VALU_DEP_1)
	v_cndmask_b32_e32 v6, -1, v6, vcc_lo
	v_dual_cndmask_b32 v2, -1, v2 :: v_dual_and_b32 v7, v6, v35
	s_delay_alu instid0(VALU_DEP_1) | instskip(NEXT) | instid1(VALU_DEP_1)
	v_and_b32_e32 v6, v2, v34
	v_cmp_eq_u64_e32 vcc_lo, v[6:7], v[32:33]
	s_and_b32 exec_lo, exec_lo, vcc_lo
	s_cbranch_execz .LBB47_202
; %bb.207:                              ;   in Loop: Header=BB47_205 Depth=2
	v_mov_b32_e32 v2, v19
	ds_store_b128 v19, v[2:5] offset:3072
	s_branch .LBB47_202
.LBB47_208:                             ;   in Loop: Header=BB47_205 Depth=2
	s_mov_b32 s76, -1
	s_mov_b32 s5, -1
                                        ; implicit-def: $vgpr12_vgpr13
                                        ; implicit-def: $vgpr10_vgpr11
	s_branch .LBB47_204
.LBB47_209:                             ;   in Loop: Header=BB47_32 Depth=1
                                        ; implicit-def: $sgpr16_sgpr17
	s_branch .LBB47_151
.LBB47_210:                             ;   in Loop: Header=BB47_32 Depth=1
                                        ; implicit-def: $sgpr18_sgpr19
	s_branch .LBB47_168
.LBB47_211:                             ;   in Loop: Header=BB47_32 Depth=1
	s_or_b32 exec_lo, exec_lo, s74
	s_wait_alu 0xfffe
	s_and_b32 s5, s75, exec_lo
.LBB47_212:                             ;   in Loop: Header=BB47_32 Depth=1
	s_or_b32 exec_lo, exec_lo, s73
.LBB47_213:                             ;   in Loop: Header=BB47_32 Depth=1
	s_delay_alu instid0(SALU_CYCLE_1)
	s_and_b32 vcc_lo, exec_lo, s24
	s_wait_alu 0xfffe
	s_cbranch_vccz .LBB47_228
; %bb.214:                              ;   in Loop: Header=BB47_32 Depth=1
	s_add_nc_u64 s[16:17], s[14:15], s[58:59]
	s_mov_b32 s18, s25
	s_wait_alu 0xfffe
	s_mov_b32 s19, s17
	s_delay_alu instid0(SALU_CYCLE_1)
	s_cmp_lg_u64 s[18:19], 0
	s_cbranch_scc0 .LBB47_257
; %bb.215:                              ;   in Loop: Header=BB47_32 Depth=1
	s_add_nc_u64 s[18:19], s[50:51], 0
	s_delay_alu instid0(SALU_CYCLE_1) | instskip(NEXT) | instid1(SALU_CYCLE_1)
	s_xor_b64 s[18:19], s[18:19], 0
	s_cvt_f32_u32 s24, s18
	s_cvt_f32_u32 s73, s19
	s_sub_nc_u64 s[76:77], 0, s[18:19]
	s_wait_alu 0xfffe
	s_delay_alu instid0(SALU_CYCLE_1) | instskip(SKIP_1) | instid1(SALU_CYCLE_2)
	s_fmamk_f32 s24, s73, 0x4f800000, s24
	s_wait_alu 0xfffe
	v_s_rcp_f32 s24, s24
	s_delay_alu instid0(TRANS32_DEP_1) | instskip(SKIP_1) | instid1(SALU_CYCLE_2)
	s_mul_f32 s24, s24, 0x5f7ffffc
	s_wait_alu 0xfffe
	s_mul_f32 s73, s24, 0x2f800000
	s_wait_alu 0xfffe
	s_delay_alu instid0(SALU_CYCLE_2) | instskip(SKIP_1) | instid1(SALU_CYCLE_2)
	s_trunc_f32 s73, s73
	s_wait_alu 0xfffe
	s_fmamk_f32 s24, s73, 0xcf800000, s24
	s_cvt_u32_f32 s75, s73
	s_wait_alu 0xfffe
	s_delay_alu instid0(SALU_CYCLE_1) | instskip(SKIP_1) | instid1(SALU_CYCLE_2)
	s_cvt_u32_f32 s74, s24
	s_wait_alu 0xfffe
	s_mul_u64 s[78:79], s[76:77], s[74:75]
	s_wait_alu 0xfffe
	s_mul_hi_u32 s81, s74, s79
	s_mul_i32 s80, s74, s79
	s_mul_hi_u32 s24, s74, s78
	s_mul_i32 s82, s75, s78
	s_wait_alu 0xfffe
	s_add_nc_u64 s[80:81], s[24:25], s[80:81]
	s_mul_hi_u32 s73, s75, s78
	s_mul_hi_u32 s83, s75, s79
	s_wait_alu 0xfffe
	s_add_co_u32 s24, s80, s82
	s_add_co_ci_u32 s24, s81, s73
	s_mul_i32 s78, s75, s79
	s_add_co_ci_u32 s79, s83, 0
	s_wait_alu 0xfffe
	s_add_nc_u64 s[78:79], s[24:25], s[78:79]
	s_wait_alu 0xfffe
	s_add_co_u32 s74, s74, s78
	s_cselect_b32 s24, -1, 0
	s_wait_alu 0xfffe
	s_cmp_lg_u32 s24, 0
	s_add_co_ci_u32 s75, s75, s79
	s_wait_alu 0xfffe
	s_mul_u64 s[76:77], s[76:77], s[74:75]
	s_wait_alu 0xfffe
	s_mul_hi_u32 s79, s74, s77
	s_mul_i32 s78, s74, s77
	s_mul_hi_u32 s24, s74, s76
	s_mul_i32 s80, s75, s76
	s_wait_alu 0xfffe
	s_add_nc_u64 s[78:79], s[24:25], s[78:79]
	s_mul_hi_u32 s73, s75, s76
	s_mul_hi_u32 s81, s75, s77
	s_wait_alu 0xfffe
	s_add_co_u32 s24, s78, s80
	s_add_co_ci_u32 s24, s79, s73
	s_mul_i32 s76, s75, s77
	s_add_co_ci_u32 s77, s81, 0
	s_wait_alu 0xfffe
	s_add_nc_u64 s[76:77], s[24:25], s[76:77]
	s_wait_alu 0xfffe
	s_add_co_u32 s73, s74, s76
	s_cselect_b32 s24, -1, 0
	s_wait_alu 0xfffe
	s_cmp_lg_u32 s24, 0
	s_add_co_ci_u32 s80, s75, s77
	s_ashr_i32 s74, s17, 31
	s_wait_alu 0xfffe
	s_mov_b32 s75, s74
	s_wait_alu 0xfffe
	s_add_nc_u64 s[76:77], s[16:17], s[74:75]
	s_wait_alu 0xfffe
	s_xor_b64 s[76:77], s[76:77], s[74:75]
	s_wait_alu 0xfffe
	s_mul_hi_u32 s79, s76, s80
	s_mul_i32 s78, s76, s80
	s_mul_hi_u32 s24, s76, s73
	s_mul_hi_u32 s82, s77, s73
	s_mul_i32 s73, s77, s73
	s_wait_alu 0xfffe
	s_add_nc_u64 s[78:79], s[24:25], s[78:79]
	s_mul_hi_u32 s81, s77, s80
	s_wait_alu 0xfffe
	s_add_co_u32 s24, s78, s73
	s_add_co_ci_u32 s24, s79, s82
	s_mul_i32 s80, s77, s80
	s_add_co_ci_u32 s81, s81, 0
	s_wait_alu 0xfffe
	s_add_nc_u64 s[78:79], s[24:25], s[80:81]
	s_wait_alu 0xfffe
	s_mul_u64 s[78:79], s[18:19], s[78:79]
	s_wait_alu 0xfffe
	s_sub_co_u32 s24, s76, s78
	s_cselect_b32 s73, -1, 0
	s_sub_co_i32 s76, s77, s79
	s_wait_alu 0xfffe
	s_cmp_lg_u32 s73, 0
	s_sub_co_ci_u32 s76, s76, s19
	s_sub_co_u32 s78, s24, s18
	s_cselect_b32 s80, -1, 0
	s_wait_alu 0xfffe
	s_cmp_lg_u32 s80, 0
	s_sub_co_ci_u32 s81, s76, 0
	s_wait_alu 0xfffe
	s_cmp_ge_u32 s81, s19
	s_cselect_b32 s82, -1, 0
	s_cmp_ge_u32 s78, s18
	s_cselect_b32 s83, -1, 0
	s_cmp_eq_u32 s81, s19
	s_wait_alu 0xfffe
	s_cselect_b32 s82, s83, s82
	s_cmp_lg_u32 s80, 0
	s_sub_co_ci_u32 s76, s76, s19
	s_sub_co_u32 s80, s78, s18
	s_cselect_b32 s83, -1, 0
	s_wait_alu 0xfffe
	s_cmp_lg_u32 s83, 0
	s_sub_co_ci_u32 s76, s76, 0
	s_cmp_lg_u32 s82, 0
	s_cselect_b32 s78, s80, s78
	s_wait_alu 0xfffe
	s_cselect_b32 s76, s76, s81
	s_cmp_lg_u32 s73, 0
	s_sub_co_ci_u32 s73, s77, s79
	s_wait_alu 0xfffe
	s_cmp_ge_u32 s73, s19
	s_cselect_b32 s77, -1, 0
	s_cmp_ge_u32 s24, s18
	s_cselect_b32 s18, -1, 0
	s_cmp_eq_u32 s73, s19
	s_wait_alu 0xfffe
	s_cselect_b32 s18, s18, s77
	s_delay_alu instid0(SALU_CYCLE_1) | instskip(SKIP_2) | instid1(SALU_CYCLE_1)
	s_cmp_lg_u32 s18, 0
	s_cselect_b32 s19, s76, s73
	s_cselect_b32 s18, s78, s24
	s_xor_b64 s[18:19], s[18:19], s[74:75]
	s_delay_alu instid0(SALU_CYCLE_1)
	s_sub_nc_u64 s[18:19], s[18:19], s[74:75]
	s_cbranch_execnz .LBB47_217
.LBB47_216:                             ;   in Loop: Header=BB47_32 Depth=1
	v_cvt_f32_u32_e32 v2, s50
	s_sub_co_i32 s19, 0, s50
	s_delay_alu instid0(VALU_DEP_1) | instskip(NEXT) | instid1(TRANS32_DEP_1)
	v_rcp_iflag_f32_e32 v2, v2
	v_mul_f32_e32 v2, 0x4f7ffffe, v2
	s_delay_alu instid0(VALU_DEP_1) | instskip(NEXT) | instid1(VALU_DEP_1)
	v_cvt_u32_f32_e32 v2, v2
	v_readfirstlane_b32 s18, v2
	s_mul_i32 s19, s19, s18
	s_delay_alu instid0(SALU_CYCLE_1) | instskip(NEXT) | instid1(SALU_CYCLE_1)
	s_mul_hi_u32 s19, s18, s19
	s_add_co_i32 s18, s18, s19
	s_delay_alu instid0(SALU_CYCLE_1) | instskip(NEXT) | instid1(SALU_CYCLE_1)
	s_mul_hi_u32 s18, s16, s18
	s_mul_i32 s18, s18, s50
	s_delay_alu instid0(SALU_CYCLE_1) | instskip(NEXT) | instid1(SALU_CYCLE_1)
	s_sub_co_i32 s18, s16, s18
	s_sub_co_i32 s19, s18, s50
	s_cmp_ge_u32 s18, s50
	s_cselect_b32 s18, s19, s18
	s_delay_alu instid0(SALU_CYCLE_1)
	s_sub_co_i32 s19, s18, s50
	s_cmp_ge_u32 s18, s50
	s_cselect_b32 s24, s19, s18
	s_wait_alu 0xfffe
	s_mov_b64 s[18:19], s[24:25]
.LBB47_217:                             ;   in Loop: Header=BB47_32 Depth=1
	s_delay_alu instid0(SALU_CYCLE_1)
	s_sub_nc_u64 s[16:17], s[16:17], s[18:19]
	s_mov_b32 s18, exec_lo
                                        ; implicit-def: $vgpr6_vgpr7
	s_wait_alu 0xfffe
	v_cmpx_gt_i64_e64 s[16:17], v[0:1]
	s_cbranch_execz .LBB47_227
; %bb.218:                              ;   in Loop: Header=BB47_32 Depth=1
	v_dual_mov_b32 v12, v47 :: v_dual_mov_b32 v11, v1
	v_mov_b32_e32 v10, v0
	s_mov_b32 s19, 0
                                        ; implicit-def: $sgpr24
	s_branch .LBB47_222
.LBB47_219:                             ;   in Loop: Header=BB47_222 Depth=2
	s_wait_alu 0xfffe
	s_or_b32 exec_lo, exec_lo, s73
	s_wait_loadcnt_dscnt 0x0
	s_barrier_signal -1
	s_barrier_wait -1
	global_inv scope:SCOPE_SE
	ds_load_b128 v[4:7], v19 offset:3072
	s_wait_loadcnt_dscnt 0x0
	s_barrier_signal -1
	s_barrier_wait -1
	global_inv scope:SCOPE_SE
	v_cmp_eq_f64_e32 vcc_lo, 0, v[4:5]
	s_cbranch_vccz .LBB47_225
; %bb.220:                              ;   in Loop: Header=BB47_222 Depth=2
	v_add_co_u32 v10, vcc_lo, v10, s50
	s_wait_alu 0xfffd
	v_add_co_ci_u32_e64 v11, null, 0, v11, vcc_lo
	v_add_nc_u32_e32 v12, s90, v12
	s_mov_b32 s73, 0
	s_delay_alu instid0(VALU_DEP_2)
	v_cmp_le_i64_e32 vcc_lo, s[16:17], v[10:11]
	s_or_not1_b32 s74, vcc_lo, exec_lo
.LBB47_221:                             ;   in Loop: Header=BB47_222 Depth=2
	s_wait_alu 0xfffe
	s_and_b32 s74, exec_lo, s74
	s_wait_alu 0xfffe
	s_or_b32 s19, s74, s19
	s_and_not1_b32 s24, s24, exec_lo
	s_and_b32 s73, s73, exec_lo
	s_wait_alu 0xfffe
	s_or_b32 s24, s24, s73
	s_and_not1_b32 exec_lo, exec_lo, s19
	s_cbranch_execz .LBB47_226
.LBB47_222:                             ;   Parent Loop BB47_32 Depth=1
                                        ; =>  This Inner Loop Header: Depth=2
	s_mov_b32 s73, exec_lo
	s_delay_alu instid0(VALU_DEP_1)
	v_cmpx_gt_u64_e64 s[14:15], v[10:11]
	s_cbranch_execz .LBB47_219
; %bb.223:                              ;   in Loop: Header=BB47_222 Depth=2
	ds_load_b64 v[4:5], v12
	s_wait_dscnt 0x0
	v_cmp_o_f64_e32 vcc_lo, v[4:5], v[4:5]
	v_ashrrev_i32_e32 v2, 31, v5
	s_delay_alu instid0(VALU_DEP_1) | instskip(SKIP_1) | instid1(VALU_DEP_2)
	v_or_b32_e32 v6, 0x80000000, v2
	v_xor_b32_e32 v2, v2, v4
	v_xor_b32_e32 v6, v6, v5
	s_wait_alu 0xfffd
	s_delay_alu instid0(VALU_DEP_1) | instskip(NEXT) | instid1(VALU_DEP_1)
	v_cndmask_b32_e32 v6, -1, v6, vcc_lo
	v_dual_cndmask_b32 v2, -1, v2 :: v_dual_and_b32 v7, v6, v35
	s_delay_alu instid0(VALU_DEP_1) | instskip(NEXT) | instid1(VALU_DEP_1)
	v_and_b32_e32 v6, v2, v34
	v_cmp_eq_u64_e32 vcc_lo, v[6:7], v[32:33]
	s_and_b32 exec_lo, exec_lo, vcc_lo
	s_cbranch_execz .LBB47_219
; %bb.224:                              ;   in Loop: Header=BB47_222 Depth=2
	v_mov_b32_e32 v2, v19
	ds_store_b128 v19, v[2:5] offset:3072
	s_branch .LBB47_219
.LBB47_225:                             ;   in Loop: Header=BB47_222 Depth=2
	s_mov_b32 s74, -1
	s_mov_b32 s73, -1
                                        ; implicit-def: $vgpr10_vgpr11
                                        ; implicit-def: $vgpr12
	s_branch .LBB47_221
.LBB47_226:                             ;   in Loop: Header=BB47_32 Depth=1
	s_or_b32 exec_lo, exec_lo, s19
	s_delay_alu instid0(SALU_CYCLE_1)
	s_and_not1_b32 s5, s5, exec_lo
	s_wait_alu 0xfffe
	s_and_b32 s14, s24, exec_lo
	s_wait_alu 0xfffe
	s_or_b32 s5, s5, s14
.LBB47_227:                             ;   in Loop: Header=BB47_32 Depth=1
	s_or_b32 exec_lo, exec_lo, s18
	s_mov_b32 s18, 0
	s_mov_b32 s19, -1
.LBB47_228:                             ;   in Loop: Header=BB47_32 Depth=1
	s_wait_alu 0xfffe
	s_or_not1_b32 s5, s5, exec_lo
.LBB47_229:                             ;   in Loop: Header=BB47_32 Depth=1
	s_wait_alu 0xfffe
	s_or_b32 exec_lo, exec_lo, s72
	s_mov_b32 s14, 0
	s_and_saveexec_b32 s16, s5
	s_cbranch_execz .LBB47_289
; %bb.230:                              ;   in Loop: Header=BB47_32 Depth=1
	v_mov_b32_e32 v10, 1
	v_dual_mov_b32 v11, 0 :: v_dual_mov_b32 v38, 1
	s_xor_b32 s14, s71, -1
	s_mov_b32 s24, 0
	s_wait_alu 0xfffe
	s_and_saveexec_b32 s5, s14
	s_cbranch_execz .LBB47_239
; %bb.231:                              ;   in Loop: Header=BB47_32 Depth=1
	s_mov_b32 s14, exec_lo
	v_cmpx_ge_i64_e64 s[10:11], v[8:9]
	s_wait_alu 0xfffe
	s_xor_b32 s14, exec_lo, s14
	s_cbranch_execz .LBB47_236
; %bb.232:                              ;   in Loop: Header=BB47_32 Depth=1
	ds_load_b64 v[4:5], v19 offset:5120
	v_and_b32_e32 v2, s13, v33
	v_and_b32_e32 v10, s12, v32
	s_lshl_b64 s[12:13], 2, s91
	v_or_b32_e32 v35, s9, v35
	v_or_b32_e32 v34, s8, v34
	s_wait_alu 0xfffe
	v_or_b32_e32 v33, s13, v2
	v_or_b32_e32 v32, s12, v10
	s_wait_dscnt 0x0
	v_cmp_ne_u64_e32 vcc_lo, 0, v[4:5]
	s_cbranch_vccnz .LBB47_236
; %bb.233:                              ;   in Loop: Header=BB47_32 Depth=1
	s_and_saveexec_b32 s12, s2
; %bb.234:                              ;   in Loop: Header=BB47_32 Depth=1
	v_dual_mov_b32 v4, s10 :: v_dual_mov_b32 v5, s11
	ds_store_b64 v19, v[4:5] offset:5128
; %bb.235:                              ;   in Loop: Header=BB47_32 Depth=1
	s_wait_alu 0xfffe
	s_or_b32 exec_lo, exec_lo, s12
	s_wait_loadcnt_dscnt 0x0
	s_barrier_signal -1
	s_barrier_wait -1
	global_inv scope:SCOPE_SE
.LBB47_236:                             ;   in Loop: Header=BB47_32 Depth=1
	s_wait_alu 0xfffe
	s_or_saveexec_b32 s12, s14
	v_mov_b32_e32 v38, 8
	s_mov_b32 s13, 0
	s_wait_alu 0xfffe
	s_xor_b32 exec_lo, exec_lo, s12
; %bb.237:                              ;   in Loop: Header=BB47_32 Depth=1
	v_sub_co_u32 v8, vcc_lo, v8, s10
	s_wait_alu 0xfffd
	v_subrev_co_ci_u32_e64 v9, null, s11, v9, vcc_lo
	v_mov_b32_e32 v38, 0
	s_mov_b32 s13, exec_lo
; %bb.238:                              ;   in Loop: Header=BB47_32 Depth=1
	s_or_b32 exec_lo, exec_lo, s12
	s_delay_alu instid0(VALU_DEP_2)
	v_dual_mov_b32 v11, v9 :: v_dual_mov_b32 v10, v8
	s_wait_alu 0xfffe
	s_and_b32 s24, s13, exec_lo
.LBB47_239:                             ;   in Loop: Header=BB47_32 Depth=1
	s_wait_alu 0xfffe
	s_or_b32 exec_lo, exec_lo, s5
	s_mov_b32 s5, -1
                                        ; implicit-def: $sgpr15
                                        ; implicit-def: $sgpr14
	s_and_saveexec_b32 s17, s24
	s_cbranch_execz .LBB47_288
; %bb.240:                              ;   in Loop: Header=BB47_32 Depth=1
	v_cmp_eq_u64_e32 vcc_lo, 1, v[10:11]
	s_cmp_eq_u64 s[6:7], 1
	s_mov_b32 s10, -1
	s_cselect_b32 s5, -1, 0
                                        ; implicit-def: $sgpr15
                                        ; implicit-def: $sgpr14
	s_wait_alu 0xfffe
	s_and_b32 s71, s5, vcc_lo
	s_wait_alu 0xfffe
	s_and_saveexec_b32 s72, s71
	s_cbranch_execz .LBB47_276
; %bb.241:                              ;   in Loop: Header=BB47_32 Depth=1
	ds_load_b64 v[4:5], v19 offset:5120
	s_wait_loadcnt_dscnt 0x0
	s_barrier_signal -1
	s_barrier_wait -1
	global_inv scope:SCOPE_SE
	v_readfirstlane_b32 s10, v4
	v_readfirstlane_b32 s11, v5
	s_and_saveexec_b32 s5, s3
; %bb.242:                              ;   in Loop: Header=BB47_32 Depth=1
	v_mov_b32_e32 v18, v19
	ds_store_b64 v48, v[18:19]
; %bb.243:                              ;   in Loop: Header=BB47_32 Depth=1
	s_wait_alu 0xfffe
	s_or_b32 exec_lo, exec_lo, s5
	v_cmp_gt_i64_e64 s5, s[10:11], 0
	v_or_b32_e32 v33, s9, v33
	v_or_b32_e32 v32, s8, v32
	v_or_b32_e32 v35, s9, v35
	v_or_b32_e32 v34, s8, v34
	s_mov_b32 s14, -1
	s_mov_b32 s15, 0
	s_and_b32 vcc_lo, exec_lo, s5
	s_mov_b32 s5, 0
	s_mov_b32 s24, -1
	s_wait_loadcnt_dscnt 0x0
	s_barrier_signal -1
	s_barrier_wait -1
	global_inv scope:SCOPE_SE
                                        ; implicit-def: $vgpr6_vgpr7
	s_wait_alu 0xfffe
	s_cbranch_vccnz .LBB47_260
; %bb.244:                              ;   in Loop: Header=BB47_32 Depth=1
	s_mov_b32 s12, s25
	s_mov_b32 s13, s61
	s_wait_alu 0xfffe
	s_cmp_lg_u64 s[12:13], 0
	s_cbranch_scc0 .LBB47_295
; %bb.245:                              ;   in Loop: Header=BB47_32 Depth=1
	s_add_nc_u64 s[12:13], s[50:51], 0
	s_wait_alu 0xfffe
	s_xor_b64 s[12:13], s[12:13], 0
	s_wait_alu 0xfffe
	s_cvt_f32_u32 s5, s12
	s_cvt_f32_u32 s24, s13
	s_sub_nc_u64 s[76:77], 0, s[12:13]
	s_wait_alu 0xfffe
	s_delay_alu instid0(SALU_CYCLE_1) | instskip(SKIP_1) | instid1(SALU_CYCLE_2)
	s_fmamk_f32 s5, s24, 0x4f800000, s5
	s_wait_alu 0xfffe
	v_s_rcp_f32 s5, s5
	s_delay_alu instid0(TRANS32_DEP_1) | instskip(SKIP_1) | instid1(SALU_CYCLE_2)
	s_mul_f32 s5, s5, 0x5f7ffffc
	s_wait_alu 0xfffe
	s_mul_f32 s24, s5, 0x2f800000
	s_wait_alu 0xfffe
	s_delay_alu instid0(SALU_CYCLE_2) | instskip(SKIP_1) | instid1(SALU_CYCLE_2)
	s_trunc_f32 s24, s24
	s_wait_alu 0xfffe
	s_fmamk_f32 s5, s24, 0xcf800000, s5
	s_cvt_u32_f32 s75, s24
	s_wait_alu 0xfffe
	s_delay_alu instid0(SALU_CYCLE_1) | instskip(SKIP_1) | instid1(SALU_CYCLE_2)
	s_cvt_u32_f32 s74, s5
	s_wait_alu 0xfffe
	s_mul_u64 s[78:79], s[76:77], s[74:75]
	s_wait_alu 0xfffe
	s_mul_hi_u32 s81, s74, s79
	s_mul_i32 s80, s74, s79
	s_mul_hi_u32 s24, s74, s78
	s_mul_i32 s73, s75, s78
	s_wait_alu 0xfffe
	s_add_nc_u64 s[80:81], s[24:25], s[80:81]
	s_mul_hi_u32 s5, s75, s78
	s_mul_hi_u32 s82, s75, s79
	s_wait_alu 0xfffe
	s_add_co_u32 s24, s80, s73
	s_add_co_ci_u32 s24, s81, s5
	s_mul_i32 s78, s75, s79
	s_add_co_ci_u32 s79, s82, 0
	s_wait_alu 0xfffe
	s_add_nc_u64 s[78:79], s[24:25], s[78:79]
	s_wait_alu 0xfffe
	s_add_co_u32 s74, s74, s78
	s_cselect_b32 s5, -1, 0
	s_wait_alu 0xfffe
	s_cmp_lg_u32 s5, 0
	s_add_co_ci_u32 s75, s75, s79
	s_wait_alu 0xfffe
	s_mul_u64 s[76:77], s[76:77], s[74:75]
	s_wait_alu 0xfffe
	s_mul_hi_u32 s79, s74, s77
	s_mul_i32 s78, s74, s77
	s_mul_hi_u32 s24, s74, s76
	s_mul_i32 s73, s75, s76
	s_wait_alu 0xfffe
	s_add_nc_u64 s[78:79], s[24:25], s[78:79]
	s_mul_hi_u32 s5, s75, s76
	s_mul_hi_u32 s80, s75, s77
	s_wait_alu 0xfffe
	s_add_co_u32 s24, s78, s73
	s_add_co_ci_u32 s24, s79, s5
	s_mul_i32 s76, s75, s77
	s_add_co_ci_u32 s77, s80, 0
	s_wait_alu 0xfffe
	s_add_nc_u64 s[76:77], s[24:25], s[76:77]
	s_wait_alu 0xfffe
	s_add_co_u32 s5, s74, s76
	s_cselect_b32 s24, -1, 0
	s_wait_alu 0xfffe
	s_cmp_lg_u32 s24, 0
	s_add_co_ci_u32 s73, s75, s77
	s_ashr_i32 s74, s61, 31
	s_wait_alu 0xfffe
	s_mov_b32 s75, s74
	s_wait_alu 0xfffe
	s_add_nc_u64 s[76:77], s[60:61], s[74:75]
	s_wait_alu 0xfffe
	s_xor_b64 s[76:77], s[76:77], s[74:75]
	s_wait_alu 0xfffe
	s_mul_hi_u32 s79, s76, s73
	s_mul_i32 s78, s76, s73
	s_mul_hi_u32 s24, s76, s5
	s_mul_hi_u32 s82, s77, s5
	s_mul_i32 s5, s77, s5
	s_wait_alu 0xfffe
	s_add_nc_u64 s[78:79], s[24:25], s[78:79]
	s_mul_hi_u32 s81, s77, s73
	s_wait_alu 0xfffe
	s_add_co_u32 s5, s78, s5
	s_add_co_ci_u32 s24, s79, s82
	s_mul_i32 s80, s77, s73
	s_add_co_ci_u32 s81, s81, 0
	s_wait_alu 0xfffe
	s_add_nc_u64 s[78:79], s[24:25], s[80:81]
	s_wait_alu 0xfffe
	s_mul_u64 s[78:79], s[12:13], s[78:79]
	s_wait_alu 0xfffe
	s_sub_co_u32 s5, s76, s78
	s_cselect_b32 s24, -1, 0
	s_sub_co_i32 s73, s77, s79
	s_wait_alu 0xfffe
	s_cmp_lg_u32 s24, 0
	s_sub_co_ci_u32 s73, s73, s13
	s_sub_co_u32 s76, s5, s12
	s_cselect_b32 s78, -1, 0
	s_wait_alu 0xfffe
	s_cmp_lg_u32 s78, 0
	s_sub_co_ci_u32 s80, s73, 0
	s_wait_alu 0xfffe
	s_cmp_ge_u32 s80, s13
	s_cselect_b32 s81, -1, 0
	s_cmp_ge_u32 s76, s12
	s_cselect_b32 s82, -1, 0
	s_cmp_eq_u32 s80, s13
	s_wait_alu 0xfffe
	s_cselect_b32 s81, s82, s81
	s_cmp_lg_u32 s78, 0
	s_sub_co_ci_u32 s73, s73, s13
	s_sub_co_u32 s78, s76, s12
	s_cselect_b32 s82, -1, 0
	s_wait_alu 0xfffe
	s_cmp_lg_u32 s82, 0
	s_sub_co_ci_u32 s73, s73, 0
	s_cmp_lg_u32 s81, 0
	s_cselect_b32 s76, s78, s76
	s_wait_alu 0xfffe
	s_cselect_b32 s73, s73, s80
	s_cmp_lg_u32 s24, 0
	s_sub_co_ci_u32 s24, s77, s79
	s_wait_alu 0xfffe
	s_cmp_ge_u32 s24, s13
	s_cselect_b32 s77, -1, 0
	s_cmp_ge_u32 s5, s12
	s_cselect_b32 s12, -1, 0
	s_cmp_eq_u32 s24, s13
	s_wait_alu 0xfffe
	s_cselect_b32 s12, s12, s77
	s_wait_alu 0xfffe
	s_cmp_lg_u32 s12, 0
	s_cselect_b32 s13, s73, s24
	s_cselect_b32 s12, s76, s5
	s_wait_alu 0xfffe
	s_xor_b64 s[12:13], s[12:13], s[74:75]
	s_wait_alu 0xfffe
	s_sub_nc_u64 s[12:13], s[12:13], s[74:75]
	s_cbranch_execnz .LBB47_247
.LBB47_246:                             ;   in Loop: Header=BB47_32 Depth=1
	v_cvt_f32_u32_e32 v2, s50
	s_sub_co_i32 s12, 0, s50
	s_delay_alu instid0(VALU_DEP_1) | instskip(NEXT) | instid1(TRANS32_DEP_1)
	v_rcp_iflag_f32_e32 v2, v2
	v_mul_f32_e32 v2, 0x4f7ffffe, v2
	s_delay_alu instid0(VALU_DEP_1) | instskip(NEXT) | instid1(VALU_DEP_1)
	v_cvt_u32_f32_e32 v2, v2
	v_readfirstlane_b32 s5, v2
	s_wait_alu 0xfffe
	s_mul_i32 s12, s12, s5
	s_wait_alu 0xfffe
	s_mul_hi_u32 s12, s5, s12
	s_wait_alu 0xfffe
	s_add_co_i32 s5, s5, s12
	s_wait_alu 0xfffe
	s_mul_hi_u32 s5, s60, s5
	s_wait_alu 0xfffe
	s_mul_i32 s5, s5, s50
	s_wait_alu 0xfffe
	s_sub_co_i32 s5, s60, s5
	s_wait_alu 0xfffe
	s_sub_co_i32 s12, s5, s50
	s_cmp_ge_u32 s5, s50
	s_wait_alu 0xfffe
	s_cselect_b32 s5, s12, s5
	s_wait_alu 0xfffe
	s_sub_co_i32 s12, s5, s50
	s_cmp_ge_u32 s5, s50
	s_wait_alu 0xfffe
	s_cselect_b32 s24, s12, s5
	s_wait_alu 0xfffe
	s_mov_b64 s[12:13], s[24:25]
.LBB47_247:                             ;   in Loop: Header=BB47_32 Depth=1
	s_wait_alu 0xfffe
	s_sub_nc_u64 s[12:13], s[60:61], s[12:13]
	s_mov_b32 s24, 0
	s_mov_b32 s5, 0
	s_mov_b32 s73, exec_lo
                                        ; implicit-def: $vgpr6_vgpr7
	s_wait_alu 0xfffe
	v_cmpx_gt_i64_e64 s[12:13], v[0:1]
	s_cbranch_execz .LBB47_259
; %bb.248:                              ;   in Loop: Header=BB47_32 Depth=1
	v_dual_mov_b32 v8, v16 :: v_dual_mov_b32 v9, v17
	v_dual_mov_b32 v13, v1 :: v_dual_mov_b32 v12, v0
	s_mov_b32 s74, 0
                                        ; implicit-def: $sgpr75
	s_branch .LBB47_252
.LBB47_249:                             ;   in Loop: Header=BB47_252 Depth=2
	s_wait_alu 0xfffe
	s_or_b32 exec_lo, exec_lo, s5
	s_wait_loadcnt_dscnt 0x0
	s_barrier_signal -1
	s_barrier_wait -1
	global_inv scope:SCOPE_SE
	ds_load_b128 v[4:7], v19 offset:3072
	s_wait_loadcnt_dscnt 0x0
	s_barrier_signal -1
	s_barrier_wait -1
	global_inv scope:SCOPE_SE
	v_cmp_neq_f64_e32 vcc_lo, 0, v[4:5]
	s_cbranch_vccnz .LBB47_255
; %bb.250:                              ;   in Loop: Header=BB47_252 Depth=2
	v_add_co_u32 v12, vcc_lo, v12, s50
	s_wait_alu 0xfffd
	v_add_co_ci_u32_e64 v13, null, 0, v13, vcc_lo
	v_add_co_u32 v8, s5, v8, s52
	s_wait_alu 0xf1ff
	v_add_co_ci_u32_e64 v9, null, s53, v9, s5
	s_delay_alu instid0(VALU_DEP_3)
	v_cmp_le_i64_e32 vcc_lo, s[12:13], v[12:13]
	s_mov_b32 s5, 0
	s_or_not1_b32 s76, vcc_lo, exec_lo
.LBB47_251:                             ;   in Loop: Header=BB47_252 Depth=2
	s_wait_alu 0xfffe
	s_and_b32 s76, exec_lo, s76
	s_wait_alu 0xfffe
	s_or_b32 s74, s76, s74
	s_and_not1_b32 s75, s75, exec_lo
	s_and_b32 s5, s5, exec_lo
	s_wait_alu 0xfffe
	s_or_b32 s75, s75, s5
	s_and_not1_b32 exec_lo, exec_lo, s74
	s_cbranch_execz .LBB47_258
.LBB47_252:                             ;   Parent Loop BB47_32 Depth=1
                                        ; =>  This Inner Loop Header: Depth=2
	s_mov_b32 s5, exec_lo
	s_delay_alu instid0(VALU_DEP_1)
	v_cmpx_gt_i64_e64 s[36:37], v[12:13]
	s_cbranch_execz .LBB47_249
; %bb.253:                              ;   in Loop: Header=BB47_252 Depth=2
	global_load_b64 v[4:5], v[8:9], off
	s_wait_loadcnt 0x0
	v_cmp_o_f64_e32 vcc_lo, v[4:5], v[4:5]
	v_ashrrev_i32_e32 v2, 31, v5
	s_delay_alu instid0(VALU_DEP_1) | instskip(SKIP_1) | instid1(VALU_DEP_2)
	v_or_b32_e32 v6, 0x80000000, v2
	v_xor_b32_e32 v2, v2, v4
	v_xor_b32_e32 v6, v6, v5
	s_wait_alu 0xfffd
	s_delay_alu instid0(VALU_DEP_1) | instskip(NEXT) | instid1(VALU_DEP_1)
	v_cndmask_b32_e32 v6, -1, v6, vcc_lo
	v_dual_cndmask_b32 v2, -1, v2 :: v_dual_and_b32 v7, v6, v35
	s_delay_alu instid0(VALU_DEP_1) | instskip(NEXT) | instid1(VALU_DEP_1)
	v_and_b32_e32 v6, v2, v34
	v_cmp_eq_u64_e32 vcc_lo, v[6:7], v[32:33]
	s_and_b32 exec_lo, exec_lo, vcc_lo
	s_cbranch_execz .LBB47_249
; %bb.254:                              ;   in Loop: Header=BB47_252 Depth=2
	v_mov_b32_e32 v2, v19
	ds_store_b128 v19, v[2:5] offset:3072
	s_branch .LBB47_249
.LBB47_255:                             ;   in Loop: Header=BB47_252 Depth=2
	s_mov_b32 s76, -1
	s_mov_b32 s5, -1
                                        ; implicit-def: $vgpr12_vgpr13
                                        ; implicit-def: $vgpr8_vgpr9
	s_branch .LBB47_251
.LBB47_256:                             ;   in Loop: Header=BB47_32 Depth=1
                                        ; implicit-def: $sgpr16_sgpr17
	s_branch .LBB47_199
.LBB47_257:                             ;   in Loop: Header=BB47_32 Depth=1
                                        ; implicit-def: $sgpr18_sgpr19
	s_branch .LBB47_216
.LBB47_258:                             ;   in Loop: Header=BB47_32 Depth=1
	s_or_b32 exec_lo, exec_lo, s74
	s_wait_alu 0xfffe
	s_and_b32 s5, s75, exec_lo
.LBB47_259:                             ;   in Loop: Header=BB47_32 Depth=1
	s_or_b32 exec_lo, exec_lo, s73
.LBB47_260:                             ;   in Loop: Header=BB47_32 Depth=1
	s_delay_alu instid0(SALU_CYCLE_1)
	s_and_b32 vcc_lo, exec_lo, s24
	s_wait_alu 0xfffe
	s_cbranch_vccz .LBB47_275
; %bb.261:                              ;   in Loop: Header=BB47_32 Depth=1
	s_add_nc_u64 s[12:13], s[10:11], s[58:59]
	s_mov_b32 s14, s25
	s_wait_alu 0xfffe
	s_mov_b32 s15, s13
	s_wait_alu 0xfffe
	s_cmp_lg_u64 s[14:15], 0
	s_cbranch_scc0 .LBB47_296
; %bb.262:                              ;   in Loop: Header=BB47_32 Depth=1
	s_add_nc_u64 s[14:15], s[50:51], 0
	s_wait_alu 0xfffe
	s_xor_b64 s[14:15], s[14:15], 0
	s_wait_alu 0xfffe
	s_cvt_f32_u32 s24, s14
	s_cvt_f32_u32 s73, s15
	s_sub_nc_u64 s[76:77], 0, s[14:15]
	s_wait_alu 0xfffe
	s_delay_alu instid0(SALU_CYCLE_1) | instskip(SKIP_1) | instid1(SALU_CYCLE_2)
	s_fmamk_f32 s24, s73, 0x4f800000, s24
	s_wait_alu 0xfffe
	v_s_rcp_f32 s24, s24
	s_delay_alu instid0(TRANS32_DEP_1) | instskip(SKIP_1) | instid1(SALU_CYCLE_2)
	s_mul_f32 s24, s24, 0x5f7ffffc
	s_wait_alu 0xfffe
	s_mul_f32 s73, s24, 0x2f800000
	s_wait_alu 0xfffe
	s_delay_alu instid0(SALU_CYCLE_2) | instskip(SKIP_1) | instid1(SALU_CYCLE_2)
	s_trunc_f32 s73, s73
	s_wait_alu 0xfffe
	s_fmamk_f32 s24, s73, 0xcf800000, s24
	s_cvt_u32_f32 s75, s73
	s_wait_alu 0xfffe
	s_delay_alu instid0(SALU_CYCLE_1) | instskip(SKIP_1) | instid1(SALU_CYCLE_2)
	s_cvt_u32_f32 s74, s24
	s_wait_alu 0xfffe
	s_mul_u64 s[78:79], s[76:77], s[74:75]
	s_wait_alu 0xfffe
	s_mul_hi_u32 s81, s74, s79
	s_mul_i32 s80, s74, s79
	s_mul_hi_u32 s24, s74, s78
	s_mul_i32 s82, s75, s78
	s_wait_alu 0xfffe
	s_add_nc_u64 s[80:81], s[24:25], s[80:81]
	s_mul_hi_u32 s73, s75, s78
	s_mul_hi_u32 s83, s75, s79
	s_wait_alu 0xfffe
	s_add_co_u32 s24, s80, s82
	s_add_co_ci_u32 s24, s81, s73
	s_mul_i32 s78, s75, s79
	s_add_co_ci_u32 s79, s83, 0
	s_wait_alu 0xfffe
	s_add_nc_u64 s[78:79], s[24:25], s[78:79]
	s_wait_alu 0xfffe
	s_add_co_u32 s74, s74, s78
	s_cselect_b32 s24, -1, 0
	s_wait_alu 0xfffe
	s_cmp_lg_u32 s24, 0
	s_add_co_ci_u32 s75, s75, s79
	s_wait_alu 0xfffe
	s_mul_u64 s[76:77], s[76:77], s[74:75]
	s_wait_alu 0xfffe
	s_mul_hi_u32 s79, s74, s77
	s_mul_i32 s78, s74, s77
	s_mul_hi_u32 s24, s74, s76
	s_mul_i32 s80, s75, s76
	s_wait_alu 0xfffe
	s_add_nc_u64 s[78:79], s[24:25], s[78:79]
	s_mul_hi_u32 s73, s75, s76
	s_mul_hi_u32 s81, s75, s77
	s_wait_alu 0xfffe
	s_add_co_u32 s24, s78, s80
	s_add_co_ci_u32 s24, s79, s73
	s_mul_i32 s76, s75, s77
	s_add_co_ci_u32 s77, s81, 0
	s_wait_alu 0xfffe
	s_add_nc_u64 s[76:77], s[24:25], s[76:77]
	s_wait_alu 0xfffe
	s_add_co_u32 s73, s74, s76
	s_cselect_b32 s24, -1, 0
	s_wait_alu 0xfffe
	s_cmp_lg_u32 s24, 0
	s_add_co_ci_u32 s80, s75, s77
	s_ashr_i32 s74, s13, 31
	s_wait_alu 0xfffe
	s_mov_b32 s75, s74
	s_wait_alu 0xfffe
	s_add_nc_u64 s[76:77], s[12:13], s[74:75]
	s_wait_alu 0xfffe
	s_xor_b64 s[76:77], s[76:77], s[74:75]
	s_wait_alu 0xfffe
	s_mul_hi_u32 s79, s76, s80
	s_mul_i32 s78, s76, s80
	s_mul_hi_u32 s24, s76, s73
	s_mul_hi_u32 s82, s77, s73
	s_mul_i32 s73, s77, s73
	s_wait_alu 0xfffe
	s_add_nc_u64 s[78:79], s[24:25], s[78:79]
	s_mul_hi_u32 s81, s77, s80
	s_wait_alu 0xfffe
	s_add_co_u32 s24, s78, s73
	s_add_co_ci_u32 s24, s79, s82
	s_mul_i32 s80, s77, s80
	s_add_co_ci_u32 s81, s81, 0
	s_wait_alu 0xfffe
	s_add_nc_u64 s[78:79], s[24:25], s[80:81]
	s_wait_alu 0xfffe
	s_mul_u64 s[78:79], s[14:15], s[78:79]
	s_wait_alu 0xfffe
	s_sub_co_u32 s24, s76, s78
	s_cselect_b32 s73, -1, 0
	s_sub_co_i32 s76, s77, s79
	s_wait_alu 0xfffe
	s_cmp_lg_u32 s73, 0
	s_sub_co_ci_u32 s76, s76, s15
	s_sub_co_u32 s78, s24, s14
	s_cselect_b32 s80, -1, 0
	s_wait_alu 0xfffe
	s_cmp_lg_u32 s80, 0
	s_sub_co_ci_u32 s81, s76, 0
	s_wait_alu 0xfffe
	s_cmp_ge_u32 s81, s15
	s_cselect_b32 s82, -1, 0
	s_cmp_ge_u32 s78, s14
	s_cselect_b32 s83, -1, 0
	s_cmp_eq_u32 s81, s15
	s_wait_alu 0xfffe
	s_cselect_b32 s82, s83, s82
	s_cmp_lg_u32 s80, 0
	s_sub_co_ci_u32 s76, s76, s15
	s_sub_co_u32 s80, s78, s14
	s_cselect_b32 s83, -1, 0
	s_wait_alu 0xfffe
	s_cmp_lg_u32 s83, 0
	s_sub_co_ci_u32 s76, s76, 0
	s_cmp_lg_u32 s82, 0
	s_cselect_b32 s78, s80, s78
	s_wait_alu 0xfffe
	s_cselect_b32 s76, s76, s81
	s_cmp_lg_u32 s73, 0
	s_sub_co_ci_u32 s73, s77, s79
	s_wait_alu 0xfffe
	s_cmp_ge_u32 s73, s15
	s_cselect_b32 s77, -1, 0
	s_cmp_ge_u32 s24, s14
	s_cselect_b32 s14, -1, 0
	s_cmp_eq_u32 s73, s15
	s_wait_alu 0xfffe
	s_cselect_b32 s14, s14, s77
	s_wait_alu 0xfffe
	s_cmp_lg_u32 s14, 0
	s_cselect_b32 s15, s76, s73
	s_cselect_b32 s14, s78, s24
	s_wait_alu 0xfffe
	s_xor_b64 s[14:15], s[14:15], s[74:75]
	s_wait_alu 0xfffe
	s_sub_nc_u64 s[14:15], s[14:15], s[74:75]
	s_cbranch_execnz .LBB47_264
.LBB47_263:                             ;   in Loop: Header=BB47_32 Depth=1
	v_cvt_f32_u32_e32 v2, s50
	s_sub_co_i32 s15, 0, s50
	s_delay_alu instid0(VALU_DEP_1) | instskip(NEXT) | instid1(TRANS32_DEP_1)
	v_rcp_iflag_f32_e32 v2, v2
	v_mul_f32_e32 v2, 0x4f7ffffe, v2
	s_delay_alu instid0(VALU_DEP_1) | instskip(NEXT) | instid1(VALU_DEP_1)
	v_cvt_u32_f32_e32 v2, v2
	v_readfirstlane_b32 s14, v2
	s_wait_alu 0xfffe
	s_mul_i32 s15, s15, s14
	s_wait_alu 0xfffe
	s_mul_hi_u32 s15, s14, s15
	s_wait_alu 0xfffe
	s_add_co_i32 s14, s14, s15
	s_wait_alu 0xfffe
	s_mul_hi_u32 s14, s12, s14
	s_wait_alu 0xfffe
	s_mul_i32 s14, s14, s50
	s_wait_alu 0xfffe
	s_sub_co_i32 s14, s12, s14
	s_wait_alu 0xfffe
	s_sub_co_i32 s15, s14, s50
	s_cmp_ge_u32 s14, s50
	s_wait_alu 0xfffe
	s_cselect_b32 s14, s15, s14
	s_wait_alu 0xfffe
	s_sub_co_i32 s15, s14, s50
	s_cmp_ge_u32 s14, s50
	s_wait_alu 0xfffe
	s_cselect_b32 s24, s15, s14
	s_wait_alu 0xfffe
	s_mov_b64 s[14:15], s[24:25]
.LBB47_264:                             ;   in Loop: Header=BB47_32 Depth=1
	s_wait_alu 0xfffe
	s_sub_nc_u64 s[12:13], s[12:13], s[14:15]
	s_mov_b32 s14, exec_lo
                                        ; implicit-def: $vgpr6_vgpr7
	s_wait_alu 0xfffe
	v_cmpx_gt_i64_e64 s[12:13], v[0:1]
	s_cbranch_execz .LBB47_274
; %bb.265:                              ;   in Loop: Header=BB47_32 Depth=1
	v_dual_mov_b32 v12, v47 :: v_dual_mov_b32 v9, v1
	v_mov_b32_e32 v8, v0
	s_mov_b32 s15, 0
                                        ; implicit-def: $sgpr24
	s_branch .LBB47_269
.LBB47_266:                             ;   in Loop: Header=BB47_269 Depth=2
	s_wait_alu 0xfffe
	s_or_b32 exec_lo, exec_lo, s73
	s_wait_loadcnt_dscnt 0x0
	s_barrier_signal -1
	s_barrier_wait -1
	global_inv scope:SCOPE_SE
	ds_load_b128 v[4:7], v19 offset:3072
	s_wait_loadcnt_dscnt 0x0
	s_barrier_signal -1
	s_barrier_wait -1
	global_inv scope:SCOPE_SE
	v_cmp_eq_f64_e32 vcc_lo, 0, v[4:5]
	s_cbranch_vccz .LBB47_272
; %bb.267:                              ;   in Loop: Header=BB47_269 Depth=2
	v_add_co_u32 v8, vcc_lo, v8, s50
	s_wait_alu 0xfffd
	v_add_co_ci_u32_e64 v9, null, 0, v9, vcc_lo
	v_add_nc_u32_e32 v12, s90, v12
	s_mov_b32 s73, 0
	s_delay_alu instid0(VALU_DEP_2)
	v_cmp_le_i64_e32 vcc_lo, s[12:13], v[8:9]
	s_or_not1_b32 s74, vcc_lo, exec_lo
.LBB47_268:                             ;   in Loop: Header=BB47_269 Depth=2
	s_wait_alu 0xfffe
	s_and_b32 s74, exec_lo, s74
	s_wait_alu 0xfffe
	s_or_b32 s15, s74, s15
	s_and_not1_b32 s24, s24, exec_lo
	s_and_b32 s73, s73, exec_lo
	s_wait_alu 0xfffe
	s_or_b32 s24, s24, s73
	s_and_not1_b32 exec_lo, exec_lo, s15
	s_cbranch_execz .LBB47_273
.LBB47_269:                             ;   Parent Loop BB47_32 Depth=1
                                        ; =>  This Inner Loop Header: Depth=2
	s_mov_b32 s73, exec_lo
	s_delay_alu instid0(VALU_DEP_1)
	v_cmpx_gt_u64_e64 s[10:11], v[8:9]
	s_cbranch_execz .LBB47_266
; %bb.270:                              ;   in Loop: Header=BB47_269 Depth=2
	ds_load_b64 v[4:5], v12
	s_wait_dscnt 0x0
	v_cmp_o_f64_e32 vcc_lo, v[4:5], v[4:5]
	v_ashrrev_i32_e32 v2, 31, v5
	s_delay_alu instid0(VALU_DEP_1) | instskip(SKIP_1) | instid1(VALU_DEP_2)
	v_or_b32_e32 v6, 0x80000000, v2
	v_xor_b32_e32 v2, v2, v4
	v_xor_b32_e32 v6, v6, v5
	s_wait_alu 0xfffd
	s_delay_alu instid0(VALU_DEP_1) | instskip(NEXT) | instid1(VALU_DEP_1)
	v_cndmask_b32_e32 v6, -1, v6, vcc_lo
	v_dual_cndmask_b32 v2, -1, v2 :: v_dual_and_b32 v7, v6, v35
	s_delay_alu instid0(VALU_DEP_1) | instskip(NEXT) | instid1(VALU_DEP_1)
	v_and_b32_e32 v6, v2, v34
	v_cmp_eq_u64_e32 vcc_lo, v[6:7], v[32:33]
	s_and_b32 exec_lo, exec_lo, vcc_lo
	s_cbranch_execz .LBB47_266
; %bb.271:                              ;   in Loop: Header=BB47_269 Depth=2
	v_mov_b32_e32 v2, v19
	ds_store_b128 v19, v[2:5] offset:3072
	s_branch .LBB47_266
.LBB47_272:                             ;   in Loop: Header=BB47_269 Depth=2
	s_mov_b32 s74, -1
	s_mov_b32 s73, -1
                                        ; implicit-def: $vgpr8_vgpr9
                                        ; implicit-def: $vgpr12
	s_branch .LBB47_268
.LBB47_273:                             ;   in Loop: Header=BB47_32 Depth=1
	s_or_b32 exec_lo, exec_lo, s15
	s_delay_alu instid0(SALU_CYCLE_1)
	s_and_not1_b32 s5, s5, exec_lo
	s_wait_alu 0xfffe
	s_and_b32 s10, s24, exec_lo
	s_wait_alu 0xfffe
	s_or_b32 s5, s5, s10
.LBB47_274:                             ;   in Loop: Header=BB47_32 Depth=1
	s_or_b32 exec_lo, exec_lo, s14
	s_mov_b32 s14, 0
	s_mov_b32 s15, -1
.LBB47_275:                             ;   in Loop: Header=BB47_32 Depth=1
	s_wait_alu 0xfffe
	s_or_not1_b32 s10, s5, exec_lo
.LBB47_276:                             ;   in Loop: Header=BB47_32 Depth=1
	s_wait_alu 0xfffe
	s_or_b32 exec_lo, exec_lo, s72
	s_mov_b32 s11, 0
	s_and_saveexec_b32 s5, s10
	s_cbranch_execz .LBB47_287
; %bb.277:                              ;   in Loop: Header=BB47_32 Depth=1
	v_mov_b32_e32 v4, 1
	v_dual_mov_b32 v5, 0 :: v_dual_mov_b32 v38, 1
	s_xor_b32 s11, s71, -1
	s_wait_alu 0xfffe
	s_and_saveexec_b32 s10, s11
	s_cbranch_execz .LBB47_286
; %bb.278:                              ;   in Loop: Header=BB47_32 Depth=1
	s_mov_b32 s11, exec_lo
	v_cmpx_ge_i64_e64 s[6:7], v[10:11]
	s_wait_alu 0xfffe
	s_xor_b32 s11, exec_lo, s11
	s_cbranch_execz .LBB47_283
; %bb.279:                              ;   in Loop: Header=BB47_32 Depth=1
	ds_load_b64 v[4:5], v19 offset:5120
	v_or_b32_e32 v33, s9, v33
	v_or_b32_e32 v32, s8, v32
	;; [unrolled: 1-line block ×4, first 2 shown]
	s_wait_dscnt 0x0
	v_cmp_ne_u64_e32 vcc_lo, 0, v[4:5]
	s_cbranch_vccnz .LBB47_283
; %bb.280:                              ;   in Loop: Header=BB47_32 Depth=1
	s_and_saveexec_b32 s8, s2
; %bb.281:                              ;   in Loop: Header=BB47_32 Depth=1
	v_dual_mov_b32 v4, s6 :: v_dual_mov_b32 v5, s7
	ds_store_b64 v19, v[4:5] offset:5128
; %bb.282:                              ;   in Loop: Header=BB47_32 Depth=1
	s_wait_alu 0xfffe
	s_or_b32 exec_lo, exec_lo, s8
	s_wait_loadcnt_dscnt 0x0
	s_barrier_signal -1
	s_barrier_wait -1
	global_inv scope:SCOPE_SE
.LBB47_283:                             ;   in Loop: Header=BB47_32 Depth=1
	s_wait_alu 0xfffe
	s_and_not1_saveexec_b32 s8, s11
; %bb.284:                              ;   in Loop: Header=BB47_32 Depth=1
	v_sub_co_u32 v10, vcc_lo, v10, s6
	s_wait_alu 0xfffd
	v_subrev_co_ci_u32_e64 v11, null, s7, v11, vcc_lo
; %bb.285:                              ;   in Loop: Header=BB47_32 Depth=1
	s_wait_alu 0xfffe
	s_or_b32 exec_lo, exec_lo, s8
	v_mov_b32_e32 v4, v10
	s_delay_alu instid0(VALU_DEP_2)
	v_dual_mov_b32 v38, 8 :: v_dual_mov_b32 v5, v11
.LBB47_286:                             ;   in Loop: Header=BB47_32 Depth=1
	s_wait_alu 0xfffe
	s_or_b32 exec_lo, exec_lo, s10
	s_delay_alu instid0(VALU_DEP_1)
	v_dual_mov_b32 v11, v5 :: v_dual_mov_b32 v10, v4
	s_mov_b32 s11, exec_lo
.LBB47_287:                             ;   in Loop: Header=BB47_32 Depth=1
	s_wait_alu 0xfffe
	s_or_b32 exec_lo, exec_lo, s5
	s_delay_alu instid0(SALU_CYCLE_1)
	s_or_not1_b32 s5, s11, exec_lo
.LBB47_288:                             ;   in Loop: Header=BB47_32 Depth=1
	s_wait_alu 0xfffe
	s_or_b32 exec_lo, exec_lo, s17
	v_dual_mov_b32 v8, v10 :: v_dual_mov_b32 v9, v11
	s_and_not1_b32 s6, s19, exec_lo
	s_and_b32 s7, s15, exec_lo
	s_and_not1_b32 s8, s18, exec_lo
	s_and_b32 s9, s14, exec_lo
	s_wait_alu 0xfffe
	s_or_b32 s19, s6, s7
	s_or_b32 s18, s8, s9
	s_and_b32 s14, s5, exec_lo
.LBB47_289:                             ;   in Loop: Header=BB47_32 Depth=1
	s_wait_alu 0xfffe
	s_or_b32 exec_lo, exec_lo, s16
	s_delay_alu instid0(SALU_CYCLE_1)
	s_or_not1_b32 s5, s14, exec_lo
.LBB47_290:                             ;   in Loop: Header=BB47_32 Depth=1
	s_wait_alu 0xfffe
	s_or_b32 exec_lo, exec_lo, s70
	v_dual_mov_b32 v13, v9 :: v_dual_mov_b32 v12, v8
	s_and_not1_b32 s6, s68, exec_lo
	s_and_b32 s7, s19, exec_lo
	s_and_not1_b32 s8, s23, exec_lo
	s_and_b32 s9, s18, exec_lo
	s_wait_alu 0xfffe
	s_or_b32 s68, s6, s7
	s_or_b32 s23, s8, s9
	s_and_b32 s14, s5, exec_lo
.LBB47_291:                             ;   in Loop: Header=BB47_32 Depth=1
	s_wait_alu 0xfffe
	s_or_b32 exec_lo, exec_lo, s69
	s_delay_alu instid0(SALU_CYCLE_1)
	s_or_not1_b32 s5, s14, exec_lo
.LBB47_292:                             ;   in Loop: Header=BB47_32 Depth=1
	s_wait_alu 0xfffe
	s_or_b32 exec_lo, exec_lo, s22
	s_mov_b32 s6, 0
	s_and_saveexec_b32 s7, s5
	s_wait_alu 0xfffe
	s_xor_b32 s5, exec_lo, s7
	s_cbranch_execz .LBB47_30
; %bb.293:                              ;   in Loop: Header=BB47_32 Depth=1
	v_and_b32_e32 v2, 7, v38
	s_mov_b32 s7, -1
	s_mov_b32 s6, -1
	s_mov_b32 s8, exec_lo
	s_delay_alu instid0(VALU_DEP_1)
	v_cmpx_eq_u32_e32 0, v2
	s_cbranch_execz .LBB47_29
; %bb.294:                              ;   in Loop: Header=BB47_32 Depth=1
	s_xor_b32 s93, s93, 1
	s_add_co_i32 s9, s91, -2
	s_cmp_eq_u32 s91, 0
	s_wait_alu 0xfffe
	s_mov_b32 s91, s9
	s_cselect_b32 s7, -1, 0
	s_xor_b32 s6, exec_lo, -1
	s_wait_alu 0xfffe
	s_or_not1_b32 s7, s7, exec_lo
	s_branch .LBB47_29
.LBB47_295:                             ;   in Loop: Header=BB47_32 Depth=1
                                        ; implicit-def: $sgpr12_sgpr13
	s_branch .LBB47_246
.LBB47_296:                             ;   in Loop: Header=BB47_32 Depth=1
                                        ; implicit-def: $sgpr14_sgpr15
	s_branch .LBB47_263
.LBB47_297:
	s_or_b32 exec_lo, exec_lo, s92
	s_xor_b32 s5, s99, -1
	s_xor_b32 s1, s97, -1
	;; [unrolled: 1-line block ×3, first 2 shown]
	s_mov_b32 s3, 0
	s_and_saveexec_b32 s6, s1
	s_wait_alu 0xfffe
	s_xor_b32 s1, exec_lo, s6
	s_cbranch_execnz .LBB47_302
; %bb.298:
	s_and_not1_saveexec_b32 s0, s1
	s_cbranch_execnz .LBB47_324
.LBB47_299:
	s_wait_alu 0xfffe
	s_or_b32 exec_lo, exec_lo, s0
	s_and_saveexec_b32 s0, s3
.LBB47_300:
	; divergent unreachable
.LBB47_301:
	s_endpgm
.LBB47_302:
	s_and_saveexec_b32 s3, s5
	s_wait_alu 0xfffe
	s_xor_b32 s3, exec_lo, s3
	s_cbranch_execz .LBB47_322
; %bb.303:
	s_and_saveexec_b32 s5, s4
	s_wait_alu 0xfffe
	s_xor_b32 s4, exec_lo, s5
; %bb.304:
	v_lshrrev_b32_e32 v2, 31, v33
	s_delay_alu instid0(VALU_DEP_1) | instskip(SKIP_2) | instid1(VALU_DEP_2)
	v_add_co_u32 v2, s5, v2, -1
	s_wait_alu 0xf1ff
	v_add_co_ci_u32_e64 v3, null, 0, -1, s5
	v_xor_b32_e32 v6, v2, v32
	s_delay_alu instid0(VALU_DEP_2) | instskip(NEXT) | instid1(VALU_DEP_1)
	v_or_b32_e32 v3, 0x80000000, v3
	v_xor_b32_e32 v7, v3, v33
; %bb.305:
	s_wait_alu 0xfffe
	s_or_b32 exec_lo, exec_lo, s4
	s_and_saveexec_b32 s4, s2
; %bb.306:
	v_dual_mov_b32 v2, 0 :: v_dual_mov_b32 v3, s36
	ds_store_b32 v2, v3 offset:5140
; %bb.307:
	s_wait_alu 0xfffe
	s_or_b32 exec_lo, exec_lo, s4
	s_wait_loadcnt_dscnt 0x0
	s_barrier_signal -1
	s_barrier_wait -1
	global_inv scope:SCOPE_SE
	s_and_saveexec_b32 s4, s0
	s_cbranch_execz .LBB47_319
; %bb.308:
	v_cmp_u_f64_e32 vcc_lo, v[6:7], v[6:7]
	v_mov_b32_e32 v2, 0
	s_mov_b32 s5, 0
                                        ; implicit-def: $sgpr7
                                        ; implicit-def: $sgpr8
                                        ; implicit-def: $sgpr9
	ds_load_b32 v4, v2 offset:5140
	s_wait_dscnt 0x0
	v_ashrrev_i32_e32 v5, 31, v4
	s_xor_b32 s6, vcc_lo, -1
	s_branch .LBB47_311
.LBB47_309:                             ;   in Loop: Header=BB47_311 Depth=1
	s_wait_alu 0xfffe
	s_or_b32 exec_lo, exec_lo, s13
	s_delay_alu instid0(SALU_CYCLE_1)
	s_and_not1_b32 s0, s9, exec_lo
	s_and_b32 s9, s11, exec_lo
	s_and_not1_b32 s8, s8, exec_lo
	s_and_b32 s11, s12, exec_lo
	s_wait_alu 0xfffe
	s_or_b32 s9, s0, s9
	s_or_b32 s8, s8, s11
.LBB47_310:                             ;   in Loop: Header=BB47_311 Depth=1
	s_wait_alu 0xfffe
	s_or_b32 exec_lo, exec_lo, s10
	s_delay_alu instid0(SALU_CYCLE_1)
	s_and_b32 s0, exec_lo, s8
	s_wait_alu 0xfffe
	s_or_b32 s5, s0, s5
	s_and_not1_b32 s0, s7, exec_lo
	s_and_b32 s7, s9, exec_lo
	s_wait_alu 0xfffe
	s_or_b32 s7, s0, s7
	s_and_not1_b32 exec_lo, exec_lo, s5
	s_cbranch_execz .LBB47_314
.LBB47_311:                             ; =>This Inner Loop Header: Depth=1
	v_dual_mov_b32 v3, v1 :: v_dual_mov_b32 v2, v0
	s_or_b32 s9, s9, exec_lo
	s_or_b32 s8, s8, exec_lo
	s_mov_b32 s10, exec_lo
                                        ; implicit-def: $vgpr0_vgpr1
	s_delay_alu instid0(VALU_DEP_1)
	v_cmpx_lt_i64_e64 v[2:3], v[4:5]
	s_cbranch_execz .LBB47_310
; %bb.312:                              ;   in Loop: Header=BB47_311 Depth=1
	global_load_b64 v[0:1], v[16:17], off
	s_mov_b32 s12, -1
	s_wait_loadcnt 0x0
	v_cmp_o_f64_e32 vcc_lo, v[0:1], v[0:1]
	v_cmp_neq_f64_e64 s0, v[0:1], v[6:7]
                                        ; implicit-def: $vgpr0_vgpr1
	s_wait_alu 0xfffe
	s_or_b32 s11, vcc_lo, s6
	s_wait_alu 0xfffe
	s_and_b32 s0, s0, s11
	s_mov_b32 s11, 0
	s_wait_alu 0xfffe
	s_and_saveexec_b32 s13, s0
	s_cbranch_execz .LBB47_309
; %bb.313:                              ;   in Loop: Header=BB47_311 Depth=1
	v_add_co_u32 v0, vcc_lo, v2, s50
	s_wait_alu 0xfffd
	v_add_co_ci_u32_e64 v1, null, 0, v3, vcc_lo
	v_add_co_u32 v16, s0, v16, s52
	s_wait_alu 0xf1ff
	v_add_co_ci_u32_e64 v17, null, s53, v17, s0
	s_delay_alu instid0(VALU_DEP_3)
	v_cmp_le_i64_e32 vcc_lo, s[36:37], v[0:1]
	s_mov_b32 s11, exec_lo
	s_or_not1_b32 s12, vcc_lo, exec_lo
	s_branch .LBB47_309
.LBB47_314:
	s_or_b32 exec_lo, exec_lo, s5
	s_wait_alu 0xfffe
	s_xor_b32 s0, s7, -1
	s_wait_alu 0xfffe
	s_and_saveexec_b32 s5, s0
	s_wait_alu 0xfffe
	s_xor_b32 s5, exec_lo, s5
	s_cbranch_execz .LBB47_319
; %bb.315:
	s_mov_b32 s5, exec_lo
	s_brev_b32 s0, -2
.LBB47_316:                             ; =>This Inner Loop Header: Depth=1
	s_wait_alu 0xfffe
	s_ctz_i32_b32 s6, s5
	s_wait_alu 0xfffe
	v_readlane_b32 s7, v2, s6
	s_lshl_b32 s6, 1, s6
	s_wait_alu 0xfffe
	s_and_not1_b32 s5, s5, s6
	s_min_i32 s0, s0, s7
	s_wait_alu 0xfffe
	s_cmp_lg_u32 s5, 0
	s_cbranch_scc1 .LBB47_316
; %bb.317:
	v_mbcnt_lo_u32_b32 v0, exec_lo, 0
	s_mov_b32 s5, exec_lo
	s_delay_alu instid0(VALU_DEP_1)
	v_cmpx_eq_u32_e32 0, v0
	s_wait_alu 0xfffe
	s_xor_b32 s5, exec_lo, s5
; %bb.318:
	v_dual_mov_b32 v0, 0 :: v_dual_mov_b32 v1, s0
	ds_min_i32 v0, v1 offset:5140
.LBB47_319:
	s_wait_alu 0xfffe
	s_or_b32 exec_lo, exec_lo, s4
	s_wait_loadcnt_dscnt 0x0
	s_barrier_signal -1
	s_barrier_wait -1
	global_inv scope:SCOPE_SE
	s_and_saveexec_b32 s0, s2
	s_cbranch_execz .LBB47_321
; %bb.320:
	v_mov_b32_e32 v2, 0
	s_mul_u64 s[6:7], s[48:49], s[34:35]
	s_mul_u64 s[4:5], s[40:41], s[28:29]
	s_wait_alu 0xfffe
	s_lshl_b64 s[6:7], s[6:7], 3
	s_lshl_b64 s[4:5], s[4:5], 3
	ds_load_b32 v0, v2 offset:5140
	s_lshl_b64 s[10:11], s[30:31], 3
	s_wait_alu 0xfffe
	s_add_nc_u64 s[6:7], s[46:47], s[6:7]
	s_lshl_b64 s[8:9], s[26:27], 3
	s_add_nc_u64 s[4:5], s[44:45], s[4:5]
	s_wait_alu 0xfffe
	s_add_nc_u64 s[6:7], s[6:7], s[10:11]
	s_add_nc_u64 s[4:5], s[4:5], s[8:9]
	s_wait_dscnt 0x0
	v_ashrrev_i32_e32 v1, 31, v0
	s_clause 0x1
	global_store_b64 v2, v[0:1], s[6:7]
	global_store_b64 v2, v[6:7], s[4:5]
.LBB47_321:
	s_wait_alu 0xfffe
	s_or_b32 exec_lo, exec_lo, s0
.LBB47_322:
	s_wait_alu 0xfffe
	s_or_saveexec_b32 s0, s3
	s_mov_b32 s2, 0
	s_wait_alu 0xfffe
	s_xor_b32 exec_lo, exec_lo, s0
	s_cbranch_execnz .LBB47_325
.LBB47_323:
	s_or_b32 exec_lo, exec_lo, s0
	s_wait_alu 0xfffe
	s_and_b32 s3, s2, exec_lo
	s_and_not1_saveexec_b32 s0, s1
	s_cbranch_execz .LBB47_299
.LBB47_324:
	s_wait_alu 0xfffe
	s_or_b32 s3, s3, exec_lo
	s_trap 2
	s_or_b32 exec_lo, exec_lo, s0
	s_wait_alu 0xfffe
	s_and_saveexec_b32 s0, s3
	s_cbranch_execnz .LBB47_300
	s_branch .LBB47_301
.LBB47_325:
	s_mov_b32 s2, exec_lo
	s_trap 2
	s_branch .LBB47_323
	.section	.rodata,"a",@progbits
	.p2align	6, 0x0
	.amdhsa_kernel _ZN2at6native12_GLOBAL__N_114gatherKthValueIdlLin1EEEvNS_4cuda6detail10TensorInfoIKT_T0_EES8_S8_S8_S8_NS5_IS6_S8_EENS5_IlS8_EE
		.amdhsa_group_segment_fixed_size 5144
		.amdhsa_private_segment_fixed_size 0
		.amdhsa_kernarg_size 1536
		.amdhsa_user_sgpr_count 2
		.amdhsa_user_sgpr_dispatch_ptr 0
		.amdhsa_user_sgpr_queue_ptr 0
		.amdhsa_user_sgpr_kernarg_segment_ptr 1
		.amdhsa_user_sgpr_dispatch_id 0
		.amdhsa_user_sgpr_private_segment_size 0
		.amdhsa_wavefront_size32 1
		.amdhsa_uses_dynamic_stack 0
		.amdhsa_enable_private_segment 0
		.amdhsa_system_sgpr_workgroup_id_x 1
		.amdhsa_system_sgpr_workgroup_id_y 1
		.amdhsa_system_sgpr_workgroup_id_z 1
		.amdhsa_system_sgpr_workgroup_info 0
		.amdhsa_system_vgpr_workitem_id 0
		.amdhsa_next_free_vgpr 73
		.amdhsa_next_free_sgpr 100
		.amdhsa_reserve_vcc 1
		.amdhsa_float_round_mode_32 0
		.amdhsa_float_round_mode_16_64 0
		.amdhsa_float_denorm_mode_32 3
		.amdhsa_float_denorm_mode_16_64 3
		.amdhsa_fp16_overflow 0
		.amdhsa_workgroup_processor_mode 1
		.amdhsa_memory_ordered 1
		.amdhsa_forward_progress 1
		.amdhsa_inst_pref_size 174
		.amdhsa_round_robin_scheduling 0
		.amdhsa_exception_fp_ieee_invalid_op 0
		.amdhsa_exception_fp_denorm_src 0
		.amdhsa_exception_fp_ieee_div_zero 0
		.amdhsa_exception_fp_ieee_overflow 0
		.amdhsa_exception_fp_ieee_underflow 0
		.amdhsa_exception_fp_ieee_inexact 0
		.amdhsa_exception_int_div_zero 0
	.end_amdhsa_kernel
	.section	.text._ZN2at6native12_GLOBAL__N_114gatherKthValueIdlLin1EEEvNS_4cuda6detail10TensorInfoIKT_T0_EES8_S8_S8_S8_NS5_IS6_S8_EENS5_IlS8_EE,"axG",@progbits,_ZN2at6native12_GLOBAL__N_114gatherKthValueIdlLin1EEEvNS_4cuda6detail10TensorInfoIKT_T0_EES8_S8_S8_S8_NS5_IS6_S8_EENS5_IlS8_EE,comdat
.Lfunc_end47:
	.size	_ZN2at6native12_GLOBAL__N_114gatherKthValueIdlLin1EEEvNS_4cuda6detail10TensorInfoIKT_T0_EES8_S8_S8_S8_NS5_IS6_S8_EENS5_IlS8_EE, .Lfunc_end47-_ZN2at6native12_GLOBAL__N_114gatherKthValueIdlLin1EEEvNS_4cuda6detail10TensorInfoIKT_T0_EES8_S8_S8_S8_NS5_IS6_S8_EENS5_IlS8_EE
                                        ; -- End function
	.set _ZN2at6native12_GLOBAL__N_114gatherKthValueIdlLin1EEEvNS_4cuda6detail10TensorInfoIKT_T0_EES8_S8_S8_S8_NS5_IS6_S8_EENS5_IlS8_EE.num_vgpr, 73
	.set _ZN2at6native12_GLOBAL__N_114gatherKthValueIdlLin1EEEvNS_4cuda6detail10TensorInfoIKT_T0_EES8_S8_S8_S8_NS5_IS6_S8_EENS5_IlS8_EE.num_agpr, 0
	.set _ZN2at6native12_GLOBAL__N_114gatherKthValueIdlLin1EEEvNS_4cuda6detail10TensorInfoIKT_T0_EES8_S8_S8_S8_NS5_IS6_S8_EENS5_IlS8_EE.numbered_sgpr, 100
	.set _ZN2at6native12_GLOBAL__N_114gatherKthValueIdlLin1EEEvNS_4cuda6detail10TensorInfoIKT_T0_EES8_S8_S8_S8_NS5_IS6_S8_EENS5_IlS8_EE.num_named_barrier, 0
	.set _ZN2at6native12_GLOBAL__N_114gatherKthValueIdlLin1EEEvNS_4cuda6detail10TensorInfoIKT_T0_EES8_S8_S8_S8_NS5_IS6_S8_EENS5_IlS8_EE.private_seg_size, 0
	.set _ZN2at6native12_GLOBAL__N_114gatherKthValueIdlLin1EEEvNS_4cuda6detail10TensorInfoIKT_T0_EES8_S8_S8_S8_NS5_IS6_S8_EENS5_IlS8_EE.uses_vcc, 1
	.set _ZN2at6native12_GLOBAL__N_114gatherKthValueIdlLin1EEEvNS_4cuda6detail10TensorInfoIKT_T0_EES8_S8_S8_S8_NS5_IS6_S8_EENS5_IlS8_EE.uses_flat_scratch, 0
	.set _ZN2at6native12_GLOBAL__N_114gatherKthValueIdlLin1EEEvNS_4cuda6detail10TensorInfoIKT_T0_EES8_S8_S8_S8_NS5_IS6_S8_EENS5_IlS8_EE.has_dyn_sized_stack, 0
	.set _ZN2at6native12_GLOBAL__N_114gatherKthValueIdlLin1EEEvNS_4cuda6detail10TensorInfoIKT_T0_EES8_S8_S8_S8_NS5_IS6_S8_EENS5_IlS8_EE.has_recursion, 0
	.set _ZN2at6native12_GLOBAL__N_114gatherKthValueIdlLin1EEEvNS_4cuda6detail10TensorInfoIKT_T0_EES8_S8_S8_S8_NS5_IS6_S8_EENS5_IlS8_EE.has_indirect_call, 0
	.section	.AMDGPU.csdata,"",@progbits
; Kernel info:
; codeLenInByte = 22272
; TotalNumSgprs: 102
; NumVgprs: 73
; ScratchSize: 0
; MemoryBound: 0
; FloatMode: 240
; IeeeMode: 1
; LDSByteSize: 5144 bytes/workgroup (compile time only)
; SGPRBlocks: 0
; VGPRBlocks: 9
; NumSGPRsForWavesPerEU: 102
; NumVGPRsForWavesPerEU: 73
; Occupancy: 16
; WaveLimiterHint : 1
; COMPUTE_PGM_RSRC2:SCRATCH_EN: 0
; COMPUTE_PGM_RSRC2:USER_SGPR: 2
; COMPUTE_PGM_RSRC2:TRAP_HANDLER: 0
; COMPUTE_PGM_RSRC2:TGID_X_EN: 1
; COMPUTE_PGM_RSRC2:TGID_Y_EN: 1
; COMPUTE_PGM_RSRC2:TGID_Z_EN: 1
; COMPUTE_PGM_RSRC2:TIDIG_COMP_CNT: 0
	.section	.text._ZN2at6native12_GLOBAL__N_114gatherKthValueIfiLi1EEEvNS_4cuda6detail10TensorInfoIKT_T0_EES8_S8_S8_S8_NS5_IS6_S8_EENS5_IlS8_EE,"axG",@progbits,_ZN2at6native12_GLOBAL__N_114gatherKthValueIfiLi1EEEvNS_4cuda6detail10TensorInfoIKT_T0_EES8_S8_S8_S8_NS5_IS6_S8_EENS5_IlS8_EE,comdat
	.globl	_ZN2at6native12_GLOBAL__N_114gatherKthValueIfiLi1EEEvNS_4cuda6detail10TensorInfoIKT_T0_EES8_S8_S8_S8_NS5_IS6_S8_EENS5_IlS8_EE ; -- Begin function _ZN2at6native12_GLOBAL__N_114gatherKthValueIfiLi1EEEvNS_4cuda6detail10TensorInfoIKT_T0_EES8_S8_S8_S8_NS5_IS6_S8_EENS5_IlS8_EE
	.p2align	8
	.type	_ZN2at6native12_GLOBAL__N_114gatherKthValueIfiLi1EEEvNS_4cuda6detail10TensorInfoIKT_T0_EES8_S8_S8_S8_NS5_IS6_S8_EENS5_IlS8_EE,@function
_ZN2at6native12_GLOBAL__N_114gatherKthValueIfiLi1EEEvNS_4cuda6detail10TensorInfoIKT_T0_EES8_S8_S8_S8_NS5_IS6_S8_EENS5_IlS8_EE: ; @_ZN2at6native12_GLOBAL__N_114gatherKthValueIfiLi1EEEvNS_4cuda6detail10TensorInfoIKT_T0_EES8_S8_S8_S8_NS5_IS6_S8_EENS5_IlS8_EE
; %bb.0:
	s_clause 0x1
	s_load_b64 s[4:5], s[0:1], 0x298
	s_load_b128 s[36:39], s[0:1], 0xd8
	s_lshr_b32 s2, ttmp7, 16
	s_and_b32 s3, ttmp7, 0xffff
	s_wait_kmcnt 0x0
	s_mul_i32 s2, s5, s2
	s_delay_alu instid0(SALU_CYCLE_1) | instskip(NEXT) | instid1(SALU_CYCLE_1)
	s_add_co_i32 s2, s2, s3
	s_mul_i32 s29, s2, s4
	s_delay_alu instid0(SALU_CYCLE_1) | instskip(NEXT) | instid1(SALU_CYCLE_1)
	s_add_co_i32 s29, s29, ttmp9
	s_cmp_ge_i32 s29, s38
	s_cbranch_scc1 .LBB48_242
; %bb.1:
	s_clause 0x1
	s_load_b32 s3, s[0:1], 0x6c
	s_load_b64 s[6:7], s[0:1], 0x0
	v_cmp_eq_u32_e64 s2, 0, v0
	s_add_nc_u64 s[10:11], s[0:1], 0x298
	s_mov_b32 s41, 0
	s_and_saveexec_b32 s5, s2
; %bb.2:
	v_dual_mov_b32 v1, 0 :: v_dual_mov_b32 v2, s36
	s_delay_alu instid0(VALU_DEP_1)
	v_mov_b32_e32 v3, v1
	ds_store_b96 v1, v[1:3] offset:4096
; %bb.3:
	s_or_b32 exec_lo, exec_lo, s5
	s_wait_dscnt 0x0
	s_barrier_signal -1
	s_barrier_wait -1
	global_inv scope:SCOPE_SE
	s_load_b32 s5, s[10:11], 0xc
	s_clause 0x3
	s_load_b32 s33, s[0:1], 0x22c
	s_load_b64 s[30:31], s[0:1], 0x1c0
	s_load_b32 s38, s[0:1], 0x154
	s_load_b64 s[34:35], s[0:1], 0xe8
	v_mbcnt_lo_u32_b32 v19, -1, 0
	s_wait_kmcnt 0x0
	s_mul_i32 s8, s3, s29
	v_cmp_gt_u32_e32 vcc_lo, 32, v0
	s_ashr_i32 s9, s8, 31
	v_lshrrev_b32_e32 v3, 1, v0
	v_cmp_gt_i32_e64 s3, 4, v19
	s_lshl_b64 s[8:9], s[8:9], 2
	s_movk_i32 s12, 0x1f0
	s_add_nc_u64 s[42:43], s[6:7], s[8:9]
	v_and_or_b32 v21, v3, s12, 0xc00
	s_and_b32 s51, vcc_lo, s3
	v_dual_mov_b32 v7, 0 :: v_dual_lshlrev_b32 v18, 2, v0
	v_mul_lo_u32 v5, s39, v0
	v_cmp_gt_u32_e64 s0, 2, v0
	s_and_b32 s50, s5, 0xffff
	s_bfe_u32 s5, s5, 0xb0005
	s_lshl_b32 s52, s50, 2
	s_add_co_i32 s53, s50, -1
	s_cvt_f32_u32 s3, s52
	s_add_co_i32 s62, s53, s36
	s_cmp_gt_i32 s36, 0x300
	s_cvt_f32_u32 s14, s50
	v_rcp_iflag_f32_e32 v1, s3
	s_cselect_b32 s55, -1, 0
	s_cmp_gt_u32 s50, 31
	v_rcp_iflag_f32_e32 v4, s14
	s_cselect_b32 s56, -1, 0
	s_cmp_lt_u32 ttmp9, s4
	v_dual_mov_b32 v6, v7 :: v_dual_lshlrev_b32 v27, 2, v5
	s_cselect_b32 s40, 12, 18
	s_add_co_i32 s4, s5, -1
	s_delay_alu instid0(TRANS32_DEP_2)
	v_readfirstlane_b32 s13, v1
	s_and_b32 s4, s4, 0xffff
	s_bfe_u32 s57, s50, 0x30005
	s_cmp_gt_u32 s4, 6
	v_lshlrev_b64_e64 v[1:2], v19, -1
	s_mul_f32 s4, s13, 0x4f7ffffe
	s_cselect_b32 s58, -1, 0
	s_and_b32 s59, s5, 0x7f8
	s_cmp_lg_u32 s57, 0
	s_cvt_u32_f32 s5, s4
	s_cselect_b32 s60, -1, 0
	s_sub_co_i32 s4, 0, s52
	v_lshlrev_b64_e32 v[2:3], 2, v[5:6]
	s_mul_i32 s13, s4, s5
	v_not_b32_e32 v23, v1
	s_wait_alu 0xfffe
	s_mul_hi_u32 s13, s5, s13
	v_cmp_gt_u32_e64 s1, s36, v0
	s_wait_alu 0xfffe
	s_add_co_i32 s44, s5, s13
	v_readfirstlane_b32 s13, v4
	s_mul_hi_u32 s5, s36, s44
	v_add_co_u32 v8, vcc_lo, s42, v2
	s_mul_i32 s5, s5, s52
	s_mul_f32 s13, s13, 0x4f7ffffe
	s_sub_co_i32 s5, s36, s5
	v_add_co_ci_u32_e64 v9, null, s43, v3, vcc_lo
	s_sub_co_i32 s12, s5, s52
	s_cmp_ge_u32 s5, s52
	s_wait_alu 0xfffe
	s_cvt_u32_f32 s7, s13
	s_cselect_b32 s5, s12, s5
	s_mov_b32 s12, s39
	s_sub_co_i32 s6, s5, s52
	s_cmp_ge_u32 s5, s52
	s_wait_alu 0xfffe
	v_mad_co_u64_u32 v[12:13], null, s39, v18, s[12:13]
	s_cselect_b32 s9, s6, s5
	v_mov_b32_e32 v13, 1.0
	s_sub_co_i32 s61, s36, s9
	s_sub_co_i32 s5, 0, s50
	v_add_nc_u32_e32 v22, s61, v0
	s_mul_i32 s5, s5, s7
	s_abs_i32 s6, s62
	s_mul_hi_u32 s5, s7, s5
	v_or_b32_e32 v3, 3, v18
	v_mul_lo_u32 v10, v22, s39
	s_add_co_i32 s46, s7, s5
	s_ashr_i32 s7, s62, 31
	s_mul_hi_u32 s5, s6, s46
	v_mul_lo_u32 v26, s39, v3
	s_mul_i32 s5, s5, s50
	v_cmp_gt_i32_e64 s3, s36, v0
	s_sub_co_i32 s5, s6, s5
	v_ashrrev_i32_e32 v11, 31, v10
	s_sub_co_i32 s6, s5, s50
	s_cmp_ge_u32 s5, s50
	v_cmp_eq_u32_e64 s4, 0, v19
	s_cselect_b32 s6, s6, s5
	v_lshlrev_b64_e32 v[1:2], 2, v[10:11]
	s_sub_co_i32 s8, s6, s50
	s_cmp_ge_u32 s6, s50
	v_dual_mov_b32 v33, s37 :: v_dual_add_nc_u32 v20, 0xc00, v18
	s_cselect_b32 s8, s8, s6
	s_delay_alu instid0(VALU_DEP_2)
	v_add_co_u32 v10, vcc_lo, s42, v1
	v_add3_u32 v1, s50, s36, v0
	s_wait_alu 0xfffd
	v_add_co_ci_u32_e64 v11, null, s43, v2, vcc_lo
	v_or_b32_e32 v2, 2, v18
	s_xor_b32 s8, s8, s7
	v_subrev_nc_u32_e32 v1, s9, v1
	s_sub_co_i32 s8, s7, s8
	v_cmp_gt_i32_e64 s5, s61, v18
	v_mul_lo_u32 v25, s39, v2
	s_wait_alu 0xfffe
	s_add_co_i32 s62, s62, s8
	v_mul_lo_u32 v28, s39, v1
	v_cmp_gt_u32_e64 s6, s36, v22
	v_cmp_gt_i32_e64 s7, s36, v22
	v_cmp_gt_i32_e64 s8, s62, v0
	v_dual_mov_b32 v24, 0 :: v_dual_lshlrev_b32 v29, 4, v0
	v_lshl_or_b32 v30, v19, 2, 0xc00
	v_dual_mov_b32 v15, 0 :: v_dual_mov_b32 v32, 0
	v_mov_b32_e32 v31, 0
	s_mul_i32 s54, s39, s50
	s_mov_b32 s45, s41
	s_mov_b32 s47, s41
	s_lshl_b32 s63, s54, 2
	s_lshl_b32 s64, s50, 4
	s_mov_b32 s71, 30
	s_add_nc_u64 s[48:49], s[10:11], s[40:41]
	s_mov_b32 s37, 0
                                        ; implicit-def: $sgpr68
                                        ; implicit-def: $sgpr70
                                        ; implicit-def: $sgpr65
                                        ; implicit-def: $sgpr67
                                        ; implicit-def: $sgpr69
                                        ; implicit-def: $sgpr66
	s_branch .LBB48_7
.LBB48_4:                               ;   in Loop: Header=BB48_7 Depth=1
	s_wait_alu 0xfffe
	s_or_b32 exec_lo, exec_lo, s13
	s_delay_alu instid0(SALU_CYCLE_1)
	s_and_b32 s10, s10, exec_lo
	s_and_not1_b32 s15, s15, exec_lo
	s_and_not1_b32 s14, s14, exec_lo
	s_or_not1_b32 s12, s12, exec_lo
.LBB48_5:                               ;   in Loop: Header=BB48_7 Depth=1
	s_wait_alu 0xfffe
	s_or_b32 exec_lo, exec_lo, s9
	s_delay_alu instid0(SALU_CYCLE_1)
	s_and_not1_b32 s9, s66, exec_lo
	s_and_b32 s10, s10, exec_lo
	s_and_not1_b32 s13, s67, exec_lo
	s_wait_alu 0xfffe
	s_or_b32 s66, s9, s10
	s_and_not1_b32 s9, s69, exec_lo
	s_and_b32 s10, s15, exec_lo
	s_and_b32 s14, s14, exec_lo
	s_wait_alu 0xfffe
	s_or_b32 s69, s9, s10
	s_or_b32 s67, s13, s14
	s_or_not1_b32 s13, s12, exec_lo
.LBB48_6:                               ;   in Loop: Header=BB48_7 Depth=1
	s_wait_alu 0xfffe
	s_or_b32 exec_lo, exec_lo, s11
	s_delay_alu instid0(SALU_CYCLE_1)
	s_and_b32 s9, exec_lo, s13
	v_mov_b32_e32 v33, v4
	s_wait_alu 0xfffe
	s_or_b32 s37, s9, s37
	s_and_not1_b32 s9, s65, exec_lo
	s_and_b32 s10, s66, exec_lo
	s_and_not1_b32 s11, s70, exec_lo
	s_wait_alu 0xfffe
	s_or_b32 s65, s9, s10
	s_and_b32 s9, s69, exec_lo
	s_and_not1_b32 s10, s68, exec_lo
	s_and_b32 s12, s67, exec_lo
	s_wait_alu 0xfffe
	s_or_b32 s70, s11, s9
	s_or_b32 s68, s10, s12
	s_mov_b32 s71, s21
	s_and_not1_b32 exec_lo, exec_lo, s37
	s_cbranch_execz .LBB48_238
.LBB48_7:                               ; =>This Loop Header: Depth=1
                                        ;     Child Loop BB48_13 Depth 2
                                        ;     Child Loop BB48_28 Depth 2
	;; [unrolled: 1-line block ×16, first 2 shown]
	ds_load_b64 v[1:2], v7 offset:4096
	s_wait_dscnt 0x0
	v_readfirstlane_b32 s40, v1
	s_cmp_gt_i32 s40, 0
	s_cbranch_scc1 .LBB48_35
; %bb.8:                                ;   in Loop: Header=BB48_7 Depth=1
	s_and_b32 vcc_lo, exec_lo, s55
	s_wait_alu 0xfffe
	s_cbranch_vccz .LBB48_21
; %bb.9:                                ;   in Loop: Header=BB48_7 Depth=1
	v_cmp_gt_i32_e32 vcc_lo, 0x301, v2
	s_mov_b32 s10, 0
	s_mov_b32 s9, 0
	s_cbranch_vccz .LBB48_22
; %bb.10:                               ;   in Loop: Header=BB48_7 Depth=1
	s_and_saveexec_b32 s11, s1
	s_cbranch_execz .LBB48_67
; %bb.11:                               ;   in Loop: Header=BB48_7 Depth=1
	global_load_b32 v1, v[8:9], off
	s_load_u16 s12, s[48:49], 0x0
	s_mov_b32 s14, 0
	s_wait_kmcnt 0x0
	v_add_nc_u32_e32 v2, s12, v0
	s_mul_i32 s13, s39, s12
	s_delay_alu instid0(VALU_DEP_1)
	v_mul_lo_u32 v6, s39, v2
	v_mov_b32_e32 v2, v0
	s_branch .LBB48_13
.LBB48_12:                              ;   in Loop: Header=BB48_13 Depth=2
	s_wait_alu 0xfffe
	s_or_b32 exec_lo, exec_lo, s9
	v_cmp_le_i32_e32 vcc_lo, s36, v2
	v_dual_mov_b32 v1, v3 :: v_dual_add_nc_u32 v6, s13, v6
	s_or_b32 s14, vcc_lo, s14
	s_wait_alu 0xfffe
	s_and_not1_b32 exec_lo, exec_lo, s14
	s_cbranch_execz .LBB48_67
.LBB48_13:                              ;   Parent Loop BB48_7 Depth=1
                                        ; =>  This Inner Loop Header: Depth=2
	s_delay_alu instid0(VALU_DEP_1) | instskip(SKIP_3) | instid1(VALU_DEP_2)
	v_dual_mov_b32 v3, 0 :: v_dual_add_nc_u32 v2, s12, v2
	s_wait_dscnt 0x0
	v_mov_b32_e32 v4, 0
	s_mov_b32 s9, exec_lo
	v_cmpx_gt_u32_e64 s36, v2
	s_cbranch_execz .LBB48_15
; %bb.14:                               ;   in Loop: Header=BB48_13 Depth=2
	v_lshlrev_b64_e32 v[16:17], 2, v[6:7]
	s_delay_alu instid0(VALU_DEP_1) | instskip(SKIP_1) | instid1(VALU_DEP_2)
	v_add_co_u32 v16, vcc_lo, s42, v16
	s_wait_alu 0xfffd
	v_add_co_ci_u32_e64 v17, null, s43, v17, vcc_lo
	global_load_b32 v3, v[16:17], off
.LBB48_15:                              ;   in Loop: Header=BB48_13 Depth=2
	s_wait_alu 0xfffe
	s_or_b32 exec_lo, exec_lo, s9
	s_wait_loadcnt 0x0
	v_cmp_lt_i32_e32 vcc_lo, -1, v1
	s_wait_alu 0xfffd
	v_cndmask_b32_e64 v14, -1, 0x80000000, vcc_lo
	v_cmp_o_f32_e32 vcc_lo, v1, v1
	s_delay_alu instid0(VALU_DEP_2) | instskip(SKIP_1) | instid1(VALU_DEP_1)
	v_xor_b32_e32 v14, v14, v1
	s_wait_alu 0xfffd
	v_cndmask_b32_e32 v14, -1, v14, vcc_lo
	s_delay_alu instid0(VALU_DEP_1) | instskip(NEXT) | instid1(VALU_DEP_1)
	v_and_b32_e32 v14, v14, v32
	v_cmp_eq_u32_e32 vcc_lo, v14, v24
	s_cmp_lg_u32 vcc_lo, 0
	s_cselect_b32 s9, -1, 0
	s_wait_alu 0xfffe
	s_and_b32 s9, s4, s9
	s_wait_alu 0xfffe
	s_and_saveexec_b32 s15, s9
	s_cbranch_execz .LBB48_19
; %bb.16:                               ;   in Loop: Header=BB48_13 Depth=2
	s_mov_b32 s18, exec_lo
	s_bcnt1_i32_b32 s16, vcc_lo
	s_wait_alu 0xfffe
	v_mbcnt_lo_u32_b32 v4, s18, 0
	s_mov_b32 s17, exec_lo
                                        ; implicit-def: $vgpr14
	s_delay_alu instid0(VALU_DEP_1)
	v_cmpx_eq_u32_e32 0, v4
; %bb.17:                               ;   in Loop: Header=BB48_13 Depth=2
	s_bcnt1_i32_b32 s9, s18
	s_wait_alu 0xfffe
	s_mul_i32 s9, s16, s9
	s_wait_alu 0xfffe
	v_mov_b32_e32 v14, s9
	ds_add_rtn_u32 v14, v7, v14 offset:4104
; %bb.18:                               ;   in Loop: Header=BB48_13 Depth=2
	s_or_b32 exec_lo, exec_lo, s17
	s_wait_dscnt 0x0
	v_readfirstlane_b32 s9, v14
	s_wait_alu 0xf1ff
	s_delay_alu instid0(VALU_DEP_1)
	v_mad_u32_u24 v4, s16, v4, s9
.LBB48_19:                              ;   in Loop: Header=BB48_13 Depth=2
	s_wait_alu 0xfffe
	s_or_b32 exec_lo, exec_lo, s15
	ds_bpermute_b32 v4, v7, v4
	s_and_saveexec_b32 s9, vcc_lo
	s_cbranch_execz .LBB48_12
; %bb.20:                               ;   in Loop: Header=BB48_13 Depth=2
	v_and_b32_e32 v14, vcc_lo, v23
	s_delay_alu instid0(VALU_DEP_1) | instskip(NEXT) | instid1(VALU_DEP_1)
	v_bcnt_u32_b32 v14, v14, 0
	v_lshlrev_b32_e32 v14, 2, v14
	s_wait_dscnt 0x0
	s_delay_alu instid0(VALU_DEP_1)
	v_lshl_add_u32 v4, v4, 2, v14
	ds_store_b32 v4, v1
	s_branch .LBB48_12
.LBB48_21:                              ;   in Loop: Header=BB48_7 Depth=1
	s_mov_b32 s10, -1
	s_mov_b32 s9, 0
.LBB48_22:                              ;   in Loop: Header=BB48_7 Depth=1
	s_wait_alu 0xfffe
	s_and_b32 vcc_lo, exec_lo, s10
	s_wait_alu 0xfffe
	s_cbranch_vccz .LBB48_33
.LBB48_23:                              ;   in Loop: Header=BB48_7 Depth=1
	v_mov_b32_e32 v1, 0
	s_and_saveexec_b32 s9, s1
	s_cbranch_execz .LBB48_25
; %bb.24:                               ;   in Loop: Header=BB48_7 Depth=1
	global_load_b32 v1, v[8:9], off
.LBB48_25:                              ;   in Loop: Header=BB48_7 Depth=1
	s_wait_alu 0xfffe
	s_or_b32 exec_lo, exec_lo, s9
	s_and_saveexec_b32 s9, s3
	s_cbranch_execz .LBB48_30
; %bb.26:                               ;   in Loop: Header=BB48_7 Depth=1
	s_load_u16 s10, s[48:49], 0x0
	s_mov_b32 s13, 0
	s_wait_kmcnt 0x0
	v_dual_mov_b32 v3, v0 :: v_dual_add_nc_u32 v2, s10, v0
	s_lshl_b32 s11, s10, 2
	s_mul_i32 s12, s39, s10
	s_delay_alu instid0(VALU_DEP_1)
	v_mul_lo_u32 v6, s39, v2
	v_mov_b32_e32 v2, v18
	s_branch .LBB48_28
.LBB48_27:                              ;   in Loop: Header=BB48_28 Depth=2
	s_wait_alu 0xfffe
	s_or_b32 exec_lo, exec_lo, s14
	v_cmp_le_i32_e32 vcc_lo, s36, v3
	s_wait_loadcnt 0x0
	ds_store_b32 v2, v1
	v_dual_mov_b32 v1, v4 :: v_dual_add_nc_u32 v2, s11, v2
	v_add_nc_u32_e32 v6, s12, v6
	s_or_b32 s13, vcc_lo, s13
	s_wait_alu 0xfffe
	s_and_not1_b32 exec_lo, exec_lo, s13
	s_cbranch_execz .LBB48_30
.LBB48_28:                              ;   Parent Loop BB48_7 Depth=1
                                        ; =>  This Inner Loop Header: Depth=2
	v_dual_mov_b32 v4, 0 :: v_dual_add_nc_u32 v3, s10, v3
	s_mov_b32 s14, exec_lo
	s_delay_alu instid0(VALU_DEP_1)
	v_cmpx_gt_u32_e64 s36, v3
	s_cbranch_execz .LBB48_27
; %bb.29:                               ;   in Loop: Header=BB48_28 Depth=2
	s_delay_alu instid0(VALU_DEP_4) | instskip(NEXT) | instid1(VALU_DEP_1)
	v_lshlrev_b64_e32 v[16:17], 2, v[6:7]
	v_add_co_u32 v16, vcc_lo, s42, v16
	s_wait_alu 0xfffd
	s_delay_alu instid0(VALU_DEP_2)
	v_add_co_ci_u32_e64 v17, null, s43, v17, vcc_lo
	global_load_b32 v4, v[16:17], off
	s_branch .LBB48_27
.LBB48_30:                              ;   in Loop: Header=BB48_7 Depth=1
	s_wait_alu 0xfffe
	s_or_b32 exec_lo, exec_lo, s9
	s_wait_loadcnt_dscnt 0x0
	s_barrier_signal -1
	s_barrier_wait -1
	global_inv scope:SCOPE_SE
	s_and_saveexec_b32 s9, s2
; %bb.31:                               ;   in Loop: Header=BB48_7 Depth=1
	v_mov_b32_e32 v1, s36
	ds_store_b32 v7, v1 offset:4096
; %bb.32:                               ;   in Loop: Header=BB48_7 Depth=1
	s_wait_alu 0xfffe
	s_or_b32 exec_lo, exec_lo, s9
	s_mov_b32 s9, -1
	s_wait_loadcnt_dscnt 0x0
	s_barrier_signal -1
	s_barrier_wait -1
.LBB48_33:                              ;   in Loop: Header=BB48_7 Depth=1
	s_wait_alu 0xfffe
	s_and_b32 vcc_lo, exec_lo, s9
	s_wait_alu 0xfffe
	s_cbranch_vccz .LBB48_35
; %bb.34:                               ;   in Loop: Header=BB48_7 Depth=1
	s_wait_loadcnt 0x0
	global_inv scope:SCOPE_SE
	ds_load_b32 v1, v7 offset:4096
	s_wait_dscnt 0x0
	v_readfirstlane_b32 s40, v1
.LBB48_35:                              ;   in Loop: Header=BB48_7 Depth=1
	s_delay_alu instid0(VALU_DEP_1)
	s_cmp_lt_i32 s40, 1
	s_mov_b32 s9, -1
                                        ; implicit-def: $vgpr1
	s_cbranch_scc1 .LBB48_45
; %bb.36:                               ;   in Loop: Header=BB48_7 Depth=1
	s_wait_alu 0xfffe
	s_and_b32 vcc_lo, exec_lo, s9
	s_wait_alu 0xfffe
	s_cbranch_vccnz .LBB48_58
.LBB48_37:                              ;   in Loop: Header=BB48_7 Depth=1
	v_lshlrev_b32_e32 v6, 7, v31
	s_and_saveexec_b32 s9, s4
	s_cbranch_execz .LBB48_39
.LBB48_38:                              ;   in Loop: Header=BB48_7 Depth=1
	s_wait_loadcnt 0x0
	s_delay_alu instid0(VALU_DEP_1)
	v_lshl_add_u32 v14, v6, 2, v21
	ds_store_b128 v14, v[1:4]
.LBB48_39:                              ;   in Loop: Header=BB48_7 Depth=1
	s_wait_alu 0xfffe
	s_or_b32 exec_lo, exec_lo, s9
	s_wait_loadcnt_dscnt 0x0
	s_barrier_signal -1
	s_barrier_wait -1
	global_inv scope:SCOPE_SE
	s_and_saveexec_b32 s9, s51
	s_cbranch_execz .LBB48_74
; %bb.40:                               ;   in Loop: Header=BB48_7 Depth=1
	v_mov_b32_e32 v1, 0
	s_and_not1_b32 vcc_lo, exec_lo, s56
	s_wait_alu 0xfffe
	s_cbranch_vccnz .LBB48_73
; %bb.41:                               ;   in Loop: Header=BB48_7 Depth=1
	s_and_not1_b32 vcc_lo, exec_lo, s58
	s_wait_alu 0xfffe
	s_cbranch_vccnz .LBB48_70
; %bb.42:                               ;   in Loop: Header=BB48_7 Depth=1
	v_lshl_add_u32 v2, v31, 9, v30
	v_mov_b32_e32 v1, 0
	s_mov_b32 s10, 0
.LBB48_43:                              ;   Parent Loop BB48_7 Depth=1
                                        ; =>  This Inner Loop Header: Depth=2
	ds_load_2addr_b32 v[3:4], v2 offset1:4
	ds_load_2addr_b32 v[16:17], v2 offset0:8 offset1:12
	ds_load_2addr_b32 v[34:35], v2 offset0:16 offset1:20
	;; [unrolled: 1-line block ×3, first 2 shown]
	v_add_nc_u32_e32 v2, 0x80, v2
	s_wait_alu 0xfffe
	s_add_co_i32 s10, s10, 8
	s_wait_alu 0xfffe
	s_cmp_eq_u32 s59, s10
	s_wait_dscnt 0x3
	v_add3_u32 v1, v3, v1, v4
	s_wait_dscnt 0x2
	s_delay_alu instid0(VALU_DEP_1) | instskip(SKIP_1) | instid1(VALU_DEP_1)
	v_add3_u32 v1, v16, v1, v17
	s_wait_dscnt 0x1
	v_add3_u32 v1, v34, v1, v35
	s_wait_dscnt 0x0
	s_delay_alu instid0(VALU_DEP_1)
	v_add3_u32 v1, v36, v1, v37
	s_cbranch_scc0 .LBB48_43
; %bb.44:                               ;   in Loop: Header=BB48_7 Depth=1
	s_mov_b32 s10, s59
	s_and_not1_b32 vcc_lo, exec_lo, s60
	s_wait_alu 0xfffe
	s_cbranch_vccz .LBB48_71
	s_branch .LBB48_73
.LBB48_45:                              ;   in Loop: Header=BB48_7 Depth=1
	v_dual_mov_b32 v1, 0 :: v_dual_mov_b32 v2, 0
	v_dual_mov_b32 v3, 0 :: v_dual_mov_b32 v4, 0
	s_and_saveexec_b32 s72, s5
	s_cbranch_execnz .LBB48_48
; %bb.46:                               ;   in Loop: Header=BB48_7 Depth=1
	s_wait_alu 0xfffe
	s_or_b32 exec_lo, exec_lo, s72
	v_mov_b32_e32 v14, 0
	s_and_saveexec_b32 s9, s6
	s_cbranch_execnz .LBB48_51
.LBB48_47:                              ;   in Loop: Header=BB48_7 Depth=1
	s_wait_alu 0xfffe
	s_or_b32 exec_lo, exec_lo, s9
	s_and_saveexec_b32 s13, s7
	s_cbranch_execnz .LBB48_52
	s_branch .LBB48_57
.LBB48_48:                              ;   in Loop: Header=BB48_7 Depth=1
	v_mov_b32_e32 v6, v18
	s_mov_b32 s73, 0
	s_mov_b32 s74, 0
	;; [unrolled: 1-line block ×6, first 2 shown]
.LBB48_49:                              ;   Parent Loop BB48_7 Depth=1
                                        ; =>  This Inner Loop Header: Depth=2
	s_wait_alu 0xfffe
	v_add_nc_u32_e32 v1, s74, v27
	v_add_nc_u32_e32 v3, s74, v12
	;; [unrolled: 1-line block ×5, first 2 shown]
	v_ashrrev_i32_e32 v2, 31, v1
	v_ashrrev_i32_e32 v4, 31, v3
	;; [unrolled: 1-line block ×4, first 2 shown]
	s_add_co_i32 s74, s74, s63
	v_lshlrev_b64_e32 v[1:2], 2, v[1:2]
	v_lshlrev_b64_e32 v[3:4], 2, v[3:4]
	;; [unrolled: 1-line block ×4, first 2 shown]
	s_delay_alu instid0(VALU_DEP_4)
	v_add_co_u32 v1, vcc_lo, s42, v1
	s_wait_alu 0xfffd
	v_add_co_ci_u32_e64 v2, null, s43, v2, vcc_lo
	v_add_co_u32 v3, vcc_lo, s42, v3
	s_wait_alu 0xfffd
	v_add_co_ci_u32_e64 v4, null, s43, v4, vcc_lo
	;; [unrolled: 3-line block ×4, first 2 shown]
	s_clause 0x3
	global_load_b32 v1, v[1:2], off
	global_load_b32 v2, v[3:4], off
	;; [unrolled: 1-line block ×4, first 2 shown]
	v_cmp_le_i32_e32 vcc_lo, s61, v6
	s_wait_loadcnt 0x3
	v_cmp_lt_i32_e64 s9, -1, v1
	v_cmp_o_f32_e64 s12, v1, v1
	s_wait_loadcnt 0x1
	v_cmp_o_f32_e64 s10, v3, v3
	s_wait_loadcnt 0x0
	v_cmp_o_f32_e64 s11, v4, v4
	s_wait_alu 0xf1ff
	v_cndmask_b32_e64 v14, -1, 0x80000000, s9
	v_cmp_lt_i32_e64 s9, -1, v2
	s_delay_alu instid0(VALU_DEP_2) | instskip(SKIP_1) | instid1(VALU_DEP_2)
	v_xor_b32_e32 v14, v14, v1
	s_wait_alu 0xf1ff
	v_cndmask_b32_e64 v16, -1, 0x80000000, s9
	v_cmp_lt_i32_e64 s9, -1, v3
	s_delay_alu instid0(VALU_DEP_3) | instskip(NEXT) | instid1(VALU_DEP_3)
	v_cndmask_b32_e64 v1, -1, v14, s12
	v_xor_b32_e32 v16, v16, v2
	s_wait_alu 0xf1ff
	s_delay_alu instid0(VALU_DEP_3) | instskip(SKIP_4) | instid1(VALU_DEP_3)
	v_cndmask_b32_e64 v17, -1, 0x80000000, s9
	v_cmp_lt_i32_e64 s9, -1, v4
	v_and_b32_e32 v14, v1, v32
	v_bfe_u32 v1, v1, s71, 2
	s_wait_alu 0xf1ff
	v_cndmask_b32_e64 v34, -1, 0x80000000, s9
	v_cmp_o_f32_e64 s9, v2, v2
	v_xor_b32_e32 v2, v17, v3
	v_cmp_eq_u32_e64 s13, 0, v1
	v_cmp_eq_u32_e64 s17, 1, v1
	v_xor_b32_e32 v3, v34, v4
	s_wait_alu 0xf1ff
	v_cndmask_b32_e64 v4, -1, v16, s9
	v_cndmask_b32_e64 v2, -1, v2, s10
	v_cmp_eq_u32_e64 s9, v14, v24
	v_cmp_eq_u32_e64 s21, 2, v1
	v_cndmask_b32_e64 v3, -1, v3, s11
	v_and_b32_e32 v16, v4, v32
	v_bfe_u32 v4, v4, s71, 2
	v_and_b32_e32 v17, v2, v32
	v_bfe_u32 v2, v2, s71, 2
	;; [unrolled: 2-line block ×3, first 2 shown]
	v_cmp_eq_u32_e64 s10, v16, v24
	v_cmp_eq_u32_e64 s14, 0, v4
	;; [unrolled: 1-line block ×4, first 2 shown]
	s_and_b32 s13, s9, s13
	v_cmp_eq_u32_e64 s12, v34, v24
	v_cmp_eq_u32_e64 s16, 0, v3
	;; [unrolled: 1-line block ×3, first 2 shown]
	s_wait_alu 0xfffe
	v_cndmask_b32_e64 v1, 0, 1, s13
	s_and_b32 s13, s10, s14
	v_cmp_eq_u32_e64 s19, 1, v2
	v_cmp_eq_u32_e64 s23, 2, v2
	;; [unrolled: 1-line block ×3, first 2 shown]
	s_wait_alu 0xfffe
	v_cndmask_b32_e64 v2, 0, 1, s13
	s_and_b32 s13, s11, s15
	v_cmp_eq_u32_e64 s18, 1, v4
	v_cmp_eq_u32_e64 s20, 1, v3
	;; [unrolled: 1-line block ×4, first 2 shown]
	s_wait_alu 0xfffe
	v_cndmask_b32_e64 v3, 0, 1, s13
	s_and_b32 s13, s12, s16
	v_cmp_eq_u32_e64 s22, 2, v4
	v_cmp_eq_u32_e64 s26, 3, v4
	s_wait_alu 0xfffe
	v_cndmask_b32_e64 v4, 0, 1, s13
	s_and_b32 s13, s9, s17
	s_wait_alu 0xfffe
	v_cndmask_b32_e64 v14, 0, 1, s13
	s_and_b32 s13, s10, s18
	;; [unrolled: 3-line block ×4, first 2 shown]
	v_cmp_ne_u32_e64 s14, 0, v16
	s_wait_alu 0xfffe
	v_cndmask_b32_e64 v34, 0, 1, s13
	s_and_b32 s13, s9, s21
	s_and_b32 s9, s9, s25
	s_wait_alu 0xfffe
	v_cndmask_b32_e64 v35, 0, 1, s13
	s_and_b32 s13, s10, s22
	v_cndmask_b32_e64 v39, 0, 1, s9
	s_and_b32 s9, s10, s26
	s_wait_alu 0xfffe
	v_cndmask_b32_e64 v36, 0, 1, s13
	s_and_b32 s13, s11, s23
	v_cndmask_b32_e64 v40, 0, 1, s9
	s_and_b32 s9, s11, s27
	s_wait_alu 0xfffe
	v_cndmask_b32_e64 v37, 0, 1, s13
	s_and_b32 s13, s12, s24
	v_cndmask_b32_e64 v41, 0, 1, s9
	s_and_b32 s9, s12, s28
	s_wait_alu 0xfffe
	v_cndmask_b32_e64 v38, 0, 1, s13
	v_cndmask_b32_e64 v42, 0, 1, s9
	v_cmp_ne_u32_e64 s9, 0, v1
	v_cmp_ne_u32_e64 s13, 0, v14
	;; [unrolled: 1-line block ×11, first 2 shown]
	s_bcnt1_i32_b32 s9, s9
	s_bcnt1_i32_b32 s13, s13
	;; [unrolled: 1-line block ×4, first 2 shown]
	v_cmp_ne_u32_e64 s12, 0, v4
	v_cmp_ne_u32_e64 s16, 0, v34
	;; [unrolled: 1-line block ×4, first 2 shown]
	s_bcnt1_i32_b32 s10, s10
	s_bcnt1_i32_b32 s14, s14
	s_bcnt1_i32_b32 s18, s18
	s_bcnt1_i32_b32 s22, s22
	s_wait_alu 0xfffe
	s_add_co_i32 s9, s9, s78
	s_add_co_i32 s13, s13, s77
	s_add_co_i32 s17, s17, s76
	s_add_co_i32 s21, s21, s75
	s_bcnt1_i32_b32 s11, s11
	s_bcnt1_i32_b32 s15, s15
	s_bcnt1_i32_b32 s19, s19
	s_bcnt1_i32_b32 s23, s23
	s_wait_alu 0xfffe
	s_add_co_i32 s9, s9, s10
	s_add_co_i32 s10, s13, s14
	s_add_co_i32 s13, s17, s18
	s_add_co_i32 s14, s21, s22
	;; [unrolled: 9-line block ×3, first 2 shown]
	s_wait_alu 0xfffe
	s_add_co_i32 s78, s9, s12
	s_add_co_i32 s77, s10, s16
	;; [unrolled: 1-line block ×4, first 2 shown]
	s_wait_alu 0xfffe
	v_dual_mov_b32 v1, s78 :: v_dual_mov_b32 v2, s77
	v_dual_mov_b32 v3, s76 :: v_dual_mov_b32 v4, s75
	s_or_b32 s73, vcc_lo, s73
	s_wait_alu 0xfffe
	s_and_not1_b32 exec_lo, exec_lo, s73
	s_cbranch_execnz .LBB48_49
; %bb.50:                               ;   in Loop: Header=BB48_7 Depth=1
	s_or_b32 exec_lo, exec_lo, s73
	s_delay_alu instid0(SALU_CYCLE_1)
	s_or_b32 exec_lo, exec_lo, s72
	v_mov_b32_e32 v14, 0
	s_and_saveexec_b32 s9, s6
	s_cbranch_execz .LBB48_47
.LBB48_51:                              ;   in Loop: Header=BB48_7 Depth=1
	global_load_b32 v14, v[10:11], off
	s_wait_alu 0xfffe
	s_or_b32 exec_lo, exec_lo, s9
	s_and_saveexec_b32 s13, s7
	s_cbranch_execz .LBB48_57
.LBB48_52:                              ;   in Loop: Header=BB48_7 Depth=1
	v_mov_b32_e32 v16, v28
	v_mov_b32_e32 v6, v22
	s_mov_b32 s14, 0
	s_branch .LBB48_54
.LBB48_53:                              ;   in Loop: Header=BB48_54 Depth=2
	s_wait_alu 0xfffe
	s_or_b32 exec_lo, exec_lo, s9
	s_wait_loadcnt 0x0
	v_cmp_lt_i32_e32 vcc_lo, -1, v14
	v_add_nc_u32_e32 v16, s54, v16
	s_wait_alu 0xfffd
	v_cndmask_b32_e64 v34, -1, 0x80000000, vcc_lo
	v_cmp_o_f32_e32 vcc_lo, v14, v14
	s_delay_alu instid0(VALU_DEP_2) | instskip(SKIP_1) | instid1(VALU_DEP_1)
	v_xor_b32_e32 v34, v34, v14
	s_wait_alu 0xfffd
	v_cndmask_b32_e32 v14, -1, v34, vcc_lo
	s_delay_alu instid0(VALU_DEP_1) | instskip(SKIP_1) | instid1(VALU_DEP_2)
	v_and_b32_e32 v34, v14, v32
	v_bfe_u32 v14, v14, s71, 2
	v_cmp_eq_u32_e32 vcc_lo, v34, v24
	s_delay_alu instid0(VALU_DEP_2)
	v_cmp_eq_u32_e64 s9, 0, v14
	v_cmp_eq_u32_e64 s10, 1, v14
	;; [unrolled: 1-line block ×4, first 2 shown]
	s_and_b32 s9, vcc_lo, s9
	s_wait_alu 0xfffe
	v_cndmask_b32_e64 v14, 0, 1, s9
	s_and_b32 s9, vcc_lo, s10
	s_wait_alu 0xfffe
	v_cndmask_b32_e64 v34, 0, 1, s9
	;; [unrolled: 3-line block ×3, first 2 shown]
	s_and_b32 s9, vcc_lo, s12
	v_cmp_ne_u32_e32 vcc_lo, 0, v14
	s_wait_alu 0xfffe
	v_cndmask_b32_e64 v36, 0, 1, s9
	v_cmp_ne_u32_e64 s9, 0, v34
	v_cmp_ne_u32_e64 s10, 0, v35
	v_cmp_le_i32_e64 s12, s36, v6
	s_bcnt1_i32_b32 s15, vcc_lo
	v_cmp_ne_u32_e64 s11, 0, v36
	s_bcnt1_i32_b32 s9, s9
	s_bcnt1_i32_b32 s10, s10
	s_wait_alu 0xfffe
	v_add_nc_u32_e32 v1, s15, v1
	v_add_nc_u32_e32 v2, s9, v2
	s_bcnt1_i32_b32 s11, s11
	v_dual_mov_b32 v14, v17 :: v_dual_add_nc_u32 v3, s10, v3
	s_wait_alu 0xfffe
	v_add_nc_u32_e32 v4, s11, v4
	s_or_b32 s14, s12, s14
	s_wait_alu 0xfffe
	s_and_not1_b32 exec_lo, exec_lo, s14
	s_cbranch_execz .LBB48_56
.LBB48_54:                              ;   Parent Loop BB48_7 Depth=1
                                        ; =>  This Inner Loop Header: Depth=2
	s_delay_alu instid0(VALU_DEP_1) | instskip(SKIP_1) | instid1(VALU_DEP_1)
	v_dual_mov_b32 v17, 0 :: v_dual_add_nc_u32 v6, s50, v6
	s_mov_b32 s9, exec_lo
	v_cmpx_gt_u32_e64 s36, v6
	s_cbranch_execz .LBB48_53
; %bb.55:                               ;   in Loop: Header=BB48_54 Depth=2
	v_ashrrev_i32_e32 v17, 31, v16
	s_delay_alu instid0(VALU_DEP_1) | instskip(NEXT) | instid1(VALU_DEP_1)
	v_lshlrev_b64_e32 v[34:35], 2, v[16:17]
	v_add_co_u32 v34, vcc_lo, s42, v34
	s_wait_alu 0xfffd
	s_delay_alu instid0(VALU_DEP_2)
	v_add_co_ci_u32_e64 v35, null, s43, v35, vcc_lo
	global_load_b32 v17, v[34:35], off
	s_branch .LBB48_53
.LBB48_56:                              ;   in Loop: Header=BB48_7 Depth=1
	s_or_b32 exec_lo, exec_lo, s14
.LBB48_57:                              ;   in Loop: Header=BB48_7 Depth=1
	s_wait_alu 0xfffe
	s_or_b32 exec_lo, exec_lo, s13
	s_branch .LBB48_37
.LBB48_58:                              ;   in Loop: Header=BB48_7 Depth=1
	s_mul_u64 s[10:11], s[40:41], s[44:45]
	v_dual_mov_b32 v1, 0 :: v_dual_mov_b32 v2, 0
	s_wait_alu 0xfffe
	s_mul_i32 s9, s11, s52
	v_dual_mov_b32 v3, 0 :: v_dual_mov_b32 v4, 0
	s_wait_alu 0xfffe
	s_sub_co_i32 s9, s40, s9
	s_mov_b32 s73, exec_lo
	s_wait_alu 0xfffe
	s_sub_co_i32 s10, s9, s52
	s_cmp_ge_u32 s9, s52
	s_wait_alu 0xfffe
	s_cselect_b32 s9, s10, s9
	s_wait_alu 0xfffe
	s_sub_co_i32 s10, s9, s52
	s_cmp_ge_u32 s9, s52
	s_wait_alu 0xfffe
	s_cselect_b32 s9, s10, s9
	s_wait_alu 0xfffe
	s_sub_co_i32 s72, s40, s9
	s_wait_alu 0xfffe
	v_cmpx_gt_u32_e64 s72, v18
	s_cbranch_execz .LBB48_62
; %bb.59:                               ;   in Loop: Header=BB48_7 Depth=1
	v_mov_b32_e32 v6, v29
	s_wait_loadcnt 0x0
	v_mov_b32_e32 v14, v18
	s_mov_b32 s74, 0
	s_mov_b32 s75, 0
	;; [unrolled: 1-line block ×5, first 2 shown]
.LBB48_60:                              ;   Parent Loop BB48_7 Depth=1
                                        ; =>  This Inner Loop Header: Depth=2
	ds_load_b128 v[1:4], v6
	s_wait_dscnt 0x0
	v_cmp_lt_i32_e64 s9, -1, v1
	v_cmp_o_f32_e64 s12, v1, v1
	v_cmp_o_f32_e64 s10, v3, v3
	;; [unrolled: 1-line block ×3, first 2 shown]
	s_wait_alu 0xf1ff
	v_cndmask_b32_e64 v16, -1, 0x80000000, s9
	v_cmp_lt_i32_e64 s9, -1, v2
	s_delay_alu instid0(VALU_DEP_2) | instskip(SKIP_1) | instid1(VALU_DEP_2)
	v_xor_b32_e32 v16, v16, v1
	s_wait_alu 0xf1ff
	v_cndmask_b32_e64 v17, -1, 0x80000000, s9
	v_cmp_lt_i32_e64 s9, -1, v3
	s_delay_alu instid0(VALU_DEP_3) | instskip(NEXT) | instid1(VALU_DEP_3)
	v_cndmask_b32_e64 v1, -1, v16, s12
	v_xor_b32_e32 v17, v17, v2
	s_wait_alu 0xf1ff
	s_delay_alu instid0(VALU_DEP_3) | instskip(SKIP_4) | instid1(VALU_DEP_3)
	v_cndmask_b32_e64 v34, -1, 0x80000000, s9
	v_cmp_lt_i32_e64 s9, -1, v4
	v_and_b32_e32 v16, v1, v32
	v_bfe_u32 v1, v1, s71, 2
	s_wait_alu 0xf1ff
	v_cndmask_b32_e64 v35, -1, 0x80000000, s9
	v_cmp_o_f32_e64 s9, v2, v2
	v_xor_b32_e32 v2, v34, v3
	v_cmp_eq_u32_e64 s13, 0, v1
	v_cmp_eq_u32_e64 s17, 1, v1
	v_xor_b32_e32 v3, v35, v4
	s_wait_alu 0xf1ff
	v_cndmask_b32_e64 v4, -1, v17, s9
	v_cndmask_b32_e64 v2, -1, v2, s10
	v_cmp_eq_u32_e64 s9, v16, v24
	v_cmp_eq_u32_e64 s21, 2, v1
	v_cndmask_b32_e64 v3, -1, v3, s11
	v_and_b32_e32 v17, v4, v32
	v_bfe_u32 v4, v4, s71, 2
	v_and_b32_e32 v34, v2, v32
	v_bfe_u32 v2, v2, s71, 2
	;; [unrolled: 2-line block ×3, first 2 shown]
	v_cmp_eq_u32_e64 s10, v17, v24
	v_cmp_eq_u32_e64 s14, 0, v4
	;; [unrolled: 1-line block ×4, first 2 shown]
	s_and_b32 s13, s9, s13
	v_cmp_eq_u32_e64 s12, v35, v24
	v_cmp_eq_u32_e64 s16, 0, v3
	;; [unrolled: 1-line block ×3, first 2 shown]
	s_wait_alu 0xfffe
	v_cndmask_b32_e64 v1, 0, 1, s13
	s_and_b32 s13, s10, s14
	v_cmp_eq_u32_e64 s19, 1, v2
	v_cmp_eq_u32_e64 s23, 2, v2
	;; [unrolled: 1-line block ×3, first 2 shown]
	s_wait_alu 0xfffe
	v_cndmask_b32_e64 v2, 0, 1, s13
	s_and_b32 s13, s11, s15
	v_cmp_eq_u32_e64 s18, 1, v4
	v_cmp_eq_u32_e64 s20, 1, v3
	;; [unrolled: 1-line block ×4, first 2 shown]
	s_wait_alu 0xfffe
	v_cndmask_b32_e64 v3, 0, 1, s13
	s_and_b32 s13, s12, s16
	v_cmp_eq_u32_e64 s22, 2, v4
	v_cmp_eq_u32_e64 s26, 3, v4
	s_wait_alu 0xfffe
	v_cndmask_b32_e64 v4, 0, 1, s13
	s_and_b32 s13, s9, s17
	s_wait_alu 0xfffe
	v_cndmask_b32_e64 v16, 0, 1, s13
	s_and_b32 s13, s10, s18
	s_wait_alu 0xfffe
	v_cndmask_b32_e64 v17, 0, 1, s13
	s_and_b32 s13, s11, s19
	s_wait_alu 0xfffe
	v_cndmask_b32_e64 v34, 0, 1, s13
	s_and_b32 s13, s12, s20
	v_cmp_ne_u32_e64 s14, 0, v17
	s_wait_alu 0xfffe
	v_cndmask_b32_e64 v35, 0, 1, s13
	s_and_b32 s13, s9, s21
	s_and_b32 s9, s9, s25
	s_wait_alu 0xfffe
	v_cndmask_b32_e64 v36, 0, 1, s13
	v_cndmask_b32_e64 v40, 0, 1, s9
	s_and_b32 s9, s10, s26
	s_and_b32 s13, s10, s22
	s_wait_alu 0xfffe
	v_cndmask_b32_e64 v41, 0, 1, s9
	s_and_b32 s9, s11, s27
	v_cndmask_b32_e64 v37, 0, 1, s13
	s_wait_alu 0xfffe
	v_cndmask_b32_e64 v42, 0, 1, s9
	s_and_b32 s9, s12, s28
	s_and_b32 s13, s11, s23
	s_wait_alu 0xfffe
	v_cndmask_b32_e64 v43, 0, 1, s9
	v_cmp_ne_u32_e64 s9, 0, v1
	v_cmp_ne_u32_e64 s10, 0, v2
	v_cndmask_b32_e64 v38, 0, 1, s13
	s_and_b32 s13, s12, s24
	v_cmp_ne_u32_e64 s11, 0, v3
	s_wait_alu 0xfffe
	v_cndmask_b32_e64 v39, 0, 1, s13
	v_cmp_ne_u32_e64 s13, 0, v16
	v_cmp_ne_u32_e64 s17, 0, v36
	v_cmp_ne_u32_e64 s21, 0, v40
	s_bcnt1_i32_b32 s9, s9
	v_cmp_ne_u32_e64 s12, 0, v4
	v_cmp_ne_u32_e64 s18, 0, v37
	;; [unrolled: 1-line block ×3, first 2 shown]
	s_bcnt1_i32_b32 s10, s10
	s_wait_alu 0xfffe
	s_add_co_i32 s9, s9, s78
	v_cmp_ne_u32_e64 s15, 0, v34
	v_cmp_ne_u32_e64 s19, 0, v38
	;; [unrolled: 1-line block ×3, first 2 shown]
	s_bcnt1_i32_b32 s11, s11
	s_wait_alu 0xfffe
	s_add_co_i32 s9, s9, s10
	s_bcnt1_i32_b32 s13, s13
	s_bcnt1_i32_b32 s17, s17
	;; [unrolled: 1-line block ×3, first 2 shown]
	v_cmp_ne_u32_e64 s16, 0, v35
	v_cmp_ne_u32_e64 s20, 0, v39
	;; [unrolled: 1-line block ×3, first 2 shown]
	s_bcnt1_i32_b32 s12, s12
	s_wait_alu 0xfffe
	s_add_co_i32 s9, s9, s11
	s_bcnt1_i32_b32 s14, s14
	s_bcnt1_i32_b32 s18, s18
	;; [unrolled: 1-line block ×3, first 2 shown]
	s_add_co_i32 s13, s13, s77
	s_add_co_i32 s17, s17, s76
	;; [unrolled: 1-line block ×3, first 2 shown]
	s_wait_alu 0xfffe
	s_add_co_i32 s78, s9, s12
	s_wait_alu 0xfffe
	v_dual_mov_b32 v1, s78 :: v_dual_add_nc_u32 v14, s52, v14
	s_bcnt1_i32_b32 s15, s15
	s_bcnt1_i32_b32 s19, s19
	;; [unrolled: 1-line block ×3, first 2 shown]
	s_add_co_i32 s10, s13, s14
	s_add_co_i32 s13, s17, s18
	;; [unrolled: 1-line block ×3, first 2 shown]
	s_bcnt1_i32_b32 s16, s16
	s_bcnt1_i32_b32 s20, s20
	;; [unrolled: 1-line block ×3, first 2 shown]
	s_wait_alu 0xfffe
	s_add_co_i32 s10, s10, s15
	s_add_co_i32 s11, s13, s19
	;; [unrolled: 1-line block ×3, first 2 shown]
	v_cmp_le_i32_e32 vcc_lo, s72, v14
	s_wait_alu 0xfffe
	s_add_co_i32 s77, s10, s16
	s_add_co_i32 s76, s11, s20
	;; [unrolled: 1-line block ×3, first 2 shown]
	s_wait_alu 0xfffe
	v_dual_mov_b32 v3, s76 :: v_dual_add_nc_u32 v6, s64, v6
	v_mov_b32_e32 v2, s77
	v_mov_b32_e32 v4, s75
	s_or_b32 s74, vcc_lo, s74
	s_wait_alu 0xfffe
	s_and_not1_b32 exec_lo, exec_lo, s74
	s_cbranch_execnz .LBB48_60
; %bb.61:                               ;   in Loop: Header=BB48_7 Depth=1
	s_or_b32 exec_lo, exec_lo, s74
.LBB48_62:                              ;   in Loop: Header=BB48_7 Depth=1
	s_delay_alu instid0(SALU_CYCLE_1) | instskip(SKIP_2) | instid1(VALU_DEP_1)
	s_or_b32 exec_lo, exec_lo, s73
	v_add_nc_u32_e32 v6, s72, v0
	s_mov_b32 s14, exec_lo
	v_cmpx_gt_i32_e64 s40, v6
	s_cbranch_execz .LBB48_66
; %bb.63:                               ;   in Loop: Header=BB48_7 Depth=1
	s_wait_loadcnt 0x0
	v_lshlrev_b32_e32 v14, 2, v6
	s_mov_b32 s15, 0
.LBB48_64:                              ;   Parent Loop BB48_7 Depth=1
                                        ; =>  This Inner Loop Header: Depth=2
	ds_load_b32 v16, v14
	v_add_nc_u32_e32 v6, s50, v6
	v_add_nc_u32_e32 v14, s52, v14
	s_delay_alu instid0(VALU_DEP_2) | instskip(SKIP_3) | instid1(VALU_DEP_1)
	v_cmp_le_i32_e32 vcc_lo, s40, v6
	s_wait_dscnt 0x0
	v_cmp_lt_i32_e64 s9, -1, v16
	s_wait_alu 0xf1ff
	v_cndmask_b32_e64 v17, -1, 0x80000000, s9
	v_cmp_o_f32_e64 s9, v16, v16
	s_delay_alu instid0(VALU_DEP_2) | instskip(SKIP_1) | instid1(VALU_DEP_1)
	v_xor_b32_e32 v17, v17, v16
	s_wait_alu 0xf1ff
	v_cndmask_b32_e64 v16, -1, v17, s9
	s_delay_alu instid0(VALU_DEP_1) | instskip(SKIP_1) | instid1(VALU_DEP_2)
	v_and_b32_e32 v17, v16, v32
	v_bfe_u32 v16, v16, s71, 2
	v_cmp_eq_u32_e64 s9, v17, v24
	s_delay_alu instid0(VALU_DEP_2)
	v_cmp_eq_u32_e64 s10, 0, v16
	v_cmp_eq_u32_e64 s11, 1, v16
	;; [unrolled: 1-line block ×4, first 2 shown]
	s_and_b32 s10, s9, s10
	s_wait_alu 0xfffe
	v_cndmask_b32_e64 v16, 0, 1, s10
	s_and_b32 s10, s9, s11
	s_wait_alu 0xfffe
	v_cndmask_b32_e64 v17, 0, 1, s10
	s_and_b32 s10, s9, s12
	s_and_b32 s9, s9, s13
	s_wait_alu 0xfffe
	v_cndmask_b32_e64 v34, 0, 1, s10
	v_cndmask_b32_e64 v35, 0, 1, s9
	v_cmp_ne_u32_e64 s9, 0, v16
	v_cmp_ne_u32_e64 s10, 0, v17
	s_delay_alu instid0(VALU_DEP_4) | instskip(NEXT) | instid1(VALU_DEP_4)
	v_cmp_ne_u32_e64 s11, 0, v34
	v_cmp_ne_u32_e64 s12, 0, v35
	s_bcnt1_i32_b32 s9, s9
	s_bcnt1_i32_b32 s10, s10
	s_wait_alu 0xfffe
	v_add_nc_u32_e32 v1, s9, v1
	s_bcnt1_i32_b32 s11, s11
	s_bcnt1_i32_b32 s12, s12
	v_add_nc_u32_e32 v2, s10, v2
	s_wait_alu 0xfffe
	v_add_nc_u32_e32 v3, s11, v3
	v_add_nc_u32_e32 v4, s12, v4
	s_or_b32 s15, vcc_lo, s15
	s_wait_alu 0xfffe
	s_and_not1_b32 exec_lo, exec_lo, s15
	s_cbranch_execnz .LBB48_64
; %bb.65:                               ;   in Loop: Header=BB48_7 Depth=1
	s_or_b32 exec_lo, exec_lo, s15
.LBB48_66:                              ;   in Loop: Header=BB48_7 Depth=1
	s_wait_alu 0xfffe
	s_or_b32 exec_lo, exec_lo, s14
	v_lshlrev_b32_e32 v6, 7, v31
	s_and_saveexec_b32 s9, s4
	s_cbranch_execnz .LBB48_38
	s_branch .LBB48_39
.LBB48_67:                              ;   in Loop: Header=BB48_7 Depth=1
	s_wait_alu 0xfffe
	s_or_b32 exec_lo, exec_lo, s11
	s_wait_loadcnt_dscnt 0x0
	s_barrier_signal -1
	s_barrier_wait -1
	global_inv scope:SCOPE_SE
	s_and_saveexec_b32 s9, s2
	s_cbranch_execz .LBB48_69
; %bb.68:                               ;   in Loop: Header=BB48_7 Depth=1
	ds_load_b32 v1, v7 offset:4104
	s_wait_dscnt 0x0
	ds_store_b32 v7, v1 offset:4096
.LBB48_69:                              ;   in Loop: Header=BB48_7 Depth=1
	s_wait_alu 0xfffe
	s_or_b32 exec_lo, exec_lo, s9
	s_wait_loadcnt_dscnt 0x0
	s_barrier_signal -1
	s_mov_b32 s9, -1
	s_barrier_wait -1
	s_and_b32 vcc_lo, exec_lo, s10
	s_wait_alu 0xfffe
	s_cbranch_vccnz .LBB48_23
	s_branch .LBB48_33
.LBB48_70:                              ;   in Loop: Header=BB48_7 Depth=1
	v_mov_b32_e32 v1, 0
	s_mov_b32 s10, 0
	s_and_not1_b32 vcc_lo, exec_lo, s60
	s_wait_alu 0xfffe
	s_cbranch_vccnz .LBB48_73
.LBB48_71:                              ;   in Loop: Header=BB48_7 Depth=1
	v_lshlrev_b32_e32 v2, 9, v31
	s_lshl_b32 s10, s10, 4
	s_wait_alu 0xfffe
	s_delay_alu instid0(VALU_DEP_1)
	v_add3_u32 v2, v2, s10, v30
	s_mov_b32 s10, s57
.LBB48_72:                              ;   Parent Loop BB48_7 Depth=1
                                        ; =>  This Inner Loop Header: Depth=2
	ds_load_b32 v3, v2
	v_add_nc_u32_e32 v2, 16, v2
	s_wait_alu 0xfffe
	s_add_co_i32 s10, s10, -1
	s_wait_alu 0xfffe
	s_cmp_lg_u32 s10, 0
	s_wait_dscnt 0x0
	v_add_nc_u32_e32 v1, v3, v1
	s_cbranch_scc1 .LBB48_72
.LBB48_73:                              ;   in Loop: Header=BB48_7 Depth=1
	v_add_lshl_u32 v2, v6, v19, 2
	ds_store_b32 v2, v1 offset:3072
.LBB48_74:                              ;   in Loop: Header=BB48_7 Depth=1
	s_wait_alu 0xfffe
	s_or_b32 exec_lo, exec_lo, s9
	v_lshlrev_b32_e32 v1, 2, v6
	s_wait_loadcnt_dscnt 0x0
	s_barrier_signal -1
	s_barrier_wait -1
	global_inv scope:SCOPE_SE
	ds_load_b128 v[1:4], v1 offset:3072
	s_lshl_b32 s10, 3, s71
	v_cmp_eq_u32_e32 vcc_lo, 1, v33
	s_wait_alu 0xfffe
	s_not_b32 s17, s10
	s_mov_b32 s13, -1
	s_mov_b32 s15, -1
                                        ; implicit-def: $sgpr20
                                        ; implicit-def: $sgpr18
	s_wait_dscnt 0x0
	v_readfirstlane_b32 s12, v1
	v_readfirstlane_b32 s19, v2
	;; [unrolled: 1-line block ×4, first 2 shown]
	s_cmp_eq_u32 s12, 1
	s_cselect_b32 s11, -1, 0
	s_wait_alu 0xfffe
	s_and_b32 s14, s11, vcc_lo
	s_wait_alu 0xfffe
	s_and_saveexec_b32 s11, s14
	s_cbranch_execz .LBB48_102
; %bb.75:                               ;   in Loop: Header=BB48_7 Depth=1
	ds_load_b32 v1, v7 offset:4096
	s_wait_loadcnt_dscnt 0x0
	s_barrier_signal -1
	s_barrier_wait -1
	global_inv scope:SCOPE_SE
	v_readfirstlane_b32 s15, v1
	s_and_saveexec_b32 s18, s0
; %bb.76:                               ;   in Loop: Header=BB48_7 Depth=1
	ds_store_b32 v20, v7
; %bb.77:                               ;   in Loop: Header=BB48_7 Depth=1
	s_wait_alu 0xfffe
	s_or_b32 exec_lo, exec_lo, s18
	v_and_b32_e32 v24, s17, v24
	v_or_b32_e32 v32, s10, v32
	s_mov_b32 s18, -1
	s_mov_b32 s20, 0
	s_cmp_lt_i32 s15, 1
	s_mov_b32 s21, 0
	s_mov_b32 s22, -1
	s_wait_loadcnt_dscnt 0x0
	s_barrier_signal -1
	s_barrier_wait -1
	global_inv scope:SCOPE_SE
                                        ; implicit-def: $vgpr15
	s_cbranch_scc0 .LBB48_89
; %bb.78:                               ;   in Loop: Header=BB48_7 Depth=1
	s_mov_b32 s22, 0
                                        ; implicit-def: $vgpr15
	s_and_saveexec_b32 s23, s8
	s_cbranch_execz .LBB48_88
; %bb.79:                               ;   in Loop: Header=BB48_7 Depth=1
	v_mov_b32_e32 v1, v5
	v_mov_b32_e32 v3, v0
                                        ; implicit-def: $sgpr24
	s_branch .LBB48_83
.LBB48_80:                              ;   in Loop: Header=BB48_83 Depth=2
	s_wait_alu 0xfffe
	s_or_b32 exec_lo, exec_lo, s25
	s_wait_loadcnt_dscnt 0x0
	s_barrier_signal -1
	s_barrier_wait -1
	global_inv scope:SCOPE_SE
	ds_load_b64 v[14:15], v7 offset:3072
	s_wait_loadcnt_dscnt 0x0
	s_barrier_signal -1
	s_barrier_wait -1
	global_inv scope:SCOPE_SE
	v_cmp_neq_f32_e32 vcc_lo, 0, v14
	s_cbranch_vccnz .LBB48_86
; %bb.81:                               ;   in Loop: Header=BB48_83 Depth=2
	v_add_nc_u32_e32 v3, s50, v3
	v_add_nc_u32_e32 v1, s54, v1
	s_mov_b32 s25, 0
	s_delay_alu instid0(VALU_DEP_2)
	v_cmp_le_i32_e32 vcc_lo, s62, v3
	s_or_not1_b32 s26, vcc_lo, exec_lo
.LBB48_82:                              ;   in Loop: Header=BB48_83 Depth=2
	s_wait_alu 0xfffe
	s_and_b32 s26, exec_lo, s26
	s_wait_alu 0xfffe
	s_or_b32 s21, s26, s21
	s_and_not1_b32 s24, s24, exec_lo
	s_and_b32 s25, s25, exec_lo
	s_wait_alu 0xfffe
	s_or_b32 s24, s24, s25
	s_and_not1_b32 exec_lo, exec_lo, s21
	s_cbranch_execz .LBB48_87
.LBB48_83:                              ;   Parent Loop BB48_7 Depth=1
                                        ; =>  This Inner Loop Header: Depth=2
	s_mov_b32 s25, exec_lo
	s_delay_alu instid0(VALU_DEP_1)
	v_cmpx_gt_i32_e64 s36, v3
	s_cbranch_execz .LBB48_80
; %bb.84:                               ;   in Loop: Header=BB48_83 Depth=2
	v_ashrrev_i32_e32 v2, 31, v1
	s_delay_alu instid0(VALU_DEP_1) | instskip(NEXT) | instid1(VALU_DEP_1)
	v_lshlrev_b64_e32 v[14:15], 2, v[1:2]
	v_add_co_u32 v14, vcc_lo, s42, v14
	s_wait_alu 0xfffd
	s_delay_alu instid0(VALU_DEP_2)
	v_add_co_ci_u32_e64 v15, null, s43, v15, vcc_lo
	global_load_b32 v14, v[14:15], off
	s_wait_loadcnt 0x0
	v_cmp_lt_i32_e32 vcc_lo, -1, v14
	s_wait_alu 0xfffd
	v_cndmask_b32_e64 v2, -1, 0x80000000, vcc_lo
	v_cmp_o_f32_e32 vcc_lo, v14, v14
	s_delay_alu instid0(VALU_DEP_2) | instskip(SKIP_1) | instid1(VALU_DEP_1)
	v_xor_b32_e32 v2, v2, v14
	s_wait_alu 0xfffd
	v_cndmask_b32_e32 v2, -1, v2, vcc_lo
	s_delay_alu instid0(VALU_DEP_1) | instskip(NEXT) | instid1(VALU_DEP_1)
	v_and_b32_e32 v2, v2, v32
	v_cmp_eq_u32_e32 vcc_lo, v2, v24
	s_and_b32 exec_lo, exec_lo, vcc_lo
	s_cbranch_execz .LBB48_80
; %bb.85:                               ;   in Loop: Header=BB48_83 Depth=2
	ds_store_b64 v7, v[13:14] offset:3072
	s_branch .LBB48_80
.LBB48_86:                              ;   in Loop: Header=BB48_83 Depth=2
	s_mov_b32 s26, -1
	s_mov_b32 s25, -1
                                        ; implicit-def: $vgpr3
                                        ; implicit-def: $vgpr1
	s_branch .LBB48_82
.LBB48_87:                              ;   in Loop: Header=BB48_7 Depth=1
	s_or_b32 exec_lo, exec_lo, s21
	s_wait_alu 0xfffe
	s_and_b32 s21, s24, exec_lo
.LBB48_88:                              ;   in Loop: Header=BB48_7 Depth=1
	s_wait_alu 0xfffe
	s_or_b32 exec_lo, exec_lo, s23
.LBB48_89:                              ;   in Loop: Header=BB48_7 Depth=1
	s_wait_alu 0xfffe
	s_and_b32 vcc_lo, exec_lo, s22
	s_wait_alu 0xfffe
	s_cbranch_vccz .LBB48_101
; %bb.90:                               ;   in Loop: Header=BB48_7 Depth=1
	s_add_co_i32 s20, s15, s53
                                        ; implicit-def: $vgpr15
	s_wait_alu 0xfffe
	s_abs_i32 s40, s20
	s_wait_alu 0xfffe
	s_mul_u64 s[22:23], s[40:41], s[46:47]
	s_ashr_i32 s22, s20, 31
	s_wait_alu 0xfffe
	s_mul_i32 s18, s23, s50
	s_wait_alu 0xfffe
	s_sub_co_i32 s18, s40, s18
	s_wait_alu 0xfffe
	s_sub_co_i32 s23, s18, s50
	s_cmp_ge_u32 s18, s50
	s_wait_alu 0xfffe
	s_cselect_b32 s18, s23, s18
	s_wait_alu 0xfffe
	s_sub_co_i32 s23, s18, s50
	s_cmp_ge_u32 s18, s50
	s_wait_alu 0xfffe
	s_cselect_b32 s18, s23, s18
	s_wait_alu 0xfffe
	s_xor_b32 s18, s18, s22
	s_wait_alu 0xfffe
	s_sub_co_i32 s18, s22, s18
	s_wait_alu 0xfffe
	s_add_co_i32 s20, s20, s18
	s_mov_b32 s18, exec_lo
	s_wait_alu 0xfffe
	v_cmpx_gt_i32_e64 s20, v0
	s_cbranch_execz .LBB48_100
; %bb.91:                               ;   in Loop: Header=BB48_7 Depth=1
	v_dual_mov_b32 v1, v18 :: v_dual_mov_b32 v2, v0
	s_mov_b32 s22, 0
                                        ; implicit-def: $sgpr23
	s_branch .LBB48_95
.LBB48_92:                              ;   in Loop: Header=BB48_95 Depth=2
	s_wait_alu 0xfffe
	s_or_b32 exec_lo, exec_lo, s24
	s_wait_loadcnt_dscnt 0x0
	s_barrier_signal -1
	s_barrier_wait -1
	global_inv scope:SCOPE_SE
	ds_load_b64 v[14:15], v7 offset:3072
	s_wait_loadcnt_dscnt 0x0
	s_barrier_signal -1
	s_barrier_wait -1
	global_inv scope:SCOPE_SE
	v_cmp_neq_f32_e32 vcc_lo, 0, v14
	s_cbranch_vccnz .LBB48_98
; %bb.93:                               ;   in Loop: Header=BB48_95 Depth=2
	v_add_nc_u32_e32 v2, s50, v2
	v_add_nc_u32_e32 v1, s52, v1
	s_mov_b32 s24, 0
	s_delay_alu instid0(VALU_DEP_2)
	v_cmp_le_i32_e32 vcc_lo, s20, v2
	s_or_not1_b32 s25, vcc_lo, exec_lo
.LBB48_94:                              ;   in Loop: Header=BB48_95 Depth=2
	s_wait_alu 0xfffe
	s_and_b32 s25, exec_lo, s25
	s_wait_alu 0xfffe
	s_or_b32 s22, s25, s22
	s_and_not1_b32 s23, s23, exec_lo
	s_and_b32 s24, s24, exec_lo
	s_wait_alu 0xfffe
	s_or_b32 s23, s23, s24
	s_and_not1_b32 exec_lo, exec_lo, s22
	s_cbranch_execz .LBB48_99
.LBB48_95:                              ;   Parent Loop BB48_7 Depth=1
                                        ; =>  This Inner Loop Header: Depth=2
	s_mov_b32 s24, exec_lo
	s_delay_alu instid0(VALU_DEP_1)
	v_cmpx_gt_i32_e64 s15, v2
	s_cbranch_execz .LBB48_92
; %bb.96:                               ;   in Loop: Header=BB48_95 Depth=2
	ds_load_b32 v14, v1
	s_wait_dscnt 0x0
	v_cmp_lt_i32_e32 vcc_lo, -1, v14
	s_wait_alu 0xfffd
	v_cndmask_b32_e64 v3, -1, 0x80000000, vcc_lo
	v_cmp_o_f32_e32 vcc_lo, v14, v14
	s_delay_alu instid0(VALU_DEP_2) | instskip(SKIP_1) | instid1(VALU_DEP_1)
	v_xor_b32_e32 v3, v3, v14
	s_wait_alu 0xfffd
	v_cndmask_b32_e32 v3, -1, v3, vcc_lo
	s_delay_alu instid0(VALU_DEP_1) | instskip(NEXT) | instid1(VALU_DEP_1)
	v_and_b32_e32 v3, v3, v32
	v_cmp_eq_u32_e32 vcc_lo, v3, v24
	s_and_b32 exec_lo, exec_lo, vcc_lo
	s_cbranch_execz .LBB48_92
; %bb.97:                               ;   in Loop: Header=BB48_95 Depth=2
	ds_store_b64 v7, v[13:14] offset:3072
	s_branch .LBB48_92
.LBB48_98:                              ;   in Loop: Header=BB48_95 Depth=2
	s_mov_b32 s25, -1
	s_mov_b32 s24, -1
                                        ; implicit-def: $vgpr2
                                        ; implicit-def: $vgpr1
	s_branch .LBB48_94
.LBB48_99:                              ;   in Loop: Header=BB48_7 Depth=1
	s_or_b32 exec_lo, exec_lo, s22
	s_delay_alu instid0(SALU_CYCLE_1)
	s_and_not1_b32 s15, s21, exec_lo
	s_wait_alu 0xfffe
	s_and_b32 s20, s23, exec_lo
	s_wait_alu 0xfffe
	s_or_b32 s21, s15, s20
.LBB48_100:                             ;   in Loop: Header=BB48_7 Depth=1
	s_wait_alu 0xfffe
	s_or_b32 exec_lo, exec_lo, s18
	s_mov_b32 s18, 0
	s_mov_b32 s20, -1
.LBB48_101:                             ;   in Loop: Header=BB48_7 Depth=1
	s_or_not1_b32 s15, s21, exec_lo
.LBB48_102:                             ;   in Loop: Header=BB48_7 Depth=1
	s_wait_alu 0xfffe
	s_or_b32 exec_lo, exec_lo, s11
	v_readfirstlane_b32 s21, v0
	s_and_not1_b32 s11, s69, exec_lo
	s_and_b32 s20, s20, exec_lo
	s_and_not1_b32 s22, s67, exec_lo
	s_and_b32 s18, s18, exec_lo
	s_and_not1_b32 s66, s66, exec_lo
	s_wait_alu 0xfffe
	s_or_b32 s69, s11, s20
	s_or_b32 s67, s22, s18
                                        ; implicit-def: $vgpr4
	s_and_saveexec_b32 s11, s15
	s_cbranch_execz .LBB48_6
; %bb.103:                              ;   in Loop: Header=BB48_7 Depth=1
	v_dual_mov_b32 v4, 1 :: v_dual_mov_b32 v3, 1
	s_xor_b32 s14, s14, -1
	s_mov_b32 s20, 0
	s_wait_alu 0xfffe
	s_and_saveexec_b32 s13, s14
	s_cbranch_execz .LBB48_112
; %bb.104:                              ;   in Loop: Header=BB48_7 Depth=1
	s_mov_b32 s14, exec_lo
	v_cmpx_ge_i32_e64 s12, v33
	s_wait_alu 0xfffe
	s_xor_b32 s14, exec_lo, s14
	s_cbranch_execz .LBB48_109
; %bb.105:                              ;   in Loop: Header=BB48_7 Depth=1
	ds_load_b32 v1, v7 offset:4096
	v_and_b32_e32 v24, s17, v24
	v_or_b32_e32 v32, s10, v32
	s_wait_dscnt 0x0
	v_cmp_ne_u32_e32 vcc_lo, 0, v1
	s_cbranch_vccnz .LBB48_109
; %bb.106:                              ;   in Loop: Header=BB48_7 Depth=1
	s_and_saveexec_b32 s15, s2
; %bb.107:                              ;   in Loop: Header=BB48_7 Depth=1
	v_mov_b32_e32 v1, s12
	ds_store_b32 v7, v1 offset:4100
; %bb.108:                              ;   in Loop: Header=BB48_7 Depth=1
	s_wait_alu 0xfffe
	s_or_b32 exec_lo, exec_lo, s15
	s_wait_loadcnt_dscnt 0x0
	s_barrier_signal -1
	s_barrier_wait -1
	global_inv scope:SCOPE_SE
.LBB48_109:                             ;   in Loop: Header=BB48_7 Depth=1
	s_wait_alu 0xfffe
	s_or_saveexec_b32 s14, s14
	v_mov_b32_e32 v3, 8
	s_mov_b32 s15, 0
	s_wait_alu 0xfffe
	s_xor_b32 exec_lo, exec_lo, s14
; %bb.110:                              ;   in Loop: Header=BB48_7 Depth=1
	v_subrev_nc_u32_e32 v33, s12, v33
	v_mov_b32_e32 v3, 0
	s_mov_b32 s15, exec_lo
; %bb.111:                              ;   in Loop: Header=BB48_7 Depth=1
	s_or_b32 exec_lo, exec_lo, s14
	s_delay_alu instid0(VALU_DEP_2)
	v_mov_b32_e32 v4, v33
	s_wait_alu 0xfffe
	s_and_b32 s20, s15, exec_lo
.LBB48_112:                             ;   in Loop: Header=BB48_7 Depth=1
	s_wait_alu 0xfffe
	s_or_b32 exec_lo, exec_lo, s13
	s_mov_b32 s12, -1
	s_mov_b32 s18, -1
                                        ; implicit-def: $sgpr14
                                        ; implicit-def: $sgpr15
	s_and_saveexec_b32 s13, s20
	s_wait_alu 0xfffe
	s_xor_b32 s13, exec_lo, s13
	s_cbranch_execz .LBB48_235
; %bb.113:                              ;   in Loop: Header=BB48_7 Depth=1
	v_cmp_eq_u32_e32 vcc_lo, 1, v4
	s_cmp_eq_u32 s19, 1
	s_mov_b32 s21, -1
	s_cselect_b32 s14, -1, 0
                                        ; implicit-def: $sgpr15
	s_wait_alu 0xfffe
	s_and_b32 s20, s14, vcc_lo
                                        ; implicit-def: $sgpr14
	s_wait_alu 0xfffe
	s_and_saveexec_b32 s18, s20
	s_cbranch_execz .LBB48_141
; %bb.114:                              ;   in Loop: Header=BB48_7 Depth=1
	ds_load_b32 v1, v7 offset:4096
	s_wait_loadcnt_dscnt 0x0
	s_barrier_signal -1
	s_barrier_wait -1
	global_inv scope:SCOPE_SE
	v_readfirstlane_b32 s21, v1
	s_and_saveexec_b32 s14, s0
; %bb.115:                              ;   in Loop: Header=BB48_7 Depth=1
	ds_store_b32 v20, v7
; %bb.116:                              ;   in Loop: Header=BB48_7 Depth=1
	s_wait_alu 0xfffe
	s_or_b32 exec_lo, exec_lo, s14
	s_lshl_b32 s14, 1, s71
	v_or_b32_e32 v32, s10, v32
	s_wait_alu 0xfffe
	v_and_or_b32 v24, v24, s17, s14
	s_mov_b32 s14, -1
	s_mov_b32 s15, 0
	s_cmp_gt_i32 s21, 0
	s_mov_b32 s22, 0
	s_mov_b32 s23, -1
	s_wait_loadcnt_dscnt 0x0
	s_barrier_signal -1
	s_barrier_wait -1
	global_inv scope:SCOPE_SE
                                        ; implicit-def: $vgpr15
	s_cbranch_scc1 .LBB48_128
; %bb.117:                              ;   in Loop: Header=BB48_7 Depth=1
	s_mov_b32 s23, 0
                                        ; implicit-def: $vgpr15
	s_and_saveexec_b32 s24, s8
	s_cbranch_execz .LBB48_127
; %bb.118:                              ;   in Loop: Header=BB48_7 Depth=1
	v_dual_mov_b32 v1, v5 :: v_dual_mov_b32 v6, v0
                                        ; implicit-def: $sgpr25
	s_branch .LBB48_122
.LBB48_119:                             ;   in Loop: Header=BB48_122 Depth=2
	s_wait_alu 0xfffe
	s_or_b32 exec_lo, exec_lo, s26
	s_wait_loadcnt_dscnt 0x0
	s_barrier_signal -1
	s_barrier_wait -1
	global_inv scope:SCOPE_SE
	ds_load_b64 v[14:15], v7 offset:3072
	s_wait_loadcnt_dscnt 0x0
	s_barrier_signal -1
	s_barrier_wait -1
	global_inv scope:SCOPE_SE
	v_cmp_neq_f32_e32 vcc_lo, 0, v14
	s_cbranch_vccnz .LBB48_125
; %bb.120:                              ;   in Loop: Header=BB48_122 Depth=2
	v_add_nc_u32_e32 v6, s50, v6
	v_add_nc_u32_e32 v1, s54, v1
	s_mov_b32 s26, 0
	s_delay_alu instid0(VALU_DEP_2)
	v_cmp_le_i32_e32 vcc_lo, s62, v6
	s_or_not1_b32 s27, vcc_lo, exec_lo
.LBB48_121:                             ;   in Loop: Header=BB48_122 Depth=2
	s_wait_alu 0xfffe
	s_and_b32 s27, exec_lo, s27
	s_wait_alu 0xfffe
	s_or_b32 s22, s27, s22
	s_and_not1_b32 s25, s25, exec_lo
	s_and_b32 s26, s26, exec_lo
	s_wait_alu 0xfffe
	s_or_b32 s25, s25, s26
	s_and_not1_b32 exec_lo, exec_lo, s22
	s_cbranch_execz .LBB48_126
.LBB48_122:                             ;   Parent Loop BB48_7 Depth=1
                                        ; =>  This Inner Loop Header: Depth=2
	s_mov_b32 s26, exec_lo
	s_delay_alu instid0(VALU_DEP_1)
	v_cmpx_gt_i32_e64 s36, v6
	s_cbranch_execz .LBB48_119
; %bb.123:                              ;   in Loop: Header=BB48_122 Depth=2
	v_ashrrev_i32_e32 v2, 31, v1
	s_delay_alu instid0(VALU_DEP_1) | instskip(NEXT) | instid1(VALU_DEP_1)
	v_lshlrev_b64_e32 v[14:15], 2, v[1:2]
	v_add_co_u32 v14, vcc_lo, s42, v14
	s_wait_alu 0xfffd
	s_delay_alu instid0(VALU_DEP_2)
	v_add_co_ci_u32_e64 v15, null, s43, v15, vcc_lo
	global_load_b32 v14, v[14:15], off
	s_wait_loadcnt 0x0
	v_cmp_lt_i32_e32 vcc_lo, -1, v14
	s_wait_alu 0xfffd
	v_cndmask_b32_e64 v2, -1, 0x80000000, vcc_lo
	v_cmp_o_f32_e32 vcc_lo, v14, v14
	s_delay_alu instid0(VALU_DEP_2) | instskip(SKIP_1) | instid1(VALU_DEP_1)
	v_xor_b32_e32 v2, v2, v14
	s_wait_alu 0xfffd
	v_cndmask_b32_e32 v2, -1, v2, vcc_lo
	s_delay_alu instid0(VALU_DEP_1) | instskip(NEXT) | instid1(VALU_DEP_1)
	v_and_b32_e32 v2, v2, v32
	v_cmp_eq_u32_e32 vcc_lo, v2, v24
	s_and_b32 exec_lo, exec_lo, vcc_lo
	s_cbranch_execz .LBB48_119
; %bb.124:                              ;   in Loop: Header=BB48_122 Depth=2
	ds_store_b64 v7, v[13:14] offset:3072
	s_branch .LBB48_119
.LBB48_125:                             ;   in Loop: Header=BB48_122 Depth=2
	s_mov_b32 s27, -1
	s_mov_b32 s26, -1
                                        ; implicit-def: $vgpr6
                                        ; implicit-def: $vgpr1
	s_branch .LBB48_121
.LBB48_126:                             ;   in Loop: Header=BB48_7 Depth=1
	s_or_b32 exec_lo, exec_lo, s22
	s_wait_alu 0xfffe
	s_and_b32 s22, s25, exec_lo
.LBB48_127:                             ;   in Loop: Header=BB48_7 Depth=1
	s_wait_alu 0xfffe
	s_or_b32 exec_lo, exec_lo, s24
.LBB48_128:                             ;   in Loop: Header=BB48_7 Depth=1
	s_wait_alu 0xfffe
	s_and_b32 vcc_lo, exec_lo, s23
	s_wait_alu 0xfffe
	s_cbranch_vccz .LBB48_140
; %bb.129:                              ;   in Loop: Header=BB48_7 Depth=1
	s_add_co_i32 s23, s21, s53
                                        ; implicit-def: $vgpr15
	s_wait_alu 0xfffe
	s_abs_i32 s40, s23
	s_wait_alu 0xfffe
	s_mul_u64 s[14:15], s[40:41], s[46:47]
	s_wait_alu 0xfffe
	s_mul_i32 s14, s15, s50
	s_ashr_i32 s15, s23, 31
	s_wait_alu 0xfffe
	s_sub_co_i32 s14, s40, s14
	s_wait_alu 0xfffe
	s_sub_co_i32 s24, s14, s50
	s_cmp_ge_u32 s14, s50
	s_wait_alu 0xfffe
	s_cselect_b32 s14, s24, s14
	s_wait_alu 0xfffe
	s_sub_co_i32 s24, s14, s50
	s_cmp_ge_u32 s14, s50
	s_wait_alu 0xfffe
	s_cselect_b32 s14, s24, s14
	s_wait_alu 0xfffe
	s_xor_b32 s14, s14, s15
	s_wait_alu 0xfffe
	s_sub_co_i32 s14, s15, s14
	s_wait_alu 0xfffe
	s_add_co_i32 s15, s23, s14
	s_mov_b32 s14, exec_lo
	s_wait_alu 0xfffe
	v_cmpx_gt_i32_e64 s15, v0
	s_cbranch_execz .LBB48_139
; %bb.130:                              ;   in Loop: Header=BB48_7 Depth=1
	v_dual_mov_b32 v1, v18 :: v_dual_mov_b32 v2, v0
	s_mov_b32 s23, 0
                                        ; implicit-def: $sgpr24
	s_branch .LBB48_134
.LBB48_131:                             ;   in Loop: Header=BB48_134 Depth=2
	s_wait_alu 0xfffe
	s_or_b32 exec_lo, exec_lo, s25
	s_wait_loadcnt_dscnt 0x0
	s_barrier_signal -1
	s_barrier_wait -1
	global_inv scope:SCOPE_SE
	ds_load_b64 v[14:15], v7 offset:3072
	s_wait_loadcnt_dscnt 0x0
	s_barrier_signal -1
	s_barrier_wait -1
	global_inv scope:SCOPE_SE
	v_cmp_eq_f32_e32 vcc_lo, 0, v14
	s_cbranch_vccz .LBB48_137
; %bb.132:                              ;   in Loop: Header=BB48_134 Depth=2
	v_add_nc_u32_e32 v2, s50, v2
	v_add_nc_u32_e32 v1, s52, v1
	s_mov_b32 s25, 0
	s_delay_alu instid0(VALU_DEP_2)
	v_cmp_le_i32_e32 vcc_lo, s15, v2
	s_or_not1_b32 s26, vcc_lo, exec_lo
.LBB48_133:                             ;   in Loop: Header=BB48_134 Depth=2
	s_wait_alu 0xfffe
	s_and_b32 s26, exec_lo, s26
	s_wait_alu 0xfffe
	s_or_b32 s23, s26, s23
	s_and_not1_b32 s24, s24, exec_lo
	s_and_b32 s25, s25, exec_lo
	s_wait_alu 0xfffe
	s_or_b32 s24, s24, s25
	s_and_not1_b32 exec_lo, exec_lo, s23
	s_cbranch_execz .LBB48_138
.LBB48_134:                             ;   Parent Loop BB48_7 Depth=1
                                        ; =>  This Inner Loop Header: Depth=2
	s_mov_b32 s25, exec_lo
	s_delay_alu instid0(VALU_DEP_1)
	v_cmpx_gt_i32_e64 s21, v2
	s_cbranch_execz .LBB48_131
; %bb.135:                              ;   in Loop: Header=BB48_134 Depth=2
	ds_load_b32 v14, v1
	s_wait_dscnt 0x0
	v_cmp_lt_i32_e32 vcc_lo, -1, v14
	s_wait_alu 0xfffd
	v_cndmask_b32_e64 v6, -1, 0x80000000, vcc_lo
	v_cmp_o_f32_e32 vcc_lo, v14, v14
	s_delay_alu instid0(VALU_DEP_2) | instskip(SKIP_1) | instid1(VALU_DEP_1)
	v_xor_b32_e32 v6, v6, v14
	s_wait_alu 0xfffd
	v_cndmask_b32_e32 v6, -1, v6, vcc_lo
	s_delay_alu instid0(VALU_DEP_1) | instskip(NEXT) | instid1(VALU_DEP_1)
	v_and_b32_e32 v6, v6, v32
	v_cmp_eq_u32_e32 vcc_lo, v6, v24
	s_and_b32 exec_lo, exec_lo, vcc_lo
	s_cbranch_execz .LBB48_131
; %bb.136:                              ;   in Loop: Header=BB48_134 Depth=2
	ds_store_b64 v7, v[13:14] offset:3072
	s_branch .LBB48_131
.LBB48_137:                             ;   in Loop: Header=BB48_134 Depth=2
	s_mov_b32 s26, -1
	s_mov_b32 s25, -1
                                        ; implicit-def: $vgpr2
                                        ; implicit-def: $vgpr1
	s_branch .LBB48_133
.LBB48_138:                             ;   in Loop: Header=BB48_7 Depth=1
	s_or_b32 exec_lo, exec_lo, s23
	s_delay_alu instid0(SALU_CYCLE_1)
	s_and_not1_b32 s15, s22, exec_lo
	s_wait_alu 0xfffe
	s_and_b32 s21, s24, exec_lo
	s_wait_alu 0xfffe
	s_or_b32 s22, s15, s21
.LBB48_139:                             ;   in Loop: Header=BB48_7 Depth=1
	s_or_b32 exec_lo, exec_lo, s14
	s_mov_b32 s14, 0
	s_mov_b32 s15, -1
.LBB48_140:                             ;   in Loop: Header=BB48_7 Depth=1
	s_wait_alu 0xfffe
	s_or_not1_b32 s21, s22, exec_lo
.LBB48_141:                             ;   in Loop: Header=BB48_7 Depth=1
	s_wait_alu 0xfffe
	s_or_b32 exec_lo, exec_lo, s18
	s_mov_b32 s22, 0
	s_and_saveexec_b32 s18, s21
	s_cbranch_execz .LBB48_234
; %bb.142:                              ;   in Loop: Header=BB48_7 Depth=1
	v_dual_mov_b32 v6, 1 :: v_dual_mov_b32 v3, 1
	s_xor_b32 s21, s20, -1
	s_mov_b32 s23, 0
	s_wait_alu 0xfffe
	s_and_saveexec_b32 s20, s21
	s_cbranch_execz .LBB48_151
; %bb.143:                              ;   in Loop: Header=BB48_7 Depth=1
	s_mov_b32 s21, exec_lo
	v_cmpx_ge_i32_e64 s19, v4
	s_wait_alu 0xfffe
	s_xor_b32 s21, exec_lo, s21
	s_cbranch_execz .LBB48_148
; %bb.144:                              ;   in Loop: Header=BB48_7 Depth=1
	ds_load_b32 v1, v7 offset:4096
	s_lshl_b32 s22, 1, s71
	v_or_b32_e32 v32, s10, v32
	s_wait_alu 0xfffe
	v_and_or_b32 v24, v24, s17, s22
	s_wait_dscnt 0x0
	v_cmp_ne_u32_e32 vcc_lo, 0, v1
	s_cbranch_vccnz .LBB48_148
; %bb.145:                              ;   in Loop: Header=BB48_7 Depth=1
	s_and_saveexec_b32 s22, s2
; %bb.146:                              ;   in Loop: Header=BB48_7 Depth=1
	v_mov_b32_e32 v1, s19
	ds_store_b32 v7, v1 offset:4100
; %bb.147:                              ;   in Loop: Header=BB48_7 Depth=1
	s_wait_alu 0xfffe
	s_or_b32 exec_lo, exec_lo, s22
	s_wait_loadcnt_dscnt 0x0
	s_barrier_signal -1
	s_barrier_wait -1
	global_inv scope:SCOPE_SE
.LBB48_148:                             ;   in Loop: Header=BB48_7 Depth=1
	s_wait_alu 0xfffe
	s_or_saveexec_b32 s21, s21
	v_mov_b32_e32 v3, 8
	s_mov_b32 s22, 0
	s_wait_alu 0xfffe
	s_xor_b32 exec_lo, exec_lo, s21
; %bb.149:                              ;   in Loop: Header=BB48_7 Depth=1
	v_subrev_nc_u32_e32 v4, s19, v4
	v_mov_b32_e32 v3, 0
	s_mov_b32 s22, exec_lo
; %bb.150:                              ;   in Loop: Header=BB48_7 Depth=1
	s_or_b32 exec_lo, exec_lo, s21
	s_delay_alu instid0(VALU_DEP_2)
	v_mov_b32_e32 v6, v4
	s_wait_alu 0xfffe
	s_and_b32 s23, s22, exec_lo
.LBB48_151:                             ;   in Loop: Header=BB48_7 Depth=1
	s_wait_alu 0xfffe
	s_or_b32 exec_lo, exec_lo, s20
	s_mov_b32 s22, -1
                                        ; implicit-def: $sgpr20
                                        ; implicit-def: $sgpr21
	s_and_saveexec_b32 s19, s23
	s_cbranch_execz .LBB48_233
; %bb.152:                              ;   in Loop: Header=BB48_7 Depth=1
	v_cmp_eq_u32_e32 vcc_lo, 1, v6
	s_cmp_eq_u32 s16, 1
	s_mov_b32 s24, -1
	s_cselect_b32 s20, -1, 0
                                        ; implicit-def: $sgpr21
	s_wait_alu 0xfffe
	s_and_b32 s23, s20, vcc_lo
                                        ; implicit-def: $sgpr20
	s_wait_alu 0xfffe
	s_and_saveexec_b32 s22, s23
	s_cbranch_execz .LBB48_180
; %bb.153:                              ;   in Loop: Header=BB48_7 Depth=1
	ds_load_b32 v1, v7 offset:4096
	s_wait_loadcnt_dscnt 0x0
	s_barrier_signal -1
	s_barrier_wait -1
	global_inv scope:SCOPE_SE
	v_readfirstlane_b32 s24, v1
	s_and_saveexec_b32 s20, s0
; %bb.154:                              ;   in Loop: Header=BB48_7 Depth=1
	ds_store_b32 v20, v7
; %bb.155:                              ;   in Loop: Header=BB48_7 Depth=1
	s_wait_alu 0xfffe
	s_or_b32 exec_lo, exec_lo, s20
	s_lshl_b32 s20, 2, s71
	v_or_b32_e32 v32, s10, v32
	s_wait_alu 0xfffe
	v_and_or_b32 v24, v24, s17, s20
	s_mov_b32 s20, -1
	s_mov_b32 s21, 0
	s_cmp_gt_i32 s24, 0
	s_mov_b32 s25, 0
	s_mov_b32 s26, -1
	s_wait_loadcnt_dscnt 0x0
	s_barrier_signal -1
	s_barrier_wait -1
	global_inv scope:SCOPE_SE
                                        ; implicit-def: $vgpr15
	s_cbranch_scc1 .LBB48_167
; %bb.156:                              ;   in Loop: Header=BB48_7 Depth=1
	s_mov_b32 s26, 0
                                        ; implicit-def: $vgpr15
	s_and_saveexec_b32 s27, s8
	s_cbranch_execz .LBB48_166
; %bb.157:                              ;   in Loop: Header=BB48_7 Depth=1
	v_dual_mov_b32 v1, v5 :: v_dual_mov_b32 v4, v0
                                        ; implicit-def: $sgpr28
	s_branch .LBB48_161
.LBB48_158:                             ;   in Loop: Header=BB48_161 Depth=2
	s_wait_alu 0xfffe
	s_or_b32 exec_lo, exec_lo, s40
	s_wait_loadcnt_dscnt 0x0
	s_barrier_signal -1
	s_barrier_wait -1
	global_inv scope:SCOPE_SE
	ds_load_b64 v[14:15], v7 offset:3072
	s_wait_loadcnt_dscnt 0x0
	s_barrier_signal -1
	s_barrier_wait -1
	global_inv scope:SCOPE_SE
	v_cmp_neq_f32_e32 vcc_lo, 0, v14
	s_cbranch_vccnz .LBB48_164
; %bb.159:                              ;   in Loop: Header=BB48_161 Depth=2
	v_add_nc_u32_e32 v4, s50, v4
	v_add_nc_u32_e32 v1, s54, v1
	s_mov_b32 s40, 0
	s_delay_alu instid0(VALU_DEP_2)
	v_cmp_le_i32_e32 vcc_lo, s62, v4
	s_or_not1_b32 s72, vcc_lo, exec_lo
.LBB48_160:                             ;   in Loop: Header=BB48_161 Depth=2
	s_wait_alu 0xfffe
	s_and_b32 s72, exec_lo, s72
	s_wait_alu 0xfffe
	s_or_b32 s25, s72, s25
	s_and_not1_b32 s28, s28, exec_lo
	s_and_b32 s40, s40, exec_lo
	s_wait_alu 0xfffe
	s_or_b32 s28, s28, s40
	s_and_not1_b32 exec_lo, exec_lo, s25
	s_cbranch_execz .LBB48_165
.LBB48_161:                             ;   Parent Loop BB48_7 Depth=1
                                        ; =>  This Inner Loop Header: Depth=2
	s_mov_b32 s40, exec_lo
	s_delay_alu instid0(VALU_DEP_1)
	v_cmpx_gt_i32_e64 s36, v4
	s_cbranch_execz .LBB48_158
; %bb.162:                              ;   in Loop: Header=BB48_161 Depth=2
	v_ashrrev_i32_e32 v2, 31, v1
	s_delay_alu instid0(VALU_DEP_1) | instskip(NEXT) | instid1(VALU_DEP_1)
	v_lshlrev_b64_e32 v[14:15], 2, v[1:2]
	v_add_co_u32 v14, vcc_lo, s42, v14
	s_wait_alu 0xfffd
	s_delay_alu instid0(VALU_DEP_2)
	v_add_co_ci_u32_e64 v15, null, s43, v15, vcc_lo
	global_load_b32 v14, v[14:15], off
	s_wait_loadcnt 0x0
	v_cmp_lt_i32_e32 vcc_lo, -1, v14
	s_wait_alu 0xfffd
	v_cndmask_b32_e64 v2, -1, 0x80000000, vcc_lo
	v_cmp_o_f32_e32 vcc_lo, v14, v14
	s_delay_alu instid0(VALU_DEP_2) | instskip(SKIP_1) | instid1(VALU_DEP_1)
	v_xor_b32_e32 v2, v2, v14
	s_wait_alu 0xfffd
	v_cndmask_b32_e32 v2, -1, v2, vcc_lo
	s_delay_alu instid0(VALU_DEP_1) | instskip(NEXT) | instid1(VALU_DEP_1)
	v_and_b32_e32 v2, v2, v32
	v_cmp_eq_u32_e32 vcc_lo, v2, v24
	s_and_b32 exec_lo, exec_lo, vcc_lo
	s_cbranch_execz .LBB48_158
; %bb.163:                              ;   in Loop: Header=BB48_161 Depth=2
	ds_store_b64 v7, v[13:14] offset:3072
	s_branch .LBB48_158
.LBB48_164:                             ;   in Loop: Header=BB48_161 Depth=2
	s_mov_b32 s72, -1
	s_mov_b32 s40, -1
                                        ; implicit-def: $vgpr4
                                        ; implicit-def: $vgpr1
	s_branch .LBB48_160
.LBB48_165:                             ;   in Loop: Header=BB48_7 Depth=1
	s_or_b32 exec_lo, exec_lo, s25
	s_delay_alu instid0(SALU_CYCLE_1)
	s_and_b32 s25, s28, exec_lo
.LBB48_166:                             ;   in Loop: Header=BB48_7 Depth=1
	s_wait_alu 0xfffe
	s_or_b32 exec_lo, exec_lo, s27
.LBB48_167:                             ;   in Loop: Header=BB48_7 Depth=1
	s_wait_alu 0xfffe
	s_and_b32 vcc_lo, exec_lo, s26
	s_wait_alu 0xfffe
	s_cbranch_vccz .LBB48_179
; %bb.168:                              ;   in Loop: Header=BB48_7 Depth=1
	s_add_co_i32 s26, s24, s53
                                        ; implicit-def: $vgpr15
	s_wait_alu 0xfffe
	s_abs_i32 s40, s26
	s_wait_alu 0xfffe
	s_mul_u64 s[20:21], s[40:41], s[46:47]
	s_wait_alu 0xfffe
	s_mul_i32 s20, s21, s50
	s_ashr_i32 s21, s26, 31
	s_wait_alu 0xfffe
	s_sub_co_i32 s20, s40, s20
	s_wait_alu 0xfffe
	s_sub_co_i32 s27, s20, s50
	s_cmp_ge_u32 s20, s50
	s_wait_alu 0xfffe
	s_cselect_b32 s20, s27, s20
	s_wait_alu 0xfffe
	s_sub_co_i32 s27, s20, s50
	s_cmp_ge_u32 s20, s50
	s_wait_alu 0xfffe
	s_cselect_b32 s20, s27, s20
	s_wait_alu 0xfffe
	s_xor_b32 s20, s20, s21
	s_wait_alu 0xfffe
	s_sub_co_i32 s20, s21, s20
	s_wait_alu 0xfffe
	s_add_co_i32 s21, s26, s20
	s_mov_b32 s20, exec_lo
	s_wait_alu 0xfffe
	v_cmpx_gt_i32_e64 s21, v0
	s_cbranch_execz .LBB48_178
; %bb.169:                              ;   in Loop: Header=BB48_7 Depth=1
	v_dual_mov_b32 v1, v18 :: v_dual_mov_b32 v2, v0
	s_mov_b32 s26, 0
                                        ; implicit-def: $sgpr27
	s_branch .LBB48_173
.LBB48_170:                             ;   in Loop: Header=BB48_173 Depth=2
	s_or_b32 exec_lo, exec_lo, s28
	s_wait_loadcnt_dscnt 0x0
	s_barrier_signal -1
	s_barrier_wait -1
	global_inv scope:SCOPE_SE
	ds_load_b64 v[14:15], v7 offset:3072
	s_wait_loadcnt_dscnt 0x0
	s_barrier_signal -1
	s_barrier_wait -1
	global_inv scope:SCOPE_SE
	v_cmp_eq_f32_e32 vcc_lo, 0, v14
	s_cbranch_vccz .LBB48_176
; %bb.171:                              ;   in Loop: Header=BB48_173 Depth=2
	v_add_nc_u32_e32 v2, s50, v2
	v_add_nc_u32_e32 v1, s52, v1
	s_mov_b32 s28, 0
	s_delay_alu instid0(VALU_DEP_2)
	v_cmp_le_i32_e32 vcc_lo, s21, v2
	s_or_not1_b32 s40, vcc_lo, exec_lo
.LBB48_172:                             ;   in Loop: Header=BB48_173 Depth=2
	s_wait_alu 0xfffe
	s_and_b32 s40, exec_lo, s40
	s_wait_alu 0xfffe
	s_or_b32 s26, s40, s26
	s_and_not1_b32 s27, s27, exec_lo
	s_and_b32 s28, s28, exec_lo
	s_wait_alu 0xfffe
	s_or_b32 s27, s27, s28
	s_and_not1_b32 exec_lo, exec_lo, s26
	s_cbranch_execz .LBB48_177
.LBB48_173:                             ;   Parent Loop BB48_7 Depth=1
                                        ; =>  This Inner Loop Header: Depth=2
	s_mov_b32 s28, exec_lo
	s_delay_alu instid0(VALU_DEP_1)
	v_cmpx_gt_i32_e64 s24, v2
	s_cbranch_execz .LBB48_170
; %bb.174:                              ;   in Loop: Header=BB48_173 Depth=2
	ds_load_b32 v14, v1
	s_wait_dscnt 0x0
	v_cmp_lt_i32_e32 vcc_lo, -1, v14
	s_wait_alu 0xfffd
	v_cndmask_b32_e64 v4, -1, 0x80000000, vcc_lo
	v_cmp_o_f32_e32 vcc_lo, v14, v14
	s_delay_alu instid0(VALU_DEP_2) | instskip(SKIP_1) | instid1(VALU_DEP_1)
	v_xor_b32_e32 v4, v4, v14
	s_wait_alu 0xfffd
	v_cndmask_b32_e32 v4, -1, v4, vcc_lo
	s_delay_alu instid0(VALU_DEP_1) | instskip(NEXT) | instid1(VALU_DEP_1)
	v_and_b32_e32 v4, v4, v32
	v_cmp_eq_u32_e32 vcc_lo, v4, v24
	s_and_b32 exec_lo, exec_lo, vcc_lo
	s_cbranch_execz .LBB48_170
; %bb.175:                              ;   in Loop: Header=BB48_173 Depth=2
	ds_store_b64 v7, v[13:14] offset:3072
	s_branch .LBB48_170
.LBB48_176:                             ;   in Loop: Header=BB48_173 Depth=2
	s_mov_b32 s40, -1
	s_mov_b32 s28, -1
                                        ; implicit-def: $vgpr2
                                        ; implicit-def: $vgpr1
	s_branch .LBB48_172
.LBB48_177:                             ;   in Loop: Header=BB48_7 Depth=1
	s_or_b32 exec_lo, exec_lo, s26
	s_delay_alu instid0(SALU_CYCLE_1)
	s_and_not1_b32 s21, s25, exec_lo
	s_wait_alu 0xfffe
	s_and_b32 s24, s27, exec_lo
	s_wait_alu 0xfffe
	s_or_b32 s25, s21, s24
.LBB48_178:                             ;   in Loop: Header=BB48_7 Depth=1
	s_or_b32 exec_lo, exec_lo, s20
	s_mov_b32 s20, 0
	s_mov_b32 s21, -1
.LBB48_179:                             ;   in Loop: Header=BB48_7 Depth=1
	s_wait_alu 0xfffe
	s_or_not1_b32 s24, s25, exec_lo
.LBB48_180:                             ;   in Loop: Header=BB48_7 Depth=1
	s_wait_alu 0xfffe
	s_or_b32 exec_lo, exec_lo, s22
	s_mov_b32 s25, 0
	s_and_saveexec_b32 s22, s24
	s_cbranch_execz .LBB48_232
; %bb.181:                              ;   in Loop: Header=BB48_7 Depth=1
	v_dual_mov_b32 v4, 1 :: v_dual_mov_b32 v3, 1
	s_xor_b32 s24, s23, -1
	s_wait_alu 0xfffe
	s_and_saveexec_b32 s23, s24
	s_cbranch_execz .LBB48_190
; %bb.182:                              ;   in Loop: Header=BB48_7 Depth=1
	s_mov_b32 s24, exec_lo
	v_cmpx_ge_i32_e64 s16, v6
	s_wait_alu 0xfffe
	s_xor_b32 s24, exec_lo, s24
	s_cbranch_execz .LBB48_187
; %bb.183:                              ;   in Loop: Header=BB48_7 Depth=1
	ds_load_b32 v1, v7 offset:4096
	s_lshl_b32 s25, 2, s71
	v_or_b32_e32 v32, s10, v32
	s_wait_alu 0xfffe
	v_and_or_b32 v24, v24, s17, s25
	s_wait_dscnt 0x0
	v_cmp_ne_u32_e32 vcc_lo, 0, v1
	s_cbranch_vccnz .LBB48_187
; %bb.184:                              ;   in Loop: Header=BB48_7 Depth=1
	s_and_saveexec_b32 s17, s2
; %bb.185:                              ;   in Loop: Header=BB48_7 Depth=1
	v_mov_b32_e32 v1, s16
	ds_store_b32 v7, v1 offset:4100
; %bb.186:                              ;   in Loop: Header=BB48_7 Depth=1
	s_wait_alu 0xfffe
	s_or_b32 exec_lo, exec_lo, s17
	s_wait_loadcnt_dscnt 0x0
	s_barrier_signal -1
	s_barrier_wait -1
	global_inv scope:SCOPE_SE
.LBB48_187:                             ;   in Loop: Header=BB48_7 Depth=1
	s_wait_alu 0xfffe
	s_or_saveexec_b32 s17, s24
	v_mov_b32_e32 v3, 8
	s_mov_b32 s24, 0
	s_wait_alu 0xfffe
	s_xor_b32 exec_lo, exec_lo, s17
; %bb.188:                              ;   in Loop: Header=BB48_7 Depth=1
	v_subrev_nc_u32_e32 v6, s16, v6
	v_mov_b32_e32 v3, 0
	s_mov_b32 s24, exec_lo
; %bb.189:                              ;   in Loop: Header=BB48_7 Depth=1
	s_or_b32 exec_lo, exec_lo, s17
	s_delay_alu instid0(VALU_DEP_2)
	v_mov_b32_e32 v4, v6
	s_wait_alu 0xfffe
	s_and_b32 s25, s24, exec_lo
.LBB48_190:                             ;   in Loop: Header=BB48_7 Depth=1
	s_wait_alu 0xfffe
	s_or_b32 exec_lo, exec_lo, s23
	s_mov_b32 s17, -1
                                        ; implicit-def: $sgpr24
                                        ; implicit-def: $sgpr23
	s_and_saveexec_b32 s16, s25
	s_cbranch_execz .LBB48_231
; %bb.191:                              ;   in Loop: Header=BB48_7 Depth=1
	v_cmp_eq_u32_e32 vcc_lo, 1, v4
	s_cmp_eq_u32 s9, 1
	s_mov_b32 s26, -1
	s_cselect_b32 s17, -1, 0
                                        ; implicit-def: $sgpr24
                                        ; implicit-def: $sgpr23
	s_wait_alu 0xfffe
	s_and_b32 s17, s17, vcc_lo
	s_wait_alu 0xfffe
	s_and_saveexec_b32 s25, s17
	s_cbranch_execz .LBB48_219
; %bb.192:                              ;   in Loop: Header=BB48_7 Depth=1
	ds_load_b32 v1, v7 offset:4096
	s_wait_loadcnt_dscnt 0x0
	s_barrier_signal -1
	s_barrier_wait -1
	global_inv scope:SCOPE_SE
	v_readfirstlane_b32 s26, v1
	s_and_saveexec_b32 s23, s0
; %bb.193:                              ;   in Loop: Header=BB48_7 Depth=1
	ds_store_b32 v20, v7
; %bb.194:                              ;   in Loop: Header=BB48_7 Depth=1
	s_wait_alu 0xfffe
	s_or_b32 exec_lo, exec_lo, s23
	v_or_b32_e32 v24, s10, v24
	v_or_b32_e32 v32, s10, v32
	s_mov_b32 s23, -1
	s_mov_b32 s24, 0
	s_cmp_gt_i32 s26, 0
	s_mov_b32 s27, 0
	s_mov_b32 s28, -1
	s_wait_loadcnt_dscnt 0x0
	s_barrier_signal -1
	s_barrier_wait -1
	global_inv scope:SCOPE_SE
                                        ; implicit-def: $vgpr15
	s_cbranch_scc1 .LBB48_206
; %bb.195:                              ;   in Loop: Header=BB48_7 Depth=1
	s_mov_b32 s28, 0
                                        ; implicit-def: $vgpr15
	s_and_saveexec_b32 s40, s8
	s_cbranch_execz .LBB48_205
; %bb.196:                              ;   in Loop: Header=BB48_7 Depth=1
	v_dual_mov_b32 v1, v5 :: v_dual_mov_b32 v6, v0
                                        ; implicit-def: $sgpr72
	s_branch .LBB48_200
.LBB48_197:                             ;   in Loop: Header=BB48_200 Depth=2
	s_wait_alu 0xfffe
	s_or_b32 exec_lo, exec_lo, s73
	s_wait_loadcnt_dscnt 0x0
	s_barrier_signal -1
	s_barrier_wait -1
	global_inv scope:SCOPE_SE
	ds_load_b64 v[14:15], v7 offset:3072
	s_wait_loadcnt_dscnt 0x0
	s_barrier_signal -1
	s_barrier_wait -1
	global_inv scope:SCOPE_SE
	v_cmp_neq_f32_e32 vcc_lo, 0, v14
	s_cbranch_vccnz .LBB48_203
; %bb.198:                              ;   in Loop: Header=BB48_200 Depth=2
	v_add_nc_u32_e32 v6, s50, v6
	v_add_nc_u32_e32 v1, s54, v1
	s_mov_b32 s73, 0
	s_delay_alu instid0(VALU_DEP_2)
	v_cmp_le_i32_e32 vcc_lo, s62, v6
	s_or_not1_b32 s74, vcc_lo, exec_lo
.LBB48_199:                             ;   in Loop: Header=BB48_200 Depth=2
	s_wait_alu 0xfffe
	s_and_b32 s74, exec_lo, s74
	s_wait_alu 0xfffe
	s_or_b32 s27, s74, s27
	s_and_not1_b32 s72, s72, exec_lo
	s_and_b32 s73, s73, exec_lo
	s_wait_alu 0xfffe
	s_or_b32 s72, s72, s73
	s_and_not1_b32 exec_lo, exec_lo, s27
	s_cbranch_execz .LBB48_204
.LBB48_200:                             ;   Parent Loop BB48_7 Depth=1
                                        ; =>  This Inner Loop Header: Depth=2
	s_mov_b32 s73, exec_lo
	s_delay_alu instid0(VALU_DEP_1)
	v_cmpx_gt_i32_e64 s36, v6
	s_cbranch_execz .LBB48_197
; %bb.201:                              ;   in Loop: Header=BB48_200 Depth=2
	v_ashrrev_i32_e32 v2, 31, v1
	s_delay_alu instid0(VALU_DEP_1) | instskip(NEXT) | instid1(VALU_DEP_1)
	v_lshlrev_b64_e32 v[14:15], 2, v[1:2]
	v_add_co_u32 v14, vcc_lo, s42, v14
	s_wait_alu 0xfffd
	s_delay_alu instid0(VALU_DEP_2)
	v_add_co_ci_u32_e64 v15, null, s43, v15, vcc_lo
	global_load_b32 v14, v[14:15], off
	s_wait_loadcnt 0x0
	v_cmp_lt_i32_e32 vcc_lo, -1, v14
	s_wait_alu 0xfffd
	v_cndmask_b32_e64 v2, -1, 0x80000000, vcc_lo
	v_cmp_o_f32_e32 vcc_lo, v14, v14
	s_delay_alu instid0(VALU_DEP_2) | instskip(SKIP_1) | instid1(VALU_DEP_1)
	v_xor_b32_e32 v2, v2, v14
	s_wait_alu 0xfffd
	v_cndmask_b32_e32 v2, -1, v2, vcc_lo
	s_delay_alu instid0(VALU_DEP_1) | instskip(NEXT) | instid1(VALU_DEP_1)
	v_and_b32_e32 v2, v2, v32
	v_cmp_eq_u32_e32 vcc_lo, v2, v24
	s_and_b32 exec_lo, exec_lo, vcc_lo
	s_cbranch_execz .LBB48_197
; %bb.202:                              ;   in Loop: Header=BB48_200 Depth=2
	ds_store_b64 v7, v[13:14] offset:3072
	s_branch .LBB48_197
.LBB48_203:                             ;   in Loop: Header=BB48_200 Depth=2
	s_mov_b32 s74, -1
	s_mov_b32 s73, -1
                                        ; implicit-def: $vgpr6
                                        ; implicit-def: $vgpr1
	s_branch .LBB48_199
.LBB48_204:                             ;   in Loop: Header=BB48_7 Depth=1
	s_or_b32 exec_lo, exec_lo, s27
	s_wait_alu 0xfffe
	s_and_b32 s27, s72, exec_lo
.LBB48_205:                             ;   in Loop: Header=BB48_7 Depth=1
	s_wait_alu 0xfffe
	s_or_b32 exec_lo, exec_lo, s40
.LBB48_206:                             ;   in Loop: Header=BB48_7 Depth=1
	s_delay_alu instid0(SALU_CYCLE_1)
	s_and_b32 vcc_lo, exec_lo, s28
	s_wait_alu 0xfffe
	s_cbranch_vccz .LBB48_218
; %bb.207:                              ;   in Loop: Header=BB48_7 Depth=1
	s_add_co_i32 s24, s26, s53
                                        ; implicit-def: $vgpr15
	s_wait_alu 0xfffe
	s_abs_i32 s40, s24
	s_ashr_i32 s28, s24, 31
	s_wait_alu 0xfffe
	s_mul_u64 s[72:73], s[40:41], s[46:47]
	s_wait_alu 0xfffe
	s_mul_i32 s23, s73, s50
	s_wait_alu 0xfffe
	s_sub_co_i32 s23, s40, s23
	s_wait_alu 0xfffe
	s_sub_co_i32 s40, s23, s50
	s_cmp_ge_u32 s23, s50
	s_wait_alu 0xfffe
	s_cselect_b32 s23, s40, s23
	s_wait_alu 0xfffe
	s_sub_co_i32 s40, s23, s50
	s_cmp_ge_u32 s23, s50
	s_wait_alu 0xfffe
	s_cselect_b32 s23, s40, s23
	s_wait_alu 0xfffe
	s_xor_b32 s23, s23, s28
	s_wait_alu 0xfffe
	s_sub_co_i32 s23, s28, s23
	s_wait_alu 0xfffe
	s_add_co_i32 s24, s24, s23
	s_mov_b32 s23, exec_lo
	s_wait_alu 0xfffe
	v_cmpx_gt_i32_e64 s24, v0
	s_cbranch_execz .LBB48_217
; %bb.208:                              ;   in Loop: Header=BB48_7 Depth=1
	v_dual_mov_b32 v1, v18 :: v_dual_mov_b32 v2, v0
	s_mov_b32 s28, 0
                                        ; implicit-def: $sgpr40
	s_branch .LBB48_212
.LBB48_209:                             ;   in Loop: Header=BB48_212 Depth=2
	s_wait_alu 0xfffe
	s_or_b32 exec_lo, exec_lo, s72
	s_wait_loadcnt_dscnt 0x0
	s_barrier_signal -1
	s_barrier_wait -1
	global_inv scope:SCOPE_SE
	ds_load_b64 v[14:15], v7 offset:3072
	s_wait_loadcnt_dscnt 0x0
	s_barrier_signal -1
	s_barrier_wait -1
	global_inv scope:SCOPE_SE
	v_cmp_eq_f32_e32 vcc_lo, 0, v14
	s_cbranch_vccz .LBB48_215
; %bb.210:                              ;   in Loop: Header=BB48_212 Depth=2
	v_add_nc_u32_e32 v2, s50, v2
	v_add_nc_u32_e32 v1, s52, v1
	s_mov_b32 s72, 0
	s_delay_alu instid0(VALU_DEP_2)
	v_cmp_le_i32_e32 vcc_lo, s24, v2
	s_or_not1_b32 s73, vcc_lo, exec_lo
.LBB48_211:                             ;   in Loop: Header=BB48_212 Depth=2
	s_wait_alu 0xfffe
	s_and_b32 s73, exec_lo, s73
	s_wait_alu 0xfffe
	s_or_b32 s28, s73, s28
	s_and_not1_b32 s40, s40, exec_lo
	s_and_b32 s72, s72, exec_lo
	s_wait_alu 0xfffe
	s_or_b32 s40, s40, s72
	s_and_not1_b32 exec_lo, exec_lo, s28
	s_cbranch_execz .LBB48_216
.LBB48_212:                             ;   Parent Loop BB48_7 Depth=1
                                        ; =>  This Inner Loop Header: Depth=2
	s_mov_b32 s72, exec_lo
	s_delay_alu instid0(VALU_DEP_1)
	v_cmpx_gt_i32_e64 s26, v2
	s_cbranch_execz .LBB48_209
; %bb.213:                              ;   in Loop: Header=BB48_212 Depth=2
	ds_load_b32 v14, v1
	s_wait_dscnt 0x0
	v_cmp_lt_i32_e32 vcc_lo, -1, v14
	s_wait_alu 0xfffd
	v_cndmask_b32_e64 v6, -1, 0x80000000, vcc_lo
	v_cmp_o_f32_e32 vcc_lo, v14, v14
	s_delay_alu instid0(VALU_DEP_2) | instskip(SKIP_1) | instid1(VALU_DEP_1)
	v_xor_b32_e32 v6, v6, v14
	s_wait_alu 0xfffd
	v_cndmask_b32_e32 v6, -1, v6, vcc_lo
	s_delay_alu instid0(VALU_DEP_1) | instskip(NEXT) | instid1(VALU_DEP_1)
	v_and_b32_e32 v6, v6, v32
	v_cmp_eq_u32_e32 vcc_lo, v6, v24
	s_and_b32 exec_lo, exec_lo, vcc_lo
	s_cbranch_execz .LBB48_209
; %bb.214:                              ;   in Loop: Header=BB48_212 Depth=2
	ds_store_b64 v7, v[13:14] offset:3072
	s_branch .LBB48_209
.LBB48_215:                             ;   in Loop: Header=BB48_212 Depth=2
	s_mov_b32 s73, -1
	s_mov_b32 s72, -1
                                        ; implicit-def: $vgpr2
                                        ; implicit-def: $vgpr1
	s_branch .LBB48_211
.LBB48_216:                             ;   in Loop: Header=BB48_7 Depth=1
	s_or_b32 exec_lo, exec_lo, s28
	s_delay_alu instid0(SALU_CYCLE_1)
	s_and_not1_b32 s24, s27, exec_lo
	s_wait_alu 0xfffe
	s_and_b32 s26, s40, exec_lo
	s_wait_alu 0xfffe
	s_or_b32 s27, s24, s26
.LBB48_217:                             ;   in Loop: Header=BB48_7 Depth=1
	s_or_b32 exec_lo, exec_lo, s23
	s_mov_b32 s23, 0
	s_mov_b32 s24, -1
.LBB48_218:                             ;   in Loop: Header=BB48_7 Depth=1
	s_wait_alu 0xfffe
	s_or_not1_b32 s26, s27, exec_lo
.LBB48_219:                             ;   in Loop: Header=BB48_7 Depth=1
	s_wait_alu 0xfffe
	s_or_b32 exec_lo, exec_lo, s25
	s_mov_b32 s27, 0
	s_and_saveexec_b32 s25, s26
	s_cbranch_execz .LBB48_230
; %bb.220:                              ;   in Loop: Header=BB48_7 Depth=1
	v_mov_b32_e32 v3, 1
	v_mov_b32_e32 v1, 1
	s_xor_b32 s26, s17, -1
	s_wait_alu 0xfffe
	s_and_saveexec_b32 s17, s26
	s_cbranch_execz .LBB48_229
; %bb.221:                              ;   in Loop: Header=BB48_7 Depth=1
	s_mov_b32 s26, exec_lo
	v_cmpx_ge_i32_e64 s9, v4
	s_wait_alu 0xfffe
	s_xor_b32 s26, exec_lo, s26
	s_cbranch_execz .LBB48_226
; %bb.222:                              ;   in Loop: Header=BB48_7 Depth=1
	ds_load_b32 v1, v7 offset:4096
	v_or_b32_e32 v24, s10, v24
	v_or_b32_e32 v32, s10, v32
	s_wait_dscnt 0x0
	v_cmp_ne_u32_e32 vcc_lo, 0, v1
	s_cbranch_vccnz .LBB48_226
; %bb.223:                              ;   in Loop: Header=BB48_7 Depth=1
	s_and_saveexec_b32 s10, s2
; %bb.224:                              ;   in Loop: Header=BB48_7 Depth=1
	v_mov_b32_e32 v1, s9
	ds_store_b32 v7, v1 offset:4100
; %bb.225:                              ;   in Loop: Header=BB48_7 Depth=1
	s_wait_alu 0xfffe
	s_or_b32 exec_lo, exec_lo, s10
	s_wait_loadcnt_dscnt 0x0
	s_barrier_signal -1
	s_barrier_wait -1
	global_inv scope:SCOPE_SE
.LBB48_226:                             ;   in Loop: Header=BB48_7 Depth=1
	s_wait_alu 0xfffe
	s_and_not1_saveexec_b32 s10, s26
; %bb.227:                              ;   in Loop: Header=BB48_7 Depth=1
	v_subrev_nc_u32_e32 v4, s9, v4
; %bb.228:                              ;   in Loop: Header=BB48_7 Depth=1
	s_wait_alu 0xfffe
	s_or_b32 exec_lo, exec_lo, s10
	v_mov_b32_e32 v3, 8
	s_delay_alu instid0(VALU_DEP_2)
	v_mov_b32_e32 v1, v4
.LBB48_229:                             ;   in Loop: Header=BB48_7 Depth=1
	s_wait_alu 0xfffe
	s_or_b32 exec_lo, exec_lo, s17
	s_delay_alu instid0(VALU_DEP_1)
	v_mov_b32_e32 v4, v1
	s_mov_b32 s27, exec_lo
.LBB48_230:                             ;   in Loop: Header=BB48_7 Depth=1
	s_wait_alu 0xfffe
	s_or_b32 exec_lo, exec_lo, s25
	s_delay_alu instid0(SALU_CYCLE_1)
	s_or_not1_b32 s17, s27, exec_lo
.LBB48_231:                             ;   in Loop: Header=BB48_7 Depth=1
	s_wait_alu 0xfffe
	s_or_b32 exec_lo, exec_lo, s16
	v_mov_b32_e32 v6, v4
	s_and_not1_b32 s9, s21, exec_lo
	s_and_b32 s10, s24, exec_lo
	s_and_not1_b32 s16, s20, exec_lo
	s_and_b32 s20, s23, exec_lo
	s_wait_alu 0xfffe
	s_or_b32 s21, s9, s10
	s_or_b32 s20, s16, s20
	s_and_b32 s25, s17, exec_lo
.LBB48_232:                             ;   in Loop: Header=BB48_7 Depth=1
	s_wait_alu 0xfffe
	s_or_b32 exec_lo, exec_lo, s22
	s_delay_alu instid0(SALU_CYCLE_1)
	s_or_not1_b32 s22, s25, exec_lo
.LBB48_233:                             ;   in Loop: Header=BB48_7 Depth=1
	s_wait_alu 0xfffe
	s_or_b32 exec_lo, exec_lo, s19
	v_mov_b32_e32 v4, v6
	s_and_not1_b32 s9, s15, exec_lo
	s_and_b32 s10, s21, exec_lo
	s_and_not1_b32 s14, s14, exec_lo
	s_and_b32 s16, s20, exec_lo
	s_wait_alu 0xfffe
	s_or_b32 s15, s9, s10
	s_or_b32 s14, s14, s16
	s_and_b32 s22, s22, exec_lo
.LBB48_234:                             ;   in Loop: Header=BB48_7 Depth=1
	s_wait_alu 0xfffe
	s_or_b32 exec_lo, exec_lo, s18
	s_delay_alu instid0(SALU_CYCLE_1)
	s_or_not1_b32 s18, s22, exec_lo
.LBB48_235:                             ;   in Loop: Header=BB48_7 Depth=1
	s_wait_alu 0xfffe
	s_or_b32 exec_lo, exec_lo, s13
	s_mov_b32 s10, 0
                                        ; implicit-def: $sgpr21
	s_and_saveexec_b32 s9, s18
	s_wait_alu 0xfffe
	s_xor_b32 s9, exec_lo, s9
	s_cbranch_execz .LBB48_5
; %bb.236:                              ;   in Loop: Header=BB48_7 Depth=1
	v_and_b32_e32 v1, 7, v3
	s_mov_b32 s12, -1
	s_mov_b32 s10, -1
	s_mov_b32 s13, exec_lo
                                        ; implicit-def: $sgpr21
	s_delay_alu instid0(VALU_DEP_1)
	v_cmpx_eq_u32_e32 0, v1
	s_cbranch_execz .LBB48_4
; %bb.237:                              ;   in Loop: Header=BB48_7 Depth=1
	s_add_co_i32 s21, s71, -2
	s_cmp_eq_u32 s71, 0
	v_xor_b32_e32 v31, 1, v31
	s_cselect_b32 s12, -1, 0
	s_xor_b32 s10, exec_lo, -1
	s_wait_alu 0xfffe
	s_or_not1_b32 s12, s12, exec_lo
	s_branch .LBB48_4
.LBB48_238:
	s_or_b32 exec_lo, exec_lo, s37
	s_wait_alu 0xfffe
	s_xor_b32 s3, s70, -1
	s_xor_b32 s1, s68, -1
	;; [unrolled: 1-line block ×3, first 2 shown]
	s_mov_b32 s0, 0
	s_and_saveexec_b32 s5, s1
	s_delay_alu instid0(SALU_CYCLE_1)
	s_xor_b32 s1, exec_lo, s5
	s_cbranch_execnz .LBB48_243
; %bb.239:
	s_and_not1_saveexec_b32 s1, s1
	s_cbranch_execnz .LBB48_263
.LBB48_240:
	s_wait_alu 0xfffe
	s_or_b32 exec_lo, exec_lo, s1
	s_and_saveexec_b32 s1, s0
.LBB48_241:
	; divergent unreachable
.LBB48_242:
	s_endpgm
.LBB48_243:
	s_wait_alu 0xfffe
	s_and_saveexec_b32 s0, s3
	s_delay_alu instid0(SALU_CYCLE_1)
	s_xor_b32 s3, exec_lo, s0
	s_cbranch_execz .LBB48_261
; %bb.244:
	s_and_saveexec_b32 s0, s4
	s_delay_alu instid0(SALU_CYCLE_1)
	s_xor_b32 s0, exec_lo, s0
; %bb.245:
	v_cmp_lt_i32_e32 vcc_lo, -1, v24
	s_wait_alu 0xfffd
	v_cndmask_b32_e64 v1, 0x80000000, -1, vcc_lo
	s_delay_alu instid0(VALU_DEP_1)
	v_xor_b32_e32 v15, v1, v24
; %bb.246:
	s_or_b32 exec_lo, exec_lo, s0
	s_and_saveexec_b32 s0, s2
; %bb.247:
	v_dual_mov_b32 v1, 0 :: v_dual_mov_b32 v2, s36
	ds_store_b32 v1, v2 offset:4108
; %bb.248:
	s_or_b32 exec_lo, exec_lo, s0
	v_mov_b32_e32 v1, 0
	s_wait_loadcnt_dscnt 0x0
	s_barrier_signal -1
	s_barrier_wait -1
	global_inv scope:SCOPE_SE
	ds_load_b32 v1, v1 offset:4108
	s_mov_b32 s4, exec_lo
	s_wait_dscnt 0x0
	v_min_i32_e32 v1, s36, v1
	s_delay_alu instid0(VALU_DEP_1)
	v_cmpx_lt_i32_e64 v0, v1
	s_cbranch_execz .LBB48_258
; %bb.249:
	v_cmp_u_f32_e32 vcc_lo, v15, v15
	s_mov_b32 s5, 0
                                        ; implicit-def: $sgpr6
                                        ; implicit-def: $sgpr9
                                        ; implicit-def: $sgpr8
	s_xor_b32 s7, vcc_lo, -1
	s_branch .LBB48_251
.LBB48_250:                             ;   in Loop: Header=BB48_251 Depth=1
	s_or_b32 exec_lo, exec_lo, s0
	s_wait_alu 0xfffe
	s_and_b32 s0, exec_lo, s9
	s_delay_alu instid0(SALU_CYCLE_1) | instskip(SKIP_2) | instid1(SALU_CYCLE_1)
	s_or_b32 s5, s0, s5
	s_and_not1_b32 s0, s6, exec_lo
	s_and_b32 s6, s8, exec_lo
	s_or_b32 s6, s0, s6
	s_and_not1_b32 exec_lo, exec_lo, s5
	s_cbranch_execz .LBB48_253
.LBB48_251:                             ; =>This Inner Loop Header: Depth=1
	v_ashrrev_i32_e32 v6, 31, v5
	s_or_b32 s8, s8, exec_lo
	s_or_b32 s9, s9, exec_lo
	s_delay_alu instid0(VALU_DEP_1) | instskip(NEXT) | instid1(VALU_DEP_1)
	v_lshlrev_b64_e32 v[2:3], 2, v[5:6]
	v_add_co_u32 v2, vcc_lo, s42, v2
	s_wait_alu 0xfffd
	s_delay_alu instid0(VALU_DEP_2)
	v_add_co_ci_u32_e64 v3, null, s43, v3, vcc_lo
	global_load_b32 v2, v[2:3], off
	s_wait_loadcnt 0x0
	v_cmp_o_f32_e32 vcc_lo, v2, v2
	v_cmp_neq_f32_e64 s0, v2, v15
	v_mov_b32_e32 v2, v0
                                        ; implicit-def: $vgpr0
	s_or_b32 s10, vcc_lo, s7
	s_wait_alu 0xfffe
	s_and_b32 s10, s0, s10
	s_wait_alu 0xfffe
	s_and_saveexec_b32 s0, s10
	s_cbranch_execz .LBB48_250
; %bb.252:                              ;   in Loop: Header=BB48_251 Depth=1
	v_add_nc_u32_e32 v0, s50, v2
	v_add_nc_u32_e32 v5, s54, v5
	s_and_not1_b32 s9, s9, exec_lo
	s_and_not1_b32 s8, s8, exec_lo
	s_delay_alu instid0(VALU_DEP_2)
	v_cmp_ge_i32_e32 vcc_lo, v0, v1
	s_and_b32 s10, vcc_lo, exec_lo
	s_wait_alu 0xfffe
	s_or_b32 s9, s9, s10
	s_branch .LBB48_250
.LBB48_253:
	s_or_b32 exec_lo, exec_lo, s5
	s_and_saveexec_b32 s0, s6
	s_delay_alu instid0(SALU_CYCLE_1)
	s_xor_b32 s0, exec_lo, s0
	s_cbranch_execz .LBB48_258
; %bb.254:
	s_mov_b32 s5, exec_lo
	s_brev_b32 s0, -2
.LBB48_255:                             ; =>This Inner Loop Header: Depth=1
	s_ctz_i32_b32 s6, s5
	s_wait_alu 0xfffe
	v_readlane_b32 s7, v2, s6
	s_lshl_b32 s6, 1, s6
	s_wait_alu 0xfffe
	s_and_not1_b32 s5, s5, s6
	s_min_i32 s0, s0, s7
	s_cmp_lg_u32 s5, 0
	s_cbranch_scc1 .LBB48_255
; %bb.256:
	v_mbcnt_lo_u32_b32 v0, exec_lo, 0
	s_mov_b32 s5, exec_lo
	s_delay_alu instid0(VALU_DEP_1)
	v_cmpx_eq_u32_e32 0, v0
	s_xor_b32 s5, exec_lo, s5
; %bb.257:
	v_dual_mov_b32 v0, 0 :: v_dual_mov_b32 v1, s0
	ds_min_i32 v0, v1 offset:4108
.LBB48_258:
	s_or_b32 exec_lo, exec_lo, s4
	s_wait_loadcnt_dscnt 0x0
	s_barrier_signal -1
	s_barrier_wait -1
	global_inv scope:SCOPE_SE
	s_and_saveexec_b32 s0, s2
	s_cbranch_execz .LBB48_260
; %bb.259:
	v_mov_b32_e32 v2, 0
	s_mul_i32 s6, s33, s29
	s_mul_i32 s4, s38, s29
	s_wait_alu 0xfffe
	s_ashr_i32 s7, s6, 31
	s_ashr_i32 s5, s4, 31
	ds_load_b32 v0, v2 offset:4108
	s_wait_alu 0xfffe
	s_lshl_b64 s[6:7], s[6:7], 3
	s_lshl_b64 s[4:5], s[4:5], 2
	s_wait_alu 0xfffe
	s_add_nc_u64 s[6:7], s[30:31], s[6:7]
	s_add_nc_u64 s[4:5], s[34:35], s[4:5]
	s_wait_dscnt 0x0
	v_ashrrev_i32_e32 v1, 31, v0
	s_clause 0x1
	global_store_b64 v2, v[0:1], s[6:7]
	global_store_b32 v2, v15, s[4:5]
.LBB48_260:
	s_wait_alu 0xfffe
	s_or_b32 exec_lo, exec_lo, s0
.LBB48_261:
	s_wait_alu 0xfffe
	s_or_saveexec_b32 s0, s3
	s_mov_b32 s2, 0
	s_wait_alu 0xfffe
	s_xor_b32 exec_lo, exec_lo, s0
	s_cbranch_execnz .LBB48_264
.LBB48_262:
	s_or_b32 exec_lo, exec_lo, s0
	s_wait_alu 0xfffe
	s_and_b32 s0, s2, exec_lo
	s_and_not1_saveexec_b32 s1, s1
	s_cbranch_execz .LBB48_240
.LBB48_263:
	s_wait_alu 0xfffe
	s_or_b32 s0, s0, exec_lo
	s_trap 2
	s_or_b32 exec_lo, exec_lo, s1
	s_wait_alu 0xfffe
	s_and_saveexec_b32 s1, s0
	s_cbranch_execnz .LBB48_241
	s_branch .LBB48_242
.LBB48_264:
	s_mov_b32 s2, exec_lo
	s_trap 2
	s_branch .LBB48_262
	.section	.rodata,"a",@progbits
	.p2align	6, 0x0
	.amdhsa_kernel _ZN2at6native12_GLOBAL__N_114gatherKthValueIfiLi1EEEvNS_4cuda6detail10TensorInfoIKT_T0_EES8_S8_S8_S8_NS5_IS6_S8_EENS5_IlS8_EE
		.amdhsa_group_segment_fixed_size 4112
		.amdhsa_private_segment_fixed_size 0
		.amdhsa_kernarg_size 920
		.amdhsa_user_sgpr_count 2
		.amdhsa_user_sgpr_dispatch_ptr 0
		.amdhsa_user_sgpr_queue_ptr 0
		.amdhsa_user_sgpr_kernarg_segment_ptr 1
		.amdhsa_user_sgpr_dispatch_id 0
		.amdhsa_user_sgpr_private_segment_size 0
		.amdhsa_wavefront_size32 1
		.amdhsa_uses_dynamic_stack 0
		.amdhsa_enable_private_segment 0
		.amdhsa_system_sgpr_workgroup_id_x 1
		.amdhsa_system_sgpr_workgroup_id_y 1
		.amdhsa_system_sgpr_workgroup_id_z 1
		.amdhsa_system_sgpr_workgroup_info 0
		.amdhsa_system_vgpr_workitem_id 0
		.amdhsa_next_free_vgpr 44
		.amdhsa_next_free_sgpr 79
		.amdhsa_reserve_vcc 1
		.amdhsa_float_round_mode_32 0
		.amdhsa_float_round_mode_16_64 0
		.amdhsa_float_denorm_mode_32 3
		.amdhsa_float_denorm_mode_16_64 3
		.amdhsa_fp16_overflow 0
		.amdhsa_workgroup_processor_mode 1
		.amdhsa_memory_ordered 1
		.amdhsa_forward_progress 1
		.amdhsa_inst_pref_size 89
		.amdhsa_round_robin_scheduling 0
		.amdhsa_exception_fp_ieee_invalid_op 0
		.amdhsa_exception_fp_denorm_src 0
		.amdhsa_exception_fp_ieee_div_zero 0
		.amdhsa_exception_fp_ieee_overflow 0
		.amdhsa_exception_fp_ieee_underflow 0
		.amdhsa_exception_fp_ieee_inexact 0
		.amdhsa_exception_int_div_zero 0
	.end_amdhsa_kernel
	.section	.text._ZN2at6native12_GLOBAL__N_114gatherKthValueIfiLi1EEEvNS_4cuda6detail10TensorInfoIKT_T0_EES8_S8_S8_S8_NS5_IS6_S8_EENS5_IlS8_EE,"axG",@progbits,_ZN2at6native12_GLOBAL__N_114gatherKthValueIfiLi1EEEvNS_4cuda6detail10TensorInfoIKT_T0_EES8_S8_S8_S8_NS5_IS6_S8_EENS5_IlS8_EE,comdat
.Lfunc_end48:
	.size	_ZN2at6native12_GLOBAL__N_114gatherKthValueIfiLi1EEEvNS_4cuda6detail10TensorInfoIKT_T0_EES8_S8_S8_S8_NS5_IS6_S8_EENS5_IlS8_EE, .Lfunc_end48-_ZN2at6native12_GLOBAL__N_114gatherKthValueIfiLi1EEEvNS_4cuda6detail10TensorInfoIKT_T0_EES8_S8_S8_S8_NS5_IS6_S8_EENS5_IlS8_EE
                                        ; -- End function
	.set _ZN2at6native12_GLOBAL__N_114gatherKthValueIfiLi1EEEvNS_4cuda6detail10TensorInfoIKT_T0_EES8_S8_S8_S8_NS5_IS6_S8_EENS5_IlS8_EE.num_vgpr, 44
	.set _ZN2at6native12_GLOBAL__N_114gatherKthValueIfiLi1EEEvNS_4cuda6detail10TensorInfoIKT_T0_EES8_S8_S8_S8_NS5_IS6_S8_EENS5_IlS8_EE.num_agpr, 0
	.set _ZN2at6native12_GLOBAL__N_114gatherKthValueIfiLi1EEEvNS_4cuda6detail10TensorInfoIKT_T0_EES8_S8_S8_S8_NS5_IS6_S8_EENS5_IlS8_EE.numbered_sgpr, 79
	.set _ZN2at6native12_GLOBAL__N_114gatherKthValueIfiLi1EEEvNS_4cuda6detail10TensorInfoIKT_T0_EES8_S8_S8_S8_NS5_IS6_S8_EENS5_IlS8_EE.num_named_barrier, 0
	.set _ZN2at6native12_GLOBAL__N_114gatherKthValueIfiLi1EEEvNS_4cuda6detail10TensorInfoIKT_T0_EES8_S8_S8_S8_NS5_IS6_S8_EENS5_IlS8_EE.private_seg_size, 0
	.set _ZN2at6native12_GLOBAL__N_114gatherKthValueIfiLi1EEEvNS_4cuda6detail10TensorInfoIKT_T0_EES8_S8_S8_S8_NS5_IS6_S8_EENS5_IlS8_EE.uses_vcc, 1
	.set _ZN2at6native12_GLOBAL__N_114gatherKthValueIfiLi1EEEvNS_4cuda6detail10TensorInfoIKT_T0_EES8_S8_S8_S8_NS5_IS6_S8_EENS5_IlS8_EE.uses_flat_scratch, 0
	.set _ZN2at6native12_GLOBAL__N_114gatherKthValueIfiLi1EEEvNS_4cuda6detail10TensorInfoIKT_T0_EES8_S8_S8_S8_NS5_IS6_S8_EENS5_IlS8_EE.has_dyn_sized_stack, 0
	.set _ZN2at6native12_GLOBAL__N_114gatherKthValueIfiLi1EEEvNS_4cuda6detail10TensorInfoIKT_T0_EES8_S8_S8_S8_NS5_IS6_S8_EENS5_IlS8_EE.has_recursion, 0
	.set _ZN2at6native12_GLOBAL__N_114gatherKthValueIfiLi1EEEvNS_4cuda6detail10TensorInfoIKT_T0_EES8_S8_S8_S8_NS5_IS6_S8_EENS5_IlS8_EE.has_indirect_call, 0
	.section	.AMDGPU.csdata,"",@progbits
; Kernel info:
; codeLenInByte = 11324
; TotalNumSgprs: 81
; NumVgprs: 44
; ScratchSize: 0
; MemoryBound: 0
; FloatMode: 240
; IeeeMode: 1
; LDSByteSize: 4112 bytes/workgroup (compile time only)
; SGPRBlocks: 0
; VGPRBlocks: 5
; NumSGPRsForWavesPerEU: 81
; NumVGPRsForWavesPerEU: 44
; Occupancy: 16
; WaveLimiterHint : 1
; COMPUTE_PGM_RSRC2:SCRATCH_EN: 0
; COMPUTE_PGM_RSRC2:USER_SGPR: 2
; COMPUTE_PGM_RSRC2:TRAP_HANDLER: 0
; COMPUTE_PGM_RSRC2:TGID_X_EN: 1
; COMPUTE_PGM_RSRC2:TGID_Y_EN: 1
; COMPUTE_PGM_RSRC2:TGID_Z_EN: 1
; COMPUTE_PGM_RSRC2:TIDIG_COMP_CNT: 0
	.section	.text._ZN2at6native12_GLOBAL__N_114gatherKthValueIfiLi2EEEvNS_4cuda6detail10TensorInfoIKT_T0_EES8_S8_S8_S8_NS5_IS6_S8_EENS5_IlS8_EE,"axG",@progbits,_ZN2at6native12_GLOBAL__N_114gatherKthValueIfiLi2EEEvNS_4cuda6detail10TensorInfoIKT_T0_EES8_S8_S8_S8_NS5_IS6_S8_EENS5_IlS8_EE,comdat
	.globl	_ZN2at6native12_GLOBAL__N_114gatherKthValueIfiLi2EEEvNS_4cuda6detail10TensorInfoIKT_T0_EES8_S8_S8_S8_NS5_IS6_S8_EENS5_IlS8_EE ; -- Begin function _ZN2at6native12_GLOBAL__N_114gatherKthValueIfiLi2EEEvNS_4cuda6detail10TensorInfoIKT_T0_EES8_S8_S8_S8_NS5_IS6_S8_EENS5_IlS8_EE
	.p2align	8
	.type	_ZN2at6native12_GLOBAL__N_114gatherKthValueIfiLi2EEEvNS_4cuda6detail10TensorInfoIKT_T0_EES8_S8_S8_S8_NS5_IS6_S8_EENS5_IlS8_EE,@function
_ZN2at6native12_GLOBAL__N_114gatherKthValueIfiLi2EEEvNS_4cuda6detail10TensorInfoIKT_T0_EES8_S8_S8_S8_NS5_IS6_S8_EENS5_IlS8_EE: ; @_ZN2at6native12_GLOBAL__N_114gatherKthValueIfiLi2EEEvNS_4cuda6detail10TensorInfoIKT_T0_EES8_S8_S8_S8_NS5_IS6_S8_EENS5_IlS8_EE
; %bb.0:
	s_clause 0x1
	s_load_b64 s[4:5], s[0:1], 0x298
	s_load_b128 s[36:39], s[0:1], 0xd8
	s_lshr_b32 s2, ttmp7, 16
	s_and_b32 s3, ttmp7, 0xffff
	s_wait_kmcnt 0x0
	s_mul_i32 s2, s5, s2
	s_delay_alu instid0(SALU_CYCLE_1) | instskip(NEXT) | instid1(SALU_CYCLE_1)
	s_add_co_i32 s2, s2, s3
	s_mul_i32 s33, s2, s4
	s_delay_alu instid0(SALU_CYCLE_1) | instskip(NEXT) | instid1(SALU_CYCLE_1)
	s_add_co_i32 s33, s33, ttmp9
	s_cmp_ge_i32 s33, s38
	s_cbranch_scc1 .LBB49_242
; %bb.1:
	s_clause 0x4
	s_load_b32 s5, s[0:1], 0xc
	s_load_b32 s58, s[0:1], 0xf4
	;; [unrolled: 1-line block ×3, first 2 shown]
	s_load_b64 s[6:7], s[0:1], 0x6c
	s_load_b64 s[30:31], s[0:1], 0x154
	s_mov_b32 s51, 0
	s_abs_i32 s40, s33
	s_mov_b32 s41, s51
	s_add_nc_u64 s[10:11], s[0:1], 0x298
	s_ashr_i32 s61, s33, 31
	s_wait_kmcnt 0x0
	s_abs_i32 s14, s5
	s_abs_i32 s60, s58
	s_cvt_f32_u32 s2, s14
	s_abs_i32 s59, s38
	s_cvt_f32_u32 s3, s60
	s_cvt_f32_u32 s8, s59
	v_rcp_iflag_f32_e32 v1, s2
	s_sub_co_i32 s13, 0, s14
	v_rcp_iflag_f32_e32 v2, s3
	v_rcp_iflag_f32_e32 v3, s8
	s_clause 0x1
	s_load_b64 s[8:9], s[0:1], 0x0
	s_load_b64 s[34:35], s[0:1], 0x22c
	s_sub_co_i32 s16, 0, s60
	s_ashr_i32 s15, s5, 31
	s_delay_alu instid0(TRANS32_DEP_3) | instskip(NEXT) | instid1(TRANS32_DEP_2)
	v_readfirstlane_b32 s2, v1
	v_readfirstlane_b32 s3, v2
	s_delay_alu instid0(TRANS32_DEP_1)
	v_readfirstlane_b32 s12, v3
	s_mul_f32 s2, s2, 0x4f7ffffe
	s_mul_f32 s3, s3, 0x4f7ffffe
	;; [unrolled: 1-line block ×3, first 2 shown]
	s_wait_alu 0xfffe
	s_cvt_u32_f32 s2, s2
	s_cvt_u32_f32 s17, s3
	;; [unrolled: 1-line block ×3, first 2 shown]
	s_wait_alu 0xfffe
	s_mul_i32 s13, s13, s2
	s_sub_co_i32 s3, 0, s59
	s_mul_hi_u32 s13, s2, s13
	s_wait_alu 0xfffe
	s_mul_i32 s3, s3, s12
	s_add_co_i32 s50, s2, s13
	s_mul_i32 s16, s16, s17
	s_wait_alu 0xfffe
	s_mul_hi_u32 s13, s12, s3
	s_mul_u64 s[2:3], s[40:41], s[50:51]
	v_cmp_eq_u32_e64 s2, 0, v0
	s_mul_hi_u32 s16, s17, s16
	s_add_co_i32 s12, s12, s13
	s_add_co_i32 s50, s17, s16
	s_mov_b32 s13, s51
	s_wait_alu 0xfffe
	s_and_saveexec_b32 s16, s2
; %bb.2:
	v_dual_mov_b32 v1, 0 :: v_dual_mov_b32 v2, s36
	s_delay_alu instid0(VALU_DEP_1)
	v_mov_b32_e32 v3, v1
	ds_store_b96 v1, v[1:3] offset:4096
; %bb.3:
	s_or_b32 exec_lo, exec_lo, s16
	s_mul_i32 s16, s3, s14
	s_ashr_i32 s63, s58, 31
	s_sub_co_i32 s16, s40, s16
	s_ashr_i32 s62, s38, 31
	s_xor_b32 s15, s61, s15
	s_add_co_i32 s17, s3, 1
	s_sub_co_i32 s18, s16, s14
	s_cmp_ge_u32 s16, s14
	s_wait_dscnt 0x0
	s_cselect_b32 s3, s17, s3
	s_cselect_b32 s16, s18, s16
	s_wait_alu 0xfffe
	s_add_co_i32 s17, s3, 1
	s_cmp_ge_u32 s16, s14
	s_barrier_signal -1
	s_barrier_wait -1
	global_inv scope:SCOPE_SE
	s_load_b32 s14, s[10:11], 0xc
	s_cselect_b32 s3, s17, s3
	s_mul_u64 s[46:47], s[40:41], s[50:51]
	s_wait_alu 0xfffe
	s_xor_b32 s3, s3, s15
	s_mul_u64 s[28:29], s[40:41], s[12:13]
	s_wait_alu 0xfffe
	s_sub_co_i32 s3, s3, s15
	s_clause 0x1
	s_load_b64 s[42:43], s[0:1], 0x1c0
	s_load_b64 s[44:45], s[0:1], 0xe8
	s_mul_i32 s5, s3, s5
	s_mul_i32 s3, s3, s6
	s_sub_co_i32 s5, s33, s5
	v_mbcnt_lo_u32_b32 v18, -1, 0
	s_mul_i32 s5, s5, s7
	v_cmp_gt_u32_e32 vcc_lo, 32, v0
	s_wait_alu 0xfffe
	s_add_co_i32 s6, s3, s5
	v_mov_b32_e32 v7, 0
	s_ashr_i32 s7, s6, 31
	v_mul_lo_u32 v5, s39, v0
	s_lshl_b64 s[0:1], s[6:7], 2
	s_delay_alu instid0(VALU_DEP_2)
	v_dual_mov_b32 v6, v7 :: v_dual_lshlrev_b32 v19, 2, v0
	s_wait_kmcnt 0x0
	s_and_b32 s41, s14, 0xffff
	s_add_nc_u64 s[48:49], s[8:9], s[0:1]
	s_lshl_b32 s46, s41, 2
	v_cmp_gt_i32_e64 s0, 4, v18
	s_cvt_f32_u32 s1, s46
	s_add_co_i32 s64, s41, -1
	s_bfe_u32 s3, s14, 0xb0005
	s_add_co_i32 s74, s64, s36
	v_rcp_iflag_f32_e32 v1, s1
	s_and_b32 s66, vcc_lo, s0
	s_cmp_gt_i32 s36, 0x300
	s_mov_b32 s12, s39
	s_cselect_b32 s67, -1, 0
	s_cmp_gt_u32 s41, 31
	v_mad_co_u64_u32 v[12:13], null, s39, v19, s[12:13]
	s_cselect_b32 s68, -1, 0
	s_cmp_lt_u32 ttmp9, s4
	s_delay_alu instid0(TRANS32_DEP_1)
	v_readfirstlane_b32 s5, v1
	s_cselect_b32 s50, 12, 18
	s_wait_alu 0xfffe
	s_add_co_i32 s4, s3, -1
	s_bfe_u32 s69, s41, 0x30005
	s_and_b32 s4, s4, 0xffff
	v_lshlrev_b64_e32 v[1:2], 2, v[5:6]
	s_cmp_gt_u32 s4, 6
	s_mul_f32 s4, s5, 0x4f7ffffe
	s_cselect_b32 s70, -1, 0
	s_and_b32 s71, s3, 0x7f8
	s_cmp_lg_u32 s69, 0
	s_cvt_u32_f32 s3, s4
	s_cselect_b32 s72, -1, 0
	s_sub_co_i32 s4, 0, s46
	v_add_co_u32 v8, vcc_lo, s48, v1
	s_wait_alu 0xfffe
	s_mul_i32 s4, s4, s3
	v_add_co_ci_u32_e64 v9, null, s49, v2, vcc_lo
	s_mul_hi_u32 s4, s3, s4
	v_lshlrev_b64_e64 v[1:2], v18, -1
	s_add_co_i32 s52, s3, s4
	s_cvt_f32_u32 s3, s41
	s_mul_hi_u32 s4, s36, s52
	v_lshrrev_b32_e32 v2, 1, v0
	s_mul_i32 s4, s4, s46
	s_wait_alu 0xfffe
	v_rcp_iflag_f32_e32 v3, s3
	s_sub_co_i32 s4, s36, s4
	v_not_b32_e32 v22, v1
	s_sub_co_i32 s5, s4, s46
	s_cmp_ge_u32 s4, s46
	v_mov_b32_e32 v24, 0
	s_cselect_b32 s4, s5, s4
	v_cmp_eq_u32_e64 s0, 0, v18
	s_sub_co_i32 s6, s4, s46
	s_cmp_ge_u32 s4, s46
	v_readfirstlane_b32 s5, v3
	s_cselect_b32 s9, s6, s4
	s_sub_co_i32 s6, 0, s41
	s_wait_alu 0xfffe
	s_sub_co_i32 s73, s36, s9
	s_abs_i32 s7, s74
	s_mul_f32 s5, s5, 0x4f7ffffe
	v_add_nc_u32_e32 v21, s73, v0
	v_or_b32_e32 v3, 3, v19
	v_cmp_gt_u32_e64 s1, 2, v0
	s_cvt_u32_f32 s5, s5
	v_add_nc_u32_e32 v20, 0xc00, v19
	v_mul_lo_u32 v1, v21, s39
	v_mul_lo_u32 v26, s39, v3
	s_mul_i32 s6, s6, s5
	v_cmp_gt_u32_e64 s3, s36, v0
	s_mul_hi_u32 s6, s5, s6
	v_cmp_gt_i32_e64 s4, s36, v0
	s_add_co_i32 s54, s5, s6
	s_movk_i32 s5, 0x1f0
	s_mul_hi_u32 s6, s7, s54
	v_and_or_b32 v23, v2, s5, 0xc00
	v_ashrrev_i32_e32 v2, 31, v1
	s_mul_i32 s6, s6, s41
	v_dual_mov_b32 v32, 0 :: v_dual_lshlrev_b32 v27, 2, v5
	s_sub_co_i32 s5, s7, s6
	s_delay_alu instid0(VALU_DEP_2)
	v_lshlrev_b64_e32 v[1:2], 2, v[1:2]
	s_ashr_i32 s7, s74, 31
	s_wait_alu 0xfffe
	s_sub_co_i32 s6, s5, s41
	s_cmp_ge_u32 s5, s41
	v_lshlrev_b32_e32 v29, 4, v0
	s_cselect_b32 s6, s6, s5
	v_add_co_u32 v10, vcc_lo, s48, v1
	v_add3_u32 v1, s41, s36, v0
	s_sub_co_i32 s8, s6, s41
	s_cmp_ge_u32 s6, s41
	s_wait_alu 0xfffd
	v_add_co_ci_u32_e64 v11, null, s49, v2, vcc_lo
	s_wait_alu 0xfffe
	s_cselect_b32 s8, s8, s6
	v_or_b32_e32 v2, 2, v19
	v_subrev_nc_u32_e32 v1, s9, v1
	s_wait_alu 0xfffe
	s_xor_b32 s8, s8, s7
	v_cmp_gt_i32_e64 s5, s73, v19
	s_wait_alu 0xfffe
	s_sub_co_i32 s8, s7, s8
	v_mul_lo_u32 v25, s39, v2
	v_mul_lo_u32 v28, s39, v1
	s_wait_alu 0xfffe
	s_add_co_i32 s74, s74, s8
	v_cmp_gt_u32_e64 s6, s36, v21
	v_cmp_gt_i32_e64 s7, s36, v21
	v_cmp_gt_i32_e64 s8, s74, v0
	v_lshl_or_b32 v30, v18, 2, 0xc00
	v_mov_b32_e32 v33, s37
	v_mov_b32_e32 v13, 1.0
	v_mov_b32_e32 v15, 0
	v_mov_b32_e32 v31, 0
	s_mul_i32 s65, s39, s41
	s_mov_b32 s53, s51
	s_mov_b32 s55, s51
	s_lshl_b32 s75, s65, 2
	s_lshl_b32 s76, s41, 4
	s_mov_b32 s83, 30
	s_add_nc_u64 s[56:57], s[10:11], s[50:51]
	s_mov_b32 s37, s51
                                        ; implicit-def: $sgpr80
                                        ; implicit-def: $sgpr82
                                        ; implicit-def: $sgpr77
                                        ; implicit-def: $sgpr79
                                        ; implicit-def: $sgpr81
                                        ; implicit-def: $sgpr78
	s_branch .LBB49_7
.LBB49_4:                               ;   in Loop: Header=BB49_7 Depth=1
	s_wait_alu 0xfffe
	s_or_b32 exec_lo, exec_lo, s13
	s_delay_alu instid0(SALU_CYCLE_1)
	s_and_b32 s10, s10, exec_lo
	s_and_not1_b32 s15, s15, exec_lo
	s_and_not1_b32 s14, s14, exec_lo
	s_or_not1_b32 s12, s12, exec_lo
.LBB49_5:                               ;   in Loop: Header=BB49_7 Depth=1
	s_wait_alu 0xfffe
	s_or_b32 exec_lo, exec_lo, s9
	s_delay_alu instid0(SALU_CYCLE_1)
	s_and_not1_b32 s9, s78, exec_lo
	s_and_b32 s10, s10, exec_lo
	s_and_not1_b32 s13, s79, exec_lo
	s_wait_alu 0xfffe
	s_or_b32 s78, s9, s10
	s_and_not1_b32 s9, s81, exec_lo
	s_and_b32 s10, s15, exec_lo
	s_and_b32 s14, s14, exec_lo
	s_wait_alu 0xfffe
	s_or_b32 s81, s9, s10
	s_or_b32 s79, s13, s14
	s_or_not1_b32 s13, s12, exec_lo
.LBB49_6:                               ;   in Loop: Header=BB49_7 Depth=1
	s_wait_alu 0xfffe
	s_or_b32 exec_lo, exec_lo, s11
	s_delay_alu instid0(SALU_CYCLE_1)
	s_and_b32 s9, exec_lo, s13
	v_mov_b32_e32 v33, v4
	s_wait_alu 0xfffe
	s_or_b32 s37, s9, s37
	s_and_not1_b32 s9, s77, exec_lo
	s_and_b32 s10, s78, exec_lo
	s_and_not1_b32 s11, s82, exec_lo
	s_wait_alu 0xfffe
	s_or_b32 s77, s9, s10
	s_and_b32 s9, s81, exec_lo
	s_and_not1_b32 s10, s80, exec_lo
	s_and_b32 s12, s79, exec_lo
	s_wait_alu 0xfffe
	s_or_b32 s82, s11, s9
	s_or_b32 s80, s10, s12
	s_mov_b32 s83, s21
	s_and_not1_b32 exec_lo, exec_lo, s37
	s_cbranch_execz .LBB49_238
.LBB49_7:                               ; =>This Loop Header: Depth=1
                                        ;     Child Loop BB49_13 Depth 2
                                        ;     Child Loop BB49_28 Depth 2
	;; [unrolled: 1-line block ×16, first 2 shown]
	ds_load_b64 v[1:2], v7 offset:4096
	s_wait_dscnt 0x0
	v_readfirstlane_b32 s50, v1
	s_cmp_gt_i32 s50, 0
	s_cbranch_scc1 .LBB49_35
; %bb.8:                                ;   in Loop: Header=BB49_7 Depth=1
	s_and_b32 vcc_lo, exec_lo, s67
	s_wait_alu 0xfffe
	s_cbranch_vccz .LBB49_21
; %bb.9:                                ;   in Loop: Header=BB49_7 Depth=1
	v_cmp_gt_i32_e32 vcc_lo, 0x301, v2
	s_mov_b32 s10, 0
	s_mov_b32 s9, 0
	s_cbranch_vccz .LBB49_22
; %bb.10:                               ;   in Loop: Header=BB49_7 Depth=1
	s_and_saveexec_b32 s11, s3
	s_cbranch_execz .LBB49_67
; %bb.11:                               ;   in Loop: Header=BB49_7 Depth=1
	global_load_b32 v1, v[8:9], off
	s_load_u16 s12, s[56:57], 0x0
	s_mov_b32 s14, 0
	s_wait_kmcnt 0x0
	v_add_nc_u32_e32 v2, s12, v0
	s_mul_i32 s13, s39, s12
	s_delay_alu instid0(VALU_DEP_1)
	v_mul_lo_u32 v6, s39, v2
	v_mov_b32_e32 v2, v0
	s_branch .LBB49_13
.LBB49_12:                              ;   in Loop: Header=BB49_13 Depth=2
	s_wait_alu 0xfffe
	s_or_b32 exec_lo, exec_lo, s9
	v_cmp_le_i32_e32 vcc_lo, s36, v2
	v_dual_mov_b32 v1, v3 :: v_dual_add_nc_u32 v6, s13, v6
	s_or_b32 s14, vcc_lo, s14
	s_wait_alu 0xfffe
	s_and_not1_b32 exec_lo, exec_lo, s14
	s_cbranch_execz .LBB49_67
.LBB49_13:                              ;   Parent Loop BB49_7 Depth=1
                                        ; =>  This Inner Loop Header: Depth=2
	s_delay_alu instid0(VALU_DEP_1) | instskip(SKIP_3) | instid1(VALU_DEP_2)
	v_dual_mov_b32 v3, 0 :: v_dual_add_nc_u32 v2, s12, v2
	s_wait_dscnt 0x0
	v_mov_b32_e32 v4, 0
	s_mov_b32 s9, exec_lo
	v_cmpx_gt_u32_e64 s36, v2
	s_cbranch_execz .LBB49_15
; %bb.14:                               ;   in Loop: Header=BB49_13 Depth=2
	v_lshlrev_b64_e32 v[16:17], 2, v[6:7]
	s_delay_alu instid0(VALU_DEP_1) | instskip(SKIP_1) | instid1(VALU_DEP_2)
	v_add_co_u32 v16, vcc_lo, s48, v16
	s_wait_alu 0xfffd
	v_add_co_ci_u32_e64 v17, null, s49, v17, vcc_lo
	global_load_b32 v3, v[16:17], off
.LBB49_15:                              ;   in Loop: Header=BB49_13 Depth=2
	s_wait_alu 0xfffe
	s_or_b32 exec_lo, exec_lo, s9
	s_wait_loadcnt 0x0
	v_cmp_lt_i32_e32 vcc_lo, -1, v1
	s_wait_alu 0xfffd
	v_cndmask_b32_e64 v14, -1, 0x80000000, vcc_lo
	v_cmp_o_f32_e32 vcc_lo, v1, v1
	s_delay_alu instid0(VALU_DEP_2) | instskip(SKIP_1) | instid1(VALU_DEP_1)
	v_xor_b32_e32 v14, v14, v1
	s_wait_alu 0xfffd
	v_cndmask_b32_e32 v14, -1, v14, vcc_lo
	s_delay_alu instid0(VALU_DEP_1) | instskip(NEXT) | instid1(VALU_DEP_1)
	v_and_b32_e32 v14, v14, v32
	v_cmp_eq_u32_e32 vcc_lo, v14, v24
	s_cmp_lg_u32 vcc_lo, 0
	s_cselect_b32 s9, -1, 0
	s_wait_alu 0xfffe
	s_and_b32 s9, s0, s9
	s_wait_alu 0xfffe
	s_and_saveexec_b32 s15, s9
	s_cbranch_execz .LBB49_19
; %bb.16:                               ;   in Loop: Header=BB49_13 Depth=2
	s_mov_b32 s18, exec_lo
	s_bcnt1_i32_b32 s16, vcc_lo
	s_wait_alu 0xfffe
	v_mbcnt_lo_u32_b32 v4, s18, 0
	s_mov_b32 s17, exec_lo
                                        ; implicit-def: $vgpr14
	s_delay_alu instid0(VALU_DEP_1)
	v_cmpx_eq_u32_e32 0, v4
; %bb.17:                               ;   in Loop: Header=BB49_13 Depth=2
	s_bcnt1_i32_b32 s9, s18
	s_wait_alu 0xfffe
	s_mul_i32 s9, s16, s9
	s_wait_alu 0xfffe
	v_mov_b32_e32 v14, s9
	ds_add_rtn_u32 v14, v7, v14 offset:4104
; %bb.18:                               ;   in Loop: Header=BB49_13 Depth=2
	s_or_b32 exec_lo, exec_lo, s17
	s_wait_dscnt 0x0
	v_readfirstlane_b32 s9, v14
	s_wait_alu 0xf1ff
	s_delay_alu instid0(VALU_DEP_1)
	v_mad_u32_u24 v4, s16, v4, s9
.LBB49_19:                              ;   in Loop: Header=BB49_13 Depth=2
	s_wait_alu 0xfffe
	s_or_b32 exec_lo, exec_lo, s15
	ds_bpermute_b32 v4, v7, v4
	s_and_saveexec_b32 s9, vcc_lo
	s_cbranch_execz .LBB49_12
; %bb.20:                               ;   in Loop: Header=BB49_13 Depth=2
	v_and_b32_e32 v14, vcc_lo, v22
	s_delay_alu instid0(VALU_DEP_1) | instskip(NEXT) | instid1(VALU_DEP_1)
	v_bcnt_u32_b32 v14, v14, 0
	v_lshlrev_b32_e32 v14, 2, v14
	s_wait_dscnt 0x0
	s_delay_alu instid0(VALU_DEP_1)
	v_lshl_add_u32 v4, v4, 2, v14
	ds_store_b32 v4, v1
	s_branch .LBB49_12
.LBB49_21:                              ;   in Loop: Header=BB49_7 Depth=1
	s_mov_b32 s10, -1
	s_mov_b32 s9, 0
.LBB49_22:                              ;   in Loop: Header=BB49_7 Depth=1
	s_wait_alu 0xfffe
	s_and_b32 vcc_lo, exec_lo, s10
	s_wait_alu 0xfffe
	s_cbranch_vccz .LBB49_33
.LBB49_23:                              ;   in Loop: Header=BB49_7 Depth=1
	v_mov_b32_e32 v1, 0
	s_and_saveexec_b32 s9, s3
	s_cbranch_execz .LBB49_25
; %bb.24:                               ;   in Loop: Header=BB49_7 Depth=1
	global_load_b32 v1, v[8:9], off
.LBB49_25:                              ;   in Loop: Header=BB49_7 Depth=1
	s_wait_alu 0xfffe
	s_or_b32 exec_lo, exec_lo, s9
	s_and_saveexec_b32 s9, s4
	s_cbranch_execz .LBB49_30
; %bb.26:                               ;   in Loop: Header=BB49_7 Depth=1
	s_load_u16 s10, s[56:57], 0x0
	s_mov_b32 s13, 0
	s_wait_kmcnt 0x0
	v_dual_mov_b32 v3, v0 :: v_dual_add_nc_u32 v2, s10, v0
	s_lshl_b32 s11, s10, 2
	s_mul_i32 s12, s39, s10
	s_delay_alu instid0(VALU_DEP_1)
	v_mul_lo_u32 v6, s39, v2
	v_mov_b32_e32 v2, v19
	s_branch .LBB49_28
.LBB49_27:                              ;   in Loop: Header=BB49_28 Depth=2
	s_wait_alu 0xfffe
	s_or_b32 exec_lo, exec_lo, s14
	v_cmp_le_i32_e32 vcc_lo, s36, v3
	s_wait_loadcnt 0x0
	ds_store_b32 v2, v1
	v_dual_mov_b32 v1, v4 :: v_dual_add_nc_u32 v2, s11, v2
	v_add_nc_u32_e32 v6, s12, v6
	s_or_b32 s13, vcc_lo, s13
	s_wait_alu 0xfffe
	s_and_not1_b32 exec_lo, exec_lo, s13
	s_cbranch_execz .LBB49_30
.LBB49_28:                              ;   Parent Loop BB49_7 Depth=1
                                        ; =>  This Inner Loop Header: Depth=2
	v_dual_mov_b32 v4, 0 :: v_dual_add_nc_u32 v3, s10, v3
	s_mov_b32 s14, exec_lo
	s_delay_alu instid0(VALU_DEP_1)
	v_cmpx_gt_u32_e64 s36, v3
	s_cbranch_execz .LBB49_27
; %bb.29:                               ;   in Loop: Header=BB49_28 Depth=2
	s_delay_alu instid0(VALU_DEP_4) | instskip(NEXT) | instid1(VALU_DEP_1)
	v_lshlrev_b64_e32 v[16:17], 2, v[6:7]
	v_add_co_u32 v16, vcc_lo, s48, v16
	s_wait_alu 0xfffd
	s_delay_alu instid0(VALU_DEP_2)
	v_add_co_ci_u32_e64 v17, null, s49, v17, vcc_lo
	global_load_b32 v4, v[16:17], off
	s_branch .LBB49_27
.LBB49_30:                              ;   in Loop: Header=BB49_7 Depth=1
	s_wait_alu 0xfffe
	s_or_b32 exec_lo, exec_lo, s9
	s_wait_loadcnt_dscnt 0x0
	s_barrier_signal -1
	s_barrier_wait -1
	global_inv scope:SCOPE_SE
	s_and_saveexec_b32 s9, s2
; %bb.31:                               ;   in Loop: Header=BB49_7 Depth=1
	v_mov_b32_e32 v1, s36
	ds_store_b32 v7, v1 offset:4096
; %bb.32:                               ;   in Loop: Header=BB49_7 Depth=1
	s_wait_alu 0xfffe
	s_or_b32 exec_lo, exec_lo, s9
	s_mov_b32 s9, -1
	s_wait_loadcnt_dscnt 0x0
	s_barrier_signal -1
	s_barrier_wait -1
.LBB49_33:                              ;   in Loop: Header=BB49_7 Depth=1
	s_wait_alu 0xfffe
	s_and_b32 vcc_lo, exec_lo, s9
	s_wait_alu 0xfffe
	s_cbranch_vccz .LBB49_35
; %bb.34:                               ;   in Loop: Header=BB49_7 Depth=1
	s_wait_loadcnt 0x0
	global_inv scope:SCOPE_SE
	ds_load_b32 v1, v7 offset:4096
	s_wait_dscnt 0x0
	v_readfirstlane_b32 s50, v1
.LBB49_35:                              ;   in Loop: Header=BB49_7 Depth=1
	s_delay_alu instid0(VALU_DEP_1)
	s_cmp_lt_i32 s50, 1
	s_mov_b32 s9, -1
                                        ; implicit-def: $vgpr1
	s_cbranch_scc1 .LBB49_45
; %bb.36:                               ;   in Loop: Header=BB49_7 Depth=1
	s_wait_alu 0xfffe
	s_and_b32 vcc_lo, exec_lo, s9
	s_wait_alu 0xfffe
	s_cbranch_vccnz .LBB49_58
.LBB49_37:                              ;   in Loop: Header=BB49_7 Depth=1
	v_lshlrev_b32_e32 v6, 7, v31
	s_and_saveexec_b32 s9, s0
	s_cbranch_execz .LBB49_39
.LBB49_38:                              ;   in Loop: Header=BB49_7 Depth=1
	s_wait_loadcnt 0x0
	s_delay_alu instid0(VALU_DEP_1)
	v_lshl_add_u32 v14, v6, 2, v23
	ds_store_b128 v14, v[1:4]
.LBB49_39:                              ;   in Loop: Header=BB49_7 Depth=1
	s_wait_alu 0xfffe
	s_or_b32 exec_lo, exec_lo, s9
	s_wait_loadcnt_dscnt 0x0
	s_barrier_signal -1
	s_barrier_wait -1
	global_inv scope:SCOPE_SE
	s_and_saveexec_b32 s9, s66
	s_cbranch_execz .LBB49_74
; %bb.40:                               ;   in Loop: Header=BB49_7 Depth=1
	v_mov_b32_e32 v1, 0
	s_and_not1_b32 vcc_lo, exec_lo, s68
	s_wait_alu 0xfffe
	s_cbranch_vccnz .LBB49_73
; %bb.41:                               ;   in Loop: Header=BB49_7 Depth=1
	s_and_not1_b32 vcc_lo, exec_lo, s70
	s_wait_alu 0xfffe
	s_cbranch_vccnz .LBB49_70
; %bb.42:                               ;   in Loop: Header=BB49_7 Depth=1
	v_lshl_add_u32 v2, v31, 9, v30
	v_mov_b32_e32 v1, 0
	s_mov_b32 s10, 0
.LBB49_43:                              ;   Parent Loop BB49_7 Depth=1
                                        ; =>  This Inner Loop Header: Depth=2
	ds_load_2addr_b32 v[3:4], v2 offset1:4
	ds_load_2addr_b32 v[16:17], v2 offset0:8 offset1:12
	ds_load_2addr_b32 v[34:35], v2 offset0:16 offset1:20
	;; [unrolled: 1-line block ×3, first 2 shown]
	v_add_nc_u32_e32 v2, 0x80, v2
	s_wait_alu 0xfffe
	s_add_co_i32 s10, s10, 8
	s_wait_alu 0xfffe
	s_cmp_eq_u32 s71, s10
	s_wait_dscnt 0x3
	v_add3_u32 v1, v3, v1, v4
	s_wait_dscnt 0x2
	s_delay_alu instid0(VALU_DEP_1) | instskip(SKIP_1) | instid1(VALU_DEP_1)
	v_add3_u32 v1, v16, v1, v17
	s_wait_dscnt 0x1
	v_add3_u32 v1, v34, v1, v35
	s_wait_dscnt 0x0
	s_delay_alu instid0(VALU_DEP_1)
	v_add3_u32 v1, v36, v1, v37
	s_cbranch_scc0 .LBB49_43
; %bb.44:                               ;   in Loop: Header=BB49_7 Depth=1
	s_mov_b32 s10, s71
	s_and_not1_b32 vcc_lo, exec_lo, s72
	s_wait_alu 0xfffe
	s_cbranch_vccz .LBB49_71
	s_branch .LBB49_73
.LBB49_45:                              ;   in Loop: Header=BB49_7 Depth=1
	v_dual_mov_b32 v1, 0 :: v_dual_mov_b32 v2, 0
	v_dual_mov_b32 v3, 0 :: v_dual_mov_b32 v4, 0
	s_and_saveexec_b32 s84, s5
	s_cbranch_execnz .LBB49_48
; %bb.46:                               ;   in Loop: Header=BB49_7 Depth=1
	s_wait_alu 0xfffe
	s_or_b32 exec_lo, exec_lo, s84
	v_mov_b32_e32 v14, 0
	s_and_saveexec_b32 s9, s6
	s_cbranch_execnz .LBB49_51
.LBB49_47:                              ;   in Loop: Header=BB49_7 Depth=1
	s_wait_alu 0xfffe
	s_or_b32 exec_lo, exec_lo, s9
	s_and_saveexec_b32 s13, s7
	s_cbranch_execnz .LBB49_52
	s_branch .LBB49_57
.LBB49_48:                              ;   in Loop: Header=BB49_7 Depth=1
	v_mov_b32_e32 v6, v19
	s_mov_b32 s85, 0
	s_mov_b32 s86, 0
	;; [unrolled: 1-line block ×6, first 2 shown]
.LBB49_49:                              ;   Parent Loop BB49_7 Depth=1
                                        ; =>  This Inner Loop Header: Depth=2
	s_wait_alu 0xfffe
	v_add_nc_u32_e32 v1, s86, v27
	v_add_nc_u32_e32 v3, s86, v12
	;; [unrolled: 1-line block ×5, first 2 shown]
	v_ashrrev_i32_e32 v2, 31, v1
	v_ashrrev_i32_e32 v4, 31, v3
	v_ashrrev_i32_e32 v17, 31, v16
	v_ashrrev_i32_e32 v35, 31, v34
	s_add_co_i32 s86, s86, s75
	v_lshlrev_b64_e32 v[1:2], 2, v[1:2]
	v_lshlrev_b64_e32 v[3:4], 2, v[3:4]
	v_lshlrev_b64_e32 v[16:17], 2, v[16:17]
	v_lshlrev_b64_e32 v[34:35], 2, v[34:35]
	s_delay_alu instid0(VALU_DEP_4)
	v_add_co_u32 v1, vcc_lo, s48, v1
	s_wait_alu 0xfffd
	v_add_co_ci_u32_e64 v2, null, s49, v2, vcc_lo
	v_add_co_u32 v3, vcc_lo, s48, v3
	s_wait_alu 0xfffd
	v_add_co_ci_u32_e64 v4, null, s49, v4, vcc_lo
	;; [unrolled: 3-line block ×4, first 2 shown]
	s_clause 0x3
	global_load_b32 v1, v[1:2], off
	global_load_b32 v2, v[3:4], off
	;; [unrolled: 1-line block ×4, first 2 shown]
	v_cmp_le_i32_e32 vcc_lo, s73, v6
	s_wait_loadcnt 0x3
	v_cmp_lt_i32_e64 s9, -1, v1
	v_cmp_o_f32_e64 s12, v1, v1
	s_wait_loadcnt 0x1
	v_cmp_o_f32_e64 s10, v3, v3
	s_wait_loadcnt 0x0
	v_cmp_o_f32_e64 s11, v4, v4
	s_wait_alu 0xf1ff
	v_cndmask_b32_e64 v14, -1, 0x80000000, s9
	v_cmp_lt_i32_e64 s9, -1, v2
	s_delay_alu instid0(VALU_DEP_2) | instskip(SKIP_1) | instid1(VALU_DEP_2)
	v_xor_b32_e32 v14, v14, v1
	s_wait_alu 0xf1ff
	v_cndmask_b32_e64 v16, -1, 0x80000000, s9
	v_cmp_lt_i32_e64 s9, -1, v3
	s_delay_alu instid0(VALU_DEP_3) | instskip(NEXT) | instid1(VALU_DEP_3)
	v_cndmask_b32_e64 v1, -1, v14, s12
	v_xor_b32_e32 v16, v16, v2
	s_wait_alu 0xf1ff
	s_delay_alu instid0(VALU_DEP_3) | instskip(SKIP_4) | instid1(VALU_DEP_3)
	v_cndmask_b32_e64 v17, -1, 0x80000000, s9
	v_cmp_lt_i32_e64 s9, -1, v4
	v_and_b32_e32 v14, v1, v32
	v_bfe_u32 v1, v1, s83, 2
	s_wait_alu 0xf1ff
	v_cndmask_b32_e64 v34, -1, 0x80000000, s9
	v_cmp_o_f32_e64 s9, v2, v2
	v_xor_b32_e32 v2, v17, v3
	v_cmp_eq_u32_e64 s13, 0, v1
	v_cmp_eq_u32_e64 s17, 1, v1
	v_xor_b32_e32 v3, v34, v4
	s_wait_alu 0xf1ff
	v_cndmask_b32_e64 v4, -1, v16, s9
	v_cndmask_b32_e64 v2, -1, v2, s10
	v_cmp_eq_u32_e64 s9, v14, v24
	v_cmp_eq_u32_e64 s21, 2, v1
	v_cndmask_b32_e64 v3, -1, v3, s11
	v_and_b32_e32 v16, v4, v32
	v_bfe_u32 v4, v4, s83, 2
	v_and_b32_e32 v17, v2, v32
	v_bfe_u32 v2, v2, s83, 2
	;; [unrolled: 2-line block ×3, first 2 shown]
	v_cmp_eq_u32_e64 s10, v16, v24
	v_cmp_eq_u32_e64 s14, 0, v4
	;; [unrolled: 1-line block ×4, first 2 shown]
	s_and_b32 s13, s9, s13
	v_cmp_eq_u32_e64 s12, v34, v24
	v_cmp_eq_u32_e64 s16, 0, v3
	;; [unrolled: 1-line block ×3, first 2 shown]
	s_wait_alu 0xfffe
	v_cndmask_b32_e64 v1, 0, 1, s13
	s_and_b32 s13, s10, s14
	v_cmp_eq_u32_e64 s19, 1, v2
	v_cmp_eq_u32_e64 s23, 2, v2
	v_cmp_eq_u32_e64 s27, 3, v2
	s_wait_alu 0xfffe
	v_cndmask_b32_e64 v2, 0, 1, s13
	s_and_b32 s13, s11, s15
	v_cmp_eq_u32_e64 s18, 1, v4
	v_cmp_eq_u32_e64 s20, 1, v3
	;; [unrolled: 1-line block ×4, first 2 shown]
	s_wait_alu 0xfffe
	v_cndmask_b32_e64 v3, 0, 1, s13
	s_and_b32 s13, s12, s16
	v_cmp_eq_u32_e64 s22, 2, v4
	v_cmp_eq_u32_e64 s26, 3, v4
	s_wait_alu 0xfffe
	v_cndmask_b32_e64 v4, 0, 1, s13
	s_and_b32 s13, s9, s17
	s_wait_alu 0xfffe
	v_cndmask_b32_e64 v14, 0, 1, s13
	s_and_b32 s13, s10, s18
	;; [unrolled: 3-line block ×4, first 2 shown]
	v_cmp_ne_u32_e64 s14, 0, v16
	s_wait_alu 0xfffe
	v_cndmask_b32_e64 v34, 0, 1, s13
	s_and_b32 s13, s9, s21
	s_and_b32 s9, s9, s25
	s_wait_alu 0xfffe
	v_cndmask_b32_e64 v35, 0, 1, s13
	s_and_b32 s13, s10, s22
	v_cndmask_b32_e64 v39, 0, 1, s9
	s_and_b32 s9, s10, s26
	s_wait_alu 0xfffe
	v_cndmask_b32_e64 v36, 0, 1, s13
	s_and_b32 s13, s11, s23
	v_cndmask_b32_e64 v40, 0, 1, s9
	;; [unrolled: 5-line block ×3, first 2 shown]
	s_and_b32 s9, s12, s28
	s_wait_alu 0xfffe
	v_cndmask_b32_e64 v38, 0, 1, s13
	v_cndmask_b32_e64 v42, 0, 1, s9
	v_cmp_ne_u32_e64 s9, 0, v1
	v_cmp_ne_u32_e64 s13, 0, v14
	;; [unrolled: 1-line block ×11, first 2 shown]
	s_bcnt1_i32_b32 s9, s9
	s_bcnt1_i32_b32 s13, s13
	;; [unrolled: 1-line block ×4, first 2 shown]
	v_cmp_ne_u32_e64 s12, 0, v4
	v_cmp_ne_u32_e64 s16, 0, v34
	;; [unrolled: 1-line block ×4, first 2 shown]
	s_bcnt1_i32_b32 s10, s10
	s_bcnt1_i32_b32 s14, s14
	s_bcnt1_i32_b32 s18, s18
	s_bcnt1_i32_b32 s22, s22
	s_wait_alu 0xfffe
	s_add_co_i32 s9, s9, s90
	s_add_co_i32 s13, s13, s89
	s_add_co_i32 s17, s17, s88
	s_add_co_i32 s21, s21, s87
	s_bcnt1_i32_b32 s11, s11
	s_bcnt1_i32_b32 s15, s15
	s_bcnt1_i32_b32 s19, s19
	s_bcnt1_i32_b32 s23, s23
	s_wait_alu 0xfffe
	s_add_co_i32 s9, s9, s10
	s_add_co_i32 s10, s13, s14
	s_add_co_i32 s13, s17, s18
	s_add_co_i32 s14, s21, s22
	s_bcnt1_i32_b32 s12, s12
	s_bcnt1_i32_b32 s16, s16
	s_bcnt1_i32_b32 s20, s20
	s_bcnt1_i32_b32 s24, s24
	s_wait_alu 0xfffe
	s_add_co_i32 s9, s9, s11
	s_add_co_i32 s10, s10, s15
	s_add_co_i32 s11, s13, s19
	s_add_co_i32 s13, s14, s23
	s_wait_alu 0xfffe
	s_add_co_i32 s90, s9, s12
	s_add_co_i32 s89, s10, s16
	;; [unrolled: 1-line block ×4, first 2 shown]
	s_wait_alu 0xfffe
	v_dual_mov_b32 v1, s90 :: v_dual_mov_b32 v2, s89
	v_dual_mov_b32 v3, s88 :: v_dual_mov_b32 v4, s87
	s_or_b32 s85, vcc_lo, s85
	s_wait_alu 0xfffe
	s_and_not1_b32 exec_lo, exec_lo, s85
	s_cbranch_execnz .LBB49_49
; %bb.50:                               ;   in Loop: Header=BB49_7 Depth=1
	s_or_b32 exec_lo, exec_lo, s85
	s_delay_alu instid0(SALU_CYCLE_1)
	s_or_b32 exec_lo, exec_lo, s84
	v_mov_b32_e32 v14, 0
	s_and_saveexec_b32 s9, s6
	s_cbranch_execz .LBB49_47
.LBB49_51:                              ;   in Loop: Header=BB49_7 Depth=1
	global_load_b32 v14, v[10:11], off
	s_wait_alu 0xfffe
	s_or_b32 exec_lo, exec_lo, s9
	s_and_saveexec_b32 s13, s7
	s_cbranch_execz .LBB49_57
.LBB49_52:                              ;   in Loop: Header=BB49_7 Depth=1
	v_mov_b32_e32 v16, v28
	v_mov_b32_e32 v6, v21
	s_mov_b32 s14, 0
	s_branch .LBB49_54
.LBB49_53:                              ;   in Loop: Header=BB49_54 Depth=2
	s_wait_alu 0xfffe
	s_or_b32 exec_lo, exec_lo, s9
	s_wait_loadcnt 0x0
	v_cmp_lt_i32_e32 vcc_lo, -1, v14
	v_add_nc_u32_e32 v16, s65, v16
	s_wait_alu 0xfffd
	v_cndmask_b32_e64 v34, -1, 0x80000000, vcc_lo
	v_cmp_o_f32_e32 vcc_lo, v14, v14
	s_delay_alu instid0(VALU_DEP_2) | instskip(SKIP_1) | instid1(VALU_DEP_1)
	v_xor_b32_e32 v34, v34, v14
	s_wait_alu 0xfffd
	v_cndmask_b32_e32 v14, -1, v34, vcc_lo
	s_delay_alu instid0(VALU_DEP_1) | instskip(SKIP_1) | instid1(VALU_DEP_2)
	v_and_b32_e32 v34, v14, v32
	v_bfe_u32 v14, v14, s83, 2
	v_cmp_eq_u32_e32 vcc_lo, v34, v24
	s_delay_alu instid0(VALU_DEP_2)
	v_cmp_eq_u32_e64 s9, 0, v14
	v_cmp_eq_u32_e64 s10, 1, v14
	;; [unrolled: 1-line block ×4, first 2 shown]
	s_and_b32 s9, vcc_lo, s9
	s_wait_alu 0xfffe
	v_cndmask_b32_e64 v14, 0, 1, s9
	s_and_b32 s9, vcc_lo, s10
	s_wait_alu 0xfffe
	v_cndmask_b32_e64 v34, 0, 1, s9
	;; [unrolled: 3-line block ×3, first 2 shown]
	s_and_b32 s9, vcc_lo, s12
	v_cmp_ne_u32_e32 vcc_lo, 0, v14
	s_wait_alu 0xfffe
	v_cndmask_b32_e64 v36, 0, 1, s9
	v_cmp_ne_u32_e64 s9, 0, v34
	v_cmp_ne_u32_e64 s10, 0, v35
	v_cmp_le_i32_e64 s12, s36, v6
	s_bcnt1_i32_b32 s15, vcc_lo
	v_cmp_ne_u32_e64 s11, 0, v36
	s_bcnt1_i32_b32 s9, s9
	s_bcnt1_i32_b32 s10, s10
	s_wait_alu 0xfffe
	v_add_nc_u32_e32 v1, s15, v1
	v_add_nc_u32_e32 v2, s9, v2
	s_bcnt1_i32_b32 s11, s11
	v_dual_mov_b32 v14, v17 :: v_dual_add_nc_u32 v3, s10, v3
	s_wait_alu 0xfffe
	v_add_nc_u32_e32 v4, s11, v4
	s_or_b32 s14, s12, s14
	s_wait_alu 0xfffe
	s_and_not1_b32 exec_lo, exec_lo, s14
	s_cbranch_execz .LBB49_56
.LBB49_54:                              ;   Parent Loop BB49_7 Depth=1
                                        ; =>  This Inner Loop Header: Depth=2
	s_delay_alu instid0(VALU_DEP_1) | instskip(SKIP_1) | instid1(VALU_DEP_1)
	v_dual_mov_b32 v17, 0 :: v_dual_add_nc_u32 v6, s41, v6
	s_mov_b32 s9, exec_lo
	v_cmpx_gt_u32_e64 s36, v6
	s_cbranch_execz .LBB49_53
; %bb.55:                               ;   in Loop: Header=BB49_54 Depth=2
	v_ashrrev_i32_e32 v17, 31, v16
	s_delay_alu instid0(VALU_DEP_1) | instskip(NEXT) | instid1(VALU_DEP_1)
	v_lshlrev_b64_e32 v[34:35], 2, v[16:17]
	v_add_co_u32 v34, vcc_lo, s48, v34
	s_wait_alu 0xfffd
	s_delay_alu instid0(VALU_DEP_2)
	v_add_co_ci_u32_e64 v35, null, s49, v35, vcc_lo
	global_load_b32 v17, v[34:35], off
	s_branch .LBB49_53
.LBB49_56:                              ;   in Loop: Header=BB49_7 Depth=1
	s_or_b32 exec_lo, exec_lo, s14
.LBB49_57:                              ;   in Loop: Header=BB49_7 Depth=1
	s_wait_alu 0xfffe
	s_or_b32 exec_lo, exec_lo, s13
	s_branch .LBB49_37
.LBB49_58:                              ;   in Loop: Header=BB49_7 Depth=1
	s_mul_u64 s[10:11], s[50:51], s[52:53]
	v_dual_mov_b32 v1, 0 :: v_dual_mov_b32 v2, 0
	s_wait_alu 0xfffe
	s_mul_i32 s9, s11, s46
	v_dual_mov_b32 v3, 0 :: v_dual_mov_b32 v4, 0
	s_wait_alu 0xfffe
	s_sub_co_i32 s9, s50, s9
	s_mov_b32 s85, exec_lo
	s_wait_alu 0xfffe
	s_sub_co_i32 s10, s9, s46
	s_cmp_ge_u32 s9, s46
	s_wait_alu 0xfffe
	s_cselect_b32 s9, s10, s9
	s_wait_alu 0xfffe
	s_sub_co_i32 s10, s9, s46
	s_cmp_ge_u32 s9, s46
	s_wait_alu 0xfffe
	s_cselect_b32 s9, s10, s9
	s_wait_alu 0xfffe
	s_sub_co_i32 s84, s50, s9
	s_wait_alu 0xfffe
	v_cmpx_gt_u32_e64 s84, v19
	s_cbranch_execz .LBB49_62
; %bb.59:                               ;   in Loop: Header=BB49_7 Depth=1
	v_mov_b32_e32 v6, v29
	s_wait_loadcnt 0x0
	v_mov_b32_e32 v14, v19
	s_mov_b32 s86, 0
	s_mov_b32 s87, 0
	s_mov_b32 s88, 0
	s_mov_b32 s89, 0
	s_mov_b32 s90, 0
.LBB49_60:                              ;   Parent Loop BB49_7 Depth=1
                                        ; =>  This Inner Loop Header: Depth=2
	ds_load_b128 v[1:4], v6
	s_wait_dscnt 0x0
	v_cmp_lt_i32_e64 s9, -1, v1
	v_cmp_o_f32_e64 s12, v1, v1
	v_cmp_o_f32_e64 s10, v3, v3
	;; [unrolled: 1-line block ×3, first 2 shown]
	s_wait_alu 0xf1ff
	v_cndmask_b32_e64 v16, -1, 0x80000000, s9
	v_cmp_lt_i32_e64 s9, -1, v2
	s_delay_alu instid0(VALU_DEP_2) | instskip(SKIP_1) | instid1(VALU_DEP_2)
	v_xor_b32_e32 v16, v16, v1
	s_wait_alu 0xf1ff
	v_cndmask_b32_e64 v17, -1, 0x80000000, s9
	v_cmp_lt_i32_e64 s9, -1, v3
	s_delay_alu instid0(VALU_DEP_3) | instskip(NEXT) | instid1(VALU_DEP_3)
	v_cndmask_b32_e64 v1, -1, v16, s12
	v_xor_b32_e32 v17, v17, v2
	s_wait_alu 0xf1ff
	s_delay_alu instid0(VALU_DEP_3) | instskip(SKIP_4) | instid1(VALU_DEP_3)
	v_cndmask_b32_e64 v34, -1, 0x80000000, s9
	v_cmp_lt_i32_e64 s9, -1, v4
	v_and_b32_e32 v16, v1, v32
	v_bfe_u32 v1, v1, s83, 2
	s_wait_alu 0xf1ff
	v_cndmask_b32_e64 v35, -1, 0x80000000, s9
	v_cmp_o_f32_e64 s9, v2, v2
	v_xor_b32_e32 v2, v34, v3
	v_cmp_eq_u32_e64 s13, 0, v1
	v_cmp_eq_u32_e64 s17, 1, v1
	v_xor_b32_e32 v3, v35, v4
	s_wait_alu 0xf1ff
	v_cndmask_b32_e64 v4, -1, v17, s9
	v_cndmask_b32_e64 v2, -1, v2, s10
	v_cmp_eq_u32_e64 s9, v16, v24
	v_cmp_eq_u32_e64 s21, 2, v1
	v_cndmask_b32_e64 v3, -1, v3, s11
	v_and_b32_e32 v17, v4, v32
	v_bfe_u32 v4, v4, s83, 2
	v_and_b32_e32 v34, v2, v32
	v_bfe_u32 v2, v2, s83, 2
	;; [unrolled: 2-line block ×3, first 2 shown]
	v_cmp_eq_u32_e64 s10, v17, v24
	v_cmp_eq_u32_e64 s14, 0, v4
	;; [unrolled: 1-line block ×4, first 2 shown]
	s_and_b32 s13, s9, s13
	v_cmp_eq_u32_e64 s12, v35, v24
	v_cmp_eq_u32_e64 s16, 0, v3
	v_cmp_eq_u32_e64 s25, 3, v1
	s_wait_alu 0xfffe
	v_cndmask_b32_e64 v1, 0, 1, s13
	s_and_b32 s13, s10, s14
	v_cmp_eq_u32_e64 s19, 1, v2
	v_cmp_eq_u32_e64 s23, 2, v2
	;; [unrolled: 1-line block ×3, first 2 shown]
	s_wait_alu 0xfffe
	v_cndmask_b32_e64 v2, 0, 1, s13
	s_and_b32 s13, s11, s15
	v_cmp_eq_u32_e64 s18, 1, v4
	v_cmp_eq_u32_e64 s20, 1, v3
	;; [unrolled: 1-line block ×4, first 2 shown]
	s_wait_alu 0xfffe
	v_cndmask_b32_e64 v3, 0, 1, s13
	s_and_b32 s13, s12, s16
	v_cmp_eq_u32_e64 s22, 2, v4
	v_cmp_eq_u32_e64 s26, 3, v4
	s_wait_alu 0xfffe
	v_cndmask_b32_e64 v4, 0, 1, s13
	s_and_b32 s13, s9, s17
	s_wait_alu 0xfffe
	v_cndmask_b32_e64 v16, 0, 1, s13
	s_and_b32 s13, s10, s18
	;; [unrolled: 3-line block ×4, first 2 shown]
	v_cmp_ne_u32_e64 s14, 0, v17
	s_wait_alu 0xfffe
	v_cndmask_b32_e64 v35, 0, 1, s13
	s_and_b32 s13, s9, s21
	s_and_b32 s9, s9, s25
	s_wait_alu 0xfffe
	v_cndmask_b32_e64 v36, 0, 1, s13
	v_cndmask_b32_e64 v40, 0, 1, s9
	s_and_b32 s9, s10, s26
	s_and_b32 s13, s10, s22
	s_wait_alu 0xfffe
	v_cndmask_b32_e64 v41, 0, 1, s9
	s_and_b32 s9, s11, s27
	v_cndmask_b32_e64 v37, 0, 1, s13
	s_wait_alu 0xfffe
	v_cndmask_b32_e64 v42, 0, 1, s9
	s_and_b32 s9, s12, s28
	s_and_b32 s13, s11, s23
	s_wait_alu 0xfffe
	v_cndmask_b32_e64 v43, 0, 1, s9
	v_cmp_ne_u32_e64 s9, 0, v1
	v_cmp_ne_u32_e64 s10, 0, v2
	v_cndmask_b32_e64 v38, 0, 1, s13
	s_and_b32 s13, s12, s24
	v_cmp_ne_u32_e64 s11, 0, v3
	s_wait_alu 0xfffe
	v_cndmask_b32_e64 v39, 0, 1, s13
	v_cmp_ne_u32_e64 s13, 0, v16
	v_cmp_ne_u32_e64 s17, 0, v36
	;; [unrolled: 1-line block ×3, first 2 shown]
	s_bcnt1_i32_b32 s9, s9
	v_cmp_ne_u32_e64 s12, 0, v4
	v_cmp_ne_u32_e64 s18, 0, v37
	;; [unrolled: 1-line block ×3, first 2 shown]
	s_bcnt1_i32_b32 s10, s10
	s_wait_alu 0xfffe
	s_add_co_i32 s9, s9, s90
	v_cmp_ne_u32_e64 s15, 0, v34
	v_cmp_ne_u32_e64 s19, 0, v38
	;; [unrolled: 1-line block ×3, first 2 shown]
	s_bcnt1_i32_b32 s11, s11
	s_wait_alu 0xfffe
	s_add_co_i32 s9, s9, s10
	s_bcnt1_i32_b32 s13, s13
	s_bcnt1_i32_b32 s17, s17
	;; [unrolled: 1-line block ×3, first 2 shown]
	v_cmp_ne_u32_e64 s16, 0, v35
	v_cmp_ne_u32_e64 s20, 0, v39
	v_cmp_ne_u32_e64 s24, 0, v43
	s_bcnt1_i32_b32 s12, s12
	s_wait_alu 0xfffe
	s_add_co_i32 s9, s9, s11
	s_bcnt1_i32_b32 s14, s14
	s_bcnt1_i32_b32 s18, s18
	;; [unrolled: 1-line block ×3, first 2 shown]
	s_add_co_i32 s13, s13, s89
	s_add_co_i32 s17, s17, s88
	;; [unrolled: 1-line block ×3, first 2 shown]
	s_wait_alu 0xfffe
	s_add_co_i32 s90, s9, s12
	s_wait_alu 0xfffe
	v_dual_mov_b32 v1, s90 :: v_dual_add_nc_u32 v14, s46, v14
	s_bcnt1_i32_b32 s15, s15
	s_bcnt1_i32_b32 s19, s19
	;; [unrolled: 1-line block ×3, first 2 shown]
	s_add_co_i32 s10, s13, s14
	s_add_co_i32 s13, s17, s18
	;; [unrolled: 1-line block ×3, first 2 shown]
	s_bcnt1_i32_b32 s16, s16
	s_bcnt1_i32_b32 s20, s20
	;; [unrolled: 1-line block ×3, first 2 shown]
	s_wait_alu 0xfffe
	s_add_co_i32 s10, s10, s15
	s_add_co_i32 s11, s13, s19
	;; [unrolled: 1-line block ×3, first 2 shown]
	v_cmp_le_i32_e32 vcc_lo, s84, v14
	s_wait_alu 0xfffe
	s_add_co_i32 s89, s10, s16
	s_add_co_i32 s88, s11, s20
	;; [unrolled: 1-line block ×3, first 2 shown]
	s_wait_alu 0xfffe
	v_dual_mov_b32 v3, s88 :: v_dual_add_nc_u32 v6, s76, v6
	v_mov_b32_e32 v2, s89
	v_mov_b32_e32 v4, s87
	s_or_b32 s86, vcc_lo, s86
	s_wait_alu 0xfffe
	s_and_not1_b32 exec_lo, exec_lo, s86
	s_cbranch_execnz .LBB49_60
; %bb.61:                               ;   in Loop: Header=BB49_7 Depth=1
	s_or_b32 exec_lo, exec_lo, s86
.LBB49_62:                              ;   in Loop: Header=BB49_7 Depth=1
	s_delay_alu instid0(SALU_CYCLE_1) | instskip(SKIP_2) | instid1(VALU_DEP_1)
	s_or_b32 exec_lo, exec_lo, s85
	v_add_nc_u32_e32 v6, s84, v0
	s_mov_b32 s14, exec_lo
	v_cmpx_gt_i32_e64 s50, v6
	s_cbranch_execz .LBB49_66
; %bb.63:                               ;   in Loop: Header=BB49_7 Depth=1
	s_wait_loadcnt 0x0
	v_lshlrev_b32_e32 v14, 2, v6
	s_mov_b32 s15, 0
.LBB49_64:                              ;   Parent Loop BB49_7 Depth=1
                                        ; =>  This Inner Loop Header: Depth=2
	ds_load_b32 v16, v14
	v_add_nc_u32_e32 v6, s41, v6
	v_add_nc_u32_e32 v14, s46, v14
	s_delay_alu instid0(VALU_DEP_2) | instskip(SKIP_3) | instid1(VALU_DEP_1)
	v_cmp_le_i32_e32 vcc_lo, s50, v6
	s_wait_dscnt 0x0
	v_cmp_lt_i32_e64 s9, -1, v16
	s_wait_alu 0xf1ff
	v_cndmask_b32_e64 v17, -1, 0x80000000, s9
	v_cmp_o_f32_e64 s9, v16, v16
	s_delay_alu instid0(VALU_DEP_2) | instskip(SKIP_1) | instid1(VALU_DEP_1)
	v_xor_b32_e32 v17, v17, v16
	s_wait_alu 0xf1ff
	v_cndmask_b32_e64 v16, -1, v17, s9
	s_delay_alu instid0(VALU_DEP_1) | instskip(SKIP_1) | instid1(VALU_DEP_2)
	v_and_b32_e32 v17, v16, v32
	v_bfe_u32 v16, v16, s83, 2
	v_cmp_eq_u32_e64 s9, v17, v24
	s_delay_alu instid0(VALU_DEP_2)
	v_cmp_eq_u32_e64 s10, 0, v16
	v_cmp_eq_u32_e64 s11, 1, v16
	;; [unrolled: 1-line block ×4, first 2 shown]
	s_and_b32 s10, s9, s10
	s_wait_alu 0xfffe
	v_cndmask_b32_e64 v16, 0, 1, s10
	s_and_b32 s10, s9, s11
	s_wait_alu 0xfffe
	v_cndmask_b32_e64 v17, 0, 1, s10
	s_and_b32 s10, s9, s12
	s_and_b32 s9, s9, s13
	s_wait_alu 0xfffe
	v_cndmask_b32_e64 v34, 0, 1, s10
	v_cndmask_b32_e64 v35, 0, 1, s9
	v_cmp_ne_u32_e64 s9, 0, v16
	v_cmp_ne_u32_e64 s10, 0, v17
	s_delay_alu instid0(VALU_DEP_4) | instskip(NEXT) | instid1(VALU_DEP_4)
	v_cmp_ne_u32_e64 s11, 0, v34
	v_cmp_ne_u32_e64 s12, 0, v35
	s_bcnt1_i32_b32 s9, s9
	s_bcnt1_i32_b32 s10, s10
	s_wait_alu 0xfffe
	v_add_nc_u32_e32 v1, s9, v1
	s_bcnt1_i32_b32 s11, s11
	s_bcnt1_i32_b32 s12, s12
	v_add_nc_u32_e32 v2, s10, v2
	s_wait_alu 0xfffe
	v_add_nc_u32_e32 v3, s11, v3
	v_add_nc_u32_e32 v4, s12, v4
	s_or_b32 s15, vcc_lo, s15
	s_wait_alu 0xfffe
	s_and_not1_b32 exec_lo, exec_lo, s15
	s_cbranch_execnz .LBB49_64
; %bb.65:                               ;   in Loop: Header=BB49_7 Depth=1
	s_or_b32 exec_lo, exec_lo, s15
.LBB49_66:                              ;   in Loop: Header=BB49_7 Depth=1
	s_wait_alu 0xfffe
	s_or_b32 exec_lo, exec_lo, s14
	v_lshlrev_b32_e32 v6, 7, v31
	s_and_saveexec_b32 s9, s0
	s_cbranch_execnz .LBB49_38
	s_branch .LBB49_39
.LBB49_67:                              ;   in Loop: Header=BB49_7 Depth=1
	s_wait_alu 0xfffe
	s_or_b32 exec_lo, exec_lo, s11
	s_wait_loadcnt_dscnt 0x0
	s_barrier_signal -1
	s_barrier_wait -1
	global_inv scope:SCOPE_SE
	s_and_saveexec_b32 s9, s2
	s_cbranch_execz .LBB49_69
; %bb.68:                               ;   in Loop: Header=BB49_7 Depth=1
	ds_load_b32 v1, v7 offset:4104
	s_wait_dscnt 0x0
	ds_store_b32 v7, v1 offset:4096
.LBB49_69:                              ;   in Loop: Header=BB49_7 Depth=1
	s_wait_alu 0xfffe
	s_or_b32 exec_lo, exec_lo, s9
	s_wait_loadcnt_dscnt 0x0
	s_barrier_signal -1
	s_mov_b32 s9, -1
	s_barrier_wait -1
	s_and_b32 vcc_lo, exec_lo, s10
	s_wait_alu 0xfffe
	s_cbranch_vccnz .LBB49_23
	s_branch .LBB49_33
.LBB49_70:                              ;   in Loop: Header=BB49_7 Depth=1
	v_mov_b32_e32 v1, 0
	s_mov_b32 s10, 0
	s_and_not1_b32 vcc_lo, exec_lo, s72
	s_wait_alu 0xfffe
	s_cbranch_vccnz .LBB49_73
.LBB49_71:                              ;   in Loop: Header=BB49_7 Depth=1
	v_lshlrev_b32_e32 v2, 9, v31
	s_lshl_b32 s10, s10, 4
	s_wait_alu 0xfffe
	s_delay_alu instid0(VALU_DEP_1)
	v_add3_u32 v2, v2, s10, v30
	s_mov_b32 s10, s69
.LBB49_72:                              ;   Parent Loop BB49_7 Depth=1
                                        ; =>  This Inner Loop Header: Depth=2
	ds_load_b32 v3, v2
	v_add_nc_u32_e32 v2, 16, v2
	s_wait_alu 0xfffe
	s_add_co_i32 s10, s10, -1
	s_wait_alu 0xfffe
	s_cmp_lg_u32 s10, 0
	s_wait_dscnt 0x0
	v_add_nc_u32_e32 v1, v3, v1
	s_cbranch_scc1 .LBB49_72
.LBB49_73:                              ;   in Loop: Header=BB49_7 Depth=1
	v_add_lshl_u32 v2, v6, v18, 2
	ds_store_b32 v2, v1 offset:3072
.LBB49_74:                              ;   in Loop: Header=BB49_7 Depth=1
	s_wait_alu 0xfffe
	s_or_b32 exec_lo, exec_lo, s9
	v_lshlrev_b32_e32 v1, 2, v6
	s_wait_loadcnt_dscnt 0x0
	s_barrier_signal -1
	s_barrier_wait -1
	global_inv scope:SCOPE_SE
	ds_load_b128 v[1:4], v1 offset:3072
	s_lshl_b32 s10, 3, s83
	v_cmp_eq_u32_e32 vcc_lo, 1, v33
	s_wait_alu 0xfffe
	s_not_b32 s17, s10
	s_mov_b32 s13, -1
	s_mov_b32 s15, -1
                                        ; implicit-def: $sgpr20
                                        ; implicit-def: $sgpr18
	s_wait_dscnt 0x0
	v_readfirstlane_b32 s12, v1
	v_readfirstlane_b32 s19, v2
	;; [unrolled: 1-line block ×4, first 2 shown]
	s_cmp_eq_u32 s12, 1
	s_cselect_b32 s11, -1, 0
	s_wait_alu 0xfffe
	s_and_b32 s14, s11, vcc_lo
	s_wait_alu 0xfffe
	s_and_saveexec_b32 s11, s14
	s_cbranch_execz .LBB49_102
; %bb.75:                               ;   in Loop: Header=BB49_7 Depth=1
	ds_load_b32 v1, v7 offset:4096
	s_wait_loadcnt_dscnt 0x0
	s_barrier_signal -1
	s_barrier_wait -1
	global_inv scope:SCOPE_SE
	v_readfirstlane_b32 s15, v1
	s_and_saveexec_b32 s18, s1
; %bb.76:                               ;   in Loop: Header=BB49_7 Depth=1
	ds_store_b32 v20, v7
; %bb.77:                               ;   in Loop: Header=BB49_7 Depth=1
	s_wait_alu 0xfffe
	s_or_b32 exec_lo, exec_lo, s18
	v_and_b32_e32 v24, s17, v24
	v_or_b32_e32 v32, s10, v32
	s_mov_b32 s18, -1
	s_mov_b32 s20, 0
	s_cmp_lt_i32 s15, 1
	s_mov_b32 s21, 0
	s_mov_b32 s22, -1
	s_wait_loadcnt_dscnt 0x0
	s_barrier_signal -1
	s_barrier_wait -1
	global_inv scope:SCOPE_SE
                                        ; implicit-def: $vgpr15
	s_cbranch_scc0 .LBB49_89
; %bb.78:                               ;   in Loop: Header=BB49_7 Depth=1
	s_mov_b32 s22, 0
                                        ; implicit-def: $vgpr15
	s_and_saveexec_b32 s23, s8
	s_cbranch_execz .LBB49_88
; %bb.79:                               ;   in Loop: Header=BB49_7 Depth=1
	v_mov_b32_e32 v1, v5
	v_mov_b32_e32 v3, v0
                                        ; implicit-def: $sgpr24
	s_branch .LBB49_83
.LBB49_80:                              ;   in Loop: Header=BB49_83 Depth=2
	s_wait_alu 0xfffe
	s_or_b32 exec_lo, exec_lo, s25
	s_wait_loadcnt_dscnt 0x0
	s_barrier_signal -1
	s_barrier_wait -1
	global_inv scope:SCOPE_SE
	ds_load_b64 v[14:15], v7 offset:3072
	s_wait_loadcnt_dscnt 0x0
	s_barrier_signal -1
	s_barrier_wait -1
	global_inv scope:SCOPE_SE
	v_cmp_neq_f32_e32 vcc_lo, 0, v14
	s_cbranch_vccnz .LBB49_86
; %bb.81:                               ;   in Loop: Header=BB49_83 Depth=2
	v_add_nc_u32_e32 v3, s41, v3
	v_add_nc_u32_e32 v1, s65, v1
	s_mov_b32 s25, 0
	s_delay_alu instid0(VALU_DEP_2)
	v_cmp_le_i32_e32 vcc_lo, s74, v3
	s_or_not1_b32 s26, vcc_lo, exec_lo
.LBB49_82:                              ;   in Loop: Header=BB49_83 Depth=2
	s_wait_alu 0xfffe
	s_and_b32 s26, exec_lo, s26
	s_wait_alu 0xfffe
	s_or_b32 s21, s26, s21
	s_and_not1_b32 s24, s24, exec_lo
	s_and_b32 s25, s25, exec_lo
	s_wait_alu 0xfffe
	s_or_b32 s24, s24, s25
	s_and_not1_b32 exec_lo, exec_lo, s21
	s_cbranch_execz .LBB49_87
.LBB49_83:                              ;   Parent Loop BB49_7 Depth=1
                                        ; =>  This Inner Loop Header: Depth=2
	s_mov_b32 s25, exec_lo
	s_delay_alu instid0(VALU_DEP_1)
	v_cmpx_gt_i32_e64 s36, v3
	s_cbranch_execz .LBB49_80
; %bb.84:                               ;   in Loop: Header=BB49_83 Depth=2
	v_ashrrev_i32_e32 v2, 31, v1
	s_delay_alu instid0(VALU_DEP_1) | instskip(NEXT) | instid1(VALU_DEP_1)
	v_lshlrev_b64_e32 v[14:15], 2, v[1:2]
	v_add_co_u32 v14, vcc_lo, s48, v14
	s_wait_alu 0xfffd
	s_delay_alu instid0(VALU_DEP_2)
	v_add_co_ci_u32_e64 v15, null, s49, v15, vcc_lo
	global_load_b32 v14, v[14:15], off
	s_wait_loadcnt 0x0
	v_cmp_lt_i32_e32 vcc_lo, -1, v14
	s_wait_alu 0xfffd
	v_cndmask_b32_e64 v2, -1, 0x80000000, vcc_lo
	v_cmp_o_f32_e32 vcc_lo, v14, v14
	s_delay_alu instid0(VALU_DEP_2) | instskip(SKIP_1) | instid1(VALU_DEP_1)
	v_xor_b32_e32 v2, v2, v14
	s_wait_alu 0xfffd
	v_cndmask_b32_e32 v2, -1, v2, vcc_lo
	s_delay_alu instid0(VALU_DEP_1) | instskip(NEXT) | instid1(VALU_DEP_1)
	v_and_b32_e32 v2, v2, v32
	v_cmp_eq_u32_e32 vcc_lo, v2, v24
	s_and_b32 exec_lo, exec_lo, vcc_lo
	s_cbranch_execz .LBB49_80
; %bb.85:                               ;   in Loop: Header=BB49_83 Depth=2
	ds_store_b64 v7, v[13:14] offset:3072
	s_branch .LBB49_80
.LBB49_86:                              ;   in Loop: Header=BB49_83 Depth=2
	s_mov_b32 s26, -1
	s_mov_b32 s25, -1
                                        ; implicit-def: $vgpr3
                                        ; implicit-def: $vgpr1
	s_branch .LBB49_82
.LBB49_87:                              ;   in Loop: Header=BB49_7 Depth=1
	s_or_b32 exec_lo, exec_lo, s21
	s_wait_alu 0xfffe
	s_and_b32 s21, s24, exec_lo
.LBB49_88:                              ;   in Loop: Header=BB49_7 Depth=1
	s_wait_alu 0xfffe
	s_or_b32 exec_lo, exec_lo, s23
.LBB49_89:                              ;   in Loop: Header=BB49_7 Depth=1
	s_wait_alu 0xfffe
	s_and_b32 vcc_lo, exec_lo, s22
	s_wait_alu 0xfffe
	s_cbranch_vccz .LBB49_101
; %bb.90:                               ;   in Loop: Header=BB49_7 Depth=1
	s_add_co_i32 s20, s15, s64
                                        ; implicit-def: $vgpr15
	s_wait_alu 0xfffe
	s_abs_i32 s50, s20
	s_wait_alu 0xfffe
	s_mul_u64 s[22:23], s[50:51], s[54:55]
	s_ashr_i32 s22, s20, 31
	s_wait_alu 0xfffe
	s_mul_i32 s18, s23, s41
	s_wait_alu 0xfffe
	s_sub_co_i32 s18, s50, s18
	s_wait_alu 0xfffe
	s_sub_co_i32 s23, s18, s41
	s_cmp_ge_u32 s18, s41
	s_wait_alu 0xfffe
	s_cselect_b32 s18, s23, s18
	s_wait_alu 0xfffe
	s_sub_co_i32 s23, s18, s41
	s_cmp_ge_u32 s18, s41
	s_wait_alu 0xfffe
	s_cselect_b32 s18, s23, s18
	s_wait_alu 0xfffe
	s_xor_b32 s18, s18, s22
	s_wait_alu 0xfffe
	s_sub_co_i32 s18, s22, s18
	s_wait_alu 0xfffe
	s_add_co_i32 s20, s20, s18
	s_mov_b32 s18, exec_lo
	s_wait_alu 0xfffe
	v_cmpx_gt_i32_e64 s20, v0
	s_cbranch_execz .LBB49_100
; %bb.91:                               ;   in Loop: Header=BB49_7 Depth=1
	v_dual_mov_b32 v1, v19 :: v_dual_mov_b32 v2, v0
	s_mov_b32 s22, 0
                                        ; implicit-def: $sgpr23
	s_branch .LBB49_95
.LBB49_92:                              ;   in Loop: Header=BB49_95 Depth=2
	s_wait_alu 0xfffe
	s_or_b32 exec_lo, exec_lo, s24
	s_wait_loadcnt_dscnt 0x0
	s_barrier_signal -1
	s_barrier_wait -1
	global_inv scope:SCOPE_SE
	ds_load_b64 v[14:15], v7 offset:3072
	s_wait_loadcnt_dscnt 0x0
	s_barrier_signal -1
	s_barrier_wait -1
	global_inv scope:SCOPE_SE
	v_cmp_neq_f32_e32 vcc_lo, 0, v14
	s_cbranch_vccnz .LBB49_98
; %bb.93:                               ;   in Loop: Header=BB49_95 Depth=2
	v_add_nc_u32_e32 v2, s41, v2
	v_add_nc_u32_e32 v1, s46, v1
	s_mov_b32 s24, 0
	s_delay_alu instid0(VALU_DEP_2)
	v_cmp_le_i32_e32 vcc_lo, s20, v2
	s_or_not1_b32 s25, vcc_lo, exec_lo
.LBB49_94:                              ;   in Loop: Header=BB49_95 Depth=2
	s_wait_alu 0xfffe
	s_and_b32 s25, exec_lo, s25
	s_wait_alu 0xfffe
	s_or_b32 s22, s25, s22
	s_and_not1_b32 s23, s23, exec_lo
	s_and_b32 s24, s24, exec_lo
	s_wait_alu 0xfffe
	s_or_b32 s23, s23, s24
	s_and_not1_b32 exec_lo, exec_lo, s22
	s_cbranch_execz .LBB49_99
.LBB49_95:                              ;   Parent Loop BB49_7 Depth=1
                                        ; =>  This Inner Loop Header: Depth=2
	s_mov_b32 s24, exec_lo
	s_delay_alu instid0(VALU_DEP_1)
	v_cmpx_gt_i32_e64 s15, v2
	s_cbranch_execz .LBB49_92
; %bb.96:                               ;   in Loop: Header=BB49_95 Depth=2
	ds_load_b32 v14, v1
	s_wait_dscnt 0x0
	v_cmp_lt_i32_e32 vcc_lo, -1, v14
	s_wait_alu 0xfffd
	v_cndmask_b32_e64 v3, -1, 0x80000000, vcc_lo
	v_cmp_o_f32_e32 vcc_lo, v14, v14
	s_delay_alu instid0(VALU_DEP_2) | instskip(SKIP_1) | instid1(VALU_DEP_1)
	v_xor_b32_e32 v3, v3, v14
	s_wait_alu 0xfffd
	v_cndmask_b32_e32 v3, -1, v3, vcc_lo
	s_delay_alu instid0(VALU_DEP_1) | instskip(NEXT) | instid1(VALU_DEP_1)
	v_and_b32_e32 v3, v3, v32
	v_cmp_eq_u32_e32 vcc_lo, v3, v24
	s_and_b32 exec_lo, exec_lo, vcc_lo
	s_cbranch_execz .LBB49_92
; %bb.97:                               ;   in Loop: Header=BB49_95 Depth=2
	ds_store_b64 v7, v[13:14] offset:3072
	s_branch .LBB49_92
.LBB49_98:                              ;   in Loop: Header=BB49_95 Depth=2
	s_mov_b32 s25, -1
	s_mov_b32 s24, -1
                                        ; implicit-def: $vgpr2
                                        ; implicit-def: $vgpr1
	s_branch .LBB49_94
.LBB49_99:                              ;   in Loop: Header=BB49_7 Depth=1
	s_or_b32 exec_lo, exec_lo, s22
	s_delay_alu instid0(SALU_CYCLE_1)
	s_and_not1_b32 s15, s21, exec_lo
	s_wait_alu 0xfffe
	s_and_b32 s20, s23, exec_lo
	s_wait_alu 0xfffe
	s_or_b32 s21, s15, s20
.LBB49_100:                             ;   in Loop: Header=BB49_7 Depth=1
	s_wait_alu 0xfffe
	s_or_b32 exec_lo, exec_lo, s18
	s_mov_b32 s18, 0
	s_mov_b32 s20, -1
.LBB49_101:                             ;   in Loop: Header=BB49_7 Depth=1
	s_or_not1_b32 s15, s21, exec_lo
.LBB49_102:                             ;   in Loop: Header=BB49_7 Depth=1
	s_wait_alu 0xfffe
	s_or_b32 exec_lo, exec_lo, s11
	v_readfirstlane_b32 s21, v0
	s_and_not1_b32 s11, s81, exec_lo
	s_and_b32 s20, s20, exec_lo
	s_and_not1_b32 s22, s79, exec_lo
	s_and_b32 s18, s18, exec_lo
	s_and_not1_b32 s78, s78, exec_lo
	s_wait_alu 0xfffe
	s_or_b32 s81, s11, s20
	s_or_b32 s79, s22, s18
                                        ; implicit-def: $vgpr4
	s_and_saveexec_b32 s11, s15
	s_cbranch_execz .LBB49_6
; %bb.103:                              ;   in Loop: Header=BB49_7 Depth=1
	v_dual_mov_b32 v4, 1 :: v_dual_mov_b32 v3, 1
	s_xor_b32 s14, s14, -1
	s_mov_b32 s20, 0
	s_wait_alu 0xfffe
	s_and_saveexec_b32 s13, s14
	s_cbranch_execz .LBB49_112
; %bb.104:                              ;   in Loop: Header=BB49_7 Depth=1
	s_mov_b32 s14, exec_lo
	v_cmpx_ge_i32_e64 s12, v33
	s_wait_alu 0xfffe
	s_xor_b32 s14, exec_lo, s14
	s_cbranch_execz .LBB49_109
; %bb.105:                              ;   in Loop: Header=BB49_7 Depth=1
	ds_load_b32 v1, v7 offset:4096
	v_and_b32_e32 v24, s17, v24
	v_or_b32_e32 v32, s10, v32
	s_wait_dscnt 0x0
	v_cmp_ne_u32_e32 vcc_lo, 0, v1
	s_cbranch_vccnz .LBB49_109
; %bb.106:                              ;   in Loop: Header=BB49_7 Depth=1
	s_and_saveexec_b32 s15, s2
; %bb.107:                              ;   in Loop: Header=BB49_7 Depth=1
	v_mov_b32_e32 v1, s12
	ds_store_b32 v7, v1 offset:4100
; %bb.108:                              ;   in Loop: Header=BB49_7 Depth=1
	s_wait_alu 0xfffe
	s_or_b32 exec_lo, exec_lo, s15
	s_wait_loadcnt_dscnt 0x0
	s_barrier_signal -1
	s_barrier_wait -1
	global_inv scope:SCOPE_SE
.LBB49_109:                             ;   in Loop: Header=BB49_7 Depth=1
	s_wait_alu 0xfffe
	s_or_saveexec_b32 s14, s14
	v_mov_b32_e32 v3, 8
	s_mov_b32 s15, 0
	s_wait_alu 0xfffe
	s_xor_b32 exec_lo, exec_lo, s14
; %bb.110:                              ;   in Loop: Header=BB49_7 Depth=1
	v_subrev_nc_u32_e32 v33, s12, v33
	v_mov_b32_e32 v3, 0
	s_mov_b32 s15, exec_lo
; %bb.111:                              ;   in Loop: Header=BB49_7 Depth=1
	s_or_b32 exec_lo, exec_lo, s14
	s_delay_alu instid0(VALU_DEP_2)
	v_mov_b32_e32 v4, v33
	s_wait_alu 0xfffe
	s_and_b32 s20, s15, exec_lo
.LBB49_112:                             ;   in Loop: Header=BB49_7 Depth=1
	s_wait_alu 0xfffe
	s_or_b32 exec_lo, exec_lo, s13
	s_mov_b32 s12, -1
	s_mov_b32 s18, -1
                                        ; implicit-def: $sgpr14
                                        ; implicit-def: $sgpr15
	s_and_saveexec_b32 s13, s20
	s_wait_alu 0xfffe
	s_xor_b32 s13, exec_lo, s13
	s_cbranch_execz .LBB49_235
; %bb.113:                              ;   in Loop: Header=BB49_7 Depth=1
	v_cmp_eq_u32_e32 vcc_lo, 1, v4
	s_cmp_eq_u32 s19, 1
	s_mov_b32 s21, -1
	s_cselect_b32 s14, -1, 0
                                        ; implicit-def: $sgpr15
	s_wait_alu 0xfffe
	s_and_b32 s20, s14, vcc_lo
                                        ; implicit-def: $sgpr14
	s_wait_alu 0xfffe
	s_and_saveexec_b32 s18, s20
	s_cbranch_execz .LBB49_141
; %bb.114:                              ;   in Loop: Header=BB49_7 Depth=1
	ds_load_b32 v1, v7 offset:4096
	s_wait_loadcnt_dscnt 0x0
	s_barrier_signal -1
	s_barrier_wait -1
	global_inv scope:SCOPE_SE
	v_readfirstlane_b32 s21, v1
	s_and_saveexec_b32 s14, s1
; %bb.115:                              ;   in Loop: Header=BB49_7 Depth=1
	ds_store_b32 v20, v7
; %bb.116:                              ;   in Loop: Header=BB49_7 Depth=1
	s_wait_alu 0xfffe
	s_or_b32 exec_lo, exec_lo, s14
	s_lshl_b32 s14, 1, s83
	v_or_b32_e32 v32, s10, v32
	s_wait_alu 0xfffe
	v_and_or_b32 v24, v24, s17, s14
	s_mov_b32 s14, -1
	s_mov_b32 s15, 0
	s_cmp_gt_i32 s21, 0
	s_mov_b32 s22, 0
	s_mov_b32 s23, -1
	s_wait_loadcnt_dscnt 0x0
	s_barrier_signal -1
	s_barrier_wait -1
	global_inv scope:SCOPE_SE
                                        ; implicit-def: $vgpr15
	s_cbranch_scc1 .LBB49_128
; %bb.117:                              ;   in Loop: Header=BB49_7 Depth=1
	s_mov_b32 s23, 0
                                        ; implicit-def: $vgpr15
	s_and_saveexec_b32 s24, s8
	s_cbranch_execz .LBB49_127
; %bb.118:                              ;   in Loop: Header=BB49_7 Depth=1
	v_dual_mov_b32 v1, v5 :: v_dual_mov_b32 v6, v0
                                        ; implicit-def: $sgpr25
	s_branch .LBB49_122
.LBB49_119:                             ;   in Loop: Header=BB49_122 Depth=2
	s_wait_alu 0xfffe
	s_or_b32 exec_lo, exec_lo, s26
	s_wait_loadcnt_dscnt 0x0
	s_barrier_signal -1
	s_barrier_wait -1
	global_inv scope:SCOPE_SE
	ds_load_b64 v[14:15], v7 offset:3072
	s_wait_loadcnt_dscnt 0x0
	s_barrier_signal -1
	s_barrier_wait -1
	global_inv scope:SCOPE_SE
	v_cmp_neq_f32_e32 vcc_lo, 0, v14
	s_cbranch_vccnz .LBB49_125
; %bb.120:                              ;   in Loop: Header=BB49_122 Depth=2
	v_add_nc_u32_e32 v6, s41, v6
	v_add_nc_u32_e32 v1, s65, v1
	s_mov_b32 s26, 0
	s_delay_alu instid0(VALU_DEP_2)
	v_cmp_le_i32_e32 vcc_lo, s74, v6
	s_or_not1_b32 s27, vcc_lo, exec_lo
.LBB49_121:                             ;   in Loop: Header=BB49_122 Depth=2
	s_wait_alu 0xfffe
	s_and_b32 s27, exec_lo, s27
	s_wait_alu 0xfffe
	s_or_b32 s22, s27, s22
	s_and_not1_b32 s25, s25, exec_lo
	s_and_b32 s26, s26, exec_lo
	s_wait_alu 0xfffe
	s_or_b32 s25, s25, s26
	s_and_not1_b32 exec_lo, exec_lo, s22
	s_cbranch_execz .LBB49_126
.LBB49_122:                             ;   Parent Loop BB49_7 Depth=1
                                        ; =>  This Inner Loop Header: Depth=2
	s_mov_b32 s26, exec_lo
	s_delay_alu instid0(VALU_DEP_1)
	v_cmpx_gt_i32_e64 s36, v6
	s_cbranch_execz .LBB49_119
; %bb.123:                              ;   in Loop: Header=BB49_122 Depth=2
	v_ashrrev_i32_e32 v2, 31, v1
	s_delay_alu instid0(VALU_DEP_1) | instskip(NEXT) | instid1(VALU_DEP_1)
	v_lshlrev_b64_e32 v[14:15], 2, v[1:2]
	v_add_co_u32 v14, vcc_lo, s48, v14
	s_wait_alu 0xfffd
	s_delay_alu instid0(VALU_DEP_2)
	v_add_co_ci_u32_e64 v15, null, s49, v15, vcc_lo
	global_load_b32 v14, v[14:15], off
	s_wait_loadcnt 0x0
	v_cmp_lt_i32_e32 vcc_lo, -1, v14
	s_wait_alu 0xfffd
	v_cndmask_b32_e64 v2, -1, 0x80000000, vcc_lo
	v_cmp_o_f32_e32 vcc_lo, v14, v14
	s_delay_alu instid0(VALU_DEP_2) | instskip(SKIP_1) | instid1(VALU_DEP_1)
	v_xor_b32_e32 v2, v2, v14
	s_wait_alu 0xfffd
	v_cndmask_b32_e32 v2, -1, v2, vcc_lo
	s_delay_alu instid0(VALU_DEP_1) | instskip(NEXT) | instid1(VALU_DEP_1)
	v_and_b32_e32 v2, v2, v32
	v_cmp_eq_u32_e32 vcc_lo, v2, v24
	s_and_b32 exec_lo, exec_lo, vcc_lo
	s_cbranch_execz .LBB49_119
; %bb.124:                              ;   in Loop: Header=BB49_122 Depth=2
	ds_store_b64 v7, v[13:14] offset:3072
	s_branch .LBB49_119
.LBB49_125:                             ;   in Loop: Header=BB49_122 Depth=2
	s_mov_b32 s27, -1
	s_mov_b32 s26, -1
                                        ; implicit-def: $vgpr6
                                        ; implicit-def: $vgpr1
	s_branch .LBB49_121
.LBB49_126:                             ;   in Loop: Header=BB49_7 Depth=1
	s_or_b32 exec_lo, exec_lo, s22
	s_wait_alu 0xfffe
	s_and_b32 s22, s25, exec_lo
.LBB49_127:                             ;   in Loop: Header=BB49_7 Depth=1
	s_wait_alu 0xfffe
	s_or_b32 exec_lo, exec_lo, s24
.LBB49_128:                             ;   in Loop: Header=BB49_7 Depth=1
	s_wait_alu 0xfffe
	s_and_b32 vcc_lo, exec_lo, s23
	s_wait_alu 0xfffe
	s_cbranch_vccz .LBB49_140
; %bb.129:                              ;   in Loop: Header=BB49_7 Depth=1
	s_add_co_i32 s23, s21, s64
                                        ; implicit-def: $vgpr15
	s_wait_alu 0xfffe
	s_abs_i32 s50, s23
	s_wait_alu 0xfffe
	s_mul_u64 s[14:15], s[50:51], s[54:55]
	s_wait_alu 0xfffe
	s_mul_i32 s14, s15, s41
	s_ashr_i32 s15, s23, 31
	s_wait_alu 0xfffe
	s_sub_co_i32 s14, s50, s14
	s_wait_alu 0xfffe
	s_sub_co_i32 s24, s14, s41
	s_cmp_ge_u32 s14, s41
	s_wait_alu 0xfffe
	s_cselect_b32 s14, s24, s14
	s_wait_alu 0xfffe
	s_sub_co_i32 s24, s14, s41
	s_cmp_ge_u32 s14, s41
	s_wait_alu 0xfffe
	s_cselect_b32 s14, s24, s14
	s_wait_alu 0xfffe
	s_xor_b32 s14, s14, s15
	s_wait_alu 0xfffe
	s_sub_co_i32 s14, s15, s14
	s_wait_alu 0xfffe
	s_add_co_i32 s15, s23, s14
	s_mov_b32 s14, exec_lo
	s_wait_alu 0xfffe
	v_cmpx_gt_i32_e64 s15, v0
	s_cbranch_execz .LBB49_139
; %bb.130:                              ;   in Loop: Header=BB49_7 Depth=1
	v_dual_mov_b32 v1, v19 :: v_dual_mov_b32 v2, v0
	s_mov_b32 s23, 0
                                        ; implicit-def: $sgpr24
	s_branch .LBB49_134
.LBB49_131:                             ;   in Loop: Header=BB49_134 Depth=2
	s_wait_alu 0xfffe
	s_or_b32 exec_lo, exec_lo, s25
	s_wait_loadcnt_dscnt 0x0
	s_barrier_signal -1
	s_barrier_wait -1
	global_inv scope:SCOPE_SE
	ds_load_b64 v[14:15], v7 offset:3072
	s_wait_loadcnt_dscnt 0x0
	s_barrier_signal -1
	s_barrier_wait -1
	global_inv scope:SCOPE_SE
	v_cmp_eq_f32_e32 vcc_lo, 0, v14
	s_cbranch_vccz .LBB49_137
; %bb.132:                              ;   in Loop: Header=BB49_134 Depth=2
	v_add_nc_u32_e32 v2, s41, v2
	v_add_nc_u32_e32 v1, s46, v1
	s_mov_b32 s25, 0
	s_delay_alu instid0(VALU_DEP_2)
	v_cmp_le_i32_e32 vcc_lo, s15, v2
	s_or_not1_b32 s26, vcc_lo, exec_lo
.LBB49_133:                             ;   in Loop: Header=BB49_134 Depth=2
	s_wait_alu 0xfffe
	s_and_b32 s26, exec_lo, s26
	s_wait_alu 0xfffe
	s_or_b32 s23, s26, s23
	s_and_not1_b32 s24, s24, exec_lo
	s_and_b32 s25, s25, exec_lo
	s_wait_alu 0xfffe
	s_or_b32 s24, s24, s25
	s_and_not1_b32 exec_lo, exec_lo, s23
	s_cbranch_execz .LBB49_138
.LBB49_134:                             ;   Parent Loop BB49_7 Depth=1
                                        ; =>  This Inner Loop Header: Depth=2
	s_mov_b32 s25, exec_lo
	s_delay_alu instid0(VALU_DEP_1)
	v_cmpx_gt_i32_e64 s21, v2
	s_cbranch_execz .LBB49_131
; %bb.135:                              ;   in Loop: Header=BB49_134 Depth=2
	ds_load_b32 v14, v1
	s_wait_dscnt 0x0
	v_cmp_lt_i32_e32 vcc_lo, -1, v14
	s_wait_alu 0xfffd
	v_cndmask_b32_e64 v6, -1, 0x80000000, vcc_lo
	v_cmp_o_f32_e32 vcc_lo, v14, v14
	s_delay_alu instid0(VALU_DEP_2) | instskip(SKIP_1) | instid1(VALU_DEP_1)
	v_xor_b32_e32 v6, v6, v14
	s_wait_alu 0xfffd
	v_cndmask_b32_e32 v6, -1, v6, vcc_lo
	s_delay_alu instid0(VALU_DEP_1) | instskip(NEXT) | instid1(VALU_DEP_1)
	v_and_b32_e32 v6, v6, v32
	v_cmp_eq_u32_e32 vcc_lo, v6, v24
	s_and_b32 exec_lo, exec_lo, vcc_lo
	s_cbranch_execz .LBB49_131
; %bb.136:                              ;   in Loop: Header=BB49_134 Depth=2
	ds_store_b64 v7, v[13:14] offset:3072
	s_branch .LBB49_131
.LBB49_137:                             ;   in Loop: Header=BB49_134 Depth=2
	s_mov_b32 s26, -1
	s_mov_b32 s25, -1
                                        ; implicit-def: $vgpr2
                                        ; implicit-def: $vgpr1
	s_branch .LBB49_133
.LBB49_138:                             ;   in Loop: Header=BB49_7 Depth=1
	s_or_b32 exec_lo, exec_lo, s23
	s_delay_alu instid0(SALU_CYCLE_1)
	s_and_not1_b32 s15, s22, exec_lo
	s_wait_alu 0xfffe
	s_and_b32 s21, s24, exec_lo
	s_wait_alu 0xfffe
	s_or_b32 s22, s15, s21
.LBB49_139:                             ;   in Loop: Header=BB49_7 Depth=1
	s_or_b32 exec_lo, exec_lo, s14
	s_mov_b32 s14, 0
	s_mov_b32 s15, -1
.LBB49_140:                             ;   in Loop: Header=BB49_7 Depth=1
	s_wait_alu 0xfffe
	s_or_not1_b32 s21, s22, exec_lo
.LBB49_141:                             ;   in Loop: Header=BB49_7 Depth=1
	s_wait_alu 0xfffe
	s_or_b32 exec_lo, exec_lo, s18
	s_mov_b32 s22, 0
	s_and_saveexec_b32 s18, s21
	s_cbranch_execz .LBB49_234
; %bb.142:                              ;   in Loop: Header=BB49_7 Depth=1
	v_dual_mov_b32 v6, 1 :: v_dual_mov_b32 v3, 1
	s_xor_b32 s21, s20, -1
	s_mov_b32 s23, 0
	s_wait_alu 0xfffe
	s_and_saveexec_b32 s20, s21
	s_cbranch_execz .LBB49_151
; %bb.143:                              ;   in Loop: Header=BB49_7 Depth=1
	s_mov_b32 s21, exec_lo
	v_cmpx_ge_i32_e64 s19, v4
	s_wait_alu 0xfffe
	s_xor_b32 s21, exec_lo, s21
	s_cbranch_execz .LBB49_148
; %bb.144:                              ;   in Loop: Header=BB49_7 Depth=1
	ds_load_b32 v1, v7 offset:4096
	s_lshl_b32 s22, 1, s83
	v_or_b32_e32 v32, s10, v32
	s_wait_alu 0xfffe
	v_and_or_b32 v24, v24, s17, s22
	s_wait_dscnt 0x0
	v_cmp_ne_u32_e32 vcc_lo, 0, v1
	s_cbranch_vccnz .LBB49_148
; %bb.145:                              ;   in Loop: Header=BB49_7 Depth=1
	s_and_saveexec_b32 s22, s2
; %bb.146:                              ;   in Loop: Header=BB49_7 Depth=1
	v_mov_b32_e32 v1, s19
	ds_store_b32 v7, v1 offset:4100
; %bb.147:                              ;   in Loop: Header=BB49_7 Depth=1
	s_wait_alu 0xfffe
	s_or_b32 exec_lo, exec_lo, s22
	s_wait_loadcnt_dscnt 0x0
	s_barrier_signal -1
	s_barrier_wait -1
	global_inv scope:SCOPE_SE
.LBB49_148:                             ;   in Loop: Header=BB49_7 Depth=1
	s_wait_alu 0xfffe
	s_or_saveexec_b32 s21, s21
	v_mov_b32_e32 v3, 8
	s_mov_b32 s22, 0
	s_wait_alu 0xfffe
	s_xor_b32 exec_lo, exec_lo, s21
; %bb.149:                              ;   in Loop: Header=BB49_7 Depth=1
	v_subrev_nc_u32_e32 v4, s19, v4
	v_mov_b32_e32 v3, 0
	s_mov_b32 s22, exec_lo
; %bb.150:                              ;   in Loop: Header=BB49_7 Depth=1
	s_or_b32 exec_lo, exec_lo, s21
	s_delay_alu instid0(VALU_DEP_2)
	v_mov_b32_e32 v6, v4
	s_wait_alu 0xfffe
	s_and_b32 s23, s22, exec_lo
.LBB49_151:                             ;   in Loop: Header=BB49_7 Depth=1
	s_wait_alu 0xfffe
	s_or_b32 exec_lo, exec_lo, s20
	s_mov_b32 s22, -1
                                        ; implicit-def: $sgpr20
                                        ; implicit-def: $sgpr21
	s_and_saveexec_b32 s19, s23
	s_cbranch_execz .LBB49_233
; %bb.152:                              ;   in Loop: Header=BB49_7 Depth=1
	v_cmp_eq_u32_e32 vcc_lo, 1, v6
	s_cmp_eq_u32 s16, 1
	s_mov_b32 s24, -1
	s_cselect_b32 s20, -1, 0
                                        ; implicit-def: $sgpr21
	s_wait_alu 0xfffe
	s_and_b32 s23, s20, vcc_lo
                                        ; implicit-def: $sgpr20
	s_wait_alu 0xfffe
	s_and_saveexec_b32 s22, s23
	s_cbranch_execz .LBB49_180
; %bb.153:                              ;   in Loop: Header=BB49_7 Depth=1
	ds_load_b32 v1, v7 offset:4096
	s_wait_loadcnt_dscnt 0x0
	s_barrier_signal -1
	s_barrier_wait -1
	global_inv scope:SCOPE_SE
	v_readfirstlane_b32 s24, v1
	s_and_saveexec_b32 s20, s1
; %bb.154:                              ;   in Loop: Header=BB49_7 Depth=1
	ds_store_b32 v20, v7
; %bb.155:                              ;   in Loop: Header=BB49_7 Depth=1
	s_wait_alu 0xfffe
	s_or_b32 exec_lo, exec_lo, s20
	s_lshl_b32 s20, 2, s83
	v_or_b32_e32 v32, s10, v32
	s_wait_alu 0xfffe
	v_and_or_b32 v24, v24, s17, s20
	s_mov_b32 s20, -1
	s_mov_b32 s21, 0
	s_cmp_gt_i32 s24, 0
	s_mov_b32 s25, 0
	s_mov_b32 s26, -1
	s_wait_loadcnt_dscnt 0x0
	s_barrier_signal -1
	s_barrier_wait -1
	global_inv scope:SCOPE_SE
                                        ; implicit-def: $vgpr15
	s_cbranch_scc1 .LBB49_167
; %bb.156:                              ;   in Loop: Header=BB49_7 Depth=1
	s_mov_b32 s26, 0
                                        ; implicit-def: $vgpr15
	s_and_saveexec_b32 s27, s8
	s_cbranch_execz .LBB49_166
; %bb.157:                              ;   in Loop: Header=BB49_7 Depth=1
	v_dual_mov_b32 v1, v5 :: v_dual_mov_b32 v4, v0
                                        ; implicit-def: $sgpr28
	s_branch .LBB49_161
.LBB49_158:                             ;   in Loop: Header=BB49_161 Depth=2
	s_wait_alu 0xfffe
	s_or_b32 exec_lo, exec_lo, s50
	s_wait_loadcnt_dscnt 0x0
	s_barrier_signal -1
	s_barrier_wait -1
	global_inv scope:SCOPE_SE
	ds_load_b64 v[14:15], v7 offset:3072
	s_wait_loadcnt_dscnt 0x0
	s_barrier_signal -1
	s_barrier_wait -1
	global_inv scope:SCOPE_SE
	v_cmp_neq_f32_e32 vcc_lo, 0, v14
	s_cbranch_vccnz .LBB49_164
; %bb.159:                              ;   in Loop: Header=BB49_161 Depth=2
	v_add_nc_u32_e32 v4, s41, v4
	v_add_nc_u32_e32 v1, s65, v1
	s_mov_b32 s50, 0
	s_delay_alu instid0(VALU_DEP_2)
	v_cmp_le_i32_e32 vcc_lo, s74, v4
	s_or_not1_b32 s84, vcc_lo, exec_lo
.LBB49_160:                             ;   in Loop: Header=BB49_161 Depth=2
	s_wait_alu 0xfffe
	s_and_b32 s84, exec_lo, s84
	s_wait_alu 0xfffe
	s_or_b32 s25, s84, s25
	s_and_not1_b32 s28, s28, exec_lo
	s_and_b32 s50, s50, exec_lo
	s_wait_alu 0xfffe
	s_or_b32 s28, s28, s50
	s_and_not1_b32 exec_lo, exec_lo, s25
	s_cbranch_execz .LBB49_165
.LBB49_161:                             ;   Parent Loop BB49_7 Depth=1
                                        ; =>  This Inner Loop Header: Depth=2
	s_mov_b32 s50, exec_lo
	s_delay_alu instid0(VALU_DEP_1)
	v_cmpx_gt_i32_e64 s36, v4
	s_cbranch_execz .LBB49_158
; %bb.162:                              ;   in Loop: Header=BB49_161 Depth=2
	v_ashrrev_i32_e32 v2, 31, v1
	s_delay_alu instid0(VALU_DEP_1) | instskip(NEXT) | instid1(VALU_DEP_1)
	v_lshlrev_b64_e32 v[14:15], 2, v[1:2]
	v_add_co_u32 v14, vcc_lo, s48, v14
	s_wait_alu 0xfffd
	s_delay_alu instid0(VALU_DEP_2)
	v_add_co_ci_u32_e64 v15, null, s49, v15, vcc_lo
	global_load_b32 v14, v[14:15], off
	s_wait_loadcnt 0x0
	v_cmp_lt_i32_e32 vcc_lo, -1, v14
	s_wait_alu 0xfffd
	v_cndmask_b32_e64 v2, -1, 0x80000000, vcc_lo
	v_cmp_o_f32_e32 vcc_lo, v14, v14
	s_delay_alu instid0(VALU_DEP_2) | instskip(SKIP_1) | instid1(VALU_DEP_1)
	v_xor_b32_e32 v2, v2, v14
	s_wait_alu 0xfffd
	v_cndmask_b32_e32 v2, -1, v2, vcc_lo
	s_delay_alu instid0(VALU_DEP_1) | instskip(NEXT) | instid1(VALU_DEP_1)
	v_and_b32_e32 v2, v2, v32
	v_cmp_eq_u32_e32 vcc_lo, v2, v24
	s_and_b32 exec_lo, exec_lo, vcc_lo
	s_cbranch_execz .LBB49_158
; %bb.163:                              ;   in Loop: Header=BB49_161 Depth=2
	ds_store_b64 v7, v[13:14] offset:3072
	s_branch .LBB49_158
.LBB49_164:                             ;   in Loop: Header=BB49_161 Depth=2
	s_mov_b32 s84, -1
	s_mov_b32 s50, -1
                                        ; implicit-def: $vgpr4
                                        ; implicit-def: $vgpr1
	s_branch .LBB49_160
.LBB49_165:                             ;   in Loop: Header=BB49_7 Depth=1
	s_or_b32 exec_lo, exec_lo, s25
	s_delay_alu instid0(SALU_CYCLE_1)
	s_and_b32 s25, s28, exec_lo
.LBB49_166:                             ;   in Loop: Header=BB49_7 Depth=1
	s_wait_alu 0xfffe
	s_or_b32 exec_lo, exec_lo, s27
.LBB49_167:                             ;   in Loop: Header=BB49_7 Depth=1
	s_wait_alu 0xfffe
	s_and_b32 vcc_lo, exec_lo, s26
	s_wait_alu 0xfffe
	s_cbranch_vccz .LBB49_179
; %bb.168:                              ;   in Loop: Header=BB49_7 Depth=1
	s_add_co_i32 s26, s24, s64
                                        ; implicit-def: $vgpr15
	s_wait_alu 0xfffe
	s_abs_i32 s50, s26
	s_wait_alu 0xfffe
	s_mul_u64 s[20:21], s[50:51], s[54:55]
	s_wait_alu 0xfffe
	s_mul_i32 s20, s21, s41
	s_ashr_i32 s21, s26, 31
	s_wait_alu 0xfffe
	s_sub_co_i32 s20, s50, s20
	s_wait_alu 0xfffe
	s_sub_co_i32 s27, s20, s41
	s_cmp_ge_u32 s20, s41
	s_wait_alu 0xfffe
	s_cselect_b32 s20, s27, s20
	s_wait_alu 0xfffe
	s_sub_co_i32 s27, s20, s41
	s_cmp_ge_u32 s20, s41
	s_wait_alu 0xfffe
	s_cselect_b32 s20, s27, s20
	s_wait_alu 0xfffe
	s_xor_b32 s20, s20, s21
	s_wait_alu 0xfffe
	s_sub_co_i32 s20, s21, s20
	s_wait_alu 0xfffe
	s_add_co_i32 s21, s26, s20
	s_mov_b32 s20, exec_lo
	s_wait_alu 0xfffe
	v_cmpx_gt_i32_e64 s21, v0
	s_cbranch_execz .LBB49_178
; %bb.169:                              ;   in Loop: Header=BB49_7 Depth=1
	v_dual_mov_b32 v1, v19 :: v_dual_mov_b32 v2, v0
	s_mov_b32 s26, 0
                                        ; implicit-def: $sgpr27
	s_branch .LBB49_173
.LBB49_170:                             ;   in Loop: Header=BB49_173 Depth=2
	s_or_b32 exec_lo, exec_lo, s28
	s_wait_loadcnt_dscnt 0x0
	s_barrier_signal -1
	s_barrier_wait -1
	global_inv scope:SCOPE_SE
	ds_load_b64 v[14:15], v7 offset:3072
	s_wait_loadcnt_dscnt 0x0
	s_barrier_signal -1
	s_barrier_wait -1
	global_inv scope:SCOPE_SE
	v_cmp_eq_f32_e32 vcc_lo, 0, v14
	s_cbranch_vccz .LBB49_176
; %bb.171:                              ;   in Loop: Header=BB49_173 Depth=2
	v_add_nc_u32_e32 v2, s41, v2
	v_add_nc_u32_e32 v1, s46, v1
	s_mov_b32 s28, 0
	s_delay_alu instid0(VALU_DEP_2)
	v_cmp_le_i32_e32 vcc_lo, s21, v2
	s_or_not1_b32 s50, vcc_lo, exec_lo
.LBB49_172:                             ;   in Loop: Header=BB49_173 Depth=2
	s_wait_alu 0xfffe
	s_and_b32 s50, exec_lo, s50
	s_wait_alu 0xfffe
	s_or_b32 s26, s50, s26
	s_and_not1_b32 s27, s27, exec_lo
	s_and_b32 s28, s28, exec_lo
	s_wait_alu 0xfffe
	s_or_b32 s27, s27, s28
	s_and_not1_b32 exec_lo, exec_lo, s26
	s_cbranch_execz .LBB49_177
.LBB49_173:                             ;   Parent Loop BB49_7 Depth=1
                                        ; =>  This Inner Loop Header: Depth=2
	s_mov_b32 s28, exec_lo
	s_delay_alu instid0(VALU_DEP_1)
	v_cmpx_gt_i32_e64 s24, v2
	s_cbranch_execz .LBB49_170
; %bb.174:                              ;   in Loop: Header=BB49_173 Depth=2
	ds_load_b32 v14, v1
	s_wait_dscnt 0x0
	v_cmp_lt_i32_e32 vcc_lo, -1, v14
	s_wait_alu 0xfffd
	v_cndmask_b32_e64 v4, -1, 0x80000000, vcc_lo
	v_cmp_o_f32_e32 vcc_lo, v14, v14
	s_delay_alu instid0(VALU_DEP_2) | instskip(SKIP_1) | instid1(VALU_DEP_1)
	v_xor_b32_e32 v4, v4, v14
	s_wait_alu 0xfffd
	v_cndmask_b32_e32 v4, -1, v4, vcc_lo
	s_delay_alu instid0(VALU_DEP_1) | instskip(NEXT) | instid1(VALU_DEP_1)
	v_and_b32_e32 v4, v4, v32
	v_cmp_eq_u32_e32 vcc_lo, v4, v24
	s_and_b32 exec_lo, exec_lo, vcc_lo
	s_cbranch_execz .LBB49_170
; %bb.175:                              ;   in Loop: Header=BB49_173 Depth=2
	ds_store_b64 v7, v[13:14] offset:3072
	s_branch .LBB49_170
.LBB49_176:                             ;   in Loop: Header=BB49_173 Depth=2
	s_mov_b32 s50, -1
	s_mov_b32 s28, -1
                                        ; implicit-def: $vgpr2
                                        ; implicit-def: $vgpr1
	s_branch .LBB49_172
.LBB49_177:                             ;   in Loop: Header=BB49_7 Depth=1
	s_or_b32 exec_lo, exec_lo, s26
	s_delay_alu instid0(SALU_CYCLE_1)
	s_and_not1_b32 s21, s25, exec_lo
	s_wait_alu 0xfffe
	s_and_b32 s24, s27, exec_lo
	s_wait_alu 0xfffe
	s_or_b32 s25, s21, s24
.LBB49_178:                             ;   in Loop: Header=BB49_7 Depth=1
	s_or_b32 exec_lo, exec_lo, s20
	s_mov_b32 s20, 0
	s_mov_b32 s21, -1
.LBB49_179:                             ;   in Loop: Header=BB49_7 Depth=1
	s_wait_alu 0xfffe
	s_or_not1_b32 s24, s25, exec_lo
.LBB49_180:                             ;   in Loop: Header=BB49_7 Depth=1
	s_wait_alu 0xfffe
	s_or_b32 exec_lo, exec_lo, s22
	s_mov_b32 s25, 0
	s_and_saveexec_b32 s22, s24
	s_cbranch_execz .LBB49_232
; %bb.181:                              ;   in Loop: Header=BB49_7 Depth=1
	v_dual_mov_b32 v4, 1 :: v_dual_mov_b32 v3, 1
	s_xor_b32 s24, s23, -1
	s_wait_alu 0xfffe
	s_and_saveexec_b32 s23, s24
	s_cbranch_execz .LBB49_190
; %bb.182:                              ;   in Loop: Header=BB49_7 Depth=1
	s_mov_b32 s24, exec_lo
	v_cmpx_ge_i32_e64 s16, v6
	s_wait_alu 0xfffe
	s_xor_b32 s24, exec_lo, s24
	s_cbranch_execz .LBB49_187
; %bb.183:                              ;   in Loop: Header=BB49_7 Depth=1
	ds_load_b32 v1, v7 offset:4096
	s_lshl_b32 s25, 2, s83
	v_or_b32_e32 v32, s10, v32
	s_wait_alu 0xfffe
	v_and_or_b32 v24, v24, s17, s25
	s_wait_dscnt 0x0
	v_cmp_ne_u32_e32 vcc_lo, 0, v1
	s_cbranch_vccnz .LBB49_187
; %bb.184:                              ;   in Loop: Header=BB49_7 Depth=1
	s_and_saveexec_b32 s17, s2
; %bb.185:                              ;   in Loop: Header=BB49_7 Depth=1
	v_mov_b32_e32 v1, s16
	ds_store_b32 v7, v1 offset:4100
; %bb.186:                              ;   in Loop: Header=BB49_7 Depth=1
	s_wait_alu 0xfffe
	s_or_b32 exec_lo, exec_lo, s17
	s_wait_loadcnt_dscnt 0x0
	s_barrier_signal -1
	s_barrier_wait -1
	global_inv scope:SCOPE_SE
.LBB49_187:                             ;   in Loop: Header=BB49_7 Depth=1
	s_wait_alu 0xfffe
	s_or_saveexec_b32 s17, s24
	v_mov_b32_e32 v3, 8
	s_mov_b32 s24, 0
	s_wait_alu 0xfffe
	s_xor_b32 exec_lo, exec_lo, s17
; %bb.188:                              ;   in Loop: Header=BB49_7 Depth=1
	v_subrev_nc_u32_e32 v6, s16, v6
	v_mov_b32_e32 v3, 0
	s_mov_b32 s24, exec_lo
; %bb.189:                              ;   in Loop: Header=BB49_7 Depth=1
	s_or_b32 exec_lo, exec_lo, s17
	s_delay_alu instid0(VALU_DEP_2)
	v_mov_b32_e32 v4, v6
	s_wait_alu 0xfffe
	s_and_b32 s25, s24, exec_lo
.LBB49_190:                             ;   in Loop: Header=BB49_7 Depth=1
	s_wait_alu 0xfffe
	s_or_b32 exec_lo, exec_lo, s23
	s_mov_b32 s17, -1
                                        ; implicit-def: $sgpr24
                                        ; implicit-def: $sgpr23
	s_and_saveexec_b32 s16, s25
	s_cbranch_execz .LBB49_231
; %bb.191:                              ;   in Loop: Header=BB49_7 Depth=1
	v_cmp_eq_u32_e32 vcc_lo, 1, v4
	s_cmp_eq_u32 s9, 1
	s_mov_b32 s26, -1
	s_cselect_b32 s17, -1, 0
                                        ; implicit-def: $sgpr24
                                        ; implicit-def: $sgpr23
	s_wait_alu 0xfffe
	s_and_b32 s17, s17, vcc_lo
	s_wait_alu 0xfffe
	s_and_saveexec_b32 s25, s17
	s_cbranch_execz .LBB49_219
; %bb.192:                              ;   in Loop: Header=BB49_7 Depth=1
	ds_load_b32 v1, v7 offset:4096
	s_wait_loadcnt_dscnt 0x0
	s_barrier_signal -1
	s_barrier_wait -1
	global_inv scope:SCOPE_SE
	v_readfirstlane_b32 s26, v1
	s_and_saveexec_b32 s23, s1
; %bb.193:                              ;   in Loop: Header=BB49_7 Depth=1
	ds_store_b32 v20, v7
; %bb.194:                              ;   in Loop: Header=BB49_7 Depth=1
	s_wait_alu 0xfffe
	s_or_b32 exec_lo, exec_lo, s23
	v_or_b32_e32 v24, s10, v24
	v_or_b32_e32 v32, s10, v32
	s_mov_b32 s23, -1
	s_mov_b32 s24, 0
	s_cmp_gt_i32 s26, 0
	s_mov_b32 s27, 0
	s_mov_b32 s28, -1
	s_wait_loadcnt_dscnt 0x0
	s_barrier_signal -1
	s_barrier_wait -1
	global_inv scope:SCOPE_SE
                                        ; implicit-def: $vgpr15
	s_cbranch_scc1 .LBB49_206
; %bb.195:                              ;   in Loop: Header=BB49_7 Depth=1
	s_mov_b32 s28, 0
                                        ; implicit-def: $vgpr15
	s_and_saveexec_b32 s50, s8
	s_cbranch_execz .LBB49_205
; %bb.196:                              ;   in Loop: Header=BB49_7 Depth=1
	v_dual_mov_b32 v1, v5 :: v_dual_mov_b32 v6, v0
                                        ; implicit-def: $sgpr84
	s_branch .LBB49_200
.LBB49_197:                             ;   in Loop: Header=BB49_200 Depth=2
	s_wait_alu 0xfffe
	s_or_b32 exec_lo, exec_lo, s85
	s_wait_loadcnt_dscnt 0x0
	s_barrier_signal -1
	s_barrier_wait -1
	global_inv scope:SCOPE_SE
	ds_load_b64 v[14:15], v7 offset:3072
	s_wait_loadcnt_dscnt 0x0
	s_barrier_signal -1
	s_barrier_wait -1
	global_inv scope:SCOPE_SE
	v_cmp_neq_f32_e32 vcc_lo, 0, v14
	s_cbranch_vccnz .LBB49_203
; %bb.198:                              ;   in Loop: Header=BB49_200 Depth=2
	v_add_nc_u32_e32 v6, s41, v6
	v_add_nc_u32_e32 v1, s65, v1
	s_mov_b32 s85, 0
	s_delay_alu instid0(VALU_DEP_2)
	v_cmp_le_i32_e32 vcc_lo, s74, v6
	s_or_not1_b32 s86, vcc_lo, exec_lo
.LBB49_199:                             ;   in Loop: Header=BB49_200 Depth=2
	s_wait_alu 0xfffe
	s_and_b32 s86, exec_lo, s86
	s_wait_alu 0xfffe
	s_or_b32 s27, s86, s27
	s_and_not1_b32 s84, s84, exec_lo
	s_and_b32 s85, s85, exec_lo
	s_wait_alu 0xfffe
	s_or_b32 s84, s84, s85
	s_and_not1_b32 exec_lo, exec_lo, s27
	s_cbranch_execz .LBB49_204
.LBB49_200:                             ;   Parent Loop BB49_7 Depth=1
                                        ; =>  This Inner Loop Header: Depth=2
	s_mov_b32 s85, exec_lo
	s_delay_alu instid0(VALU_DEP_1)
	v_cmpx_gt_i32_e64 s36, v6
	s_cbranch_execz .LBB49_197
; %bb.201:                              ;   in Loop: Header=BB49_200 Depth=2
	v_ashrrev_i32_e32 v2, 31, v1
	s_delay_alu instid0(VALU_DEP_1) | instskip(NEXT) | instid1(VALU_DEP_1)
	v_lshlrev_b64_e32 v[14:15], 2, v[1:2]
	v_add_co_u32 v14, vcc_lo, s48, v14
	s_wait_alu 0xfffd
	s_delay_alu instid0(VALU_DEP_2)
	v_add_co_ci_u32_e64 v15, null, s49, v15, vcc_lo
	global_load_b32 v14, v[14:15], off
	s_wait_loadcnt 0x0
	v_cmp_lt_i32_e32 vcc_lo, -1, v14
	s_wait_alu 0xfffd
	v_cndmask_b32_e64 v2, -1, 0x80000000, vcc_lo
	v_cmp_o_f32_e32 vcc_lo, v14, v14
	s_delay_alu instid0(VALU_DEP_2) | instskip(SKIP_1) | instid1(VALU_DEP_1)
	v_xor_b32_e32 v2, v2, v14
	s_wait_alu 0xfffd
	v_cndmask_b32_e32 v2, -1, v2, vcc_lo
	s_delay_alu instid0(VALU_DEP_1) | instskip(NEXT) | instid1(VALU_DEP_1)
	v_and_b32_e32 v2, v2, v32
	v_cmp_eq_u32_e32 vcc_lo, v2, v24
	s_and_b32 exec_lo, exec_lo, vcc_lo
	s_cbranch_execz .LBB49_197
; %bb.202:                              ;   in Loop: Header=BB49_200 Depth=2
	ds_store_b64 v7, v[13:14] offset:3072
	s_branch .LBB49_197
.LBB49_203:                             ;   in Loop: Header=BB49_200 Depth=2
	s_mov_b32 s86, -1
	s_mov_b32 s85, -1
                                        ; implicit-def: $vgpr6
                                        ; implicit-def: $vgpr1
	s_branch .LBB49_199
.LBB49_204:                             ;   in Loop: Header=BB49_7 Depth=1
	s_or_b32 exec_lo, exec_lo, s27
	s_wait_alu 0xfffe
	s_and_b32 s27, s84, exec_lo
.LBB49_205:                             ;   in Loop: Header=BB49_7 Depth=1
	s_wait_alu 0xfffe
	s_or_b32 exec_lo, exec_lo, s50
.LBB49_206:                             ;   in Loop: Header=BB49_7 Depth=1
	s_delay_alu instid0(SALU_CYCLE_1)
	s_and_b32 vcc_lo, exec_lo, s28
	s_wait_alu 0xfffe
	s_cbranch_vccz .LBB49_218
; %bb.207:                              ;   in Loop: Header=BB49_7 Depth=1
	s_add_co_i32 s24, s26, s64
                                        ; implicit-def: $vgpr15
	s_wait_alu 0xfffe
	s_abs_i32 s50, s24
	s_ashr_i32 s28, s24, 31
	s_wait_alu 0xfffe
	s_mul_u64 s[84:85], s[50:51], s[54:55]
	s_wait_alu 0xfffe
	s_mul_i32 s23, s85, s41
	s_wait_alu 0xfffe
	s_sub_co_i32 s23, s50, s23
	s_wait_alu 0xfffe
	s_sub_co_i32 s50, s23, s41
	s_cmp_ge_u32 s23, s41
	s_wait_alu 0xfffe
	s_cselect_b32 s23, s50, s23
	s_wait_alu 0xfffe
	s_sub_co_i32 s50, s23, s41
	s_cmp_ge_u32 s23, s41
	s_wait_alu 0xfffe
	s_cselect_b32 s23, s50, s23
	s_wait_alu 0xfffe
	s_xor_b32 s23, s23, s28
	s_wait_alu 0xfffe
	s_sub_co_i32 s23, s28, s23
	s_wait_alu 0xfffe
	s_add_co_i32 s24, s24, s23
	s_mov_b32 s23, exec_lo
	s_wait_alu 0xfffe
	v_cmpx_gt_i32_e64 s24, v0
	s_cbranch_execz .LBB49_217
; %bb.208:                              ;   in Loop: Header=BB49_7 Depth=1
	v_dual_mov_b32 v1, v19 :: v_dual_mov_b32 v2, v0
	s_mov_b32 s28, 0
                                        ; implicit-def: $sgpr50
	s_branch .LBB49_212
.LBB49_209:                             ;   in Loop: Header=BB49_212 Depth=2
	s_wait_alu 0xfffe
	s_or_b32 exec_lo, exec_lo, s84
	s_wait_loadcnt_dscnt 0x0
	s_barrier_signal -1
	s_barrier_wait -1
	global_inv scope:SCOPE_SE
	ds_load_b64 v[14:15], v7 offset:3072
	s_wait_loadcnt_dscnt 0x0
	s_barrier_signal -1
	s_barrier_wait -1
	global_inv scope:SCOPE_SE
	v_cmp_eq_f32_e32 vcc_lo, 0, v14
	s_cbranch_vccz .LBB49_215
; %bb.210:                              ;   in Loop: Header=BB49_212 Depth=2
	v_add_nc_u32_e32 v2, s41, v2
	v_add_nc_u32_e32 v1, s46, v1
	s_mov_b32 s84, 0
	s_delay_alu instid0(VALU_DEP_2)
	v_cmp_le_i32_e32 vcc_lo, s24, v2
	s_or_not1_b32 s85, vcc_lo, exec_lo
.LBB49_211:                             ;   in Loop: Header=BB49_212 Depth=2
	s_wait_alu 0xfffe
	s_and_b32 s85, exec_lo, s85
	s_wait_alu 0xfffe
	s_or_b32 s28, s85, s28
	s_and_not1_b32 s50, s50, exec_lo
	s_and_b32 s84, s84, exec_lo
	s_wait_alu 0xfffe
	s_or_b32 s50, s50, s84
	s_and_not1_b32 exec_lo, exec_lo, s28
	s_cbranch_execz .LBB49_216
.LBB49_212:                             ;   Parent Loop BB49_7 Depth=1
                                        ; =>  This Inner Loop Header: Depth=2
	s_mov_b32 s84, exec_lo
	s_delay_alu instid0(VALU_DEP_1)
	v_cmpx_gt_i32_e64 s26, v2
	s_cbranch_execz .LBB49_209
; %bb.213:                              ;   in Loop: Header=BB49_212 Depth=2
	ds_load_b32 v14, v1
	s_wait_dscnt 0x0
	v_cmp_lt_i32_e32 vcc_lo, -1, v14
	s_wait_alu 0xfffd
	v_cndmask_b32_e64 v6, -1, 0x80000000, vcc_lo
	v_cmp_o_f32_e32 vcc_lo, v14, v14
	s_delay_alu instid0(VALU_DEP_2) | instskip(SKIP_1) | instid1(VALU_DEP_1)
	v_xor_b32_e32 v6, v6, v14
	s_wait_alu 0xfffd
	v_cndmask_b32_e32 v6, -1, v6, vcc_lo
	s_delay_alu instid0(VALU_DEP_1) | instskip(NEXT) | instid1(VALU_DEP_1)
	v_and_b32_e32 v6, v6, v32
	v_cmp_eq_u32_e32 vcc_lo, v6, v24
	s_and_b32 exec_lo, exec_lo, vcc_lo
	s_cbranch_execz .LBB49_209
; %bb.214:                              ;   in Loop: Header=BB49_212 Depth=2
	ds_store_b64 v7, v[13:14] offset:3072
	s_branch .LBB49_209
.LBB49_215:                             ;   in Loop: Header=BB49_212 Depth=2
	s_mov_b32 s85, -1
	s_mov_b32 s84, -1
                                        ; implicit-def: $vgpr2
                                        ; implicit-def: $vgpr1
	s_branch .LBB49_211
.LBB49_216:                             ;   in Loop: Header=BB49_7 Depth=1
	s_or_b32 exec_lo, exec_lo, s28
	s_delay_alu instid0(SALU_CYCLE_1)
	s_and_not1_b32 s24, s27, exec_lo
	s_wait_alu 0xfffe
	s_and_b32 s26, s50, exec_lo
	s_wait_alu 0xfffe
	s_or_b32 s27, s24, s26
.LBB49_217:                             ;   in Loop: Header=BB49_7 Depth=1
	s_or_b32 exec_lo, exec_lo, s23
	s_mov_b32 s23, 0
	s_mov_b32 s24, -1
.LBB49_218:                             ;   in Loop: Header=BB49_7 Depth=1
	s_wait_alu 0xfffe
	s_or_not1_b32 s26, s27, exec_lo
.LBB49_219:                             ;   in Loop: Header=BB49_7 Depth=1
	s_wait_alu 0xfffe
	s_or_b32 exec_lo, exec_lo, s25
	s_mov_b32 s27, 0
	s_and_saveexec_b32 s25, s26
	s_cbranch_execz .LBB49_230
; %bb.220:                              ;   in Loop: Header=BB49_7 Depth=1
	v_mov_b32_e32 v3, 1
	v_mov_b32_e32 v1, 1
	s_xor_b32 s26, s17, -1
	s_wait_alu 0xfffe
	s_and_saveexec_b32 s17, s26
	s_cbranch_execz .LBB49_229
; %bb.221:                              ;   in Loop: Header=BB49_7 Depth=1
	s_mov_b32 s26, exec_lo
	v_cmpx_ge_i32_e64 s9, v4
	s_wait_alu 0xfffe
	s_xor_b32 s26, exec_lo, s26
	s_cbranch_execz .LBB49_226
; %bb.222:                              ;   in Loop: Header=BB49_7 Depth=1
	ds_load_b32 v1, v7 offset:4096
	v_or_b32_e32 v24, s10, v24
	v_or_b32_e32 v32, s10, v32
	s_wait_dscnt 0x0
	v_cmp_ne_u32_e32 vcc_lo, 0, v1
	s_cbranch_vccnz .LBB49_226
; %bb.223:                              ;   in Loop: Header=BB49_7 Depth=1
	s_and_saveexec_b32 s10, s2
; %bb.224:                              ;   in Loop: Header=BB49_7 Depth=1
	v_mov_b32_e32 v1, s9
	ds_store_b32 v7, v1 offset:4100
; %bb.225:                              ;   in Loop: Header=BB49_7 Depth=1
	s_wait_alu 0xfffe
	s_or_b32 exec_lo, exec_lo, s10
	s_wait_loadcnt_dscnt 0x0
	s_barrier_signal -1
	s_barrier_wait -1
	global_inv scope:SCOPE_SE
.LBB49_226:                             ;   in Loop: Header=BB49_7 Depth=1
	s_wait_alu 0xfffe
	s_and_not1_saveexec_b32 s10, s26
; %bb.227:                              ;   in Loop: Header=BB49_7 Depth=1
	v_subrev_nc_u32_e32 v4, s9, v4
; %bb.228:                              ;   in Loop: Header=BB49_7 Depth=1
	s_wait_alu 0xfffe
	s_or_b32 exec_lo, exec_lo, s10
	v_mov_b32_e32 v3, 8
	s_delay_alu instid0(VALU_DEP_2)
	v_mov_b32_e32 v1, v4
.LBB49_229:                             ;   in Loop: Header=BB49_7 Depth=1
	s_wait_alu 0xfffe
	s_or_b32 exec_lo, exec_lo, s17
	s_delay_alu instid0(VALU_DEP_1)
	v_mov_b32_e32 v4, v1
	s_mov_b32 s27, exec_lo
.LBB49_230:                             ;   in Loop: Header=BB49_7 Depth=1
	s_wait_alu 0xfffe
	s_or_b32 exec_lo, exec_lo, s25
	s_delay_alu instid0(SALU_CYCLE_1)
	s_or_not1_b32 s17, s27, exec_lo
.LBB49_231:                             ;   in Loop: Header=BB49_7 Depth=1
	s_wait_alu 0xfffe
	s_or_b32 exec_lo, exec_lo, s16
	v_mov_b32_e32 v6, v4
	s_and_not1_b32 s9, s21, exec_lo
	s_and_b32 s10, s24, exec_lo
	s_and_not1_b32 s16, s20, exec_lo
	s_and_b32 s20, s23, exec_lo
	s_wait_alu 0xfffe
	s_or_b32 s21, s9, s10
	s_or_b32 s20, s16, s20
	s_and_b32 s25, s17, exec_lo
.LBB49_232:                             ;   in Loop: Header=BB49_7 Depth=1
	s_wait_alu 0xfffe
	s_or_b32 exec_lo, exec_lo, s22
	s_delay_alu instid0(SALU_CYCLE_1)
	s_or_not1_b32 s22, s25, exec_lo
.LBB49_233:                             ;   in Loop: Header=BB49_7 Depth=1
	s_wait_alu 0xfffe
	s_or_b32 exec_lo, exec_lo, s19
	v_mov_b32_e32 v4, v6
	s_and_not1_b32 s9, s15, exec_lo
	s_and_b32 s10, s21, exec_lo
	s_and_not1_b32 s14, s14, exec_lo
	s_and_b32 s16, s20, exec_lo
	s_wait_alu 0xfffe
	s_or_b32 s15, s9, s10
	s_or_b32 s14, s14, s16
	s_and_b32 s22, s22, exec_lo
.LBB49_234:                             ;   in Loop: Header=BB49_7 Depth=1
	s_wait_alu 0xfffe
	s_or_b32 exec_lo, exec_lo, s18
	s_delay_alu instid0(SALU_CYCLE_1)
	s_or_not1_b32 s18, s22, exec_lo
.LBB49_235:                             ;   in Loop: Header=BB49_7 Depth=1
	s_wait_alu 0xfffe
	s_or_b32 exec_lo, exec_lo, s13
	s_mov_b32 s10, 0
                                        ; implicit-def: $sgpr21
	s_and_saveexec_b32 s9, s18
	s_wait_alu 0xfffe
	s_xor_b32 s9, exec_lo, s9
	s_cbranch_execz .LBB49_5
; %bb.236:                              ;   in Loop: Header=BB49_7 Depth=1
	v_and_b32_e32 v1, 7, v3
	s_mov_b32 s12, -1
	s_mov_b32 s10, -1
	s_mov_b32 s13, exec_lo
                                        ; implicit-def: $sgpr21
	s_delay_alu instid0(VALU_DEP_1)
	v_cmpx_eq_u32_e32 0, v1
	s_cbranch_execz .LBB49_4
; %bb.237:                              ;   in Loop: Header=BB49_7 Depth=1
	s_add_co_i32 s21, s83, -2
	s_cmp_eq_u32 s83, 0
	v_xor_b32_e32 v31, 1, v31
	s_cselect_b32 s12, -1, 0
	s_xor_b32 s10, exec_lo, -1
	s_wait_alu 0xfffe
	s_or_not1_b32 s12, s12, exec_lo
	s_branch .LBB49_4
.LBB49_238:
	s_or_b32 exec_lo, exec_lo, s37
	s_wait_alu 0xfffe
	s_xor_b32 s3, s82, -1
	s_xor_b32 s1, s80, -1
	s_xor_b32 s4, s77, -1
	s_mov_b32 s0, 0
	s_wait_alu 0xfffe
	s_and_saveexec_b32 s5, s1
	s_wait_alu 0xfffe
	s_xor_b32 s1, exec_lo, s5
	s_cbranch_execnz .LBB49_243
; %bb.239:
	s_wait_alu 0xfffe
	s_and_not1_saveexec_b32 s1, s1
	s_cbranch_execnz .LBB49_263
.LBB49_240:
	s_wait_alu 0xfffe
	s_or_b32 exec_lo, exec_lo, s1
	s_and_saveexec_b32 s1, s0
.LBB49_241:
	; divergent unreachable
.LBB49_242:
	s_endpgm
.LBB49_243:
	s_and_saveexec_b32 s0, s3
	s_wait_alu 0xfffe
	s_xor_b32 s3, exec_lo, s0
	s_cbranch_execz .LBB49_261
; %bb.244:
	s_and_saveexec_b32 s0, s4
	s_wait_alu 0xfffe
	s_xor_b32 s0, exec_lo, s0
; %bb.245:
	v_cmp_lt_i32_e32 vcc_lo, -1, v24
	s_wait_alu 0xfffd
	v_cndmask_b32_e64 v1, 0x80000000, -1, vcc_lo
	s_delay_alu instid0(VALU_DEP_1)
	v_xor_b32_e32 v15, v1, v24
; %bb.246:
	s_wait_alu 0xfffe
	s_or_b32 exec_lo, exec_lo, s0
	s_and_saveexec_b32 s0, s2
; %bb.247:
	v_dual_mov_b32 v1, 0 :: v_dual_mov_b32 v2, s36
	ds_store_b32 v1, v2 offset:4108
; %bb.248:
	s_wait_alu 0xfffe
	s_or_b32 exec_lo, exec_lo, s0
	v_mov_b32_e32 v1, 0
	s_wait_loadcnt_dscnt 0x0
	s_barrier_signal -1
	s_barrier_wait -1
	global_inv scope:SCOPE_SE
	ds_load_b32 v1, v1 offset:4108
	s_mov_b32 s4, exec_lo
	s_wait_dscnt 0x0
	v_min_i32_e32 v1, s36, v1
	s_delay_alu instid0(VALU_DEP_1)
	v_cmpx_lt_i32_e64 v0, v1
	s_cbranch_execz .LBB49_258
; %bb.249:
	v_cmp_u_f32_e32 vcc_lo, v15, v15
	s_mov_b32 s5, 0
                                        ; implicit-def: $sgpr6
                                        ; implicit-def: $sgpr9
                                        ; implicit-def: $sgpr8
	s_xor_b32 s7, vcc_lo, -1
	s_branch .LBB49_251
.LBB49_250:                             ;   in Loop: Header=BB49_251 Depth=1
	s_wait_alu 0xfffe
	s_or_b32 exec_lo, exec_lo, s0
	s_delay_alu instid0(SALU_CYCLE_1)
	s_and_b32 s0, exec_lo, s9
	s_wait_alu 0xfffe
	s_or_b32 s5, s0, s5
	s_and_not1_b32 s0, s6, exec_lo
	s_and_b32 s6, s8, exec_lo
	s_wait_alu 0xfffe
	s_or_b32 s6, s0, s6
	s_and_not1_b32 exec_lo, exec_lo, s5
	s_cbranch_execz .LBB49_253
.LBB49_251:                             ; =>This Inner Loop Header: Depth=1
	v_ashrrev_i32_e32 v6, 31, v5
	s_or_b32 s8, s8, exec_lo
	s_or_b32 s9, s9, exec_lo
	s_delay_alu instid0(VALU_DEP_1) | instskip(NEXT) | instid1(VALU_DEP_1)
	v_lshlrev_b64_e32 v[2:3], 2, v[5:6]
	v_add_co_u32 v2, vcc_lo, s48, v2
	s_wait_alu 0xfffd
	s_delay_alu instid0(VALU_DEP_2)
	v_add_co_ci_u32_e64 v3, null, s49, v3, vcc_lo
	global_load_b32 v2, v[2:3], off
	s_wait_loadcnt 0x0
	v_cmp_o_f32_e32 vcc_lo, v2, v2
	v_cmp_neq_f32_e64 s0, v2, v15
	v_mov_b32_e32 v2, v0
                                        ; implicit-def: $vgpr0
	s_or_b32 s10, vcc_lo, s7
	s_wait_alu 0xfffe
	s_and_b32 s10, s0, s10
	s_wait_alu 0xfffe
	s_and_saveexec_b32 s0, s10
	s_cbranch_execz .LBB49_250
; %bb.252:                              ;   in Loop: Header=BB49_251 Depth=1
	v_add_nc_u32_e32 v0, s41, v2
	v_add_nc_u32_e32 v5, s65, v5
	s_and_not1_b32 s9, s9, exec_lo
	s_and_not1_b32 s8, s8, exec_lo
	s_delay_alu instid0(VALU_DEP_2)
	v_cmp_ge_i32_e32 vcc_lo, v0, v1
	s_and_b32 s10, vcc_lo, exec_lo
	s_wait_alu 0xfffe
	s_or_b32 s9, s9, s10
	s_branch .LBB49_250
.LBB49_253:
	s_or_b32 exec_lo, exec_lo, s5
	s_and_saveexec_b32 s0, s6
	s_wait_alu 0xfffe
	s_xor_b32 s0, exec_lo, s0
	s_cbranch_execz .LBB49_258
; %bb.254:
	s_mov_b32 s5, exec_lo
	s_brev_b32 s0, -2
.LBB49_255:                             ; =>This Inner Loop Header: Depth=1
	s_wait_alu 0xfffe
	s_ctz_i32_b32 s6, s5
	s_wait_alu 0xfffe
	v_readlane_b32 s7, v2, s6
	s_lshl_b32 s6, 1, s6
	s_wait_alu 0xfffe
	s_and_not1_b32 s5, s5, s6
	s_min_i32 s0, s0, s7
	s_wait_alu 0xfffe
	s_cmp_lg_u32 s5, 0
	s_cbranch_scc1 .LBB49_255
; %bb.256:
	v_mbcnt_lo_u32_b32 v0, exec_lo, 0
	s_mov_b32 s5, exec_lo
	s_delay_alu instid0(VALU_DEP_1)
	v_cmpx_eq_u32_e32 0, v0
	s_wait_alu 0xfffe
	s_xor_b32 s5, exec_lo, s5
; %bb.257:
	v_dual_mov_b32 v0, 0 :: v_dual_mov_b32 v1, s0
	ds_min_i32 v0, v1 offset:4108
.LBB49_258:
	s_wait_alu 0xfffe
	s_or_b32 exec_lo, exec_lo, s4
	s_wait_loadcnt_dscnt 0x0
	s_barrier_signal -1
	s_barrier_wait -1
	global_inv scope:SCOPE_SE
	s_and_saveexec_b32 s0, s2
	s_cbranch_execz .LBB49_260
; %bb.259:
	s_mul_i32 s2, s47, s60
	s_xor_b32 s4, s61, s63
	s_wait_alu 0xfffe
	s_sub_co_i32 s2, s40, s2
	s_add_co_i32 s5, s47, 1
	s_wait_alu 0xfffe
	s_sub_co_i32 s6, s2, s60
	s_cmp_ge_u32 s2, s60
	v_mov_b32_e32 v2, 0
	s_cselect_b32 s5, s5, s47
	s_wait_alu 0xfffe
	s_cselect_b32 s2, s6, s2
	s_add_co_i32 s6, s5, 1
	s_wait_alu 0xfffe
	s_cmp_ge_u32 s2, s60
	s_mul_i32 s2, s29, s59
	s_cselect_b32 s5, s6, s5
	s_wait_alu 0xfffe
	s_sub_co_i32 s2, s40, s2
	s_xor_b32 s5, s5, s4
	s_xor_b32 s6, s61, s62
	s_wait_alu 0xfffe
	s_sub_co_i32 s4, s5, s4
	s_add_co_i32 s7, s29, 1
	s_wait_alu 0xfffe
	s_mul_i32 s5, s4, s58
	s_mul_i32 s4, s4, s30
	s_wait_alu 0xfffe
	s_sub_co_i32 s5, s33, s5
	s_sub_co_i32 s8, s2, s59
	s_wait_alu 0xfffe
	s_mul_i32 s5, s5, s31
	ds_load_b32 v0, v2 offset:4108
	s_wait_alu 0xfffe
	s_add_co_i32 s4, s4, s5
	s_cmp_ge_u32 s2, s59
	s_cselect_b32 s5, s7, s29
	s_cselect_b32 s2, s8, s2
	s_wait_alu 0xfffe
	s_add_co_i32 s7, s5, 1
	s_cmp_ge_u32 s2, s59
	s_wait_alu 0xfffe
	s_cselect_b32 s2, s7, s5
	s_wait_alu 0xfffe
	s_xor_b32 s2, s2, s6
	s_wait_alu 0xfffe
	s_sub_co_i32 s2, s2, s6
	s_wait_alu 0xfffe
	s_mul_i32 s5, s2, s38
	s_mul_i32 s2, s2, s34
	s_wait_alu 0xfffe
	s_sub_co_i32 s5, s33, s5
	s_wait_alu 0xfffe
	s_mul_i32 s5, s5, s35
	s_wait_dscnt 0x0
	v_ashrrev_i32_e32 v1, 31, v0
	s_wait_alu 0xfffe
	s_add_co_i32 s6, s2, s5
	s_ashr_i32 s5, s4, 31
	s_wait_alu 0xfffe
	s_ashr_i32 s7, s6, 31
	s_lshl_b64 s[4:5], s[4:5], 2
	s_wait_alu 0xfffe
	s_lshl_b64 s[6:7], s[6:7], 3
	s_add_nc_u64 s[4:5], s[44:45], s[4:5]
	s_wait_alu 0xfffe
	s_add_nc_u64 s[6:7], s[42:43], s[6:7]
	s_clause 0x1
	global_store_b64 v2, v[0:1], s[6:7]
	global_store_b32 v2, v15, s[4:5]
.LBB49_260:
	s_wait_alu 0xfffe
	s_or_b32 exec_lo, exec_lo, s0
.LBB49_261:
	s_wait_alu 0xfffe
	s_or_saveexec_b32 s0, s3
	s_mov_b32 s2, 0
	s_wait_alu 0xfffe
	s_xor_b32 exec_lo, exec_lo, s0
	s_cbranch_execnz .LBB49_264
.LBB49_262:
	s_or_b32 exec_lo, exec_lo, s0
	s_wait_alu 0xfffe
	s_and_b32 s0, s2, exec_lo
	s_and_not1_saveexec_b32 s1, s1
	s_cbranch_execz .LBB49_240
.LBB49_263:
	s_wait_alu 0xfffe
	s_or_b32 s0, s0, exec_lo
	s_trap 2
	s_or_b32 exec_lo, exec_lo, s1
	s_wait_alu 0xfffe
	s_and_saveexec_b32 s1, s0
	s_cbranch_execnz .LBB49_241
	s_branch .LBB49_242
.LBB49_264:
	s_mov_b32 s2, exec_lo
	s_trap 2
	s_branch .LBB49_262
	.section	.rodata,"a",@progbits
	.p2align	6, 0x0
	.amdhsa_kernel _ZN2at6native12_GLOBAL__N_114gatherKthValueIfiLi2EEEvNS_4cuda6detail10TensorInfoIKT_T0_EES8_S8_S8_S8_NS5_IS6_S8_EENS5_IlS8_EE
		.amdhsa_group_segment_fixed_size 4112
		.amdhsa_private_segment_fixed_size 0
		.amdhsa_kernarg_size 920
		.amdhsa_user_sgpr_count 2
		.amdhsa_user_sgpr_dispatch_ptr 0
		.amdhsa_user_sgpr_queue_ptr 0
		.amdhsa_user_sgpr_kernarg_segment_ptr 1
		.amdhsa_user_sgpr_dispatch_id 0
		.amdhsa_user_sgpr_private_segment_size 0
		.amdhsa_wavefront_size32 1
		.amdhsa_uses_dynamic_stack 0
		.amdhsa_enable_private_segment 0
		.amdhsa_system_sgpr_workgroup_id_x 1
		.amdhsa_system_sgpr_workgroup_id_y 1
		.amdhsa_system_sgpr_workgroup_id_z 1
		.amdhsa_system_sgpr_workgroup_info 0
		.amdhsa_system_vgpr_workitem_id 0
		.amdhsa_next_free_vgpr 44
		.amdhsa_next_free_sgpr 91
		.amdhsa_reserve_vcc 1
		.amdhsa_float_round_mode_32 0
		.amdhsa_float_round_mode_16_64 0
		.amdhsa_float_denorm_mode_32 3
		.amdhsa_float_denorm_mode_16_64 3
		.amdhsa_fp16_overflow 0
		.amdhsa_workgroup_processor_mode 1
		.amdhsa_memory_ordered 1
		.amdhsa_forward_progress 1
		.amdhsa_inst_pref_size 93
		.amdhsa_round_robin_scheduling 0
		.amdhsa_exception_fp_ieee_invalid_op 0
		.amdhsa_exception_fp_denorm_src 0
		.amdhsa_exception_fp_ieee_div_zero 0
		.amdhsa_exception_fp_ieee_overflow 0
		.amdhsa_exception_fp_ieee_underflow 0
		.amdhsa_exception_fp_ieee_inexact 0
		.amdhsa_exception_int_div_zero 0
	.end_amdhsa_kernel
	.section	.text._ZN2at6native12_GLOBAL__N_114gatherKthValueIfiLi2EEEvNS_4cuda6detail10TensorInfoIKT_T0_EES8_S8_S8_S8_NS5_IS6_S8_EENS5_IlS8_EE,"axG",@progbits,_ZN2at6native12_GLOBAL__N_114gatherKthValueIfiLi2EEEvNS_4cuda6detail10TensorInfoIKT_T0_EES8_S8_S8_S8_NS5_IS6_S8_EENS5_IlS8_EE,comdat
.Lfunc_end49:
	.size	_ZN2at6native12_GLOBAL__N_114gatherKthValueIfiLi2EEEvNS_4cuda6detail10TensorInfoIKT_T0_EES8_S8_S8_S8_NS5_IS6_S8_EENS5_IlS8_EE, .Lfunc_end49-_ZN2at6native12_GLOBAL__N_114gatherKthValueIfiLi2EEEvNS_4cuda6detail10TensorInfoIKT_T0_EES8_S8_S8_S8_NS5_IS6_S8_EENS5_IlS8_EE
                                        ; -- End function
	.set _ZN2at6native12_GLOBAL__N_114gatherKthValueIfiLi2EEEvNS_4cuda6detail10TensorInfoIKT_T0_EES8_S8_S8_S8_NS5_IS6_S8_EENS5_IlS8_EE.num_vgpr, 44
	.set _ZN2at6native12_GLOBAL__N_114gatherKthValueIfiLi2EEEvNS_4cuda6detail10TensorInfoIKT_T0_EES8_S8_S8_S8_NS5_IS6_S8_EENS5_IlS8_EE.num_agpr, 0
	.set _ZN2at6native12_GLOBAL__N_114gatherKthValueIfiLi2EEEvNS_4cuda6detail10TensorInfoIKT_T0_EES8_S8_S8_S8_NS5_IS6_S8_EENS5_IlS8_EE.numbered_sgpr, 91
	.set _ZN2at6native12_GLOBAL__N_114gatherKthValueIfiLi2EEEvNS_4cuda6detail10TensorInfoIKT_T0_EES8_S8_S8_S8_NS5_IS6_S8_EENS5_IlS8_EE.num_named_barrier, 0
	.set _ZN2at6native12_GLOBAL__N_114gatherKthValueIfiLi2EEEvNS_4cuda6detail10TensorInfoIKT_T0_EES8_S8_S8_S8_NS5_IS6_S8_EENS5_IlS8_EE.private_seg_size, 0
	.set _ZN2at6native12_GLOBAL__N_114gatherKthValueIfiLi2EEEvNS_4cuda6detail10TensorInfoIKT_T0_EES8_S8_S8_S8_NS5_IS6_S8_EENS5_IlS8_EE.uses_vcc, 1
	.set _ZN2at6native12_GLOBAL__N_114gatherKthValueIfiLi2EEEvNS_4cuda6detail10TensorInfoIKT_T0_EES8_S8_S8_S8_NS5_IS6_S8_EENS5_IlS8_EE.uses_flat_scratch, 0
	.set _ZN2at6native12_GLOBAL__N_114gatherKthValueIfiLi2EEEvNS_4cuda6detail10TensorInfoIKT_T0_EES8_S8_S8_S8_NS5_IS6_S8_EENS5_IlS8_EE.has_dyn_sized_stack, 0
	.set _ZN2at6native12_GLOBAL__N_114gatherKthValueIfiLi2EEEvNS_4cuda6detail10TensorInfoIKT_T0_EES8_S8_S8_S8_NS5_IS6_S8_EENS5_IlS8_EE.has_recursion, 0
	.set _ZN2at6native12_GLOBAL__N_114gatherKthValueIfiLi2EEEvNS_4cuda6detail10TensorInfoIKT_T0_EES8_S8_S8_S8_NS5_IS6_S8_EENS5_IlS8_EE.has_indirect_call, 0
	.section	.AMDGPU.csdata,"",@progbits
; Kernel info:
; codeLenInByte = 11904
; TotalNumSgprs: 93
; NumVgprs: 44
; ScratchSize: 0
; MemoryBound: 0
; FloatMode: 240
; IeeeMode: 1
; LDSByteSize: 4112 bytes/workgroup (compile time only)
; SGPRBlocks: 0
; VGPRBlocks: 5
; NumSGPRsForWavesPerEU: 93
; NumVGPRsForWavesPerEU: 44
; Occupancy: 16
; WaveLimiterHint : 1
; COMPUTE_PGM_RSRC2:SCRATCH_EN: 0
; COMPUTE_PGM_RSRC2:USER_SGPR: 2
; COMPUTE_PGM_RSRC2:TRAP_HANDLER: 0
; COMPUTE_PGM_RSRC2:TGID_X_EN: 1
; COMPUTE_PGM_RSRC2:TGID_Y_EN: 1
; COMPUTE_PGM_RSRC2:TGID_Z_EN: 1
; COMPUTE_PGM_RSRC2:TIDIG_COMP_CNT: 0
	.section	.text._ZN2at6native12_GLOBAL__N_114gatherKthValueIfiLi3EEEvNS_4cuda6detail10TensorInfoIKT_T0_EES8_S8_S8_S8_NS5_IS6_S8_EENS5_IlS8_EE,"axG",@progbits,_ZN2at6native12_GLOBAL__N_114gatherKthValueIfiLi3EEEvNS_4cuda6detail10TensorInfoIKT_T0_EES8_S8_S8_S8_NS5_IS6_S8_EENS5_IlS8_EE,comdat
	.globl	_ZN2at6native12_GLOBAL__N_114gatherKthValueIfiLi3EEEvNS_4cuda6detail10TensorInfoIKT_T0_EES8_S8_S8_S8_NS5_IS6_S8_EENS5_IlS8_EE ; -- Begin function _ZN2at6native12_GLOBAL__N_114gatherKthValueIfiLi3EEEvNS_4cuda6detail10TensorInfoIKT_T0_EES8_S8_S8_S8_NS5_IS6_S8_EENS5_IlS8_EE
	.p2align	8
	.type	_ZN2at6native12_GLOBAL__N_114gatherKthValueIfiLi3EEEvNS_4cuda6detail10TensorInfoIKT_T0_EES8_S8_S8_S8_NS5_IS6_S8_EENS5_IlS8_EE,@function
_ZN2at6native12_GLOBAL__N_114gatherKthValueIfiLi3EEEvNS_4cuda6detail10TensorInfoIKT_T0_EES8_S8_S8_S8_NS5_IS6_S8_EENS5_IlS8_EE: ; @_ZN2at6native12_GLOBAL__N_114gatherKthValueIfiLi3EEEvNS_4cuda6detail10TensorInfoIKT_T0_EES8_S8_S8_S8_NS5_IS6_S8_EENS5_IlS8_EE
; %bb.0:
	s_clause 0x1
	s_load_b64 s[8:9], s[0:1], 0x298
	s_load_b128 s[36:39], s[0:1], 0xd8
	s_lshr_b32 s2, ttmp7, 16
	s_and_b32 s3, ttmp7, 0xffff
	s_wait_kmcnt 0x0
	s_mul_i32 s2, s9, s2
	s_delay_alu instid0(SALU_CYCLE_1) | instskip(NEXT) | instid1(SALU_CYCLE_1)
	s_add_co_i32 s2, s2, s3
	s_mul_i32 s33, s2, s8
	s_delay_alu instid0(SALU_CYCLE_1) | instskip(NEXT) | instid1(SALU_CYCLE_1)
	s_add_co_i32 s33, s33, ttmp9
	s_cmp_ge_i32 s33, s38
	s_cbranch_scc1 .LBB50_242
; %bb.1:
	s_clause 0x2
	s_load_b64 s[12:13], s[0:1], 0xc
	s_load_b64 s[30:31], s[0:1], 0xf4
	;; [unrolled: 1-line block ×3, first 2 shown]
	s_abs_i32 s10, s33
	s_ashr_i32 s11, s33, 31
	s_mov_b32 s59, 0
	s_delay_alu instid0(SALU_CYCLE_1) | instskip(SKIP_3) | instid1(SALU_CYCLE_1)
	s_mov_b32 s49, s59
	s_mov_b32 s51, s59
	s_wait_kmcnt 0x0
	s_abs_i32 s2, s13
	s_cvt_f32_u32 s3, s2
	s_sub_co_i32 s4, 0, s2
	s_delay_alu instid0(SALU_CYCLE_2) | instskip(NEXT) | instid1(TRANS32_DEP_1)
	v_rcp_iflag_f32_e32 v1, s3
	v_readfirstlane_b32 s3, v1
	s_mul_f32 s3, s3, 0x4f7ffffe
	s_wait_alu 0xfffe
	s_delay_alu instid0(SALU_CYCLE_2) | instskip(SKIP_1) | instid1(SALU_CYCLE_2)
	s_cvt_u32_f32 s3, s3
	s_wait_alu 0xfffe
	s_mul_i32 s4, s4, s3
	s_delay_alu instid0(SALU_CYCLE_1) | instskip(NEXT) | instid1(SALU_CYCLE_1)
	s_mul_hi_u32 s4, s3, s4
	s_add_co_i32 s3, s3, s4
	s_ashr_i32 s4, s13, 31
	s_wait_alu 0xfffe
	s_mul_hi_u32 s3, s10, s3
	s_xor_b32 s7, s11, s4
	s_wait_alu 0xfffe
	s_mul_i32 s5, s3, s2
	s_delay_alu instid0(SALU_CYCLE_1)
	s_sub_co_i32 s4, s10, s5
	s_add_co_i32 s5, s3, 1
	s_sub_co_i32 s6, s4, s2
	s_cmp_ge_u32 s4, s2
	s_cselect_b32 s3, s5, s3
	s_cselect_b32 s4, s6, s4
	s_wait_alu 0xfffe
	s_add_co_i32 s9, s3, 1
	s_cmp_ge_u32 s4, s2
	s_load_b96 s[4:6], s[0:1], 0x6c
	s_cselect_b32 s2, s9, s3
	s_abs_i32 s3, s31
	s_abs_i32 s9, s12
	s_wait_alu 0xfffe
	s_cvt_f32_u32 s14, s3
	s_cvt_f32_u32 s15, s9
	s_xor_b32 s2, s2, s7
	s_sub_co_i32 s17, 0, s9
	v_rcp_iflag_f32_e32 v1, s14
	v_rcp_iflag_f32_e32 v2, s15
	s_ashr_i32 s15, s31, 31
	s_wait_alu 0xfffe
	s_sub_co_i32 s7, s2, s7
	s_xor_b32 s18, s11, s15
	s_sub_co_i32 s15, 0, s3
	s_ashr_i32 s20, s12, 31
	s_ashr_i32 s21, s7, 31
	s_delay_alu instid0(TRANS32_DEP_2) | instskip(NEXT) | instid1(TRANS32_DEP_1)
	v_readfirstlane_b32 s14, v1
	v_readfirstlane_b32 s16, v2
	s_mul_f32 s14, s14, 0x4f7ffffe
	s_wait_alu 0xfffe
	s_delay_alu instid0(SALU_CYCLE_2) | instskip(SKIP_2) | instid1(SALU_CYCLE_1)
	s_cvt_u32_f32 s2, s14
	s_mul_f32 s14, s16, 0x4f7ffffe
	s_wait_alu 0xfffe
	s_mul_i32 s15, s15, s2
	s_delay_alu instid0(SALU_CYCLE_1)
	s_cvt_u32_f32 s16, s14
	s_wait_alu 0xfffe
	s_mul_hi_u32 s15, s2, s15
	s_abs_i32 s14, s7
	s_wait_alu 0xfffe
	s_add_co_i32 s2, s2, s15
	s_mul_i32 s17, s17, s16
	s_wait_alu 0xfffe
	s_mul_hi_u32 s2, s10, s2
	s_mul_hi_u32 s15, s16, s17
	s_wait_alu 0xfffe
	s_mul_i32 s17, s2, s3
	s_add_co_i32 s58, s16, s15
	s_sub_co_i32 s15, s10, s17
	s_add_co_i32 s16, s2, 1
	s_wait_alu 0xfffe
	s_sub_co_i32 s17, s15, s3
	s_cmp_ge_u32 s15, s3
	s_cselect_b32 s2, s16, s2
	s_cselect_b32 s15, s17, s15
	s_wait_alu 0xfffe
	s_add_co_i32 s16, s2, 1
	s_cmp_ge_u32 s15, s3
	s_mov_b32 s15, s59
	s_cselect_b32 s16, s16, s2
	s_abs_i32 s17, s35
	s_abs_i32 s68, s30
	s_cvt_f32_u32 s2, s17
	s_cvt_f32_u32 s3, s68
	s_xor_b32 s16, s16, s18
	s_sub_co_i32 s22, 0, s68
	s_wait_alu 0xfffe
	v_rcp_iflag_f32_e32 v1, s2
	v_rcp_iflag_f32_e32 v2, s3
	s_mul_u64 s[2:3], s[14:15], s[58:59]
	s_ashr_i32 s2, s35, 31
	s_sub_co_i32 s43, s16, s18
	s_wait_alu 0xfffe
	s_xor_b32 s23, s11, s2
	s_abs_i32 s48, s43
	s_delay_alu instid0(TRANS32_DEP_2) | instskip(NEXT) | instid1(TRANS32_DEP_1)
	v_readfirstlane_b32 s19, v1
	v_readfirstlane_b32 s15, v2
	s_mul_f32 s19, s19, 0x4f7ffffe
	s_mul_f32 s11, s15, 0x4f7ffffe
	s_sub_co_i32 s15, 0, s17
	s_delay_alu instid0(SALU_CYCLE_1) | instskip(NEXT) | instid1(SALU_CYCLE_1)
	s_cvt_u32_f32 s2, s19
	s_cvt_u32_f32 s11, s11
	s_wait_alu 0xfffe
	s_delay_alu instid0(SALU_CYCLE_1) | instskip(NEXT) | instid1(SALU_CYCLE_1)
	s_mul_i32 s15, s15, s2
	s_mul_i32 s22, s22, s11
	s_wait_alu 0xfffe
	s_mul_hi_u32 s15, s2, s15
	s_wait_alu 0xfffe
	s_add_co_i32 s2, s2, s15
	s_mul_hi_u32 s15, s11, s22
	s_wait_alu 0xfffe
	s_mul_hi_u32 s2, s10, s2
	s_add_co_i32 s58, s11, s15
	s_wait_alu 0xfffe
	s_mul_i32 s16, s2, s17
	s_add_co_i32 s11, s2, 1
	s_sub_co_i32 s10, s10, s16
	s_delay_alu instid0(SALU_CYCLE_1)
	s_sub_co_i32 s15, s10, s17
	s_cmp_ge_u32 s10, s17
	s_cselect_b32 s2, s11, s2
	s_wait_alu 0xfffe
	s_cselect_b32 s10, s15, s10
	s_add_co_i32 s11, s2, 1
	s_cmp_ge_u32 s10, s17
	s_load_b64 s[16:17], s[0:1], 0x0
	s_cselect_b32 s15, s11, s2
	s_abs_i32 s38, s34
	s_wait_alu 0xfffe
	s_xor_b32 s15, s15, s23
	s_cvt_f32_u32 s2, s38
	s_sub_co_i32 s19, 0, s38
	s_wait_alu 0xfffe
	s_sub_co_i32 s47, s15, s23
	s_add_nc_u64 s[10:11], s[0:1], 0x298
	v_rcp_iflag_f32_e32 v1, s2
	s_abs_i32 s50, s47
	s_delay_alu instid0(TRANS32_DEP_1) | instskip(SKIP_2) | instid1(SALU_CYCLE_2)
	v_readfirstlane_b32 s2, v1
	s_mul_f32 s18, s2, 0x4f7ffffe
	v_cmp_eq_u32_e64 s2, 0, v0
	s_cvt_u32_f32 s18, s18
	s_delay_alu instid0(SALU_CYCLE_3) | instskip(NEXT) | instid1(SALU_CYCLE_1)
	s_mul_i32 s19, s19, s18
	s_mul_hi_u32 s15, s18, s19
	s_mov_b32 s19, s59
	s_wait_alu 0xfffe
	s_add_co_i32 s18, s18, s15
	s_and_saveexec_b32 s15, s2
; %bb.2:
	v_dual_mov_b32 v1, 0 :: v_dual_mov_b32 v2, s36
	s_delay_alu instid0(VALU_DEP_1)
	v_mov_b32_e32 v3, v1
	ds_store_b96 v1, v[1:3] offset:4096
; %bb.3:
	s_wait_alu 0xfffe
	s_or_b32 exec_lo, exec_lo, s15
	s_mul_i32 s15, s3, s9
	s_mul_i32 s13, s7, s13
	s_wait_alu 0xfffe
	s_sub_co_i32 s14, s14, s15
	s_ashr_i32 s71, s43, 31
	s_ashr_i32 s72, s30, 31
	;; [unrolled: 1-line block ×4, first 2 shown]
	s_sub_co_i32 s13, s33, s13
	s_xor_b32 s20, s21, s20
	s_add_co_i32 s15, s3, 1
	s_wait_alu 0xfffe
	s_sub_co_i32 s21, s14, s9
	s_cmp_ge_u32 s14, s9
	s_wait_dscnt 0x0
	s_cselect_b32 s3, s15, s3
	s_cselect_b32 s14, s21, s14
	s_wait_alu 0xfffe
	s_add_co_i32 s15, s3, 1
	s_cmp_ge_u32 s14, s9
	s_barrier_signal -1
	s_barrier_wait -1
	global_inv scope:SCOPE_SE
	s_load_b32 s9, s[10:11], 0xc
	s_cselect_b32 s3, s15, s3
	s_wait_kmcnt 0x0
	s_mul_i32 s13, s13, s6
	s_wait_alu 0xfffe
	s_xor_b32 s3, s3, s20
	s_mul_u64 s[56:57], s[48:49], s[58:59]
	s_wait_alu 0xfffe
	s_sub_co_i32 s3, s3, s20
	s_clause 0x1
	s_load_b96 s[40:42], s[0:1], 0x22c
	s_load_b64 s[52:53], s[0:1], 0x1c0
	s_mul_i32 s12, s3, s12
	s_mul_i32 s3, s3, s4
	s_sub_co_i32 s7, s7, s12
	s_clause 0x1
	s_load_b96 s[44:46], s[0:1], 0x154
	s_load_b64 s[54:55], s[0:1], 0xe8
	s_mul_i32 s5, s7, s5
	v_mbcnt_lo_u32_b32 v18, -1, 0
	s_add_co_i32 s5, s5, s13
	s_mul_u64 s[28:29], s[50:51], s[18:19]
	s_add_co_i32 s4, s5, s3
	v_cmp_gt_u32_e32 vcc_lo, 32, v0
	s_ashr_i32 s5, s4, 31
	v_mov_b32_e32 v7, 0
	s_lshl_b64 s[0:1], s[4:5], 2
	s_and_b32 s49, s9, 0xffff
	s_add_nc_u64 s[60:61], s[16:17], s[0:1]
	s_lshl_b32 s51, s49, 2
	v_cmp_gt_i32_e64 s0, 4, v18
	s_cvt_f32_u32 s1, s51
	s_add_co_i32 s56, s49, -1
	s_bfe_u32 s3, s9, 0xb0005
	s_add_co_i32 s82, s56, s36
	v_rcp_iflag_f32_e32 v1, s1
	s_and_b32 s74, vcc_lo, s0
	s_cmp_gt_i32 s36, 0x300
	v_mul_lo_u32 v5, s39, v0
	s_cselect_b32 s75, -1, 0
	s_cmp_gt_u32 s49, 31
	v_dual_mov_b32 v6, v7 :: v_dual_lshlrev_b32 v19, 2, v0
	s_cselect_b32 s76, -1, 0
	s_cmp_lt_u32 ttmp9, s8
	s_delay_alu instid0(TRANS32_DEP_1)
	v_readfirstlane_b32 s5, v1
	s_cselect_b32 s58, 12, 18
	s_wait_alu 0xfffe
	s_add_co_i32 s4, s3, -1
	s_bfe_u32 s77, s49, 0x30005
	s_and_b32 s4, s4, 0xffff
	v_lshlrev_b64_e32 v[1:2], 2, v[5:6]
	s_cmp_gt_u32 s4, 6
	s_mul_f32 s4, s5, 0x4f7ffffe
	s_cselect_b32 s78, -1, 0
	s_and_b32 s79, s3, 0x7f8
	s_cmp_lg_u32 s77, 0
	s_cvt_u32_f32 s3, s4
	s_cselect_b32 s80, -1, 0
	s_sub_co_i32 s4, 0, s51
	v_add_co_u32 v8, vcc_lo, s60, v1
	s_wait_alu 0xfffe
	s_mul_i32 s4, s4, s3
	v_add_co_ci_u32_e64 v9, null, s61, v2, vcc_lo
	s_mul_hi_u32 s4, s3, s4
	v_lshlrev_b64_e64 v[1:2], v18, -1
	s_add_co_i32 s62, s3, s4
	s_cvt_f32_u32 s3, s49
	s_mul_hi_u32 s4, s36, s62
	v_lshrrev_b32_e32 v2, 1, v0
	s_mul_i32 s4, s4, s51
	s_wait_alu 0xfffe
	v_rcp_iflag_f32_e32 v3, s3
	s_sub_co_i32 s4, s36, s4
	v_not_b32_e32 v22, v1
	s_sub_co_i32 s5, s4, s51
	s_cmp_ge_u32 s4, s51
	v_mov_b32_e32 v24, 0
	s_cselect_b32 s4, s5, s4
	s_mov_b32 s12, s39
	s_sub_co_i32 s6, s4, s51
	s_cmp_ge_u32 s4, s51
	v_readfirstlane_b32 s5, v3
	s_cselect_b32 s9, s6, s4
	s_sub_co_i32 s6, 0, s49
	s_sub_co_i32 s81, s36, s9
	s_abs_i32 s7, s82
	s_mul_f32 s5, s5, 0x4f7ffffe
	v_add_nc_u32_e32 v21, s81, v0
	v_or_b32_e32 v3, 3, v19
	v_mad_co_u64_u32 v[12:13], null, s39, v19, s[12:13]
	s_cvt_u32_f32 s5, s5
	v_mul_lo_u32 v1, v21, s39
	v_mul_lo_u32 v26, s39, v3
	v_cmp_eq_u32_e64 s0, 0, v18
	s_mul_i32 s6, s6, s5
	v_cmp_gt_u32_e64 s1, 2, v0
	s_mul_hi_u32 s6, s5, s6
	v_add_nc_u32_e32 v20, 0xc00, v19
	s_add_co_i32 s64, s5, s6
	s_movk_i32 s5, 0x1f0
	s_mul_hi_u32 s6, s7, s64
	v_and_or_b32 v23, v2, s5, 0xc00
	v_ashrrev_i32_e32 v2, 31, v1
	s_mul_i32 s6, s6, s49
	v_cmp_gt_u32_e64 s3, s36, v0
	s_sub_co_i32 s5, s7, s6
	s_ashr_i32 s7, s82, 31
	v_lshlrev_b64_e32 v[1:2], 2, v[1:2]
	s_wait_alu 0xfffe
	s_sub_co_i32 s6, s5, s49
	s_cmp_ge_u32 s5, s49
	v_cmp_gt_i32_e64 s4, s36, v0
	s_cselect_b32 s6, s6, s5
	v_cmp_gt_i32_e64 s5, s81, v19
	v_add_co_u32 v10, vcc_lo, s60, v1
	v_add3_u32 v1, s49, s36, v0
	s_sub_co_i32 s8, s6, s49
	s_cmp_ge_u32 s6, s49
	s_wait_alu 0xfffd
	v_add_co_ci_u32_e64 v11, null, s61, v2, vcc_lo
	s_cselect_b32 s8, s8, s6
	v_or_b32_e32 v2, 2, v19
	v_subrev_nc_u32_e32 v1, s9, v1
	s_xor_b32 s8, s8, s7
	v_cmp_gt_u32_e64 s6, s36, v21
	s_wait_alu 0xfffe
	s_sub_co_i32 s8, s7, s8
	v_mul_lo_u32 v25, s39, v2
	v_mul_lo_u32 v28, s39, v1
	s_wait_alu 0xfffe
	s_add_co_i32 s82, s82, s8
	v_cmp_gt_i32_e64 s7, s36, v21
	v_cmp_gt_i32_e64 s8, s82, v0
	v_dual_mov_b32 v32, 0 :: v_dual_lshlrev_b32 v27, 2, v5
	v_lshlrev_b32_e32 v29, 4, v0
	v_lshl_or_b32 v30, v18, 2, 0xc00
	v_mov_b32_e32 v33, s37
	v_mov_b32_e32 v13, 1.0
	v_mov_b32_e32 v15, 0
	v_mov_b32_e32 v31, 0
	s_mul_i32 s73, s39, s49
	s_mov_b32 s63, s59
	s_mov_b32 s65, s59
	s_lshl_b32 s83, s73, 2
	s_lshl_b32 s84, s49, 4
	s_mov_b32 s91, 30
	s_add_nc_u64 s[66:67], s[10:11], s[58:59]
	s_mov_b32 s37, s59
                                        ; implicit-def: $sgpr88
                                        ; implicit-def: $sgpr90
                                        ; implicit-def: $sgpr85
                                        ; implicit-def: $sgpr87
                                        ; implicit-def: $sgpr89
                                        ; implicit-def: $sgpr86
	s_branch .LBB50_7
.LBB50_4:                               ;   in Loop: Header=BB50_7 Depth=1
	s_wait_alu 0xfffe
	s_or_b32 exec_lo, exec_lo, s13
	s_delay_alu instid0(SALU_CYCLE_1)
	s_and_b32 s10, s10, exec_lo
	s_and_not1_b32 s15, s15, exec_lo
	s_and_not1_b32 s14, s14, exec_lo
	s_or_not1_b32 s12, s12, exec_lo
.LBB50_5:                               ;   in Loop: Header=BB50_7 Depth=1
	s_wait_alu 0xfffe
	s_or_b32 exec_lo, exec_lo, s9
	s_delay_alu instid0(SALU_CYCLE_1)
	s_and_not1_b32 s9, s86, exec_lo
	s_and_b32 s10, s10, exec_lo
	s_and_not1_b32 s13, s87, exec_lo
	s_wait_alu 0xfffe
	s_or_b32 s86, s9, s10
	s_and_not1_b32 s9, s89, exec_lo
	s_and_b32 s10, s15, exec_lo
	s_and_b32 s14, s14, exec_lo
	s_wait_alu 0xfffe
	s_or_b32 s89, s9, s10
	s_or_b32 s87, s13, s14
	s_or_not1_b32 s13, s12, exec_lo
.LBB50_6:                               ;   in Loop: Header=BB50_7 Depth=1
	s_wait_alu 0xfffe
	s_or_b32 exec_lo, exec_lo, s11
	s_delay_alu instid0(SALU_CYCLE_1)
	s_and_b32 s9, exec_lo, s13
	v_mov_b32_e32 v33, v4
	s_wait_alu 0xfffe
	s_or_b32 s37, s9, s37
	s_and_not1_b32 s9, s85, exec_lo
	s_and_b32 s10, s86, exec_lo
	s_and_not1_b32 s11, s90, exec_lo
	s_wait_alu 0xfffe
	s_or_b32 s85, s9, s10
	s_and_b32 s9, s89, exec_lo
	s_and_not1_b32 s10, s88, exec_lo
	s_and_b32 s12, s87, exec_lo
	s_wait_alu 0xfffe
	s_or_b32 s90, s11, s9
	s_or_b32 s88, s10, s12
	s_mov_b32 s91, s21
	s_and_not1_b32 exec_lo, exec_lo, s37
	s_cbranch_execz .LBB50_238
.LBB50_7:                               ; =>This Loop Header: Depth=1
                                        ;     Child Loop BB50_13 Depth 2
                                        ;     Child Loop BB50_28 Depth 2
	;; [unrolled: 1-line block ×16, first 2 shown]
	ds_load_b64 v[1:2], v7 offset:4096
	s_wait_dscnt 0x0
	v_readfirstlane_b32 s58, v1
	s_cmp_gt_i32 s58, 0
	s_cbranch_scc1 .LBB50_35
; %bb.8:                                ;   in Loop: Header=BB50_7 Depth=1
	s_and_b32 vcc_lo, exec_lo, s75
	s_wait_alu 0xfffe
	s_cbranch_vccz .LBB50_21
; %bb.9:                                ;   in Loop: Header=BB50_7 Depth=1
	v_cmp_gt_i32_e32 vcc_lo, 0x301, v2
	s_mov_b32 s10, 0
	s_mov_b32 s9, 0
	s_cbranch_vccz .LBB50_22
; %bb.10:                               ;   in Loop: Header=BB50_7 Depth=1
	s_and_saveexec_b32 s11, s3
	s_cbranch_execz .LBB50_67
; %bb.11:                               ;   in Loop: Header=BB50_7 Depth=1
	global_load_b32 v1, v[8:9], off
	s_load_u16 s12, s[66:67], 0x0
	s_mov_b32 s14, 0
	s_wait_kmcnt 0x0
	v_add_nc_u32_e32 v2, s12, v0
	s_mul_i32 s13, s39, s12
	s_delay_alu instid0(VALU_DEP_1)
	v_mul_lo_u32 v6, s39, v2
	v_mov_b32_e32 v2, v0
	s_branch .LBB50_13
.LBB50_12:                              ;   in Loop: Header=BB50_13 Depth=2
	s_wait_alu 0xfffe
	s_or_b32 exec_lo, exec_lo, s9
	v_cmp_le_i32_e32 vcc_lo, s36, v2
	v_dual_mov_b32 v1, v3 :: v_dual_add_nc_u32 v6, s13, v6
	s_or_b32 s14, vcc_lo, s14
	s_wait_alu 0xfffe
	s_and_not1_b32 exec_lo, exec_lo, s14
	s_cbranch_execz .LBB50_67
.LBB50_13:                              ;   Parent Loop BB50_7 Depth=1
                                        ; =>  This Inner Loop Header: Depth=2
	s_delay_alu instid0(VALU_DEP_1) | instskip(SKIP_3) | instid1(VALU_DEP_2)
	v_dual_mov_b32 v3, 0 :: v_dual_add_nc_u32 v2, s12, v2
	s_wait_dscnt 0x0
	v_mov_b32_e32 v4, 0
	s_mov_b32 s9, exec_lo
	v_cmpx_gt_u32_e64 s36, v2
	s_cbranch_execz .LBB50_15
; %bb.14:                               ;   in Loop: Header=BB50_13 Depth=2
	v_lshlrev_b64_e32 v[16:17], 2, v[6:7]
	s_delay_alu instid0(VALU_DEP_1) | instskip(SKIP_1) | instid1(VALU_DEP_2)
	v_add_co_u32 v16, vcc_lo, s60, v16
	s_wait_alu 0xfffd
	v_add_co_ci_u32_e64 v17, null, s61, v17, vcc_lo
	global_load_b32 v3, v[16:17], off
.LBB50_15:                              ;   in Loop: Header=BB50_13 Depth=2
	s_wait_alu 0xfffe
	s_or_b32 exec_lo, exec_lo, s9
	s_wait_loadcnt 0x0
	v_cmp_lt_i32_e32 vcc_lo, -1, v1
	s_wait_alu 0xfffd
	v_cndmask_b32_e64 v14, -1, 0x80000000, vcc_lo
	v_cmp_o_f32_e32 vcc_lo, v1, v1
	s_delay_alu instid0(VALU_DEP_2) | instskip(SKIP_1) | instid1(VALU_DEP_1)
	v_xor_b32_e32 v14, v14, v1
	s_wait_alu 0xfffd
	v_cndmask_b32_e32 v14, -1, v14, vcc_lo
	s_delay_alu instid0(VALU_DEP_1) | instskip(NEXT) | instid1(VALU_DEP_1)
	v_and_b32_e32 v14, v14, v32
	v_cmp_eq_u32_e32 vcc_lo, v14, v24
	s_cmp_lg_u32 vcc_lo, 0
	s_cselect_b32 s9, -1, 0
	s_wait_alu 0xfffe
	s_and_b32 s9, s0, s9
	s_wait_alu 0xfffe
	s_and_saveexec_b32 s15, s9
	s_cbranch_execz .LBB50_19
; %bb.16:                               ;   in Loop: Header=BB50_13 Depth=2
	s_mov_b32 s18, exec_lo
	s_bcnt1_i32_b32 s16, vcc_lo
	s_wait_alu 0xfffe
	v_mbcnt_lo_u32_b32 v4, s18, 0
	s_mov_b32 s17, exec_lo
                                        ; implicit-def: $vgpr14
	s_delay_alu instid0(VALU_DEP_1)
	v_cmpx_eq_u32_e32 0, v4
; %bb.17:                               ;   in Loop: Header=BB50_13 Depth=2
	s_bcnt1_i32_b32 s9, s18
	s_wait_alu 0xfffe
	s_mul_i32 s9, s16, s9
	s_wait_alu 0xfffe
	v_mov_b32_e32 v14, s9
	ds_add_rtn_u32 v14, v7, v14 offset:4104
; %bb.18:                               ;   in Loop: Header=BB50_13 Depth=2
	s_or_b32 exec_lo, exec_lo, s17
	s_wait_dscnt 0x0
	v_readfirstlane_b32 s9, v14
	s_wait_alu 0xf1ff
	s_delay_alu instid0(VALU_DEP_1)
	v_mad_u32_u24 v4, s16, v4, s9
.LBB50_19:                              ;   in Loop: Header=BB50_13 Depth=2
	s_wait_alu 0xfffe
	s_or_b32 exec_lo, exec_lo, s15
	ds_bpermute_b32 v4, v7, v4
	s_and_saveexec_b32 s9, vcc_lo
	s_cbranch_execz .LBB50_12
; %bb.20:                               ;   in Loop: Header=BB50_13 Depth=2
	v_and_b32_e32 v14, vcc_lo, v22
	s_delay_alu instid0(VALU_DEP_1) | instskip(NEXT) | instid1(VALU_DEP_1)
	v_bcnt_u32_b32 v14, v14, 0
	v_lshlrev_b32_e32 v14, 2, v14
	s_wait_dscnt 0x0
	s_delay_alu instid0(VALU_DEP_1)
	v_lshl_add_u32 v4, v4, 2, v14
	ds_store_b32 v4, v1
	s_branch .LBB50_12
.LBB50_21:                              ;   in Loop: Header=BB50_7 Depth=1
	s_mov_b32 s10, -1
	s_mov_b32 s9, 0
.LBB50_22:                              ;   in Loop: Header=BB50_7 Depth=1
	s_wait_alu 0xfffe
	s_and_b32 vcc_lo, exec_lo, s10
	s_wait_alu 0xfffe
	s_cbranch_vccz .LBB50_33
.LBB50_23:                              ;   in Loop: Header=BB50_7 Depth=1
	v_mov_b32_e32 v1, 0
	s_and_saveexec_b32 s9, s3
	s_cbranch_execz .LBB50_25
; %bb.24:                               ;   in Loop: Header=BB50_7 Depth=1
	global_load_b32 v1, v[8:9], off
.LBB50_25:                              ;   in Loop: Header=BB50_7 Depth=1
	s_wait_alu 0xfffe
	s_or_b32 exec_lo, exec_lo, s9
	s_and_saveexec_b32 s9, s4
	s_cbranch_execz .LBB50_30
; %bb.26:                               ;   in Loop: Header=BB50_7 Depth=1
	s_load_u16 s10, s[66:67], 0x0
	s_mov_b32 s13, 0
	s_wait_kmcnt 0x0
	v_dual_mov_b32 v3, v0 :: v_dual_add_nc_u32 v2, s10, v0
	s_lshl_b32 s11, s10, 2
	s_mul_i32 s12, s39, s10
	s_delay_alu instid0(VALU_DEP_1)
	v_mul_lo_u32 v6, s39, v2
	v_mov_b32_e32 v2, v19
	s_branch .LBB50_28
.LBB50_27:                              ;   in Loop: Header=BB50_28 Depth=2
	s_wait_alu 0xfffe
	s_or_b32 exec_lo, exec_lo, s14
	v_cmp_le_i32_e32 vcc_lo, s36, v3
	s_wait_loadcnt 0x0
	ds_store_b32 v2, v1
	v_dual_mov_b32 v1, v4 :: v_dual_add_nc_u32 v2, s11, v2
	v_add_nc_u32_e32 v6, s12, v6
	s_or_b32 s13, vcc_lo, s13
	s_wait_alu 0xfffe
	s_and_not1_b32 exec_lo, exec_lo, s13
	s_cbranch_execz .LBB50_30
.LBB50_28:                              ;   Parent Loop BB50_7 Depth=1
                                        ; =>  This Inner Loop Header: Depth=2
	v_dual_mov_b32 v4, 0 :: v_dual_add_nc_u32 v3, s10, v3
	s_mov_b32 s14, exec_lo
	s_delay_alu instid0(VALU_DEP_1)
	v_cmpx_gt_u32_e64 s36, v3
	s_cbranch_execz .LBB50_27
; %bb.29:                               ;   in Loop: Header=BB50_28 Depth=2
	s_delay_alu instid0(VALU_DEP_4) | instskip(NEXT) | instid1(VALU_DEP_1)
	v_lshlrev_b64_e32 v[16:17], 2, v[6:7]
	v_add_co_u32 v16, vcc_lo, s60, v16
	s_wait_alu 0xfffd
	s_delay_alu instid0(VALU_DEP_2)
	v_add_co_ci_u32_e64 v17, null, s61, v17, vcc_lo
	global_load_b32 v4, v[16:17], off
	s_branch .LBB50_27
.LBB50_30:                              ;   in Loop: Header=BB50_7 Depth=1
	s_wait_alu 0xfffe
	s_or_b32 exec_lo, exec_lo, s9
	s_wait_loadcnt_dscnt 0x0
	s_barrier_signal -1
	s_barrier_wait -1
	global_inv scope:SCOPE_SE
	s_and_saveexec_b32 s9, s2
; %bb.31:                               ;   in Loop: Header=BB50_7 Depth=1
	v_mov_b32_e32 v1, s36
	ds_store_b32 v7, v1 offset:4096
; %bb.32:                               ;   in Loop: Header=BB50_7 Depth=1
	s_wait_alu 0xfffe
	s_or_b32 exec_lo, exec_lo, s9
	s_mov_b32 s9, -1
	s_wait_loadcnt_dscnt 0x0
	s_barrier_signal -1
	s_barrier_wait -1
.LBB50_33:                              ;   in Loop: Header=BB50_7 Depth=1
	s_wait_alu 0xfffe
	s_and_b32 vcc_lo, exec_lo, s9
	s_wait_alu 0xfffe
	s_cbranch_vccz .LBB50_35
; %bb.34:                               ;   in Loop: Header=BB50_7 Depth=1
	s_wait_loadcnt 0x0
	global_inv scope:SCOPE_SE
	ds_load_b32 v1, v7 offset:4096
	s_wait_dscnt 0x0
	v_readfirstlane_b32 s58, v1
.LBB50_35:                              ;   in Loop: Header=BB50_7 Depth=1
	s_delay_alu instid0(VALU_DEP_1)
	s_cmp_lt_i32 s58, 1
	s_mov_b32 s9, -1
                                        ; implicit-def: $vgpr1
	s_cbranch_scc1 .LBB50_45
; %bb.36:                               ;   in Loop: Header=BB50_7 Depth=1
	s_wait_alu 0xfffe
	s_and_b32 vcc_lo, exec_lo, s9
	s_wait_alu 0xfffe
	s_cbranch_vccnz .LBB50_58
.LBB50_37:                              ;   in Loop: Header=BB50_7 Depth=1
	v_lshlrev_b32_e32 v6, 7, v31
	s_and_saveexec_b32 s9, s0
	s_cbranch_execz .LBB50_39
.LBB50_38:                              ;   in Loop: Header=BB50_7 Depth=1
	s_wait_loadcnt 0x0
	s_delay_alu instid0(VALU_DEP_1)
	v_lshl_add_u32 v14, v6, 2, v23
	ds_store_b128 v14, v[1:4]
.LBB50_39:                              ;   in Loop: Header=BB50_7 Depth=1
	s_wait_alu 0xfffe
	s_or_b32 exec_lo, exec_lo, s9
	s_wait_loadcnt_dscnt 0x0
	s_barrier_signal -1
	s_barrier_wait -1
	global_inv scope:SCOPE_SE
	s_and_saveexec_b32 s9, s74
	s_cbranch_execz .LBB50_74
; %bb.40:                               ;   in Loop: Header=BB50_7 Depth=1
	v_mov_b32_e32 v1, 0
	s_and_not1_b32 vcc_lo, exec_lo, s76
	s_wait_alu 0xfffe
	s_cbranch_vccnz .LBB50_73
; %bb.41:                               ;   in Loop: Header=BB50_7 Depth=1
	s_and_not1_b32 vcc_lo, exec_lo, s78
	s_wait_alu 0xfffe
	s_cbranch_vccnz .LBB50_70
; %bb.42:                               ;   in Loop: Header=BB50_7 Depth=1
	v_lshl_add_u32 v2, v31, 9, v30
	v_mov_b32_e32 v1, 0
	s_mov_b32 s10, 0
.LBB50_43:                              ;   Parent Loop BB50_7 Depth=1
                                        ; =>  This Inner Loop Header: Depth=2
	ds_load_2addr_b32 v[3:4], v2 offset1:4
	ds_load_2addr_b32 v[16:17], v2 offset0:8 offset1:12
	ds_load_2addr_b32 v[34:35], v2 offset0:16 offset1:20
	;; [unrolled: 1-line block ×3, first 2 shown]
	v_add_nc_u32_e32 v2, 0x80, v2
	s_wait_alu 0xfffe
	s_add_co_i32 s10, s10, 8
	s_wait_alu 0xfffe
	s_cmp_eq_u32 s79, s10
	s_wait_dscnt 0x3
	v_add3_u32 v1, v3, v1, v4
	s_wait_dscnt 0x2
	s_delay_alu instid0(VALU_DEP_1) | instskip(SKIP_1) | instid1(VALU_DEP_1)
	v_add3_u32 v1, v16, v1, v17
	s_wait_dscnt 0x1
	v_add3_u32 v1, v34, v1, v35
	s_wait_dscnt 0x0
	s_delay_alu instid0(VALU_DEP_1)
	v_add3_u32 v1, v36, v1, v37
	s_cbranch_scc0 .LBB50_43
; %bb.44:                               ;   in Loop: Header=BB50_7 Depth=1
	s_mov_b32 s10, s79
	s_and_not1_b32 vcc_lo, exec_lo, s80
	s_wait_alu 0xfffe
	s_cbranch_vccz .LBB50_71
	s_branch .LBB50_73
.LBB50_45:                              ;   in Loop: Header=BB50_7 Depth=1
	v_dual_mov_b32 v1, 0 :: v_dual_mov_b32 v2, 0
	v_dual_mov_b32 v3, 0 :: v_dual_mov_b32 v4, 0
	s_and_saveexec_b32 s92, s5
	s_cbranch_execnz .LBB50_48
; %bb.46:                               ;   in Loop: Header=BB50_7 Depth=1
	s_wait_alu 0xfffe
	s_or_b32 exec_lo, exec_lo, s92
	v_mov_b32_e32 v14, 0
	s_and_saveexec_b32 s9, s6
	s_cbranch_execnz .LBB50_51
.LBB50_47:                              ;   in Loop: Header=BB50_7 Depth=1
	s_wait_alu 0xfffe
	s_or_b32 exec_lo, exec_lo, s9
	s_and_saveexec_b32 s13, s7
	s_cbranch_execnz .LBB50_52
	s_branch .LBB50_57
.LBB50_48:                              ;   in Loop: Header=BB50_7 Depth=1
	v_mov_b32_e32 v6, v19
	s_mov_b32 s93, 0
	s_mov_b32 s94, 0
	;; [unrolled: 1-line block ×6, first 2 shown]
.LBB50_49:                              ;   Parent Loop BB50_7 Depth=1
                                        ; =>  This Inner Loop Header: Depth=2
	s_wait_alu 0xfffe
	v_add_nc_u32_e32 v1, s94, v27
	v_add_nc_u32_e32 v3, s94, v12
	;; [unrolled: 1-line block ×5, first 2 shown]
	v_ashrrev_i32_e32 v2, 31, v1
	v_ashrrev_i32_e32 v4, 31, v3
	;; [unrolled: 1-line block ×4, first 2 shown]
	s_add_co_i32 s94, s94, s83
	v_lshlrev_b64_e32 v[1:2], 2, v[1:2]
	v_lshlrev_b64_e32 v[3:4], 2, v[3:4]
	;; [unrolled: 1-line block ×4, first 2 shown]
	s_delay_alu instid0(VALU_DEP_4)
	v_add_co_u32 v1, vcc_lo, s60, v1
	s_wait_alu 0xfffd
	v_add_co_ci_u32_e64 v2, null, s61, v2, vcc_lo
	v_add_co_u32 v3, vcc_lo, s60, v3
	s_wait_alu 0xfffd
	v_add_co_ci_u32_e64 v4, null, s61, v4, vcc_lo
	;; [unrolled: 3-line block ×4, first 2 shown]
	s_clause 0x3
	global_load_b32 v1, v[1:2], off
	global_load_b32 v2, v[3:4], off
	;; [unrolled: 1-line block ×4, first 2 shown]
	v_cmp_le_i32_e32 vcc_lo, s81, v6
	s_wait_loadcnt 0x3
	v_cmp_lt_i32_e64 s9, -1, v1
	v_cmp_o_f32_e64 s12, v1, v1
	s_wait_loadcnt 0x1
	v_cmp_o_f32_e64 s10, v3, v3
	s_wait_loadcnt 0x0
	v_cmp_o_f32_e64 s11, v4, v4
	s_wait_alu 0xf1ff
	v_cndmask_b32_e64 v14, -1, 0x80000000, s9
	v_cmp_lt_i32_e64 s9, -1, v2
	s_delay_alu instid0(VALU_DEP_2) | instskip(SKIP_1) | instid1(VALU_DEP_2)
	v_xor_b32_e32 v14, v14, v1
	s_wait_alu 0xf1ff
	v_cndmask_b32_e64 v16, -1, 0x80000000, s9
	v_cmp_lt_i32_e64 s9, -1, v3
	s_delay_alu instid0(VALU_DEP_3) | instskip(NEXT) | instid1(VALU_DEP_3)
	v_cndmask_b32_e64 v1, -1, v14, s12
	v_xor_b32_e32 v16, v16, v2
	s_wait_alu 0xf1ff
	s_delay_alu instid0(VALU_DEP_3) | instskip(SKIP_4) | instid1(VALU_DEP_3)
	v_cndmask_b32_e64 v17, -1, 0x80000000, s9
	v_cmp_lt_i32_e64 s9, -1, v4
	v_and_b32_e32 v14, v1, v32
	v_bfe_u32 v1, v1, s91, 2
	s_wait_alu 0xf1ff
	v_cndmask_b32_e64 v34, -1, 0x80000000, s9
	v_cmp_o_f32_e64 s9, v2, v2
	v_xor_b32_e32 v2, v17, v3
	v_cmp_eq_u32_e64 s13, 0, v1
	v_cmp_eq_u32_e64 s17, 1, v1
	v_xor_b32_e32 v3, v34, v4
	s_wait_alu 0xf1ff
	v_cndmask_b32_e64 v4, -1, v16, s9
	v_cndmask_b32_e64 v2, -1, v2, s10
	v_cmp_eq_u32_e64 s9, v14, v24
	v_cmp_eq_u32_e64 s21, 2, v1
	v_cndmask_b32_e64 v3, -1, v3, s11
	v_and_b32_e32 v16, v4, v32
	v_bfe_u32 v4, v4, s91, 2
	v_and_b32_e32 v17, v2, v32
	v_bfe_u32 v2, v2, s91, 2
	v_and_b32_e32 v34, v3, v32
	v_bfe_u32 v3, v3, s91, 2
	v_cmp_eq_u32_e64 s10, v16, v24
	v_cmp_eq_u32_e64 s14, 0, v4
	;; [unrolled: 1-line block ×4, first 2 shown]
	s_and_b32 s13, s9, s13
	v_cmp_eq_u32_e64 s12, v34, v24
	v_cmp_eq_u32_e64 s16, 0, v3
	;; [unrolled: 1-line block ×3, first 2 shown]
	s_wait_alu 0xfffe
	v_cndmask_b32_e64 v1, 0, 1, s13
	s_and_b32 s13, s10, s14
	v_cmp_eq_u32_e64 s19, 1, v2
	v_cmp_eq_u32_e64 s23, 2, v2
	;; [unrolled: 1-line block ×3, first 2 shown]
	s_wait_alu 0xfffe
	v_cndmask_b32_e64 v2, 0, 1, s13
	s_and_b32 s13, s11, s15
	v_cmp_eq_u32_e64 s18, 1, v4
	v_cmp_eq_u32_e64 s20, 1, v3
	;; [unrolled: 1-line block ×4, first 2 shown]
	s_wait_alu 0xfffe
	v_cndmask_b32_e64 v3, 0, 1, s13
	s_and_b32 s13, s12, s16
	v_cmp_eq_u32_e64 s22, 2, v4
	v_cmp_eq_u32_e64 s26, 3, v4
	s_wait_alu 0xfffe
	v_cndmask_b32_e64 v4, 0, 1, s13
	s_and_b32 s13, s9, s17
	s_wait_alu 0xfffe
	v_cndmask_b32_e64 v14, 0, 1, s13
	s_and_b32 s13, s10, s18
	;; [unrolled: 3-line block ×4, first 2 shown]
	v_cmp_ne_u32_e64 s14, 0, v16
	s_wait_alu 0xfffe
	v_cndmask_b32_e64 v34, 0, 1, s13
	s_and_b32 s13, s9, s21
	s_and_b32 s9, s9, s25
	s_wait_alu 0xfffe
	v_cndmask_b32_e64 v35, 0, 1, s13
	s_and_b32 s13, s10, s22
	v_cndmask_b32_e64 v39, 0, 1, s9
	s_and_b32 s9, s10, s26
	s_wait_alu 0xfffe
	v_cndmask_b32_e64 v36, 0, 1, s13
	s_and_b32 s13, s11, s23
	v_cndmask_b32_e64 v40, 0, 1, s9
	s_and_b32 s9, s11, s27
	s_wait_alu 0xfffe
	v_cndmask_b32_e64 v37, 0, 1, s13
	s_and_b32 s13, s12, s24
	v_cndmask_b32_e64 v41, 0, 1, s9
	s_and_b32 s9, s12, s28
	s_wait_alu 0xfffe
	v_cndmask_b32_e64 v38, 0, 1, s13
	v_cndmask_b32_e64 v42, 0, 1, s9
	v_cmp_ne_u32_e64 s9, 0, v1
	v_cmp_ne_u32_e64 s13, 0, v14
	;; [unrolled: 1-line block ×11, first 2 shown]
	s_bcnt1_i32_b32 s9, s9
	s_bcnt1_i32_b32 s13, s13
	;; [unrolled: 1-line block ×4, first 2 shown]
	v_cmp_ne_u32_e64 s12, 0, v4
	v_cmp_ne_u32_e64 s16, 0, v34
	v_cmp_ne_u32_e64 s20, 0, v38
	v_cmp_ne_u32_e64 s24, 0, v42
	s_bcnt1_i32_b32 s10, s10
	s_bcnt1_i32_b32 s14, s14
	s_bcnt1_i32_b32 s18, s18
	s_bcnt1_i32_b32 s22, s22
	s_wait_alu 0xfffe
	s_add_co_i32 s9, s9, s98
	s_add_co_i32 s13, s13, s97
	s_add_co_i32 s17, s17, s96
	s_add_co_i32 s21, s21, s95
	s_bcnt1_i32_b32 s11, s11
	s_bcnt1_i32_b32 s15, s15
	s_bcnt1_i32_b32 s19, s19
	s_bcnt1_i32_b32 s23, s23
	s_wait_alu 0xfffe
	s_add_co_i32 s9, s9, s10
	s_add_co_i32 s10, s13, s14
	s_add_co_i32 s13, s17, s18
	s_add_co_i32 s14, s21, s22
	;; [unrolled: 9-line block ×3, first 2 shown]
	s_wait_alu 0xfffe
	s_add_co_i32 s98, s9, s12
	s_add_co_i32 s97, s10, s16
	s_add_co_i32 s96, s11, s20
	s_add_co_i32 s95, s13, s24
	s_wait_alu 0xfffe
	v_dual_mov_b32 v1, s98 :: v_dual_mov_b32 v2, s97
	v_dual_mov_b32 v3, s96 :: v_dual_mov_b32 v4, s95
	s_or_b32 s93, vcc_lo, s93
	s_wait_alu 0xfffe
	s_and_not1_b32 exec_lo, exec_lo, s93
	s_cbranch_execnz .LBB50_49
; %bb.50:                               ;   in Loop: Header=BB50_7 Depth=1
	s_or_b32 exec_lo, exec_lo, s93
	s_delay_alu instid0(SALU_CYCLE_1)
	s_or_b32 exec_lo, exec_lo, s92
	v_mov_b32_e32 v14, 0
	s_and_saveexec_b32 s9, s6
	s_cbranch_execz .LBB50_47
.LBB50_51:                              ;   in Loop: Header=BB50_7 Depth=1
	global_load_b32 v14, v[10:11], off
	s_wait_alu 0xfffe
	s_or_b32 exec_lo, exec_lo, s9
	s_and_saveexec_b32 s13, s7
	s_cbranch_execz .LBB50_57
.LBB50_52:                              ;   in Loop: Header=BB50_7 Depth=1
	v_mov_b32_e32 v16, v28
	v_mov_b32_e32 v6, v21
	s_mov_b32 s14, 0
	s_branch .LBB50_54
.LBB50_53:                              ;   in Loop: Header=BB50_54 Depth=2
	s_wait_alu 0xfffe
	s_or_b32 exec_lo, exec_lo, s9
	s_wait_loadcnt 0x0
	v_cmp_lt_i32_e32 vcc_lo, -1, v14
	v_add_nc_u32_e32 v16, s73, v16
	s_wait_alu 0xfffd
	v_cndmask_b32_e64 v34, -1, 0x80000000, vcc_lo
	v_cmp_o_f32_e32 vcc_lo, v14, v14
	s_delay_alu instid0(VALU_DEP_2) | instskip(SKIP_1) | instid1(VALU_DEP_1)
	v_xor_b32_e32 v34, v34, v14
	s_wait_alu 0xfffd
	v_cndmask_b32_e32 v14, -1, v34, vcc_lo
	s_delay_alu instid0(VALU_DEP_1) | instskip(SKIP_1) | instid1(VALU_DEP_2)
	v_and_b32_e32 v34, v14, v32
	v_bfe_u32 v14, v14, s91, 2
	v_cmp_eq_u32_e32 vcc_lo, v34, v24
	s_delay_alu instid0(VALU_DEP_2)
	v_cmp_eq_u32_e64 s9, 0, v14
	v_cmp_eq_u32_e64 s10, 1, v14
	v_cmp_eq_u32_e64 s11, 2, v14
	v_cmp_eq_u32_e64 s12, 3, v14
	s_and_b32 s9, vcc_lo, s9
	s_wait_alu 0xfffe
	v_cndmask_b32_e64 v14, 0, 1, s9
	s_and_b32 s9, vcc_lo, s10
	s_wait_alu 0xfffe
	v_cndmask_b32_e64 v34, 0, 1, s9
	s_and_b32 s9, vcc_lo, s11
	s_wait_alu 0xfffe
	v_cndmask_b32_e64 v35, 0, 1, s9
	s_and_b32 s9, vcc_lo, s12
	v_cmp_ne_u32_e32 vcc_lo, 0, v14
	s_wait_alu 0xfffe
	v_cndmask_b32_e64 v36, 0, 1, s9
	v_cmp_ne_u32_e64 s9, 0, v34
	v_cmp_ne_u32_e64 s10, 0, v35
	v_cmp_le_i32_e64 s12, s36, v6
	s_bcnt1_i32_b32 s15, vcc_lo
	v_cmp_ne_u32_e64 s11, 0, v36
	s_bcnt1_i32_b32 s9, s9
	s_bcnt1_i32_b32 s10, s10
	s_wait_alu 0xfffe
	v_add_nc_u32_e32 v1, s15, v1
	v_add_nc_u32_e32 v2, s9, v2
	s_bcnt1_i32_b32 s11, s11
	v_dual_mov_b32 v14, v17 :: v_dual_add_nc_u32 v3, s10, v3
	s_wait_alu 0xfffe
	v_add_nc_u32_e32 v4, s11, v4
	s_or_b32 s14, s12, s14
	s_wait_alu 0xfffe
	s_and_not1_b32 exec_lo, exec_lo, s14
	s_cbranch_execz .LBB50_56
.LBB50_54:                              ;   Parent Loop BB50_7 Depth=1
                                        ; =>  This Inner Loop Header: Depth=2
	s_delay_alu instid0(VALU_DEP_1) | instskip(SKIP_1) | instid1(VALU_DEP_1)
	v_dual_mov_b32 v17, 0 :: v_dual_add_nc_u32 v6, s49, v6
	s_mov_b32 s9, exec_lo
	v_cmpx_gt_u32_e64 s36, v6
	s_cbranch_execz .LBB50_53
; %bb.55:                               ;   in Loop: Header=BB50_54 Depth=2
	v_ashrrev_i32_e32 v17, 31, v16
	s_delay_alu instid0(VALU_DEP_1) | instskip(NEXT) | instid1(VALU_DEP_1)
	v_lshlrev_b64_e32 v[34:35], 2, v[16:17]
	v_add_co_u32 v34, vcc_lo, s60, v34
	s_wait_alu 0xfffd
	s_delay_alu instid0(VALU_DEP_2)
	v_add_co_ci_u32_e64 v35, null, s61, v35, vcc_lo
	global_load_b32 v17, v[34:35], off
	s_branch .LBB50_53
.LBB50_56:                              ;   in Loop: Header=BB50_7 Depth=1
	s_or_b32 exec_lo, exec_lo, s14
.LBB50_57:                              ;   in Loop: Header=BB50_7 Depth=1
	s_wait_alu 0xfffe
	s_or_b32 exec_lo, exec_lo, s13
	s_branch .LBB50_37
.LBB50_58:                              ;   in Loop: Header=BB50_7 Depth=1
	s_mul_u64 s[10:11], s[58:59], s[62:63]
	v_dual_mov_b32 v1, 0 :: v_dual_mov_b32 v2, 0
	s_wait_alu 0xfffe
	s_mul_i32 s9, s11, s51
	v_dual_mov_b32 v3, 0 :: v_dual_mov_b32 v4, 0
	s_wait_alu 0xfffe
	s_sub_co_i32 s9, s58, s9
	s_mov_b32 s93, exec_lo
	s_wait_alu 0xfffe
	s_sub_co_i32 s10, s9, s51
	s_cmp_ge_u32 s9, s51
	s_wait_alu 0xfffe
	s_cselect_b32 s9, s10, s9
	s_wait_alu 0xfffe
	s_sub_co_i32 s10, s9, s51
	s_cmp_ge_u32 s9, s51
	s_wait_alu 0xfffe
	s_cselect_b32 s9, s10, s9
	s_wait_alu 0xfffe
	s_sub_co_i32 s92, s58, s9
	s_wait_alu 0xfffe
	v_cmpx_gt_u32_e64 s92, v19
	s_cbranch_execz .LBB50_62
; %bb.59:                               ;   in Loop: Header=BB50_7 Depth=1
	v_mov_b32_e32 v6, v29
	s_wait_loadcnt 0x0
	v_mov_b32_e32 v14, v19
	s_mov_b32 s94, 0
	s_mov_b32 s95, 0
	;; [unrolled: 1-line block ×5, first 2 shown]
.LBB50_60:                              ;   Parent Loop BB50_7 Depth=1
                                        ; =>  This Inner Loop Header: Depth=2
	ds_load_b128 v[1:4], v6
	s_wait_dscnt 0x0
	v_cmp_lt_i32_e64 s9, -1, v1
	v_cmp_o_f32_e64 s12, v1, v1
	v_cmp_o_f32_e64 s10, v3, v3
	;; [unrolled: 1-line block ×3, first 2 shown]
	s_wait_alu 0xf1ff
	v_cndmask_b32_e64 v16, -1, 0x80000000, s9
	v_cmp_lt_i32_e64 s9, -1, v2
	s_delay_alu instid0(VALU_DEP_2) | instskip(SKIP_1) | instid1(VALU_DEP_2)
	v_xor_b32_e32 v16, v16, v1
	s_wait_alu 0xf1ff
	v_cndmask_b32_e64 v17, -1, 0x80000000, s9
	v_cmp_lt_i32_e64 s9, -1, v3
	s_delay_alu instid0(VALU_DEP_3) | instskip(NEXT) | instid1(VALU_DEP_3)
	v_cndmask_b32_e64 v1, -1, v16, s12
	v_xor_b32_e32 v17, v17, v2
	s_wait_alu 0xf1ff
	s_delay_alu instid0(VALU_DEP_3) | instskip(SKIP_4) | instid1(VALU_DEP_3)
	v_cndmask_b32_e64 v34, -1, 0x80000000, s9
	v_cmp_lt_i32_e64 s9, -1, v4
	v_and_b32_e32 v16, v1, v32
	v_bfe_u32 v1, v1, s91, 2
	s_wait_alu 0xf1ff
	v_cndmask_b32_e64 v35, -1, 0x80000000, s9
	v_cmp_o_f32_e64 s9, v2, v2
	v_xor_b32_e32 v2, v34, v3
	v_cmp_eq_u32_e64 s13, 0, v1
	v_cmp_eq_u32_e64 s17, 1, v1
	v_xor_b32_e32 v3, v35, v4
	s_wait_alu 0xf1ff
	v_cndmask_b32_e64 v4, -1, v17, s9
	v_cndmask_b32_e64 v2, -1, v2, s10
	v_cmp_eq_u32_e64 s9, v16, v24
	v_cmp_eq_u32_e64 s21, 2, v1
	v_cndmask_b32_e64 v3, -1, v3, s11
	v_and_b32_e32 v17, v4, v32
	v_bfe_u32 v4, v4, s91, 2
	v_and_b32_e32 v34, v2, v32
	v_bfe_u32 v2, v2, s91, 2
	;; [unrolled: 2-line block ×3, first 2 shown]
	v_cmp_eq_u32_e64 s10, v17, v24
	v_cmp_eq_u32_e64 s14, 0, v4
	v_cmp_eq_u32_e64 s11, v34, v24
	v_cmp_eq_u32_e64 s15, 0, v2
	s_and_b32 s13, s9, s13
	v_cmp_eq_u32_e64 s12, v35, v24
	v_cmp_eq_u32_e64 s16, 0, v3
	;; [unrolled: 1-line block ×3, first 2 shown]
	s_wait_alu 0xfffe
	v_cndmask_b32_e64 v1, 0, 1, s13
	s_and_b32 s13, s10, s14
	v_cmp_eq_u32_e64 s19, 1, v2
	v_cmp_eq_u32_e64 s23, 2, v2
	;; [unrolled: 1-line block ×3, first 2 shown]
	s_wait_alu 0xfffe
	v_cndmask_b32_e64 v2, 0, 1, s13
	s_and_b32 s13, s11, s15
	v_cmp_eq_u32_e64 s18, 1, v4
	v_cmp_eq_u32_e64 s20, 1, v3
	;; [unrolled: 1-line block ×4, first 2 shown]
	s_wait_alu 0xfffe
	v_cndmask_b32_e64 v3, 0, 1, s13
	s_and_b32 s13, s12, s16
	v_cmp_eq_u32_e64 s22, 2, v4
	v_cmp_eq_u32_e64 s26, 3, v4
	s_wait_alu 0xfffe
	v_cndmask_b32_e64 v4, 0, 1, s13
	s_and_b32 s13, s9, s17
	s_wait_alu 0xfffe
	v_cndmask_b32_e64 v16, 0, 1, s13
	s_and_b32 s13, s10, s18
	;; [unrolled: 3-line block ×4, first 2 shown]
	v_cmp_ne_u32_e64 s14, 0, v17
	s_wait_alu 0xfffe
	v_cndmask_b32_e64 v35, 0, 1, s13
	s_and_b32 s13, s9, s21
	s_and_b32 s9, s9, s25
	s_wait_alu 0xfffe
	v_cndmask_b32_e64 v36, 0, 1, s13
	v_cndmask_b32_e64 v40, 0, 1, s9
	s_and_b32 s9, s10, s26
	s_and_b32 s13, s10, s22
	s_wait_alu 0xfffe
	v_cndmask_b32_e64 v41, 0, 1, s9
	s_and_b32 s9, s11, s27
	v_cndmask_b32_e64 v37, 0, 1, s13
	s_wait_alu 0xfffe
	v_cndmask_b32_e64 v42, 0, 1, s9
	s_and_b32 s9, s12, s28
	s_and_b32 s13, s11, s23
	s_wait_alu 0xfffe
	v_cndmask_b32_e64 v43, 0, 1, s9
	v_cmp_ne_u32_e64 s9, 0, v1
	v_cmp_ne_u32_e64 s10, 0, v2
	v_cndmask_b32_e64 v38, 0, 1, s13
	s_and_b32 s13, s12, s24
	v_cmp_ne_u32_e64 s11, 0, v3
	s_wait_alu 0xfffe
	v_cndmask_b32_e64 v39, 0, 1, s13
	v_cmp_ne_u32_e64 s13, 0, v16
	v_cmp_ne_u32_e64 s17, 0, v36
	v_cmp_ne_u32_e64 s21, 0, v40
	s_bcnt1_i32_b32 s9, s9
	v_cmp_ne_u32_e64 s12, 0, v4
	v_cmp_ne_u32_e64 s18, 0, v37
	v_cmp_ne_u32_e64 s22, 0, v41
	s_bcnt1_i32_b32 s10, s10
	s_wait_alu 0xfffe
	s_add_co_i32 s9, s9, s98
	v_cmp_ne_u32_e64 s15, 0, v34
	v_cmp_ne_u32_e64 s19, 0, v38
	;; [unrolled: 1-line block ×3, first 2 shown]
	s_bcnt1_i32_b32 s11, s11
	s_wait_alu 0xfffe
	s_add_co_i32 s9, s9, s10
	s_bcnt1_i32_b32 s13, s13
	s_bcnt1_i32_b32 s17, s17
	;; [unrolled: 1-line block ×3, first 2 shown]
	v_cmp_ne_u32_e64 s16, 0, v35
	v_cmp_ne_u32_e64 s20, 0, v39
	;; [unrolled: 1-line block ×3, first 2 shown]
	s_bcnt1_i32_b32 s12, s12
	s_wait_alu 0xfffe
	s_add_co_i32 s9, s9, s11
	s_bcnt1_i32_b32 s14, s14
	s_bcnt1_i32_b32 s18, s18
	;; [unrolled: 1-line block ×3, first 2 shown]
	s_add_co_i32 s13, s13, s97
	s_add_co_i32 s17, s17, s96
	;; [unrolled: 1-line block ×3, first 2 shown]
	s_wait_alu 0xfffe
	s_add_co_i32 s98, s9, s12
	s_wait_alu 0xfffe
	v_dual_mov_b32 v1, s98 :: v_dual_add_nc_u32 v14, s51, v14
	s_bcnt1_i32_b32 s15, s15
	s_bcnt1_i32_b32 s19, s19
	;; [unrolled: 1-line block ×3, first 2 shown]
	s_add_co_i32 s10, s13, s14
	s_add_co_i32 s13, s17, s18
	;; [unrolled: 1-line block ×3, first 2 shown]
	s_bcnt1_i32_b32 s16, s16
	s_bcnt1_i32_b32 s20, s20
	;; [unrolled: 1-line block ×3, first 2 shown]
	s_wait_alu 0xfffe
	s_add_co_i32 s10, s10, s15
	s_add_co_i32 s11, s13, s19
	;; [unrolled: 1-line block ×3, first 2 shown]
	v_cmp_le_i32_e32 vcc_lo, s92, v14
	s_wait_alu 0xfffe
	s_add_co_i32 s97, s10, s16
	s_add_co_i32 s96, s11, s20
	;; [unrolled: 1-line block ×3, first 2 shown]
	s_wait_alu 0xfffe
	v_dual_mov_b32 v3, s96 :: v_dual_add_nc_u32 v6, s84, v6
	v_mov_b32_e32 v2, s97
	v_mov_b32_e32 v4, s95
	s_or_b32 s94, vcc_lo, s94
	s_wait_alu 0xfffe
	s_and_not1_b32 exec_lo, exec_lo, s94
	s_cbranch_execnz .LBB50_60
; %bb.61:                               ;   in Loop: Header=BB50_7 Depth=1
	s_or_b32 exec_lo, exec_lo, s94
.LBB50_62:                              ;   in Loop: Header=BB50_7 Depth=1
	s_delay_alu instid0(SALU_CYCLE_1) | instskip(SKIP_2) | instid1(VALU_DEP_1)
	s_or_b32 exec_lo, exec_lo, s93
	v_add_nc_u32_e32 v6, s92, v0
	s_mov_b32 s14, exec_lo
	v_cmpx_gt_i32_e64 s58, v6
	s_cbranch_execz .LBB50_66
; %bb.63:                               ;   in Loop: Header=BB50_7 Depth=1
	s_wait_loadcnt 0x0
	v_lshlrev_b32_e32 v14, 2, v6
	s_mov_b32 s15, 0
.LBB50_64:                              ;   Parent Loop BB50_7 Depth=1
                                        ; =>  This Inner Loop Header: Depth=2
	ds_load_b32 v16, v14
	v_add_nc_u32_e32 v6, s49, v6
	v_add_nc_u32_e32 v14, s51, v14
	s_delay_alu instid0(VALU_DEP_2) | instskip(SKIP_3) | instid1(VALU_DEP_1)
	v_cmp_le_i32_e32 vcc_lo, s58, v6
	s_wait_dscnt 0x0
	v_cmp_lt_i32_e64 s9, -1, v16
	s_wait_alu 0xf1ff
	v_cndmask_b32_e64 v17, -1, 0x80000000, s9
	v_cmp_o_f32_e64 s9, v16, v16
	s_delay_alu instid0(VALU_DEP_2) | instskip(SKIP_1) | instid1(VALU_DEP_1)
	v_xor_b32_e32 v17, v17, v16
	s_wait_alu 0xf1ff
	v_cndmask_b32_e64 v16, -1, v17, s9
	s_delay_alu instid0(VALU_DEP_1) | instskip(SKIP_1) | instid1(VALU_DEP_2)
	v_and_b32_e32 v17, v16, v32
	v_bfe_u32 v16, v16, s91, 2
	v_cmp_eq_u32_e64 s9, v17, v24
	s_delay_alu instid0(VALU_DEP_2)
	v_cmp_eq_u32_e64 s10, 0, v16
	v_cmp_eq_u32_e64 s11, 1, v16
	v_cmp_eq_u32_e64 s12, 2, v16
	v_cmp_eq_u32_e64 s13, 3, v16
	s_and_b32 s10, s9, s10
	s_wait_alu 0xfffe
	v_cndmask_b32_e64 v16, 0, 1, s10
	s_and_b32 s10, s9, s11
	s_wait_alu 0xfffe
	v_cndmask_b32_e64 v17, 0, 1, s10
	s_and_b32 s10, s9, s12
	s_and_b32 s9, s9, s13
	s_wait_alu 0xfffe
	v_cndmask_b32_e64 v34, 0, 1, s10
	v_cndmask_b32_e64 v35, 0, 1, s9
	v_cmp_ne_u32_e64 s9, 0, v16
	v_cmp_ne_u32_e64 s10, 0, v17
	s_delay_alu instid0(VALU_DEP_4) | instskip(NEXT) | instid1(VALU_DEP_4)
	v_cmp_ne_u32_e64 s11, 0, v34
	v_cmp_ne_u32_e64 s12, 0, v35
	s_bcnt1_i32_b32 s9, s9
	s_bcnt1_i32_b32 s10, s10
	s_wait_alu 0xfffe
	v_add_nc_u32_e32 v1, s9, v1
	s_bcnt1_i32_b32 s11, s11
	s_bcnt1_i32_b32 s12, s12
	v_add_nc_u32_e32 v2, s10, v2
	s_wait_alu 0xfffe
	v_add_nc_u32_e32 v3, s11, v3
	v_add_nc_u32_e32 v4, s12, v4
	s_or_b32 s15, vcc_lo, s15
	s_wait_alu 0xfffe
	s_and_not1_b32 exec_lo, exec_lo, s15
	s_cbranch_execnz .LBB50_64
; %bb.65:                               ;   in Loop: Header=BB50_7 Depth=1
	s_or_b32 exec_lo, exec_lo, s15
.LBB50_66:                              ;   in Loop: Header=BB50_7 Depth=1
	s_wait_alu 0xfffe
	s_or_b32 exec_lo, exec_lo, s14
	v_lshlrev_b32_e32 v6, 7, v31
	s_and_saveexec_b32 s9, s0
	s_cbranch_execnz .LBB50_38
	s_branch .LBB50_39
.LBB50_67:                              ;   in Loop: Header=BB50_7 Depth=1
	s_wait_alu 0xfffe
	s_or_b32 exec_lo, exec_lo, s11
	s_wait_loadcnt_dscnt 0x0
	s_barrier_signal -1
	s_barrier_wait -1
	global_inv scope:SCOPE_SE
	s_and_saveexec_b32 s9, s2
	s_cbranch_execz .LBB50_69
; %bb.68:                               ;   in Loop: Header=BB50_7 Depth=1
	ds_load_b32 v1, v7 offset:4104
	s_wait_dscnt 0x0
	ds_store_b32 v7, v1 offset:4096
.LBB50_69:                              ;   in Loop: Header=BB50_7 Depth=1
	s_wait_alu 0xfffe
	s_or_b32 exec_lo, exec_lo, s9
	s_wait_loadcnt_dscnt 0x0
	s_barrier_signal -1
	s_mov_b32 s9, -1
	s_barrier_wait -1
	s_and_b32 vcc_lo, exec_lo, s10
	s_wait_alu 0xfffe
	s_cbranch_vccnz .LBB50_23
	s_branch .LBB50_33
.LBB50_70:                              ;   in Loop: Header=BB50_7 Depth=1
	v_mov_b32_e32 v1, 0
	s_mov_b32 s10, 0
	s_and_not1_b32 vcc_lo, exec_lo, s80
	s_wait_alu 0xfffe
	s_cbranch_vccnz .LBB50_73
.LBB50_71:                              ;   in Loop: Header=BB50_7 Depth=1
	v_lshlrev_b32_e32 v2, 9, v31
	s_lshl_b32 s10, s10, 4
	s_wait_alu 0xfffe
	s_delay_alu instid0(VALU_DEP_1)
	v_add3_u32 v2, v2, s10, v30
	s_mov_b32 s10, s77
.LBB50_72:                              ;   Parent Loop BB50_7 Depth=1
                                        ; =>  This Inner Loop Header: Depth=2
	ds_load_b32 v3, v2
	v_add_nc_u32_e32 v2, 16, v2
	s_wait_alu 0xfffe
	s_add_co_i32 s10, s10, -1
	s_wait_alu 0xfffe
	s_cmp_lg_u32 s10, 0
	s_wait_dscnt 0x0
	v_add_nc_u32_e32 v1, v3, v1
	s_cbranch_scc1 .LBB50_72
.LBB50_73:                              ;   in Loop: Header=BB50_7 Depth=1
	v_add_lshl_u32 v2, v6, v18, 2
	ds_store_b32 v2, v1 offset:3072
.LBB50_74:                              ;   in Loop: Header=BB50_7 Depth=1
	s_wait_alu 0xfffe
	s_or_b32 exec_lo, exec_lo, s9
	v_lshlrev_b32_e32 v1, 2, v6
	s_wait_loadcnt_dscnt 0x0
	s_barrier_signal -1
	s_barrier_wait -1
	global_inv scope:SCOPE_SE
	ds_load_b128 v[1:4], v1 offset:3072
	s_lshl_b32 s10, 3, s91
	v_cmp_eq_u32_e32 vcc_lo, 1, v33
	s_wait_alu 0xfffe
	s_not_b32 s17, s10
	s_mov_b32 s13, -1
	s_mov_b32 s15, -1
                                        ; implicit-def: $sgpr20
                                        ; implicit-def: $sgpr18
	s_wait_dscnt 0x0
	v_readfirstlane_b32 s12, v1
	v_readfirstlane_b32 s19, v2
	;; [unrolled: 1-line block ×4, first 2 shown]
	s_cmp_eq_u32 s12, 1
	s_cselect_b32 s11, -1, 0
	s_wait_alu 0xfffe
	s_and_b32 s14, s11, vcc_lo
	s_wait_alu 0xfffe
	s_and_saveexec_b32 s11, s14
	s_cbranch_execz .LBB50_102
; %bb.75:                               ;   in Loop: Header=BB50_7 Depth=1
	ds_load_b32 v1, v7 offset:4096
	s_wait_loadcnt_dscnt 0x0
	s_barrier_signal -1
	s_barrier_wait -1
	global_inv scope:SCOPE_SE
	v_readfirstlane_b32 s15, v1
	s_and_saveexec_b32 s18, s1
; %bb.76:                               ;   in Loop: Header=BB50_7 Depth=1
	ds_store_b32 v20, v7
; %bb.77:                               ;   in Loop: Header=BB50_7 Depth=1
	s_wait_alu 0xfffe
	s_or_b32 exec_lo, exec_lo, s18
	v_and_b32_e32 v24, s17, v24
	v_or_b32_e32 v32, s10, v32
	s_mov_b32 s18, -1
	s_mov_b32 s20, 0
	s_cmp_lt_i32 s15, 1
	s_mov_b32 s21, 0
	s_mov_b32 s22, -1
	s_wait_loadcnt_dscnt 0x0
	s_barrier_signal -1
	s_barrier_wait -1
	global_inv scope:SCOPE_SE
                                        ; implicit-def: $vgpr15
	s_cbranch_scc0 .LBB50_89
; %bb.78:                               ;   in Loop: Header=BB50_7 Depth=1
	s_mov_b32 s22, 0
                                        ; implicit-def: $vgpr15
	s_and_saveexec_b32 s23, s8
	s_cbranch_execz .LBB50_88
; %bb.79:                               ;   in Loop: Header=BB50_7 Depth=1
	v_mov_b32_e32 v1, v5
	v_mov_b32_e32 v3, v0
                                        ; implicit-def: $sgpr24
	s_branch .LBB50_83
.LBB50_80:                              ;   in Loop: Header=BB50_83 Depth=2
	s_wait_alu 0xfffe
	s_or_b32 exec_lo, exec_lo, s25
	s_wait_loadcnt_dscnt 0x0
	s_barrier_signal -1
	s_barrier_wait -1
	global_inv scope:SCOPE_SE
	ds_load_b64 v[14:15], v7 offset:3072
	s_wait_loadcnt_dscnt 0x0
	s_barrier_signal -1
	s_barrier_wait -1
	global_inv scope:SCOPE_SE
	v_cmp_neq_f32_e32 vcc_lo, 0, v14
	s_cbranch_vccnz .LBB50_86
; %bb.81:                               ;   in Loop: Header=BB50_83 Depth=2
	v_add_nc_u32_e32 v3, s49, v3
	v_add_nc_u32_e32 v1, s73, v1
	s_mov_b32 s25, 0
	s_delay_alu instid0(VALU_DEP_2)
	v_cmp_le_i32_e32 vcc_lo, s82, v3
	s_or_not1_b32 s26, vcc_lo, exec_lo
.LBB50_82:                              ;   in Loop: Header=BB50_83 Depth=2
	s_wait_alu 0xfffe
	s_and_b32 s26, exec_lo, s26
	s_wait_alu 0xfffe
	s_or_b32 s21, s26, s21
	s_and_not1_b32 s24, s24, exec_lo
	s_and_b32 s25, s25, exec_lo
	s_wait_alu 0xfffe
	s_or_b32 s24, s24, s25
	s_and_not1_b32 exec_lo, exec_lo, s21
	s_cbranch_execz .LBB50_87
.LBB50_83:                              ;   Parent Loop BB50_7 Depth=1
                                        ; =>  This Inner Loop Header: Depth=2
	s_mov_b32 s25, exec_lo
	s_delay_alu instid0(VALU_DEP_1)
	v_cmpx_gt_i32_e64 s36, v3
	s_cbranch_execz .LBB50_80
; %bb.84:                               ;   in Loop: Header=BB50_83 Depth=2
	v_ashrrev_i32_e32 v2, 31, v1
	s_delay_alu instid0(VALU_DEP_1) | instskip(NEXT) | instid1(VALU_DEP_1)
	v_lshlrev_b64_e32 v[14:15], 2, v[1:2]
	v_add_co_u32 v14, vcc_lo, s60, v14
	s_wait_alu 0xfffd
	s_delay_alu instid0(VALU_DEP_2)
	v_add_co_ci_u32_e64 v15, null, s61, v15, vcc_lo
	global_load_b32 v14, v[14:15], off
	s_wait_loadcnt 0x0
	v_cmp_lt_i32_e32 vcc_lo, -1, v14
	s_wait_alu 0xfffd
	v_cndmask_b32_e64 v2, -1, 0x80000000, vcc_lo
	v_cmp_o_f32_e32 vcc_lo, v14, v14
	s_delay_alu instid0(VALU_DEP_2) | instskip(SKIP_1) | instid1(VALU_DEP_1)
	v_xor_b32_e32 v2, v2, v14
	s_wait_alu 0xfffd
	v_cndmask_b32_e32 v2, -1, v2, vcc_lo
	s_delay_alu instid0(VALU_DEP_1) | instskip(NEXT) | instid1(VALU_DEP_1)
	v_and_b32_e32 v2, v2, v32
	v_cmp_eq_u32_e32 vcc_lo, v2, v24
	s_and_b32 exec_lo, exec_lo, vcc_lo
	s_cbranch_execz .LBB50_80
; %bb.85:                               ;   in Loop: Header=BB50_83 Depth=2
	ds_store_b64 v7, v[13:14] offset:3072
	s_branch .LBB50_80
.LBB50_86:                              ;   in Loop: Header=BB50_83 Depth=2
	s_mov_b32 s26, -1
	s_mov_b32 s25, -1
                                        ; implicit-def: $vgpr3
                                        ; implicit-def: $vgpr1
	s_branch .LBB50_82
.LBB50_87:                              ;   in Loop: Header=BB50_7 Depth=1
	s_or_b32 exec_lo, exec_lo, s21
	s_wait_alu 0xfffe
	s_and_b32 s21, s24, exec_lo
.LBB50_88:                              ;   in Loop: Header=BB50_7 Depth=1
	s_wait_alu 0xfffe
	s_or_b32 exec_lo, exec_lo, s23
.LBB50_89:                              ;   in Loop: Header=BB50_7 Depth=1
	s_wait_alu 0xfffe
	s_and_b32 vcc_lo, exec_lo, s22
	s_wait_alu 0xfffe
	s_cbranch_vccz .LBB50_101
; %bb.90:                               ;   in Loop: Header=BB50_7 Depth=1
	s_add_co_i32 s20, s15, s56
                                        ; implicit-def: $vgpr15
	s_wait_alu 0xfffe
	s_abs_i32 s58, s20
	s_wait_alu 0xfffe
	s_mul_u64 s[22:23], s[58:59], s[64:65]
	s_ashr_i32 s22, s20, 31
	s_wait_alu 0xfffe
	s_mul_i32 s18, s23, s49
	s_wait_alu 0xfffe
	s_sub_co_i32 s18, s58, s18
	s_wait_alu 0xfffe
	s_sub_co_i32 s23, s18, s49
	s_cmp_ge_u32 s18, s49
	s_wait_alu 0xfffe
	s_cselect_b32 s18, s23, s18
	s_wait_alu 0xfffe
	s_sub_co_i32 s23, s18, s49
	s_cmp_ge_u32 s18, s49
	s_wait_alu 0xfffe
	s_cselect_b32 s18, s23, s18
	s_wait_alu 0xfffe
	s_xor_b32 s18, s18, s22
	s_wait_alu 0xfffe
	s_sub_co_i32 s18, s22, s18
	s_wait_alu 0xfffe
	s_add_co_i32 s20, s20, s18
	s_mov_b32 s18, exec_lo
	s_wait_alu 0xfffe
	v_cmpx_gt_i32_e64 s20, v0
	s_cbranch_execz .LBB50_100
; %bb.91:                               ;   in Loop: Header=BB50_7 Depth=1
	v_dual_mov_b32 v1, v19 :: v_dual_mov_b32 v2, v0
	s_mov_b32 s22, 0
                                        ; implicit-def: $sgpr23
	s_branch .LBB50_95
.LBB50_92:                              ;   in Loop: Header=BB50_95 Depth=2
	s_wait_alu 0xfffe
	s_or_b32 exec_lo, exec_lo, s24
	s_wait_loadcnt_dscnt 0x0
	s_barrier_signal -1
	s_barrier_wait -1
	global_inv scope:SCOPE_SE
	ds_load_b64 v[14:15], v7 offset:3072
	s_wait_loadcnt_dscnt 0x0
	s_barrier_signal -1
	s_barrier_wait -1
	global_inv scope:SCOPE_SE
	v_cmp_neq_f32_e32 vcc_lo, 0, v14
	s_cbranch_vccnz .LBB50_98
; %bb.93:                               ;   in Loop: Header=BB50_95 Depth=2
	v_add_nc_u32_e32 v2, s49, v2
	v_add_nc_u32_e32 v1, s51, v1
	s_mov_b32 s24, 0
	s_delay_alu instid0(VALU_DEP_2)
	v_cmp_le_i32_e32 vcc_lo, s20, v2
	s_or_not1_b32 s25, vcc_lo, exec_lo
.LBB50_94:                              ;   in Loop: Header=BB50_95 Depth=2
	s_wait_alu 0xfffe
	s_and_b32 s25, exec_lo, s25
	s_wait_alu 0xfffe
	s_or_b32 s22, s25, s22
	s_and_not1_b32 s23, s23, exec_lo
	s_and_b32 s24, s24, exec_lo
	s_wait_alu 0xfffe
	s_or_b32 s23, s23, s24
	s_and_not1_b32 exec_lo, exec_lo, s22
	s_cbranch_execz .LBB50_99
.LBB50_95:                              ;   Parent Loop BB50_7 Depth=1
                                        ; =>  This Inner Loop Header: Depth=2
	s_mov_b32 s24, exec_lo
	s_delay_alu instid0(VALU_DEP_1)
	v_cmpx_gt_i32_e64 s15, v2
	s_cbranch_execz .LBB50_92
; %bb.96:                               ;   in Loop: Header=BB50_95 Depth=2
	ds_load_b32 v14, v1
	s_wait_dscnt 0x0
	v_cmp_lt_i32_e32 vcc_lo, -1, v14
	s_wait_alu 0xfffd
	v_cndmask_b32_e64 v3, -1, 0x80000000, vcc_lo
	v_cmp_o_f32_e32 vcc_lo, v14, v14
	s_delay_alu instid0(VALU_DEP_2) | instskip(SKIP_1) | instid1(VALU_DEP_1)
	v_xor_b32_e32 v3, v3, v14
	s_wait_alu 0xfffd
	v_cndmask_b32_e32 v3, -1, v3, vcc_lo
	s_delay_alu instid0(VALU_DEP_1) | instskip(NEXT) | instid1(VALU_DEP_1)
	v_and_b32_e32 v3, v3, v32
	v_cmp_eq_u32_e32 vcc_lo, v3, v24
	s_and_b32 exec_lo, exec_lo, vcc_lo
	s_cbranch_execz .LBB50_92
; %bb.97:                               ;   in Loop: Header=BB50_95 Depth=2
	ds_store_b64 v7, v[13:14] offset:3072
	s_branch .LBB50_92
.LBB50_98:                              ;   in Loop: Header=BB50_95 Depth=2
	s_mov_b32 s25, -1
	s_mov_b32 s24, -1
                                        ; implicit-def: $vgpr2
                                        ; implicit-def: $vgpr1
	s_branch .LBB50_94
.LBB50_99:                              ;   in Loop: Header=BB50_7 Depth=1
	s_or_b32 exec_lo, exec_lo, s22
	s_delay_alu instid0(SALU_CYCLE_1)
	s_and_not1_b32 s15, s21, exec_lo
	s_wait_alu 0xfffe
	s_and_b32 s20, s23, exec_lo
	s_wait_alu 0xfffe
	s_or_b32 s21, s15, s20
.LBB50_100:                             ;   in Loop: Header=BB50_7 Depth=1
	s_wait_alu 0xfffe
	s_or_b32 exec_lo, exec_lo, s18
	s_mov_b32 s18, 0
	s_mov_b32 s20, -1
.LBB50_101:                             ;   in Loop: Header=BB50_7 Depth=1
	s_or_not1_b32 s15, s21, exec_lo
.LBB50_102:                             ;   in Loop: Header=BB50_7 Depth=1
	s_wait_alu 0xfffe
	s_or_b32 exec_lo, exec_lo, s11
	v_readfirstlane_b32 s21, v0
	s_and_not1_b32 s11, s89, exec_lo
	s_and_b32 s20, s20, exec_lo
	s_and_not1_b32 s22, s87, exec_lo
	s_and_b32 s18, s18, exec_lo
	s_and_not1_b32 s86, s86, exec_lo
	s_wait_alu 0xfffe
	s_or_b32 s89, s11, s20
	s_or_b32 s87, s22, s18
                                        ; implicit-def: $vgpr4
	s_and_saveexec_b32 s11, s15
	s_cbranch_execz .LBB50_6
; %bb.103:                              ;   in Loop: Header=BB50_7 Depth=1
	v_dual_mov_b32 v4, 1 :: v_dual_mov_b32 v3, 1
	s_xor_b32 s14, s14, -1
	s_mov_b32 s20, 0
	s_wait_alu 0xfffe
	s_and_saveexec_b32 s13, s14
	s_cbranch_execz .LBB50_112
; %bb.104:                              ;   in Loop: Header=BB50_7 Depth=1
	s_mov_b32 s14, exec_lo
	v_cmpx_ge_i32_e64 s12, v33
	s_wait_alu 0xfffe
	s_xor_b32 s14, exec_lo, s14
	s_cbranch_execz .LBB50_109
; %bb.105:                              ;   in Loop: Header=BB50_7 Depth=1
	ds_load_b32 v1, v7 offset:4096
	v_and_b32_e32 v24, s17, v24
	v_or_b32_e32 v32, s10, v32
	s_wait_dscnt 0x0
	v_cmp_ne_u32_e32 vcc_lo, 0, v1
	s_cbranch_vccnz .LBB50_109
; %bb.106:                              ;   in Loop: Header=BB50_7 Depth=1
	s_and_saveexec_b32 s15, s2
; %bb.107:                              ;   in Loop: Header=BB50_7 Depth=1
	v_mov_b32_e32 v1, s12
	ds_store_b32 v7, v1 offset:4100
; %bb.108:                              ;   in Loop: Header=BB50_7 Depth=1
	s_wait_alu 0xfffe
	s_or_b32 exec_lo, exec_lo, s15
	s_wait_loadcnt_dscnt 0x0
	s_barrier_signal -1
	s_barrier_wait -1
	global_inv scope:SCOPE_SE
.LBB50_109:                             ;   in Loop: Header=BB50_7 Depth=1
	s_wait_alu 0xfffe
	s_or_saveexec_b32 s14, s14
	v_mov_b32_e32 v3, 8
	s_mov_b32 s15, 0
	s_wait_alu 0xfffe
	s_xor_b32 exec_lo, exec_lo, s14
; %bb.110:                              ;   in Loop: Header=BB50_7 Depth=1
	v_subrev_nc_u32_e32 v33, s12, v33
	v_mov_b32_e32 v3, 0
	s_mov_b32 s15, exec_lo
; %bb.111:                              ;   in Loop: Header=BB50_7 Depth=1
	s_or_b32 exec_lo, exec_lo, s14
	s_delay_alu instid0(VALU_DEP_2)
	v_mov_b32_e32 v4, v33
	s_wait_alu 0xfffe
	s_and_b32 s20, s15, exec_lo
.LBB50_112:                             ;   in Loop: Header=BB50_7 Depth=1
	s_wait_alu 0xfffe
	s_or_b32 exec_lo, exec_lo, s13
	s_mov_b32 s12, -1
	s_mov_b32 s18, -1
                                        ; implicit-def: $sgpr14
                                        ; implicit-def: $sgpr15
	s_and_saveexec_b32 s13, s20
	s_wait_alu 0xfffe
	s_xor_b32 s13, exec_lo, s13
	s_cbranch_execz .LBB50_235
; %bb.113:                              ;   in Loop: Header=BB50_7 Depth=1
	v_cmp_eq_u32_e32 vcc_lo, 1, v4
	s_cmp_eq_u32 s19, 1
	s_mov_b32 s21, -1
	s_cselect_b32 s14, -1, 0
                                        ; implicit-def: $sgpr15
	s_wait_alu 0xfffe
	s_and_b32 s20, s14, vcc_lo
                                        ; implicit-def: $sgpr14
	s_wait_alu 0xfffe
	s_and_saveexec_b32 s18, s20
	s_cbranch_execz .LBB50_141
; %bb.114:                              ;   in Loop: Header=BB50_7 Depth=1
	ds_load_b32 v1, v7 offset:4096
	s_wait_loadcnt_dscnt 0x0
	s_barrier_signal -1
	s_barrier_wait -1
	global_inv scope:SCOPE_SE
	v_readfirstlane_b32 s21, v1
	s_and_saveexec_b32 s14, s1
; %bb.115:                              ;   in Loop: Header=BB50_7 Depth=1
	ds_store_b32 v20, v7
; %bb.116:                              ;   in Loop: Header=BB50_7 Depth=1
	s_wait_alu 0xfffe
	s_or_b32 exec_lo, exec_lo, s14
	s_lshl_b32 s14, 1, s91
	v_or_b32_e32 v32, s10, v32
	s_wait_alu 0xfffe
	v_and_or_b32 v24, v24, s17, s14
	s_mov_b32 s14, -1
	s_mov_b32 s15, 0
	s_cmp_gt_i32 s21, 0
	s_mov_b32 s22, 0
	s_mov_b32 s23, -1
	s_wait_loadcnt_dscnt 0x0
	s_barrier_signal -1
	s_barrier_wait -1
	global_inv scope:SCOPE_SE
                                        ; implicit-def: $vgpr15
	s_cbranch_scc1 .LBB50_128
; %bb.117:                              ;   in Loop: Header=BB50_7 Depth=1
	s_mov_b32 s23, 0
                                        ; implicit-def: $vgpr15
	s_and_saveexec_b32 s24, s8
	s_cbranch_execz .LBB50_127
; %bb.118:                              ;   in Loop: Header=BB50_7 Depth=1
	v_dual_mov_b32 v1, v5 :: v_dual_mov_b32 v6, v0
                                        ; implicit-def: $sgpr25
	s_branch .LBB50_122
.LBB50_119:                             ;   in Loop: Header=BB50_122 Depth=2
	s_wait_alu 0xfffe
	s_or_b32 exec_lo, exec_lo, s26
	s_wait_loadcnt_dscnt 0x0
	s_barrier_signal -1
	s_barrier_wait -1
	global_inv scope:SCOPE_SE
	ds_load_b64 v[14:15], v7 offset:3072
	s_wait_loadcnt_dscnt 0x0
	s_barrier_signal -1
	s_barrier_wait -1
	global_inv scope:SCOPE_SE
	v_cmp_neq_f32_e32 vcc_lo, 0, v14
	s_cbranch_vccnz .LBB50_125
; %bb.120:                              ;   in Loop: Header=BB50_122 Depth=2
	v_add_nc_u32_e32 v6, s49, v6
	v_add_nc_u32_e32 v1, s73, v1
	s_mov_b32 s26, 0
	s_delay_alu instid0(VALU_DEP_2)
	v_cmp_le_i32_e32 vcc_lo, s82, v6
	s_or_not1_b32 s27, vcc_lo, exec_lo
.LBB50_121:                             ;   in Loop: Header=BB50_122 Depth=2
	s_wait_alu 0xfffe
	s_and_b32 s27, exec_lo, s27
	s_wait_alu 0xfffe
	s_or_b32 s22, s27, s22
	s_and_not1_b32 s25, s25, exec_lo
	s_and_b32 s26, s26, exec_lo
	s_wait_alu 0xfffe
	s_or_b32 s25, s25, s26
	s_and_not1_b32 exec_lo, exec_lo, s22
	s_cbranch_execz .LBB50_126
.LBB50_122:                             ;   Parent Loop BB50_7 Depth=1
                                        ; =>  This Inner Loop Header: Depth=2
	s_mov_b32 s26, exec_lo
	s_delay_alu instid0(VALU_DEP_1)
	v_cmpx_gt_i32_e64 s36, v6
	s_cbranch_execz .LBB50_119
; %bb.123:                              ;   in Loop: Header=BB50_122 Depth=2
	v_ashrrev_i32_e32 v2, 31, v1
	s_delay_alu instid0(VALU_DEP_1) | instskip(NEXT) | instid1(VALU_DEP_1)
	v_lshlrev_b64_e32 v[14:15], 2, v[1:2]
	v_add_co_u32 v14, vcc_lo, s60, v14
	s_wait_alu 0xfffd
	s_delay_alu instid0(VALU_DEP_2)
	v_add_co_ci_u32_e64 v15, null, s61, v15, vcc_lo
	global_load_b32 v14, v[14:15], off
	s_wait_loadcnt 0x0
	v_cmp_lt_i32_e32 vcc_lo, -1, v14
	s_wait_alu 0xfffd
	v_cndmask_b32_e64 v2, -1, 0x80000000, vcc_lo
	v_cmp_o_f32_e32 vcc_lo, v14, v14
	s_delay_alu instid0(VALU_DEP_2) | instskip(SKIP_1) | instid1(VALU_DEP_1)
	v_xor_b32_e32 v2, v2, v14
	s_wait_alu 0xfffd
	v_cndmask_b32_e32 v2, -1, v2, vcc_lo
	s_delay_alu instid0(VALU_DEP_1) | instskip(NEXT) | instid1(VALU_DEP_1)
	v_and_b32_e32 v2, v2, v32
	v_cmp_eq_u32_e32 vcc_lo, v2, v24
	s_and_b32 exec_lo, exec_lo, vcc_lo
	s_cbranch_execz .LBB50_119
; %bb.124:                              ;   in Loop: Header=BB50_122 Depth=2
	ds_store_b64 v7, v[13:14] offset:3072
	s_branch .LBB50_119
.LBB50_125:                             ;   in Loop: Header=BB50_122 Depth=2
	s_mov_b32 s27, -1
	s_mov_b32 s26, -1
                                        ; implicit-def: $vgpr6
                                        ; implicit-def: $vgpr1
	s_branch .LBB50_121
.LBB50_126:                             ;   in Loop: Header=BB50_7 Depth=1
	s_or_b32 exec_lo, exec_lo, s22
	s_wait_alu 0xfffe
	s_and_b32 s22, s25, exec_lo
.LBB50_127:                             ;   in Loop: Header=BB50_7 Depth=1
	s_wait_alu 0xfffe
	s_or_b32 exec_lo, exec_lo, s24
.LBB50_128:                             ;   in Loop: Header=BB50_7 Depth=1
	s_wait_alu 0xfffe
	s_and_b32 vcc_lo, exec_lo, s23
	s_wait_alu 0xfffe
	s_cbranch_vccz .LBB50_140
; %bb.129:                              ;   in Loop: Header=BB50_7 Depth=1
	s_add_co_i32 s23, s21, s56
                                        ; implicit-def: $vgpr15
	s_wait_alu 0xfffe
	s_abs_i32 s58, s23
	s_wait_alu 0xfffe
	s_mul_u64 s[14:15], s[58:59], s[64:65]
	s_wait_alu 0xfffe
	s_mul_i32 s14, s15, s49
	s_ashr_i32 s15, s23, 31
	s_wait_alu 0xfffe
	s_sub_co_i32 s14, s58, s14
	s_wait_alu 0xfffe
	s_sub_co_i32 s24, s14, s49
	s_cmp_ge_u32 s14, s49
	s_wait_alu 0xfffe
	s_cselect_b32 s14, s24, s14
	s_wait_alu 0xfffe
	s_sub_co_i32 s24, s14, s49
	s_cmp_ge_u32 s14, s49
	s_wait_alu 0xfffe
	s_cselect_b32 s14, s24, s14
	s_wait_alu 0xfffe
	s_xor_b32 s14, s14, s15
	s_wait_alu 0xfffe
	s_sub_co_i32 s14, s15, s14
	s_wait_alu 0xfffe
	s_add_co_i32 s15, s23, s14
	s_mov_b32 s14, exec_lo
	s_wait_alu 0xfffe
	v_cmpx_gt_i32_e64 s15, v0
	s_cbranch_execz .LBB50_139
; %bb.130:                              ;   in Loop: Header=BB50_7 Depth=1
	v_dual_mov_b32 v1, v19 :: v_dual_mov_b32 v2, v0
	s_mov_b32 s23, 0
                                        ; implicit-def: $sgpr24
	s_branch .LBB50_134
.LBB50_131:                             ;   in Loop: Header=BB50_134 Depth=2
	s_wait_alu 0xfffe
	s_or_b32 exec_lo, exec_lo, s25
	s_wait_loadcnt_dscnt 0x0
	s_barrier_signal -1
	s_barrier_wait -1
	global_inv scope:SCOPE_SE
	ds_load_b64 v[14:15], v7 offset:3072
	s_wait_loadcnt_dscnt 0x0
	s_barrier_signal -1
	s_barrier_wait -1
	global_inv scope:SCOPE_SE
	v_cmp_eq_f32_e32 vcc_lo, 0, v14
	s_cbranch_vccz .LBB50_137
; %bb.132:                              ;   in Loop: Header=BB50_134 Depth=2
	v_add_nc_u32_e32 v2, s49, v2
	v_add_nc_u32_e32 v1, s51, v1
	s_mov_b32 s25, 0
	s_delay_alu instid0(VALU_DEP_2)
	v_cmp_le_i32_e32 vcc_lo, s15, v2
	s_or_not1_b32 s26, vcc_lo, exec_lo
.LBB50_133:                             ;   in Loop: Header=BB50_134 Depth=2
	s_wait_alu 0xfffe
	s_and_b32 s26, exec_lo, s26
	s_wait_alu 0xfffe
	s_or_b32 s23, s26, s23
	s_and_not1_b32 s24, s24, exec_lo
	s_and_b32 s25, s25, exec_lo
	s_wait_alu 0xfffe
	s_or_b32 s24, s24, s25
	s_and_not1_b32 exec_lo, exec_lo, s23
	s_cbranch_execz .LBB50_138
.LBB50_134:                             ;   Parent Loop BB50_7 Depth=1
                                        ; =>  This Inner Loop Header: Depth=2
	s_mov_b32 s25, exec_lo
	s_delay_alu instid0(VALU_DEP_1)
	v_cmpx_gt_i32_e64 s21, v2
	s_cbranch_execz .LBB50_131
; %bb.135:                              ;   in Loop: Header=BB50_134 Depth=2
	ds_load_b32 v14, v1
	s_wait_dscnt 0x0
	v_cmp_lt_i32_e32 vcc_lo, -1, v14
	s_wait_alu 0xfffd
	v_cndmask_b32_e64 v6, -1, 0x80000000, vcc_lo
	v_cmp_o_f32_e32 vcc_lo, v14, v14
	s_delay_alu instid0(VALU_DEP_2) | instskip(SKIP_1) | instid1(VALU_DEP_1)
	v_xor_b32_e32 v6, v6, v14
	s_wait_alu 0xfffd
	v_cndmask_b32_e32 v6, -1, v6, vcc_lo
	s_delay_alu instid0(VALU_DEP_1) | instskip(NEXT) | instid1(VALU_DEP_1)
	v_and_b32_e32 v6, v6, v32
	v_cmp_eq_u32_e32 vcc_lo, v6, v24
	s_and_b32 exec_lo, exec_lo, vcc_lo
	s_cbranch_execz .LBB50_131
; %bb.136:                              ;   in Loop: Header=BB50_134 Depth=2
	ds_store_b64 v7, v[13:14] offset:3072
	s_branch .LBB50_131
.LBB50_137:                             ;   in Loop: Header=BB50_134 Depth=2
	s_mov_b32 s26, -1
	s_mov_b32 s25, -1
                                        ; implicit-def: $vgpr2
                                        ; implicit-def: $vgpr1
	s_branch .LBB50_133
.LBB50_138:                             ;   in Loop: Header=BB50_7 Depth=1
	s_or_b32 exec_lo, exec_lo, s23
	s_delay_alu instid0(SALU_CYCLE_1)
	s_and_not1_b32 s15, s22, exec_lo
	s_wait_alu 0xfffe
	s_and_b32 s21, s24, exec_lo
	s_wait_alu 0xfffe
	s_or_b32 s22, s15, s21
.LBB50_139:                             ;   in Loop: Header=BB50_7 Depth=1
	s_or_b32 exec_lo, exec_lo, s14
	s_mov_b32 s14, 0
	s_mov_b32 s15, -1
.LBB50_140:                             ;   in Loop: Header=BB50_7 Depth=1
	s_wait_alu 0xfffe
	s_or_not1_b32 s21, s22, exec_lo
.LBB50_141:                             ;   in Loop: Header=BB50_7 Depth=1
	s_wait_alu 0xfffe
	s_or_b32 exec_lo, exec_lo, s18
	s_mov_b32 s22, 0
	s_and_saveexec_b32 s18, s21
	s_cbranch_execz .LBB50_234
; %bb.142:                              ;   in Loop: Header=BB50_7 Depth=1
	v_dual_mov_b32 v6, 1 :: v_dual_mov_b32 v3, 1
	s_xor_b32 s21, s20, -1
	s_mov_b32 s23, 0
	s_wait_alu 0xfffe
	s_and_saveexec_b32 s20, s21
	s_cbranch_execz .LBB50_151
; %bb.143:                              ;   in Loop: Header=BB50_7 Depth=1
	s_mov_b32 s21, exec_lo
	v_cmpx_ge_i32_e64 s19, v4
	s_wait_alu 0xfffe
	s_xor_b32 s21, exec_lo, s21
	s_cbranch_execz .LBB50_148
; %bb.144:                              ;   in Loop: Header=BB50_7 Depth=1
	ds_load_b32 v1, v7 offset:4096
	s_lshl_b32 s22, 1, s91
	v_or_b32_e32 v32, s10, v32
	s_wait_alu 0xfffe
	v_and_or_b32 v24, v24, s17, s22
	s_wait_dscnt 0x0
	v_cmp_ne_u32_e32 vcc_lo, 0, v1
	s_cbranch_vccnz .LBB50_148
; %bb.145:                              ;   in Loop: Header=BB50_7 Depth=1
	s_and_saveexec_b32 s22, s2
; %bb.146:                              ;   in Loop: Header=BB50_7 Depth=1
	v_mov_b32_e32 v1, s19
	ds_store_b32 v7, v1 offset:4100
; %bb.147:                              ;   in Loop: Header=BB50_7 Depth=1
	s_wait_alu 0xfffe
	s_or_b32 exec_lo, exec_lo, s22
	s_wait_loadcnt_dscnt 0x0
	s_barrier_signal -1
	s_barrier_wait -1
	global_inv scope:SCOPE_SE
.LBB50_148:                             ;   in Loop: Header=BB50_7 Depth=1
	s_wait_alu 0xfffe
	s_or_saveexec_b32 s21, s21
	v_mov_b32_e32 v3, 8
	s_mov_b32 s22, 0
	s_wait_alu 0xfffe
	s_xor_b32 exec_lo, exec_lo, s21
; %bb.149:                              ;   in Loop: Header=BB50_7 Depth=1
	v_subrev_nc_u32_e32 v4, s19, v4
	v_mov_b32_e32 v3, 0
	s_mov_b32 s22, exec_lo
; %bb.150:                              ;   in Loop: Header=BB50_7 Depth=1
	s_or_b32 exec_lo, exec_lo, s21
	s_delay_alu instid0(VALU_DEP_2)
	v_mov_b32_e32 v6, v4
	s_wait_alu 0xfffe
	s_and_b32 s23, s22, exec_lo
.LBB50_151:                             ;   in Loop: Header=BB50_7 Depth=1
	s_wait_alu 0xfffe
	s_or_b32 exec_lo, exec_lo, s20
	s_mov_b32 s22, -1
                                        ; implicit-def: $sgpr20
                                        ; implicit-def: $sgpr21
	s_and_saveexec_b32 s19, s23
	s_cbranch_execz .LBB50_233
; %bb.152:                              ;   in Loop: Header=BB50_7 Depth=1
	v_cmp_eq_u32_e32 vcc_lo, 1, v6
	s_cmp_eq_u32 s16, 1
	s_mov_b32 s24, -1
	s_cselect_b32 s20, -1, 0
                                        ; implicit-def: $sgpr21
	s_wait_alu 0xfffe
	s_and_b32 s23, s20, vcc_lo
                                        ; implicit-def: $sgpr20
	s_wait_alu 0xfffe
	s_and_saveexec_b32 s22, s23
	s_cbranch_execz .LBB50_180
; %bb.153:                              ;   in Loop: Header=BB50_7 Depth=1
	ds_load_b32 v1, v7 offset:4096
	s_wait_loadcnt_dscnt 0x0
	s_barrier_signal -1
	s_barrier_wait -1
	global_inv scope:SCOPE_SE
	v_readfirstlane_b32 s24, v1
	s_and_saveexec_b32 s20, s1
; %bb.154:                              ;   in Loop: Header=BB50_7 Depth=1
	ds_store_b32 v20, v7
; %bb.155:                              ;   in Loop: Header=BB50_7 Depth=1
	s_wait_alu 0xfffe
	s_or_b32 exec_lo, exec_lo, s20
	s_lshl_b32 s20, 2, s91
	v_or_b32_e32 v32, s10, v32
	s_wait_alu 0xfffe
	v_and_or_b32 v24, v24, s17, s20
	s_mov_b32 s20, -1
	s_mov_b32 s21, 0
	s_cmp_gt_i32 s24, 0
	s_mov_b32 s25, 0
	s_mov_b32 s26, -1
	s_wait_loadcnt_dscnt 0x0
	s_barrier_signal -1
	s_barrier_wait -1
	global_inv scope:SCOPE_SE
                                        ; implicit-def: $vgpr15
	s_cbranch_scc1 .LBB50_167
; %bb.156:                              ;   in Loop: Header=BB50_7 Depth=1
	s_mov_b32 s26, 0
                                        ; implicit-def: $vgpr15
	s_and_saveexec_b32 s27, s8
	s_cbranch_execz .LBB50_166
; %bb.157:                              ;   in Loop: Header=BB50_7 Depth=1
	v_dual_mov_b32 v1, v5 :: v_dual_mov_b32 v4, v0
                                        ; implicit-def: $sgpr28
	s_branch .LBB50_161
.LBB50_158:                             ;   in Loop: Header=BB50_161 Depth=2
	s_wait_alu 0xfffe
	s_or_b32 exec_lo, exec_lo, s58
	s_wait_loadcnt_dscnt 0x0
	s_barrier_signal -1
	s_barrier_wait -1
	global_inv scope:SCOPE_SE
	ds_load_b64 v[14:15], v7 offset:3072
	s_wait_loadcnt_dscnt 0x0
	s_barrier_signal -1
	s_barrier_wait -1
	global_inv scope:SCOPE_SE
	v_cmp_neq_f32_e32 vcc_lo, 0, v14
	s_cbranch_vccnz .LBB50_164
; %bb.159:                              ;   in Loop: Header=BB50_161 Depth=2
	v_add_nc_u32_e32 v4, s49, v4
	v_add_nc_u32_e32 v1, s73, v1
	s_mov_b32 s58, 0
	s_delay_alu instid0(VALU_DEP_2)
	v_cmp_le_i32_e32 vcc_lo, s82, v4
	s_or_not1_b32 s92, vcc_lo, exec_lo
.LBB50_160:                             ;   in Loop: Header=BB50_161 Depth=2
	s_wait_alu 0xfffe
	s_and_b32 s92, exec_lo, s92
	s_wait_alu 0xfffe
	s_or_b32 s25, s92, s25
	s_and_not1_b32 s28, s28, exec_lo
	s_and_b32 s58, s58, exec_lo
	s_wait_alu 0xfffe
	s_or_b32 s28, s28, s58
	s_and_not1_b32 exec_lo, exec_lo, s25
	s_cbranch_execz .LBB50_165
.LBB50_161:                             ;   Parent Loop BB50_7 Depth=1
                                        ; =>  This Inner Loop Header: Depth=2
	s_mov_b32 s58, exec_lo
	s_delay_alu instid0(VALU_DEP_1)
	v_cmpx_gt_i32_e64 s36, v4
	s_cbranch_execz .LBB50_158
; %bb.162:                              ;   in Loop: Header=BB50_161 Depth=2
	v_ashrrev_i32_e32 v2, 31, v1
	s_delay_alu instid0(VALU_DEP_1) | instskip(NEXT) | instid1(VALU_DEP_1)
	v_lshlrev_b64_e32 v[14:15], 2, v[1:2]
	v_add_co_u32 v14, vcc_lo, s60, v14
	s_wait_alu 0xfffd
	s_delay_alu instid0(VALU_DEP_2)
	v_add_co_ci_u32_e64 v15, null, s61, v15, vcc_lo
	global_load_b32 v14, v[14:15], off
	s_wait_loadcnt 0x0
	v_cmp_lt_i32_e32 vcc_lo, -1, v14
	s_wait_alu 0xfffd
	v_cndmask_b32_e64 v2, -1, 0x80000000, vcc_lo
	v_cmp_o_f32_e32 vcc_lo, v14, v14
	s_delay_alu instid0(VALU_DEP_2) | instskip(SKIP_1) | instid1(VALU_DEP_1)
	v_xor_b32_e32 v2, v2, v14
	s_wait_alu 0xfffd
	v_cndmask_b32_e32 v2, -1, v2, vcc_lo
	s_delay_alu instid0(VALU_DEP_1) | instskip(NEXT) | instid1(VALU_DEP_1)
	v_and_b32_e32 v2, v2, v32
	v_cmp_eq_u32_e32 vcc_lo, v2, v24
	s_and_b32 exec_lo, exec_lo, vcc_lo
	s_cbranch_execz .LBB50_158
; %bb.163:                              ;   in Loop: Header=BB50_161 Depth=2
	ds_store_b64 v7, v[13:14] offset:3072
	s_branch .LBB50_158
.LBB50_164:                             ;   in Loop: Header=BB50_161 Depth=2
	s_mov_b32 s92, -1
	s_mov_b32 s58, -1
                                        ; implicit-def: $vgpr4
                                        ; implicit-def: $vgpr1
	s_branch .LBB50_160
.LBB50_165:                             ;   in Loop: Header=BB50_7 Depth=1
	s_or_b32 exec_lo, exec_lo, s25
	s_delay_alu instid0(SALU_CYCLE_1)
	s_and_b32 s25, s28, exec_lo
.LBB50_166:                             ;   in Loop: Header=BB50_7 Depth=1
	s_wait_alu 0xfffe
	s_or_b32 exec_lo, exec_lo, s27
.LBB50_167:                             ;   in Loop: Header=BB50_7 Depth=1
	s_wait_alu 0xfffe
	s_and_b32 vcc_lo, exec_lo, s26
	s_wait_alu 0xfffe
	s_cbranch_vccz .LBB50_179
; %bb.168:                              ;   in Loop: Header=BB50_7 Depth=1
	s_add_co_i32 s26, s24, s56
                                        ; implicit-def: $vgpr15
	s_wait_alu 0xfffe
	s_abs_i32 s58, s26
	s_wait_alu 0xfffe
	s_mul_u64 s[20:21], s[58:59], s[64:65]
	s_wait_alu 0xfffe
	s_mul_i32 s20, s21, s49
	s_ashr_i32 s21, s26, 31
	s_wait_alu 0xfffe
	s_sub_co_i32 s20, s58, s20
	s_wait_alu 0xfffe
	s_sub_co_i32 s27, s20, s49
	s_cmp_ge_u32 s20, s49
	s_wait_alu 0xfffe
	s_cselect_b32 s20, s27, s20
	s_wait_alu 0xfffe
	s_sub_co_i32 s27, s20, s49
	s_cmp_ge_u32 s20, s49
	s_wait_alu 0xfffe
	s_cselect_b32 s20, s27, s20
	s_wait_alu 0xfffe
	s_xor_b32 s20, s20, s21
	s_wait_alu 0xfffe
	s_sub_co_i32 s20, s21, s20
	s_wait_alu 0xfffe
	s_add_co_i32 s21, s26, s20
	s_mov_b32 s20, exec_lo
	s_wait_alu 0xfffe
	v_cmpx_gt_i32_e64 s21, v0
	s_cbranch_execz .LBB50_178
; %bb.169:                              ;   in Loop: Header=BB50_7 Depth=1
	v_dual_mov_b32 v1, v19 :: v_dual_mov_b32 v2, v0
	s_mov_b32 s26, 0
                                        ; implicit-def: $sgpr27
	s_branch .LBB50_173
.LBB50_170:                             ;   in Loop: Header=BB50_173 Depth=2
	s_or_b32 exec_lo, exec_lo, s28
	s_wait_loadcnt_dscnt 0x0
	s_barrier_signal -1
	s_barrier_wait -1
	global_inv scope:SCOPE_SE
	ds_load_b64 v[14:15], v7 offset:3072
	s_wait_loadcnt_dscnt 0x0
	s_barrier_signal -1
	s_barrier_wait -1
	global_inv scope:SCOPE_SE
	v_cmp_eq_f32_e32 vcc_lo, 0, v14
	s_cbranch_vccz .LBB50_176
; %bb.171:                              ;   in Loop: Header=BB50_173 Depth=2
	v_add_nc_u32_e32 v2, s49, v2
	v_add_nc_u32_e32 v1, s51, v1
	s_mov_b32 s28, 0
	s_delay_alu instid0(VALU_DEP_2)
	v_cmp_le_i32_e32 vcc_lo, s21, v2
	s_or_not1_b32 s58, vcc_lo, exec_lo
.LBB50_172:                             ;   in Loop: Header=BB50_173 Depth=2
	s_wait_alu 0xfffe
	s_and_b32 s58, exec_lo, s58
	s_wait_alu 0xfffe
	s_or_b32 s26, s58, s26
	s_and_not1_b32 s27, s27, exec_lo
	s_and_b32 s28, s28, exec_lo
	s_wait_alu 0xfffe
	s_or_b32 s27, s27, s28
	s_and_not1_b32 exec_lo, exec_lo, s26
	s_cbranch_execz .LBB50_177
.LBB50_173:                             ;   Parent Loop BB50_7 Depth=1
                                        ; =>  This Inner Loop Header: Depth=2
	s_mov_b32 s28, exec_lo
	s_delay_alu instid0(VALU_DEP_1)
	v_cmpx_gt_i32_e64 s24, v2
	s_cbranch_execz .LBB50_170
; %bb.174:                              ;   in Loop: Header=BB50_173 Depth=2
	ds_load_b32 v14, v1
	s_wait_dscnt 0x0
	v_cmp_lt_i32_e32 vcc_lo, -1, v14
	s_wait_alu 0xfffd
	v_cndmask_b32_e64 v4, -1, 0x80000000, vcc_lo
	v_cmp_o_f32_e32 vcc_lo, v14, v14
	s_delay_alu instid0(VALU_DEP_2) | instskip(SKIP_1) | instid1(VALU_DEP_1)
	v_xor_b32_e32 v4, v4, v14
	s_wait_alu 0xfffd
	v_cndmask_b32_e32 v4, -1, v4, vcc_lo
	s_delay_alu instid0(VALU_DEP_1) | instskip(NEXT) | instid1(VALU_DEP_1)
	v_and_b32_e32 v4, v4, v32
	v_cmp_eq_u32_e32 vcc_lo, v4, v24
	s_and_b32 exec_lo, exec_lo, vcc_lo
	s_cbranch_execz .LBB50_170
; %bb.175:                              ;   in Loop: Header=BB50_173 Depth=2
	ds_store_b64 v7, v[13:14] offset:3072
	s_branch .LBB50_170
.LBB50_176:                             ;   in Loop: Header=BB50_173 Depth=2
	s_mov_b32 s58, -1
	s_mov_b32 s28, -1
                                        ; implicit-def: $vgpr2
                                        ; implicit-def: $vgpr1
	s_branch .LBB50_172
.LBB50_177:                             ;   in Loop: Header=BB50_7 Depth=1
	s_or_b32 exec_lo, exec_lo, s26
	s_delay_alu instid0(SALU_CYCLE_1)
	s_and_not1_b32 s21, s25, exec_lo
	s_wait_alu 0xfffe
	s_and_b32 s24, s27, exec_lo
	s_wait_alu 0xfffe
	s_or_b32 s25, s21, s24
.LBB50_178:                             ;   in Loop: Header=BB50_7 Depth=1
	s_or_b32 exec_lo, exec_lo, s20
	s_mov_b32 s20, 0
	s_mov_b32 s21, -1
.LBB50_179:                             ;   in Loop: Header=BB50_7 Depth=1
	s_wait_alu 0xfffe
	s_or_not1_b32 s24, s25, exec_lo
.LBB50_180:                             ;   in Loop: Header=BB50_7 Depth=1
	s_wait_alu 0xfffe
	s_or_b32 exec_lo, exec_lo, s22
	s_mov_b32 s25, 0
	s_and_saveexec_b32 s22, s24
	s_cbranch_execz .LBB50_232
; %bb.181:                              ;   in Loop: Header=BB50_7 Depth=1
	v_dual_mov_b32 v4, 1 :: v_dual_mov_b32 v3, 1
	s_xor_b32 s24, s23, -1
	s_wait_alu 0xfffe
	s_and_saveexec_b32 s23, s24
	s_cbranch_execz .LBB50_190
; %bb.182:                              ;   in Loop: Header=BB50_7 Depth=1
	s_mov_b32 s24, exec_lo
	v_cmpx_ge_i32_e64 s16, v6
	s_wait_alu 0xfffe
	s_xor_b32 s24, exec_lo, s24
	s_cbranch_execz .LBB50_187
; %bb.183:                              ;   in Loop: Header=BB50_7 Depth=1
	ds_load_b32 v1, v7 offset:4096
	s_lshl_b32 s25, 2, s91
	v_or_b32_e32 v32, s10, v32
	s_wait_alu 0xfffe
	v_and_or_b32 v24, v24, s17, s25
	s_wait_dscnt 0x0
	v_cmp_ne_u32_e32 vcc_lo, 0, v1
	s_cbranch_vccnz .LBB50_187
; %bb.184:                              ;   in Loop: Header=BB50_7 Depth=1
	s_and_saveexec_b32 s17, s2
; %bb.185:                              ;   in Loop: Header=BB50_7 Depth=1
	v_mov_b32_e32 v1, s16
	ds_store_b32 v7, v1 offset:4100
; %bb.186:                              ;   in Loop: Header=BB50_7 Depth=1
	s_wait_alu 0xfffe
	s_or_b32 exec_lo, exec_lo, s17
	s_wait_loadcnt_dscnt 0x0
	s_barrier_signal -1
	s_barrier_wait -1
	global_inv scope:SCOPE_SE
.LBB50_187:                             ;   in Loop: Header=BB50_7 Depth=1
	s_wait_alu 0xfffe
	s_or_saveexec_b32 s17, s24
	v_mov_b32_e32 v3, 8
	s_mov_b32 s24, 0
	s_wait_alu 0xfffe
	s_xor_b32 exec_lo, exec_lo, s17
; %bb.188:                              ;   in Loop: Header=BB50_7 Depth=1
	v_subrev_nc_u32_e32 v6, s16, v6
	v_mov_b32_e32 v3, 0
	s_mov_b32 s24, exec_lo
; %bb.189:                              ;   in Loop: Header=BB50_7 Depth=1
	s_or_b32 exec_lo, exec_lo, s17
	s_delay_alu instid0(VALU_DEP_2)
	v_mov_b32_e32 v4, v6
	s_wait_alu 0xfffe
	s_and_b32 s25, s24, exec_lo
.LBB50_190:                             ;   in Loop: Header=BB50_7 Depth=1
	s_wait_alu 0xfffe
	s_or_b32 exec_lo, exec_lo, s23
	s_mov_b32 s17, -1
                                        ; implicit-def: $sgpr24
                                        ; implicit-def: $sgpr23
	s_and_saveexec_b32 s16, s25
	s_cbranch_execz .LBB50_231
; %bb.191:                              ;   in Loop: Header=BB50_7 Depth=1
	v_cmp_eq_u32_e32 vcc_lo, 1, v4
	s_cmp_eq_u32 s9, 1
	s_mov_b32 s26, -1
	s_cselect_b32 s17, -1, 0
                                        ; implicit-def: $sgpr24
                                        ; implicit-def: $sgpr23
	s_wait_alu 0xfffe
	s_and_b32 s17, s17, vcc_lo
	s_wait_alu 0xfffe
	s_and_saveexec_b32 s25, s17
	s_cbranch_execz .LBB50_219
; %bb.192:                              ;   in Loop: Header=BB50_7 Depth=1
	ds_load_b32 v1, v7 offset:4096
	s_wait_loadcnt_dscnt 0x0
	s_barrier_signal -1
	s_barrier_wait -1
	global_inv scope:SCOPE_SE
	v_readfirstlane_b32 s26, v1
	s_and_saveexec_b32 s23, s1
; %bb.193:                              ;   in Loop: Header=BB50_7 Depth=1
	ds_store_b32 v20, v7
; %bb.194:                              ;   in Loop: Header=BB50_7 Depth=1
	s_wait_alu 0xfffe
	s_or_b32 exec_lo, exec_lo, s23
	v_or_b32_e32 v24, s10, v24
	v_or_b32_e32 v32, s10, v32
	s_mov_b32 s23, -1
	s_mov_b32 s24, 0
	s_cmp_gt_i32 s26, 0
	s_mov_b32 s27, 0
	s_mov_b32 s28, -1
	s_wait_loadcnt_dscnt 0x0
	s_barrier_signal -1
	s_barrier_wait -1
	global_inv scope:SCOPE_SE
                                        ; implicit-def: $vgpr15
	s_cbranch_scc1 .LBB50_206
; %bb.195:                              ;   in Loop: Header=BB50_7 Depth=1
	s_mov_b32 s28, 0
                                        ; implicit-def: $vgpr15
	s_and_saveexec_b32 s58, s8
	s_cbranch_execz .LBB50_205
; %bb.196:                              ;   in Loop: Header=BB50_7 Depth=1
	v_dual_mov_b32 v1, v5 :: v_dual_mov_b32 v6, v0
                                        ; implicit-def: $sgpr92
	s_branch .LBB50_200
.LBB50_197:                             ;   in Loop: Header=BB50_200 Depth=2
	s_wait_alu 0xfffe
	s_or_b32 exec_lo, exec_lo, s93
	s_wait_loadcnt_dscnt 0x0
	s_barrier_signal -1
	s_barrier_wait -1
	global_inv scope:SCOPE_SE
	ds_load_b64 v[14:15], v7 offset:3072
	s_wait_loadcnt_dscnt 0x0
	s_barrier_signal -1
	s_barrier_wait -1
	global_inv scope:SCOPE_SE
	v_cmp_neq_f32_e32 vcc_lo, 0, v14
	s_cbranch_vccnz .LBB50_203
; %bb.198:                              ;   in Loop: Header=BB50_200 Depth=2
	v_add_nc_u32_e32 v6, s49, v6
	v_add_nc_u32_e32 v1, s73, v1
	s_mov_b32 s93, 0
	s_delay_alu instid0(VALU_DEP_2)
	v_cmp_le_i32_e32 vcc_lo, s82, v6
	s_or_not1_b32 s94, vcc_lo, exec_lo
.LBB50_199:                             ;   in Loop: Header=BB50_200 Depth=2
	s_wait_alu 0xfffe
	s_and_b32 s94, exec_lo, s94
	s_wait_alu 0xfffe
	s_or_b32 s27, s94, s27
	s_and_not1_b32 s92, s92, exec_lo
	s_and_b32 s93, s93, exec_lo
	s_wait_alu 0xfffe
	s_or_b32 s92, s92, s93
	s_and_not1_b32 exec_lo, exec_lo, s27
	s_cbranch_execz .LBB50_204
.LBB50_200:                             ;   Parent Loop BB50_7 Depth=1
                                        ; =>  This Inner Loop Header: Depth=2
	s_mov_b32 s93, exec_lo
	s_delay_alu instid0(VALU_DEP_1)
	v_cmpx_gt_i32_e64 s36, v6
	s_cbranch_execz .LBB50_197
; %bb.201:                              ;   in Loop: Header=BB50_200 Depth=2
	v_ashrrev_i32_e32 v2, 31, v1
	s_delay_alu instid0(VALU_DEP_1) | instskip(NEXT) | instid1(VALU_DEP_1)
	v_lshlrev_b64_e32 v[14:15], 2, v[1:2]
	v_add_co_u32 v14, vcc_lo, s60, v14
	s_wait_alu 0xfffd
	s_delay_alu instid0(VALU_DEP_2)
	v_add_co_ci_u32_e64 v15, null, s61, v15, vcc_lo
	global_load_b32 v14, v[14:15], off
	s_wait_loadcnt 0x0
	v_cmp_lt_i32_e32 vcc_lo, -1, v14
	s_wait_alu 0xfffd
	v_cndmask_b32_e64 v2, -1, 0x80000000, vcc_lo
	v_cmp_o_f32_e32 vcc_lo, v14, v14
	s_delay_alu instid0(VALU_DEP_2) | instskip(SKIP_1) | instid1(VALU_DEP_1)
	v_xor_b32_e32 v2, v2, v14
	s_wait_alu 0xfffd
	v_cndmask_b32_e32 v2, -1, v2, vcc_lo
	s_delay_alu instid0(VALU_DEP_1) | instskip(NEXT) | instid1(VALU_DEP_1)
	v_and_b32_e32 v2, v2, v32
	v_cmp_eq_u32_e32 vcc_lo, v2, v24
	s_and_b32 exec_lo, exec_lo, vcc_lo
	s_cbranch_execz .LBB50_197
; %bb.202:                              ;   in Loop: Header=BB50_200 Depth=2
	ds_store_b64 v7, v[13:14] offset:3072
	s_branch .LBB50_197
.LBB50_203:                             ;   in Loop: Header=BB50_200 Depth=2
	s_mov_b32 s94, -1
	s_mov_b32 s93, -1
                                        ; implicit-def: $vgpr6
                                        ; implicit-def: $vgpr1
	s_branch .LBB50_199
.LBB50_204:                             ;   in Loop: Header=BB50_7 Depth=1
	s_or_b32 exec_lo, exec_lo, s27
	s_wait_alu 0xfffe
	s_and_b32 s27, s92, exec_lo
.LBB50_205:                             ;   in Loop: Header=BB50_7 Depth=1
	s_wait_alu 0xfffe
	s_or_b32 exec_lo, exec_lo, s58
.LBB50_206:                             ;   in Loop: Header=BB50_7 Depth=1
	s_delay_alu instid0(SALU_CYCLE_1)
	s_and_b32 vcc_lo, exec_lo, s28
	s_wait_alu 0xfffe
	s_cbranch_vccz .LBB50_218
; %bb.207:                              ;   in Loop: Header=BB50_7 Depth=1
	s_add_co_i32 s24, s26, s56
                                        ; implicit-def: $vgpr15
	s_wait_alu 0xfffe
	s_abs_i32 s58, s24
	s_ashr_i32 s28, s24, 31
	s_wait_alu 0xfffe
	s_mul_u64 s[92:93], s[58:59], s[64:65]
	s_wait_alu 0xfffe
	s_mul_i32 s23, s93, s49
	s_wait_alu 0xfffe
	s_sub_co_i32 s23, s58, s23
	s_wait_alu 0xfffe
	s_sub_co_i32 s58, s23, s49
	s_cmp_ge_u32 s23, s49
	s_wait_alu 0xfffe
	s_cselect_b32 s23, s58, s23
	s_wait_alu 0xfffe
	s_sub_co_i32 s58, s23, s49
	s_cmp_ge_u32 s23, s49
	s_wait_alu 0xfffe
	s_cselect_b32 s23, s58, s23
	s_wait_alu 0xfffe
	s_xor_b32 s23, s23, s28
	s_wait_alu 0xfffe
	s_sub_co_i32 s23, s28, s23
	s_wait_alu 0xfffe
	s_add_co_i32 s24, s24, s23
	s_mov_b32 s23, exec_lo
	s_wait_alu 0xfffe
	v_cmpx_gt_i32_e64 s24, v0
	s_cbranch_execz .LBB50_217
; %bb.208:                              ;   in Loop: Header=BB50_7 Depth=1
	v_dual_mov_b32 v1, v19 :: v_dual_mov_b32 v2, v0
	s_mov_b32 s28, 0
                                        ; implicit-def: $sgpr58
	s_branch .LBB50_212
.LBB50_209:                             ;   in Loop: Header=BB50_212 Depth=2
	s_wait_alu 0xfffe
	s_or_b32 exec_lo, exec_lo, s92
	s_wait_loadcnt_dscnt 0x0
	s_barrier_signal -1
	s_barrier_wait -1
	global_inv scope:SCOPE_SE
	ds_load_b64 v[14:15], v7 offset:3072
	s_wait_loadcnt_dscnt 0x0
	s_barrier_signal -1
	s_barrier_wait -1
	global_inv scope:SCOPE_SE
	v_cmp_eq_f32_e32 vcc_lo, 0, v14
	s_cbranch_vccz .LBB50_215
; %bb.210:                              ;   in Loop: Header=BB50_212 Depth=2
	v_add_nc_u32_e32 v2, s49, v2
	v_add_nc_u32_e32 v1, s51, v1
	s_mov_b32 s92, 0
	s_delay_alu instid0(VALU_DEP_2)
	v_cmp_le_i32_e32 vcc_lo, s24, v2
	s_or_not1_b32 s93, vcc_lo, exec_lo
.LBB50_211:                             ;   in Loop: Header=BB50_212 Depth=2
	s_wait_alu 0xfffe
	s_and_b32 s93, exec_lo, s93
	s_wait_alu 0xfffe
	s_or_b32 s28, s93, s28
	s_and_not1_b32 s58, s58, exec_lo
	s_and_b32 s92, s92, exec_lo
	s_wait_alu 0xfffe
	s_or_b32 s58, s58, s92
	s_and_not1_b32 exec_lo, exec_lo, s28
	s_cbranch_execz .LBB50_216
.LBB50_212:                             ;   Parent Loop BB50_7 Depth=1
                                        ; =>  This Inner Loop Header: Depth=2
	s_mov_b32 s92, exec_lo
	s_delay_alu instid0(VALU_DEP_1)
	v_cmpx_gt_i32_e64 s26, v2
	s_cbranch_execz .LBB50_209
; %bb.213:                              ;   in Loop: Header=BB50_212 Depth=2
	ds_load_b32 v14, v1
	s_wait_dscnt 0x0
	v_cmp_lt_i32_e32 vcc_lo, -1, v14
	s_wait_alu 0xfffd
	v_cndmask_b32_e64 v6, -1, 0x80000000, vcc_lo
	v_cmp_o_f32_e32 vcc_lo, v14, v14
	s_delay_alu instid0(VALU_DEP_2) | instskip(SKIP_1) | instid1(VALU_DEP_1)
	v_xor_b32_e32 v6, v6, v14
	s_wait_alu 0xfffd
	v_cndmask_b32_e32 v6, -1, v6, vcc_lo
	s_delay_alu instid0(VALU_DEP_1) | instskip(NEXT) | instid1(VALU_DEP_1)
	v_and_b32_e32 v6, v6, v32
	v_cmp_eq_u32_e32 vcc_lo, v6, v24
	s_and_b32 exec_lo, exec_lo, vcc_lo
	s_cbranch_execz .LBB50_209
; %bb.214:                              ;   in Loop: Header=BB50_212 Depth=2
	ds_store_b64 v7, v[13:14] offset:3072
	s_branch .LBB50_209
.LBB50_215:                             ;   in Loop: Header=BB50_212 Depth=2
	s_mov_b32 s93, -1
	s_mov_b32 s92, -1
                                        ; implicit-def: $vgpr2
                                        ; implicit-def: $vgpr1
	s_branch .LBB50_211
.LBB50_216:                             ;   in Loop: Header=BB50_7 Depth=1
	s_or_b32 exec_lo, exec_lo, s28
	s_delay_alu instid0(SALU_CYCLE_1)
	s_and_not1_b32 s24, s27, exec_lo
	s_wait_alu 0xfffe
	s_and_b32 s26, s58, exec_lo
	s_wait_alu 0xfffe
	s_or_b32 s27, s24, s26
.LBB50_217:                             ;   in Loop: Header=BB50_7 Depth=1
	s_or_b32 exec_lo, exec_lo, s23
	s_mov_b32 s23, 0
	s_mov_b32 s24, -1
.LBB50_218:                             ;   in Loop: Header=BB50_7 Depth=1
	s_wait_alu 0xfffe
	s_or_not1_b32 s26, s27, exec_lo
.LBB50_219:                             ;   in Loop: Header=BB50_7 Depth=1
	s_wait_alu 0xfffe
	s_or_b32 exec_lo, exec_lo, s25
	s_mov_b32 s27, 0
	s_and_saveexec_b32 s25, s26
	s_cbranch_execz .LBB50_230
; %bb.220:                              ;   in Loop: Header=BB50_7 Depth=1
	v_mov_b32_e32 v3, 1
	v_mov_b32_e32 v1, 1
	s_xor_b32 s26, s17, -1
	s_wait_alu 0xfffe
	s_and_saveexec_b32 s17, s26
	s_cbranch_execz .LBB50_229
; %bb.221:                              ;   in Loop: Header=BB50_7 Depth=1
	s_mov_b32 s26, exec_lo
	v_cmpx_ge_i32_e64 s9, v4
	s_wait_alu 0xfffe
	s_xor_b32 s26, exec_lo, s26
	s_cbranch_execz .LBB50_226
; %bb.222:                              ;   in Loop: Header=BB50_7 Depth=1
	ds_load_b32 v1, v7 offset:4096
	v_or_b32_e32 v24, s10, v24
	v_or_b32_e32 v32, s10, v32
	s_wait_dscnt 0x0
	v_cmp_ne_u32_e32 vcc_lo, 0, v1
	s_cbranch_vccnz .LBB50_226
; %bb.223:                              ;   in Loop: Header=BB50_7 Depth=1
	s_and_saveexec_b32 s10, s2
; %bb.224:                              ;   in Loop: Header=BB50_7 Depth=1
	v_mov_b32_e32 v1, s9
	ds_store_b32 v7, v1 offset:4100
; %bb.225:                              ;   in Loop: Header=BB50_7 Depth=1
	s_wait_alu 0xfffe
	s_or_b32 exec_lo, exec_lo, s10
	s_wait_loadcnt_dscnt 0x0
	s_barrier_signal -1
	s_barrier_wait -1
	global_inv scope:SCOPE_SE
.LBB50_226:                             ;   in Loop: Header=BB50_7 Depth=1
	s_wait_alu 0xfffe
	s_and_not1_saveexec_b32 s10, s26
; %bb.227:                              ;   in Loop: Header=BB50_7 Depth=1
	v_subrev_nc_u32_e32 v4, s9, v4
; %bb.228:                              ;   in Loop: Header=BB50_7 Depth=1
	s_wait_alu 0xfffe
	s_or_b32 exec_lo, exec_lo, s10
	v_mov_b32_e32 v3, 8
	s_delay_alu instid0(VALU_DEP_2)
	v_mov_b32_e32 v1, v4
.LBB50_229:                             ;   in Loop: Header=BB50_7 Depth=1
	s_wait_alu 0xfffe
	s_or_b32 exec_lo, exec_lo, s17
	s_delay_alu instid0(VALU_DEP_1)
	v_mov_b32_e32 v4, v1
	s_mov_b32 s27, exec_lo
.LBB50_230:                             ;   in Loop: Header=BB50_7 Depth=1
	s_wait_alu 0xfffe
	s_or_b32 exec_lo, exec_lo, s25
	s_delay_alu instid0(SALU_CYCLE_1)
	s_or_not1_b32 s17, s27, exec_lo
.LBB50_231:                             ;   in Loop: Header=BB50_7 Depth=1
	s_wait_alu 0xfffe
	s_or_b32 exec_lo, exec_lo, s16
	v_mov_b32_e32 v6, v4
	s_and_not1_b32 s9, s21, exec_lo
	s_and_b32 s10, s24, exec_lo
	s_and_not1_b32 s16, s20, exec_lo
	s_and_b32 s20, s23, exec_lo
	s_wait_alu 0xfffe
	s_or_b32 s21, s9, s10
	s_or_b32 s20, s16, s20
	s_and_b32 s25, s17, exec_lo
.LBB50_232:                             ;   in Loop: Header=BB50_7 Depth=1
	s_wait_alu 0xfffe
	s_or_b32 exec_lo, exec_lo, s22
	s_delay_alu instid0(SALU_CYCLE_1)
	s_or_not1_b32 s22, s25, exec_lo
.LBB50_233:                             ;   in Loop: Header=BB50_7 Depth=1
	s_wait_alu 0xfffe
	s_or_b32 exec_lo, exec_lo, s19
	v_mov_b32_e32 v4, v6
	s_and_not1_b32 s9, s15, exec_lo
	s_and_b32 s10, s21, exec_lo
	s_and_not1_b32 s14, s14, exec_lo
	s_and_b32 s16, s20, exec_lo
	s_wait_alu 0xfffe
	s_or_b32 s15, s9, s10
	s_or_b32 s14, s14, s16
	s_and_b32 s22, s22, exec_lo
.LBB50_234:                             ;   in Loop: Header=BB50_7 Depth=1
	s_wait_alu 0xfffe
	s_or_b32 exec_lo, exec_lo, s18
	s_delay_alu instid0(SALU_CYCLE_1)
	s_or_not1_b32 s18, s22, exec_lo
.LBB50_235:                             ;   in Loop: Header=BB50_7 Depth=1
	s_wait_alu 0xfffe
	s_or_b32 exec_lo, exec_lo, s13
	s_mov_b32 s10, 0
                                        ; implicit-def: $sgpr21
	s_and_saveexec_b32 s9, s18
	s_wait_alu 0xfffe
	s_xor_b32 s9, exec_lo, s9
	s_cbranch_execz .LBB50_5
; %bb.236:                              ;   in Loop: Header=BB50_7 Depth=1
	v_and_b32_e32 v1, 7, v3
	s_mov_b32 s12, -1
	s_mov_b32 s10, -1
	s_mov_b32 s13, exec_lo
                                        ; implicit-def: $sgpr21
	s_delay_alu instid0(VALU_DEP_1)
	v_cmpx_eq_u32_e32 0, v1
	s_cbranch_execz .LBB50_4
; %bb.237:                              ;   in Loop: Header=BB50_7 Depth=1
	s_add_co_i32 s21, s91, -2
	s_cmp_eq_u32 s91, 0
	v_xor_b32_e32 v31, 1, v31
	s_cselect_b32 s12, -1, 0
	s_xor_b32 s10, exec_lo, -1
	s_wait_alu 0xfffe
	s_or_not1_b32 s12, s12, exec_lo
	s_branch .LBB50_4
.LBB50_238:
	s_or_b32 exec_lo, exec_lo, s37
	s_wait_alu 0xfffe
	s_xor_b32 s3, s90, -1
	s_xor_b32 s1, s88, -1
	;; [unrolled: 1-line block ×3, first 2 shown]
	s_mov_b32 s0, 0
	s_wait_alu 0xfffe
	s_and_saveexec_b32 s5, s1
	s_wait_alu 0xfffe
	s_xor_b32 s1, exec_lo, s5
	s_cbranch_execnz .LBB50_243
; %bb.239:
	s_wait_alu 0xfffe
	s_and_not1_saveexec_b32 s1, s1
	s_cbranch_execnz .LBB50_263
.LBB50_240:
	s_wait_alu 0xfffe
	s_or_b32 exec_lo, exec_lo, s1
	s_and_saveexec_b32 s1, s0
.LBB50_241:
	; divergent unreachable
.LBB50_242:
	s_endpgm
.LBB50_243:
	s_and_saveexec_b32 s0, s3
	s_wait_alu 0xfffe
	s_xor_b32 s3, exec_lo, s0
	s_cbranch_execz .LBB50_261
; %bb.244:
	s_and_saveexec_b32 s0, s4
	s_wait_alu 0xfffe
	s_xor_b32 s0, exec_lo, s0
; %bb.245:
	v_cmp_lt_i32_e32 vcc_lo, -1, v24
	s_wait_alu 0xfffd
	v_cndmask_b32_e64 v1, 0x80000000, -1, vcc_lo
	s_delay_alu instid0(VALU_DEP_1)
	v_xor_b32_e32 v15, v1, v24
; %bb.246:
	s_wait_alu 0xfffe
	s_or_b32 exec_lo, exec_lo, s0
	s_and_saveexec_b32 s0, s2
; %bb.247:
	v_dual_mov_b32 v1, 0 :: v_dual_mov_b32 v2, s36
	ds_store_b32 v1, v2 offset:4108
; %bb.248:
	s_wait_alu 0xfffe
	s_or_b32 exec_lo, exec_lo, s0
	v_mov_b32_e32 v1, 0
	s_wait_loadcnt_dscnt 0x0
	s_barrier_signal -1
	s_barrier_wait -1
	global_inv scope:SCOPE_SE
	ds_load_b32 v1, v1 offset:4108
	s_mov_b32 s4, exec_lo
	s_wait_dscnt 0x0
	v_min_i32_e32 v1, s36, v1
	s_delay_alu instid0(VALU_DEP_1)
	v_cmpx_lt_i32_e64 v0, v1
	s_cbranch_execz .LBB50_258
; %bb.249:
	v_cmp_u_f32_e32 vcc_lo, v15, v15
	s_mov_b32 s5, 0
                                        ; implicit-def: $sgpr6
                                        ; implicit-def: $sgpr9
                                        ; implicit-def: $sgpr8
	s_xor_b32 s7, vcc_lo, -1
	s_branch .LBB50_251
.LBB50_250:                             ;   in Loop: Header=BB50_251 Depth=1
	s_wait_alu 0xfffe
	s_or_b32 exec_lo, exec_lo, s0
	s_delay_alu instid0(SALU_CYCLE_1)
	s_and_b32 s0, exec_lo, s9
	s_wait_alu 0xfffe
	s_or_b32 s5, s0, s5
	s_and_not1_b32 s0, s6, exec_lo
	s_and_b32 s6, s8, exec_lo
	s_wait_alu 0xfffe
	s_or_b32 s6, s0, s6
	s_and_not1_b32 exec_lo, exec_lo, s5
	s_cbranch_execz .LBB50_253
.LBB50_251:                             ; =>This Inner Loop Header: Depth=1
	v_ashrrev_i32_e32 v6, 31, v5
	s_or_b32 s8, s8, exec_lo
	s_or_b32 s9, s9, exec_lo
	s_delay_alu instid0(VALU_DEP_1) | instskip(NEXT) | instid1(VALU_DEP_1)
	v_lshlrev_b64_e32 v[2:3], 2, v[5:6]
	v_add_co_u32 v2, vcc_lo, s60, v2
	s_wait_alu 0xfffd
	s_delay_alu instid0(VALU_DEP_2)
	v_add_co_ci_u32_e64 v3, null, s61, v3, vcc_lo
	global_load_b32 v2, v[2:3], off
	s_wait_loadcnt 0x0
	v_cmp_o_f32_e32 vcc_lo, v2, v2
	v_cmp_neq_f32_e64 s0, v2, v15
	v_mov_b32_e32 v2, v0
                                        ; implicit-def: $vgpr0
	s_or_b32 s10, vcc_lo, s7
	s_wait_alu 0xfffe
	s_and_b32 s10, s0, s10
	s_wait_alu 0xfffe
	s_and_saveexec_b32 s0, s10
	s_cbranch_execz .LBB50_250
; %bb.252:                              ;   in Loop: Header=BB50_251 Depth=1
	v_add_nc_u32_e32 v0, s49, v2
	v_add_nc_u32_e32 v5, s73, v5
	s_and_not1_b32 s9, s9, exec_lo
	s_and_not1_b32 s8, s8, exec_lo
	s_delay_alu instid0(VALU_DEP_2)
	v_cmp_ge_i32_e32 vcc_lo, v0, v1
	s_and_b32 s10, vcc_lo, exec_lo
	s_wait_alu 0xfffe
	s_or_b32 s9, s9, s10
	s_branch .LBB50_250
.LBB50_253:
	s_or_b32 exec_lo, exec_lo, s5
	s_and_saveexec_b32 s0, s6
	s_wait_alu 0xfffe
	s_xor_b32 s0, exec_lo, s0
	s_cbranch_execz .LBB50_258
; %bb.254:
	s_mov_b32 s5, exec_lo
	s_brev_b32 s0, -2
.LBB50_255:                             ; =>This Inner Loop Header: Depth=1
	s_wait_alu 0xfffe
	s_ctz_i32_b32 s6, s5
	s_wait_alu 0xfffe
	v_readlane_b32 s7, v2, s6
	s_lshl_b32 s6, 1, s6
	s_wait_alu 0xfffe
	s_and_not1_b32 s5, s5, s6
	s_min_i32 s0, s0, s7
	s_wait_alu 0xfffe
	s_cmp_lg_u32 s5, 0
	s_cbranch_scc1 .LBB50_255
; %bb.256:
	v_mbcnt_lo_u32_b32 v0, exec_lo, 0
	s_mov_b32 s5, exec_lo
	s_delay_alu instid0(VALU_DEP_1)
	v_cmpx_eq_u32_e32 0, v0
	s_wait_alu 0xfffe
	s_xor_b32 s5, exec_lo, s5
; %bb.257:
	v_dual_mov_b32 v0, 0 :: v_dual_mov_b32 v1, s0
	ds_min_i32 v0, v1 offset:4108
.LBB50_258:
	s_wait_alu 0xfffe
	s_or_b32 exec_lo, exec_lo, s4
	s_wait_loadcnt_dscnt 0x0
	s_barrier_signal -1
	s_barrier_wait -1
	global_inv scope:SCOPE_SE
	s_and_saveexec_b32 s0, s2
	s_cbranch_execz .LBB50_260
; %bb.259:
	s_mul_i32 s4, s57, s68
	s_mul_i32 s2, s43, s31
	s_wait_alu 0xfffe
	s_sub_co_i32 s4, s48, s4
	s_sub_co_i32 s2, s33, s2
	s_xor_b32 s5, s71, s72
	s_add_co_i32 s6, s57, 1
	s_wait_alu 0xfffe
	s_sub_co_i32 s7, s4, s68
	s_cmp_ge_u32 s4, s68
	s_wait_kmcnt 0x0
	s_mul_i32 s2, s2, s46
	s_cselect_b32 s6, s6, s57
	s_wait_alu 0xfffe
	s_cselect_b32 s4, s7, s4
	s_add_co_i32 s7, s6, 1
	s_wait_alu 0xfffe
	s_cmp_ge_u32 s4, s68
	v_mov_b32_e32 v2, 0
	s_cselect_b32 s4, s7, s6
	s_mul_i32 s7, s29, s38
	s_wait_alu 0xfffe
	s_xor_b32 s4, s4, s5
	s_mul_i32 s6, s47, s35
	s_wait_alu 0xfffe
	s_sub_co_i32 s4, s4, s5
	s_sub_co_i32 s6, s33, s6
	s_wait_alu 0xfffe
	s_mul_i32 s5, s4, s30
	s_mul_i32 s4, s4, s44
	s_wait_alu 0xfffe
	s_sub_co_i32 s5, s43, s5
	s_xor_b32 s8, s69, s70
	s_wait_alu 0xfffe
	s_mul_i32 s5, s5, s45
	ds_load_b32 v0, v2 offset:4108
	s_wait_alu 0xfffe
	s_add_co_i32 s2, s5, s2
	s_sub_co_i32 s5, s50, s7
	s_wait_alu 0xfffe
	s_add_co_i32 s4, s2, s4
	s_add_co_i32 s2, s29, 1
	s_sub_co_i32 s7, s5, s38
	s_cmp_ge_u32 s5, s38
	s_mul_i32 s6, s6, s42
	s_wait_alu 0xfffe
	s_cselect_b32 s2, s2, s29
	s_cselect_b32 s5, s7, s5
	s_wait_alu 0xfffe
	s_add_co_i32 s7, s2, 1
	s_cmp_ge_u32 s5, s38
	s_wait_alu 0xfffe
	s_cselect_b32 s2, s7, s2
	s_wait_alu 0xfffe
	s_xor_b32 s2, s2, s8
	s_wait_alu 0xfffe
	s_sub_co_i32 s2, s2, s8
	s_wait_alu 0xfffe
	s_mul_i32 s5, s2, s34
	s_mul_i32 s2, s2, s40
	s_wait_alu 0xfffe
	s_sub_co_i32 s5, s47, s5
	s_wait_dscnt 0x0
	v_ashrrev_i32_e32 v1, 31, v0
	s_wait_alu 0xfffe
	s_mul_i32 s5, s5, s41
	s_wait_alu 0xfffe
	s_add_co_i32 s5, s5, s6
	s_wait_alu 0xfffe
	s_add_co_i32 s6, s5, s2
	s_ashr_i32 s5, s4, 31
	s_wait_alu 0xfffe
	s_ashr_i32 s7, s6, 31
	s_lshl_b64 s[4:5], s[4:5], 2
	s_wait_alu 0xfffe
	s_lshl_b64 s[6:7], s[6:7], 3
	s_add_nc_u64 s[4:5], s[54:55], s[4:5]
	s_wait_alu 0xfffe
	s_add_nc_u64 s[6:7], s[52:53], s[6:7]
	s_clause 0x1
	global_store_b64 v2, v[0:1], s[6:7]
	global_store_b32 v2, v15, s[4:5]
.LBB50_260:
	s_wait_alu 0xfffe
	s_or_b32 exec_lo, exec_lo, s0
.LBB50_261:
	s_wait_alu 0xfffe
	s_or_saveexec_b32 s0, s3
	s_mov_b32 s2, 0
	s_wait_alu 0xfffe
	s_xor_b32 exec_lo, exec_lo, s0
	s_cbranch_execnz .LBB50_264
.LBB50_262:
	s_or_b32 exec_lo, exec_lo, s0
	s_wait_alu 0xfffe
	s_and_b32 s0, s2, exec_lo
	s_and_not1_saveexec_b32 s1, s1
	s_cbranch_execz .LBB50_240
.LBB50_263:
	s_wait_alu 0xfffe
	s_or_b32 s0, s0, exec_lo
	s_trap 2
	s_or_b32 exec_lo, exec_lo, s1
	s_wait_alu 0xfffe
	s_and_saveexec_b32 s1, s0
	s_cbranch_execnz .LBB50_241
	s_branch .LBB50_242
.LBB50_264:
	s_mov_b32 s2, exec_lo
	s_trap 2
	s_branch .LBB50_262
	.section	.rodata,"a",@progbits
	.p2align	6, 0x0
	.amdhsa_kernel _ZN2at6native12_GLOBAL__N_114gatherKthValueIfiLi3EEEvNS_4cuda6detail10TensorInfoIKT_T0_EES8_S8_S8_S8_NS5_IS6_S8_EENS5_IlS8_EE
		.amdhsa_group_segment_fixed_size 4112
		.amdhsa_private_segment_fixed_size 0
		.amdhsa_kernarg_size 920
		.amdhsa_user_sgpr_count 2
		.amdhsa_user_sgpr_dispatch_ptr 0
		.amdhsa_user_sgpr_queue_ptr 0
		.amdhsa_user_sgpr_kernarg_segment_ptr 1
		.amdhsa_user_sgpr_dispatch_id 0
		.amdhsa_user_sgpr_private_segment_size 0
		.amdhsa_wavefront_size32 1
		.amdhsa_uses_dynamic_stack 0
		.amdhsa_enable_private_segment 0
		.amdhsa_system_sgpr_workgroup_id_x 1
		.amdhsa_system_sgpr_workgroup_id_y 1
		.amdhsa_system_sgpr_workgroup_id_z 1
		.amdhsa_system_sgpr_workgroup_info 0
		.amdhsa_system_vgpr_workitem_id 0
		.amdhsa_next_free_vgpr 44
		.amdhsa_next_free_sgpr 99
		.amdhsa_reserve_vcc 1
		.amdhsa_float_round_mode_32 0
		.amdhsa_float_round_mode_16_64 0
		.amdhsa_float_denorm_mode_32 3
		.amdhsa_float_denorm_mode_16_64 3
		.amdhsa_fp16_overflow 0
		.amdhsa_workgroup_processor_mode 1
		.amdhsa_memory_ordered 1
		.amdhsa_forward_progress 1
		.amdhsa_inst_pref_size 98
		.amdhsa_round_robin_scheduling 0
		.amdhsa_exception_fp_ieee_invalid_op 0
		.amdhsa_exception_fp_denorm_src 0
		.amdhsa_exception_fp_ieee_div_zero 0
		.amdhsa_exception_fp_ieee_overflow 0
		.amdhsa_exception_fp_ieee_underflow 0
		.amdhsa_exception_fp_ieee_inexact 0
		.amdhsa_exception_int_div_zero 0
	.end_amdhsa_kernel
	.section	.text._ZN2at6native12_GLOBAL__N_114gatherKthValueIfiLi3EEEvNS_4cuda6detail10TensorInfoIKT_T0_EES8_S8_S8_S8_NS5_IS6_S8_EENS5_IlS8_EE,"axG",@progbits,_ZN2at6native12_GLOBAL__N_114gatherKthValueIfiLi3EEEvNS_4cuda6detail10TensorInfoIKT_T0_EES8_S8_S8_S8_NS5_IS6_S8_EENS5_IlS8_EE,comdat
.Lfunc_end50:
	.size	_ZN2at6native12_GLOBAL__N_114gatherKthValueIfiLi3EEEvNS_4cuda6detail10TensorInfoIKT_T0_EES8_S8_S8_S8_NS5_IS6_S8_EENS5_IlS8_EE, .Lfunc_end50-_ZN2at6native12_GLOBAL__N_114gatherKthValueIfiLi3EEEvNS_4cuda6detail10TensorInfoIKT_T0_EES8_S8_S8_S8_NS5_IS6_S8_EENS5_IlS8_EE
                                        ; -- End function
	.set _ZN2at6native12_GLOBAL__N_114gatherKthValueIfiLi3EEEvNS_4cuda6detail10TensorInfoIKT_T0_EES8_S8_S8_S8_NS5_IS6_S8_EENS5_IlS8_EE.num_vgpr, 44
	.set _ZN2at6native12_GLOBAL__N_114gatherKthValueIfiLi3EEEvNS_4cuda6detail10TensorInfoIKT_T0_EES8_S8_S8_S8_NS5_IS6_S8_EENS5_IlS8_EE.num_agpr, 0
	.set _ZN2at6native12_GLOBAL__N_114gatherKthValueIfiLi3EEEvNS_4cuda6detail10TensorInfoIKT_T0_EES8_S8_S8_S8_NS5_IS6_S8_EENS5_IlS8_EE.numbered_sgpr, 99
	.set _ZN2at6native12_GLOBAL__N_114gatherKthValueIfiLi3EEEvNS_4cuda6detail10TensorInfoIKT_T0_EES8_S8_S8_S8_NS5_IS6_S8_EENS5_IlS8_EE.num_named_barrier, 0
	.set _ZN2at6native12_GLOBAL__N_114gatherKthValueIfiLi3EEEvNS_4cuda6detail10TensorInfoIKT_T0_EES8_S8_S8_S8_NS5_IS6_S8_EENS5_IlS8_EE.private_seg_size, 0
	.set _ZN2at6native12_GLOBAL__N_114gatherKthValueIfiLi3EEEvNS_4cuda6detail10TensorInfoIKT_T0_EES8_S8_S8_S8_NS5_IS6_S8_EENS5_IlS8_EE.uses_vcc, 1
	.set _ZN2at6native12_GLOBAL__N_114gatherKthValueIfiLi3EEEvNS_4cuda6detail10TensorInfoIKT_T0_EES8_S8_S8_S8_NS5_IS6_S8_EENS5_IlS8_EE.uses_flat_scratch, 0
	.set _ZN2at6native12_GLOBAL__N_114gatherKthValueIfiLi3EEEvNS_4cuda6detail10TensorInfoIKT_T0_EES8_S8_S8_S8_NS5_IS6_S8_EENS5_IlS8_EE.has_dyn_sized_stack, 0
	.set _ZN2at6native12_GLOBAL__N_114gatherKthValueIfiLi3EEEvNS_4cuda6detail10TensorInfoIKT_T0_EES8_S8_S8_S8_NS5_IS6_S8_EENS5_IlS8_EE.has_recursion, 0
	.set _ZN2at6native12_GLOBAL__N_114gatherKthValueIfiLi3EEEvNS_4cuda6detail10TensorInfoIKT_T0_EES8_S8_S8_S8_NS5_IS6_S8_EENS5_IlS8_EE.has_indirect_call, 0
	.section	.AMDGPU.csdata,"",@progbits
; Kernel info:
; codeLenInByte = 12432
; TotalNumSgprs: 101
; NumVgprs: 44
; ScratchSize: 0
; MemoryBound: 0
; FloatMode: 240
; IeeeMode: 1
; LDSByteSize: 4112 bytes/workgroup (compile time only)
; SGPRBlocks: 0
; VGPRBlocks: 5
; NumSGPRsForWavesPerEU: 101
; NumVGPRsForWavesPerEU: 44
; Occupancy: 16
; WaveLimiterHint : 1
; COMPUTE_PGM_RSRC2:SCRATCH_EN: 0
; COMPUTE_PGM_RSRC2:USER_SGPR: 2
; COMPUTE_PGM_RSRC2:TRAP_HANDLER: 0
; COMPUTE_PGM_RSRC2:TGID_X_EN: 1
; COMPUTE_PGM_RSRC2:TGID_Y_EN: 1
; COMPUTE_PGM_RSRC2:TGID_Z_EN: 1
; COMPUTE_PGM_RSRC2:TIDIG_COMP_CNT: 0
	.section	.text._ZN2at6native12_GLOBAL__N_114gatherKthValueIfiLin1EEEvNS_4cuda6detail10TensorInfoIKT_T0_EES8_S8_S8_S8_NS5_IS6_S8_EENS5_IlS8_EE,"axG",@progbits,_ZN2at6native12_GLOBAL__N_114gatherKthValueIfiLin1EEEvNS_4cuda6detail10TensorInfoIKT_T0_EES8_S8_S8_S8_NS5_IS6_S8_EENS5_IlS8_EE,comdat
	.globl	_ZN2at6native12_GLOBAL__N_114gatherKthValueIfiLin1EEEvNS_4cuda6detail10TensorInfoIKT_T0_EES8_S8_S8_S8_NS5_IS6_S8_EENS5_IlS8_EE ; -- Begin function _ZN2at6native12_GLOBAL__N_114gatherKthValueIfiLin1EEEvNS_4cuda6detail10TensorInfoIKT_T0_EES8_S8_S8_S8_NS5_IS6_S8_EENS5_IlS8_EE
	.p2align	8
	.type	_ZN2at6native12_GLOBAL__N_114gatherKthValueIfiLin1EEEvNS_4cuda6detail10TensorInfoIKT_T0_EES8_S8_S8_S8_NS5_IS6_S8_EENS5_IlS8_EE,@function
_ZN2at6native12_GLOBAL__N_114gatherKthValueIfiLin1EEEvNS_4cuda6detail10TensorInfoIKT_T0_EES8_S8_S8_S8_NS5_IS6_S8_EENS5_IlS8_EE: ; @_ZN2at6native12_GLOBAL__N_114gatherKthValueIfiLin1EEEvNS_4cuda6detail10TensorInfoIKT_T0_EES8_S8_S8_S8_NS5_IS6_S8_EENS5_IlS8_EE
; %bb.0:
	s_clause 0x1
	s_load_b64 s[4:5], s[0:1], 0x298
	s_load_b128 s[36:39], s[0:1], 0xd8
	s_lshr_b32 s2, ttmp7, 16
	s_and_b32 s3, ttmp7, 0xffff
	s_wait_kmcnt 0x0
	s_mul_i32 s2, s5, s2
	s_delay_alu instid0(SALU_CYCLE_1) | instskip(NEXT) | instid1(SALU_CYCLE_1)
	s_add_co_i32 s2, s2, s3
	s_mul_i32 s2, s2, s4
	s_delay_alu instid0(SALU_CYCLE_1) | instskip(NEXT) | instid1(SALU_CYCLE_1)
	s_add_co_i32 s33, s2, ttmp9
	s_cmp_ge_i32 s33, s38
	s_cbranch_scc1 .LBB51_251
; %bb.1:
	s_load_b32 s6, s[0:1], 0xd0
	s_mov_b32 s3, 0
	s_mov_b32 s5, s33
	s_wait_kmcnt 0x0
	s_cmp_lt_i32 s6, 2
	s_cbranch_scc1 .LBB51_4
; %bb.2:
	s_add_co_i32 s2, s6, -1
	s_mov_b32 s5, s33
	s_lshl_b64 s[8:9], s[2:3], 2
	s_add_co_i32 s2, s6, 1
	s_add_nc_u64 s[8:9], s[0:1], s[8:9]
	s_delay_alu instid0(SALU_CYCLE_1)
	s_add_nc_u64 s[6:7], s[8:9], 8
.LBB51_3:                               ; =>This Inner Loop Header: Depth=1
	s_clause 0x1
	s_load_b32 s8, s[6:7], 0x0
	s_load_b32 s9, s[6:7], 0x64
	s_mov_b32 s13, s5
	s_add_nc_u64 s[6:7], s[6:7], -4
	s_wait_kmcnt 0x0
	s_abs_i32 s10, s8
	s_wait_alu 0xfffe
	s_cvt_f32_u32 s11, s10
	s_sub_co_i32 s12, 0, s10
	s_wait_alu 0xfffe
	s_delay_alu instid0(SALU_CYCLE_1) | instskip(NEXT) | instid1(TRANS32_DEP_1)
	v_rcp_iflag_f32_e32 v1, s11
	v_readfirstlane_b32 s11, v1
	s_mul_f32 s11, s11, 0x4f7ffffe
	s_wait_alu 0xfffe
	s_delay_alu instid0(SALU_CYCLE_2) | instskip(SKIP_1) | instid1(SALU_CYCLE_2)
	s_cvt_u32_f32 s11, s11
	s_wait_alu 0xfffe
	s_mul_i32 s12, s12, s11
	s_delay_alu instid0(SALU_CYCLE_1)
	s_mul_hi_u32 s5, s11, s12
	s_abs_i32 s12, s13
	s_add_co_i32 s11, s11, s5
	s_wait_alu 0xfffe
	s_mul_hi_u32 s5, s12, s11
	s_xor_b32 s11, s13, s8
	s_mul_i32 s14, s5, s10
	s_wait_alu 0xfffe
	s_ashr_i32 s11, s11, 31
	s_sub_co_i32 s12, s12, s14
	s_add_co_i32 s14, s5, 1
	s_sub_co_i32 s15, s12, s10
	s_cmp_ge_u32 s12, s10
	s_cselect_b32 s5, s14, s5
	s_cselect_b32 s12, s15, s12
	s_add_co_i32 s14, s5, 1
	s_cmp_ge_u32 s12, s10
	s_cselect_b32 s5, s14, s5
	s_add_co_i32 s2, s2, -1
	s_wait_alu 0xfffe
	s_xor_b32 s5, s5, s11
	s_delay_alu instid0(SALU_CYCLE_1) | instskip(NEXT) | instid1(SALU_CYCLE_1)
	s_sub_co_i32 s5, s5, s11
	s_mul_i32 s8, s5, s8
	s_delay_alu instid0(SALU_CYCLE_1) | instskip(NEXT) | instid1(SALU_CYCLE_1)
	s_sub_co_i32 s8, s13, s8
	s_mul_i32 s8, s9, s8
	s_delay_alu instid0(SALU_CYCLE_1)
	s_add_co_i32 s3, s8, s3
	s_cmp_gt_u32 s2, 2
	s_cbranch_scc1 .LBB51_3
.LBB51_4:
	s_load_b32 s2, s[0:1], 0x1b8
	s_add_nc_u64 s[10:11], s[0:1], 0x298
	s_add_nc_u64 s[6:7], s[0:1], 0xe8
	s_mov_b32 s29, 0
	s_mov_b32 s38, s33
	s_wait_kmcnt 0x0
	s_cmp_lt_i32 s2, 2
	s_cbranch_scc1 .LBB51_7
; %bb.5:
	s_add_co_i32 s28, s2, -1
	s_add_co_i32 s2, s2, 1
	s_lshl_b64 s[8:9], s[28:29], 2
	s_mov_b32 s38, s33
	s_add_nc_u64 s[8:9], s[6:7], s[8:9]
	s_delay_alu instid0(SALU_CYCLE_1)
	s_add_nc_u64 s[8:9], s[8:9], 8
.LBB51_6:                               ; =>This Inner Loop Header: Depth=1
	s_clause 0x1
	s_load_b32 s12, s[8:9], 0x0
	s_load_b32 s13, s[8:9], 0x64
	s_abs_i32 s18, s38
	s_mov_b32 s17, s38
	s_add_nc_u64 s[8:9], s[8:9], -4
	s_wait_kmcnt 0x0
	s_abs_i32 s14, s12
	s_wait_alu 0xfffe
	s_cvt_f32_u32 s15, s14
	s_sub_co_i32 s16, 0, s14
	s_wait_alu 0xfffe
	s_delay_alu instid0(SALU_CYCLE_1) | instskip(NEXT) | instid1(TRANS32_DEP_1)
	v_rcp_iflag_f32_e32 v1, s15
	v_readfirstlane_b32 s15, v1
	s_mul_f32 s15, s15, 0x4f7ffffe
	s_wait_alu 0xfffe
	s_delay_alu instid0(SALU_CYCLE_2) | instskip(SKIP_1) | instid1(SALU_CYCLE_2)
	s_cvt_u32_f32 s15, s15
	s_wait_alu 0xfffe
	s_mul_i32 s16, s16, s15
	s_delay_alu instid0(SALU_CYCLE_1) | instskip(NEXT) | instid1(SALU_CYCLE_1)
	s_mul_hi_u32 s16, s15, s16
	s_add_co_i32 s15, s15, s16
	s_xor_b32 s16, s38, s12
	s_wait_alu 0xfffe
	s_mul_hi_u32 s15, s18, s15
	s_ashr_i32 s16, s16, 31
	s_wait_alu 0xfffe
	s_mul_i32 s19, s15, s14
	s_delay_alu instid0(SALU_CYCLE_1)
	s_sub_co_i32 s18, s18, s19
	s_add_co_i32 s19, s15, 1
	s_sub_co_i32 s20, s18, s14
	s_cmp_ge_u32 s18, s14
	s_cselect_b32 s15, s19, s15
	s_cselect_b32 s18, s20, s18
	s_wait_alu 0xfffe
	s_add_co_i32 s19, s15, 1
	s_cmp_ge_u32 s18, s14
	s_cselect_b32 s14, s19, s15
	s_add_co_i32 s2, s2, -1
	s_wait_alu 0xfffe
	s_xor_b32 s14, s14, s16
	s_wait_alu 0xfffe
	s_sub_co_i32 s38, s14, s16
	s_delay_alu instid0(SALU_CYCLE_1) | instskip(NEXT) | instid1(SALU_CYCLE_1)
	s_mul_i32 s12, s38, s12
	s_sub_co_i32 s12, s17, s12
	s_delay_alu instid0(SALU_CYCLE_1) | instskip(NEXT) | instid1(SALU_CYCLE_1)
	s_mul_i32 s12, s13, s12
	s_add_co_i32 s29, s12, s29
	s_cmp_gt_u32 s2, 2
	s_cbranch_scc1 .LBB51_6
.LBB51_7:
	s_clause 0x1
	s_load_b32 s12, s[0:1], 0x6c
	s_load_b32 s2, s[0:1], 0x290
	s_mov_b32 s31, 0
	s_wait_kmcnt 0x0
	s_cmp_lt_i32 s2, 2
	s_cbranch_scc1 .LBB51_10
; %bb.8:
	s_add_co_i32 s30, s2, -1
	s_add_nc_u64 s[8:9], s[0:1], 0x1c0
	s_lshl_b64 s[14:15], s[30:31], 2
	s_add_co_i32 s2, s2, 1
	s_wait_alu 0xfffe
	s_add_nc_u64 s[8:9], s[8:9], s[14:15]
	s_delay_alu instid0(SALU_CYCLE_1)
	s_add_nc_u64 s[8:9], s[8:9], 8
.LBB51_9:                               ; =>This Inner Loop Header: Depth=1
	s_clause 0x1
	s_load_b32 s13, s[8:9], 0x0
	s_load_b32 s14, s[8:9], 0x64
	s_abs_i32 s19, s33
	s_mov_b32 s18, s33
	s_add_nc_u64 s[8:9], s[8:9], -4
	s_wait_kmcnt 0x0
	s_abs_i32 s15, s13
	s_wait_alu 0xfffe
	s_cvt_f32_u32 s16, s15
	s_sub_co_i32 s17, 0, s15
	s_wait_alu 0xfffe
	s_delay_alu instid0(SALU_CYCLE_1) | instskip(NEXT) | instid1(TRANS32_DEP_1)
	v_rcp_iflag_f32_e32 v1, s16
	v_readfirstlane_b32 s16, v1
	s_mul_f32 s16, s16, 0x4f7ffffe
	s_wait_alu 0xfffe
	s_delay_alu instid0(SALU_CYCLE_2) | instskip(SKIP_1) | instid1(SALU_CYCLE_2)
	s_cvt_u32_f32 s16, s16
	s_wait_alu 0xfffe
	s_mul_i32 s17, s17, s16
	s_wait_alu 0xfffe
	s_mul_hi_u32 s17, s16, s17
	s_wait_alu 0xfffe
	s_add_co_i32 s16, s16, s17
	s_xor_b32 s17, s33, s13
	s_wait_alu 0xfffe
	s_mul_hi_u32 s16, s19, s16
	s_ashr_i32 s17, s17, 31
	s_wait_alu 0xfffe
	s_mul_i32 s20, s16, s15
	s_delay_alu instid0(SALU_CYCLE_1)
	s_sub_co_i32 s19, s19, s20
	s_add_co_i32 s20, s16, 1
	s_sub_co_i32 s21, s19, s15
	s_cmp_ge_u32 s19, s15
	s_cselect_b32 s16, s20, s16
	s_cselect_b32 s19, s21, s19
	s_wait_alu 0xfffe
	s_add_co_i32 s20, s16, 1
	s_cmp_ge_u32 s19, s15
	s_cselect_b32 s15, s20, s16
	s_add_co_i32 s2, s2, -1
	s_wait_alu 0xfffe
	s_xor_b32 s15, s15, s17
	s_wait_alu 0xfffe
	s_sub_co_i32 s33, s15, s17
	s_delay_alu instid0(SALU_CYCLE_1) | instskip(NEXT) | instid1(SALU_CYCLE_1)
	s_mul_i32 s13, s33, s13
	s_sub_co_i32 s13, s18, s13
	s_delay_alu instid0(SALU_CYCLE_1) | instskip(NEXT) | instid1(SALU_CYCLE_1)
	s_mul_i32 s13, s14, s13
	s_add_co_i32 s31, s13, s31
	s_cmp_gt_u32 s2, 2
	s_cbranch_scc1 .LBB51_9
.LBB51_10:
	s_clause 0x1
	s_load_b32 s30, s[6:7], 0x6c
	s_load_b64 s[6:7], s[0:1], 0x0
	v_cmp_eq_u32_e64 s2, 0, v0
	s_mov_b32 s43, 0
	s_and_saveexec_b32 s8, s2
; %bb.11:
	v_dual_mov_b32 v1, 0 :: v_dual_mov_b32 v2, s36
	s_delay_alu instid0(VALU_DEP_1)
	v_mov_b32_e32 v3, v1
	ds_store_b96 v1, v[1:3] offset:4096
; %bb.12:
	s_or_b32 exec_lo, exec_lo, s8
	s_wait_dscnt 0x0
	s_barrier_signal -1
	s_barrier_wait -1
	global_inv scope:SCOPE_SE
	s_load_b32 s13, s[10:11], 0xc
	s_clause 0x2
	s_load_b32 s52, s[0:1], 0x22c
	s_load_b64 s[34:35], s[0:1], 0xe8
	s_load_b64 s[40:41], s[0:1], 0x1c0
	v_mbcnt_lo_u32_b32 v19, -1, 0
	s_mul_i32 s5, s12, s5
	v_cmp_gt_u32_e32 vcc_lo, 32, v0
	s_add_co_i32 s8, s5, s3
	v_lshrrev_b32_e32 v3, 1, v0
	v_cmp_gt_i32_e64 s3, 4, v19
	s_ashr_i32 s9, s8, 31
	s_movk_i32 s12, 0x1f0
	s_lshl_b64 s[8:9], s[8:9], 2
	v_and_or_b32 v21, v3, s12, 0xc00
	s_and_b32 s54, vcc_lo, s3
	s_wait_kmcnt 0x0
	s_add_nc_u64 s[44:45], s[6:7], s[8:9]
	v_dual_mov_b32 v7, 0 :: v_dual_lshlrev_b32 v18, 2, v0
	v_mul_lo_u32 v5, s39, v0
	v_cmp_gt_u32_e64 s0, 2, v0
	s_and_b32 s53, s13, 0xffff
	s_bfe_u32 s5, s13, 0xb0005
	s_lshl_b32 s55, s53, 2
	s_add_co_i32 s56, s53, -1
	s_cvt_f32_u32 s3, s55
	s_add_co_i32 s65, s56, s36
	s_cmp_gt_i32 s36, 0x300
	s_cvt_f32_u32 s14, s53
	v_rcp_iflag_f32_e32 v1, s3
	s_cselect_b32 s58, -1, 0
	s_cmp_gt_u32 s53, 31
	s_wait_alu 0xfffe
	v_rcp_iflag_f32_e32 v4, s14
	s_cselect_b32 s59, -1, 0
	s_cmp_lt_u32 ttmp9, s4
	v_dual_mov_b32 v6, v7 :: v_dual_lshlrev_b32 v27, 2, v5
	s_cselect_b32 s42, 12, 18
	s_add_co_i32 s4, s5, -1
	v_readfirstlane_b32 s13, v1
	s_and_b32 s4, s4, 0xffff
	s_bfe_u32 s60, s53, 0x30005
	s_cmp_gt_u32 s4, 6
	v_lshlrev_b64_e64 v[1:2], v19, -1
	s_mul_f32 s4, s13, 0x4f7ffffe
	s_cselect_b32 s61, -1, 0
	s_and_b32 s62, s5, 0x7f8
	s_cmp_lg_u32 s60, 0
	s_cvt_u32_f32 s5, s4
	s_cselect_b32 s63, -1, 0
	s_sub_co_i32 s4, 0, s55
	v_lshlrev_b64_e32 v[2:3], 2, v[5:6]
	s_mul_i32 s13, s4, s5
	v_not_b32_e32 v23, v1
	s_wait_alu 0xfffe
	s_mul_hi_u32 s13, s5, s13
	v_cmp_gt_u32_e64 s1, s36, v0
	s_wait_alu 0xfffe
	s_add_co_i32 s46, s5, s13
	v_readfirstlane_b32 s13, v4
	s_mul_hi_u32 s5, s36, s46
	v_add_co_u32 v8, vcc_lo, s44, v2
	s_mul_i32 s5, s5, s55
	s_mul_f32 s13, s13, 0x4f7ffffe
	s_sub_co_i32 s5, s36, s5
	v_add_co_ci_u32_e64 v9, null, s45, v3, vcc_lo
	s_sub_co_i32 s12, s5, s55
	s_cmp_ge_u32 s5, s55
	s_wait_alu 0xfffe
	s_cvt_u32_f32 s7, s13
	s_cselect_b32 s5, s12, s5
	s_mov_b32 s12, s39
	s_sub_co_i32 s6, s5, s55
	s_cmp_ge_u32 s5, s55
	s_wait_alu 0xfffe
	v_mad_co_u64_u32 v[12:13], null, s39, v18, s[12:13]
	s_cselect_b32 s9, s6, s5
	v_mov_b32_e32 v13, 1.0
	s_sub_co_i32 s64, s36, s9
	s_sub_co_i32 s5, 0, s53
	v_add_nc_u32_e32 v22, s64, v0
	s_mul_i32 s5, s5, s7
	s_abs_i32 s6, s65
	s_mul_hi_u32 s5, s7, s5
	v_or_b32_e32 v3, 3, v18
	v_mul_lo_u32 v10, v22, s39
	s_add_co_i32 s48, s7, s5
	s_ashr_i32 s7, s65, 31
	s_mul_hi_u32 s5, s6, s48
	v_mul_lo_u32 v26, s39, v3
	s_mul_i32 s5, s5, s53
	v_cmp_gt_i32_e64 s3, s36, v0
	s_sub_co_i32 s5, s6, s5
	v_ashrrev_i32_e32 v11, 31, v10
	s_sub_co_i32 s6, s5, s53
	s_cmp_ge_u32 s5, s53
	v_cmp_eq_u32_e64 s4, 0, v19
	s_cselect_b32 s6, s6, s5
	v_lshlrev_b64_e32 v[1:2], 2, v[10:11]
	s_sub_co_i32 s8, s6, s53
	s_cmp_ge_u32 s6, s53
	v_dual_mov_b32 v33, s37 :: v_dual_add_nc_u32 v20, 0xc00, v18
	s_cselect_b32 s8, s8, s6
	s_delay_alu instid0(VALU_DEP_2)
	v_add_co_u32 v10, vcc_lo, s44, v1
	v_add3_u32 v1, s53, s36, v0
	s_wait_alu 0xfffd
	v_add_co_ci_u32_e64 v11, null, s45, v2, vcc_lo
	v_or_b32_e32 v2, 2, v18
	s_xor_b32 s8, s8, s7
	v_subrev_nc_u32_e32 v1, s9, v1
	s_sub_co_i32 s8, s7, s8
	v_cmp_gt_i32_e64 s5, s64, v18
	v_mul_lo_u32 v25, s39, v2
	s_wait_alu 0xfffe
	s_add_co_i32 s65, s65, s8
	v_mul_lo_u32 v28, s39, v1
	v_cmp_gt_u32_e64 s6, s36, v22
	v_cmp_gt_i32_e64 s7, s36, v22
	s_wait_alu 0xfffe
	v_cmp_gt_i32_e64 s8, s65, v0
	v_dual_mov_b32 v24, 0 :: v_dual_lshlrev_b32 v29, 4, v0
	v_lshl_or_b32 v30, v19, 2, 0xc00
	v_dual_mov_b32 v15, 0 :: v_dual_mov_b32 v32, 0
	v_mov_b32_e32 v31, 0
	s_mul_i32 s57, s39, s53
	s_mov_b32 s47, s43
	s_mov_b32 s49, s43
	s_lshl_b32 s66, s57, 2
	s_lshl_b32 s67, s53, 4
	s_mov_b32 s74, 30
	s_add_nc_u64 s[50:51], s[10:11], s[42:43]
	s_mov_b32 s37, 0
                                        ; implicit-def: $sgpr71
                                        ; implicit-def: $sgpr73
                                        ; implicit-def: $sgpr68
                                        ; implicit-def: $sgpr70
                                        ; implicit-def: $sgpr72
                                        ; implicit-def: $sgpr69
	s_branch .LBB51_16
.LBB51_13:                              ;   in Loop: Header=BB51_16 Depth=1
	s_wait_alu 0xfffe
	s_or_b32 exec_lo, exec_lo, s13
	s_delay_alu instid0(SALU_CYCLE_1)
	s_and_b32 s10, s10, exec_lo
	s_and_not1_b32 s15, s15, exec_lo
	s_and_not1_b32 s14, s14, exec_lo
	s_or_not1_b32 s12, s12, exec_lo
.LBB51_14:                              ;   in Loop: Header=BB51_16 Depth=1
	s_wait_alu 0xfffe
	s_or_b32 exec_lo, exec_lo, s9
	s_delay_alu instid0(SALU_CYCLE_1)
	s_and_not1_b32 s9, s69, exec_lo
	s_and_b32 s10, s10, exec_lo
	s_and_not1_b32 s13, s70, exec_lo
	s_wait_alu 0xfffe
	s_or_b32 s69, s9, s10
	s_and_not1_b32 s9, s72, exec_lo
	s_and_b32 s10, s15, exec_lo
	s_and_b32 s14, s14, exec_lo
	s_wait_alu 0xfffe
	s_or_b32 s72, s9, s10
	s_or_b32 s70, s13, s14
	s_or_not1_b32 s13, s12, exec_lo
.LBB51_15:                              ;   in Loop: Header=BB51_16 Depth=1
	s_wait_alu 0xfffe
	s_or_b32 exec_lo, exec_lo, s11
	s_delay_alu instid0(SALU_CYCLE_1)
	s_and_b32 s9, exec_lo, s13
	v_mov_b32_e32 v33, v4
	s_wait_alu 0xfffe
	s_or_b32 s37, s9, s37
	s_and_not1_b32 s9, s68, exec_lo
	s_and_b32 s10, s69, exec_lo
	s_and_not1_b32 s11, s73, exec_lo
	s_wait_alu 0xfffe
	s_or_b32 s68, s9, s10
	s_and_b32 s9, s72, exec_lo
	s_and_not1_b32 s10, s71, exec_lo
	s_and_b32 s12, s70, exec_lo
	s_wait_alu 0xfffe
	s_or_b32 s73, s11, s9
	s_or_b32 s71, s10, s12
	s_mov_b32 s74, s21
	s_and_not1_b32 exec_lo, exec_lo, s37
	s_cbranch_execz .LBB51_247
.LBB51_16:                              ; =>This Loop Header: Depth=1
                                        ;     Child Loop BB51_22 Depth 2
                                        ;     Child Loop BB51_37 Depth 2
	;; [unrolled: 1-line block ×16, first 2 shown]
	ds_load_b64 v[1:2], v7 offset:4096
	s_wait_dscnt 0x0
	v_readfirstlane_b32 s42, v1
	s_cmp_gt_i32 s42, 0
	s_cbranch_scc1 .LBB51_44
; %bb.17:                               ;   in Loop: Header=BB51_16 Depth=1
	s_and_b32 vcc_lo, exec_lo, s58
	s_wait_alu 0xfffe
	s_cbranch_vccz .LBB51_30
; %bb.18:                               ;   in Loop: Header=BB51_16 Depth=1
	v_cmp_gt_i32_e32 vcc_lo, 0x301, v2
	s_mov_b32 s10, 0
	s_mov_b32 s9, 0
	s_cbranch_vccz .LBB51_31
; %bb.19:                               ;   in Loop: Header=BB51_16 Depth=1
	s_and_saveexec_b32 s11, s1
	s_cbranch_execz .LBB51_76
; %bb.20:                               ;   in Loop: Header=BB51_16 Depth=1
	global_load_b32 v1, v[8:9], off
	s_load_u16 s12, s[50:51], 0x0
	s_mov_b32 s14, 0
	s_wait_kmcnt 0x0
	v_add_nc_u32_e32 v2, s12, v0
	s_mul_i32 s13, s39, s12
	s_delay_alu instid0(VALU_DEP_1)
	v_mul_lo_u32 v6, s39, v2
	v_mov_b32_e32 v2, v0
	s_branch .LBB51_22
.LBB51_21:                              ;   in Loop: Header=BB51_22 Depth=2
	s_wait_alu 0xfffe
	s_or_b32 exec_lo, exec_lo, s9
	v_cmp_le_i32_e32 vcc_lo, s36, v2
	v_dual_mov_b32 v1, v3 :: v_dual_add_nc_u32 v6, s13, v6
	s_or_b32 s14, vcc_lo, s14
	s_wait_alu 0xfffe
	s_and_not1_b32 exec_lo, exec_lo, s14
	s_cbranch_execz .LBB51_76
.LBB51_22:                              ;   Parent Loop BB51_16 Depth=1
                                        ; =>  This Inner Loop Header: Depth=2
	s_delay_alu instid0(VALU_DEP_1) | instskip(SKIP_3) | instid1(VALU_DEP_2)
	v_dual_mov_b32 v3, 0 :: v_dual_add_nc_u32 v2, s12, v2
	s_wait_dscnt 0x0
	v_mov_b32_e32 v4, 0
	s_mov_b32 s9, exec_lo
	v_cmpx_gt_u32_e64 s36, v2
	s_cbranch_execz .LBB51_24
; %bb.23:                               ;   in Loop: Header=BB51_22 Depth=2
	v_lshlrev_b64_e32 v[16:17], 2, v[6:7]
	s_delay_alu instid0(VALU_DEP_1) | instskip(SKIP_1) | instid1(VALU_DEP_2)
	v_add_co_u32 v16, vcc_lo, s44, v16
	s_wait_alu 0xfffd
	v_add_co_ci_u32_e64 v17, null, s45, v17, vcc_lo
	global_load_b32 v3, v[16:17], off
.LBB51_24:                              ;   in Loop: Header=BB51_22 Depth=2
	s_wait_alu 0xfffe
	s_or_b32 exec_lo, exec_lo, s9
	s_wait_loadcnt 0x0
	v_cmp_lt_i32_e32 vcc_lo, -1, v1
	s_wait_alu 0xfffd
	v_cndmask_b32_e64 v14, -1, 0x80000000, vcc_lo
	v_cmp_o_f32_e32 vcc_lo, v1, v1
	s_delay_alu instid0(VALU_DEP_2) | instskip(SKIP_1) | instid1(VALU_DEP_1)
	v_xor_b32_e32 v14, v14, v1
	s_wait_alu 0xfffd
	v_cndmask_b32_e32 v14, -1, v14, vcc_lo
	s_delay_alu instid0(VALU_DEP_1) | instskip(NEXT) | instid1(VALU_DEP_1)
	v_and_b32_e32 v14, v14, v32
	v_cmp_eq_u32_e32 vcc_lo, v14, v24
	s_cmp_lg_u32 vcc_lo, 0
	s_cselect_b32 s9, -1, 0
	s_wait_alu 0xfffe
	s_and_b32 s9, s4, s9
	s_wait_alu 0xfffe
	s_and_saveexec_b32 s15, s9
	s_cbranch_execz .LBB51_28
; %bb.25:                               ;   in Loop: Header=BB51_22 Depth=2
	s_mov_b32 s18, exec_lo
	s_bcnt1_i32_b32 s16, vcc_lo
	s_wait_alu 0xfffe
	v_mbcnt_lo_u32_b32 v4, s18, 0
	s_mov_b32 s17, exec_lo
                                        ; implicit-def: $vgpr14
	s_delay_alu instid0(VALU_DEP_1)
	v_cmpx_eq_u32_e32 0, v4
; %bb.26:                               ;   in Loop: Header=BB51_22 Depth=2
	s_bcnt1_i32_b32 s9, s18
	s_wait_alu 0xfffe
	s_mul_i32 s9, s16, s9
	s_wait_alu 0xfffe
	v_mov_b32_e32 v14, s9
	ds_add_rtn_u32 v14, v7, v14 offset:4104
; %bb.27:                               ;   in Loop: Header=BB51_22 Depth=2
	s_or_b32 exec_lo, exec_lo, s17
	s_wait_dscnt 0x0
	v_readfirstlane_b32 s9, v14
	s_wait_alu 0xf1ff
	s_delay_alu instid0(VALU_DEP_1)
	v_mad_u32_u24 v4, s16, v4, s9
.LBB51_28:                              ;   in Loop: Header=BB51_22 Depth=2
	s_wait_alu 0xfffe
	s_or_b32 exec_lo, exec_lo, s15
	ds_bpermute_b32 v4, v7, v4
	s_and_saveexec_b32 s9, vcc_lo
	s_cbranch_execz .LBB51_21
; %bb.29:                               ;   in Loop: Header=BB51_22 Depth=2
	v_and_b32_e32 v14, vcc_lo, v23
	s_delay_alu instid0(VALU_DEP_1) | instskip(NEXT) | instid1(VALU_DEP_1)
	v_bcnt_u32_b32 v14, v14, 0
	v_lshlrev_b32_e32 v14, 2, v14
	s_wait_dscnt 0x0
	s_delay_alu instid0(VALU_DEP_1)
	v_lshl_add_u32 v4, v4, 2, v14
	ds_store_b32 v4, v1
	s_branch .LBB51_21
.LBB51_30:                              ;   in Loop: Header=BB51_16 Depth=1
	s_mov_b32 s10, -1
	s_mov_b32 s9, 0
.LBB51_31:                              ;   in Loop: Header=BB51_16 Depth=1
	s_wait_alu 0xfffe
	s_and_b32 vcc_lo, exec_lo, s10
	s_wait_alu 0xfffe
	s_cbranch_vccz .LBB51_42
.LBB51_32:                              ;   in Loop: Header=BB51_16 Depth=1
	v_mov_b32_e32 v1, 0
	s_and_saveexec_b32 s9, s1
	s_cbranch_execz .LBB51_34
; %bb.33:                               ;   in Loop: Header=BB51_16 Depth=1
	global_load_b32 v1, v[8:9], off
.LBB51_34:                              ;   in Loop: Header=BB51_16 Depth=1
	s_wait_alu 0xfffe
	s_or_b32 exec_lo, exec_lo, s9
	s_and_saveexec_b32 s9, s3
	s_cbranch_execz .LBB51_39
; %bb.35:                               ;   in Loop: Header=BB51_16 Depth=1
	s_load_u16 s10, s[50:51], 0x0
	s_mov_b32 s13, 0
	s_wait_kmcnt 0x0
	v_dual_mov_b32 v3, v0 :: v_dual_add_nc_u32 v2, s10, v0
	s_lshl_b32 s11, s10, 2
	s_mul_i32 s12, s39, s10
	s_delay_alu instid0(VALU_DEP_1)
	v_mul_lo_u32 v6, s39, v2
	v_mov_b32_e32 v2, v18
	s_branch .LBB51_37
.LBB51_36:                              ;   in Loop: Header=BB51_37 Depth=2
	s_wait_alu 0xfffe
	s_or_b32 exec_lo, exec_lo, s14
	v_cmp_le_i32_e32 vcc_lo, s36, v3
	s_wait_loadcnt 0x0
	ds_store_b32 v2, v1
	v_dual_mov_b32 v1, v4 :: v_dual_add_nc_u32 v2, s11, v2
	v_add_nc_u32_e32 v6, s12, v6
	s_or_b32 s13, vcc_lo, s13
	s_wait_alu 0xfffe
	s_and_not1_b32 exec_lo, exec_lo, s13
	s_cbranch_execz .LBB51_39
.LBB51_37:                              ;   Parent Loop BB51_16 Depth=1
                                        ; =>  This Inner Loop Header: Depth=2
	v_dual_mov_b32 v4, 0 :: v_dual_add_nc_u32 v3, s10, v3
	s_mov_b32 s14, exec_lo
	s_delay_alu instid0(VALU_DEP_1)
	v_cmpx_gt_u32_e64 s36, v3
	s_cbranch_execz .LBB51_36
; %bb.38:                               ;   in Loop: Header=BB51_37 Depth=2
	s_delay_alu instid0(VALU_DEP_4) | instskip(NEXT) | instid1(VALU_DEP_1)
	v_lshlrev_b64_e32 v[16:17], 2, v[6:7]
	v_add_co_u32 v16, vcc_lo, s44, v16
	s_wait_alu 0xfffd
	s_delay_alu instid0(VALU_DEP_2)
	v_add_co_ci_u32_e64 v17, null, s45, v17, vcc_lo
	global_load_b32 v4, v[16:17], off
	s_branch .LBB51_36
.LBB51_39:                              ;   in Loop: Header=BB51_16 Depth=1
	s_wait_alu 0xfffe
	s_or_b32 exec_lo, exec_lo, s9
	s_wait_loadcnt_dscnt 0x0
	s_barrier_signal -1
	s_barrier_wait -1
	global_inv scope:SCOPE_SE
	s_and_saveexec_b32 s9, s2
; %bb.40:                               ;   in Loop: Header=BB51_16 Depth=1
	v_mov_b32_e32 v1, s36
	ds_store_b32 v7, v1 offset:4096
; %bb.41:                               ;   in Loop: Header=BB51_16 Depth=1
	s_wait_alu 0xfffe
	s_or_b32 exec_lo, exec_lo, s9
	s_mov_b32 s9, -1
	s_wait_loadcnt_dscnt 0x0
	s_barrier_signal -1
	s_barrier_wait -1
.LBB51_42:                              ;   in Loop: Header=BB51_16 Depth=1
	s_wait_alu 0xfffe
	s_and_b32 vcc_lo, exec_lo, s9
	s_wait_alu 0xfffe
	s_cbranch_vccz .LBB51_44
; %bb.43:                               ;   in Loop: Header=BB51_16 Depth=1
	s_wait_loadcnt 0x0
	global_inv scope:SCOPE_SE
	ds_load_b32 v1, v7 offset:4096
	s_wait_dscnt 0x0
	v_readfirstlane_b32 s42, v1
.LBB51_44:                              ;   in Loop: Header=BB51_16 Depth=1
	s_delay_alu instid0(VALU_DEP_1)
	s_cmp_lt_i32 s42, 1
	s_mov_b32 s9, -1
                                        ; implicit-def: $vgpr1
	s_cbranch_scc1 .LBB51_54
; %bb.45:                               ;   in Loop: Header=BB51_16 Depth=1
	s_wait_alu 0xfffe
	s_and_b32 vcc_lo, exec_lo, s9
	s_wait_alu 0xfffe
	s_cbranch_vccnz .LBB51_67
.LBB51_46:                              ;   in Loop: Header=BB51_16 Depth=1
	v_lshlrev_b32_e32 v6, 7, v31
	s_and_saveexec_b32 s9, s4
	s_cbranch_execz .LBB51_48
.LBB51_47:                              ;   in Loop: Header=BB51_16 Depth=1
	s_wait_loadcnt 0x0
	s_delay_alu instid0(VALU_DEP_1)
	v_lshl_add_u32 v14, v6, 2, v21
	ds_store_b128 v14, v[1:4]
.LBB51_48:                              ;   in Loop: Header=BB51_16 Depth=1
	s_wait_alu 0xfffe
	s_or_b32 exec_lo, exec_lo, s9
	s_wait_loadcnt_dscnt 0x0
	s_barrier_signal -1
	s_barrier_wait -1
	global_inv scope:SCOPE_SE
	s_and_saveexec_b32 s9, s54
	s_cbranch_execz .LBB51_83
; %bb.49:                               ;   in Loop: Header=BB51_16 Depth=1
	v_mov_b32_e32 v1, 0
	s_and_not1_b32 vcc_lo, exec_lo, s59
	s_wait_alu 0xfffe
	s_cbranch_vccnz .LBB51_82
; %bb.50:                               ;   in Loop: Header=BB51_16 Depth=1
	s_and_not1_b32 vcc_lo, exec_lo, s61
	s_wait_alu 0xfffe
	s_cbranch_vccnz .LBB51_79
; %bb.51:                               ;   in Loop: Header=BB51_16 Depth=1
	v_lshl_add_u32 v2, v31, 9, v30
	v_mov_b32_e32 v1, 0
	s_mov_b32 s10, 0
.LBB51_52:                              ;   Parent Loop BB51_16 Depth=1
                                        ; =>  This Inner Loop Header: Depth=2
	ds_load_2addr_b32 v[3:4], v2 offset1:4
	ds_load_2addr_b32 v[16:17], v2 offset0:8 offset1:12
	ds_load_2addr_b32 v[34:35], v2 offset0:16 offset1:20
	;; [unrolled: 1-line block ×3, first 2 shown]
	v_add_nc_u32_e32 v2, 0x80, v2
	s_wait_alu 0xfffe
	s_add_co_i32 s10, s10, 8
	s_wait_alu 0xfffe
	s_cmp_eq_u32 s62, s10
	s_wait_dscnt 0x3
	v_add3_u32 v1, v3, v1, v4
	s_wait_dscnt 0x2
	s_delay_alu instid0(VALU_DEP_1) | instskip(SKIP_1) | instid1(VALU_DEP_1)
	v_add3_u32 v1, v16, v1, v17
	s_wait_dscnt 0x1
	v_add3_u32 v1, v34, v1, v35
	s_wait_dscnt 0x0
	s_delay_alu instid0(VALU_DEP_1)
	v_add3_u32 v1, v36, v1, v37
	s_cbranch_scc0 .LBB51_52
; %bb.53:                               ;   in Loop: Header=BB51_16 Depth=1
	s_mov_b32 s10, s62
	s_and_not1_b32 vcc_lo, exec_lo, s63
	s_wait_alu 0xfffe
	s_cbranch_vccz .LBB51_80
	s_branch .LBB51_82
.LBB51_54:                              ;   in Loop: Header=BB51_16 Depth=1
	v_dual_mov_b32 v1, 0 :: v_dual_mov_b32 v2, 0
	v_dual_mov_b32 v3, 0 :: v_dual_mov_b32 v4, 0
	s_and_saveexec_b32 s75, s5
	s_cbranch_execnz .LBB51_57
; %bb.55:                               ;   in Loop: Header=BB51_16 Depth=1
	s_wait_alu 0xfffe
	s_or_b32 exec_lo, exec_lo, s75
	v_mov_b32_e32 v14, 0
	s_and_saveexec_b32 s9, s6
	s_cbranch_execnz .LBB51_60
.LBB51_56:                              ;   in Loop: Header=BB51_16 Depth=1
	s_wait_alu 0xfffe
	s_or_b32 exec_lo, exec_lo, s9
	s_and_saveexec_b32 s13, s7
	s_cbranch_execnz .LBB51_61
	s_branch .LBB51_66
.LBB51_57:                              ;   in Loop: Header=BB51_16 Depth=1
	v_mov_b32_e32 v6, v18
	s_mov_b32 s76, 0
	s_mov_b32 s77, 0
	;; [unrolled: 1-line block ×6, first 2 shown]
.LBB51_58:                              ;   Parent Loop BB51_16 Depth=1
                                        ; =>  This Inner Loop Header: Depth=2
	s_wait_alu 0xfffe
	v_add_nc_u32_e32 v1, s77, v27
	v_add_nc_u32_e32 v3, s77, v12
	;; [unrolled: 1-line block ×5, first 2 shown]
	v_ashrrev_i32_e32 v2, 31, v1
	v_ashrrev_i32_e32 v4, 31, v3
	;; [unrolled: 1-line block ×4, first 2 shown]
	s_add_co_i32 s77, s77, s66
	v_lshlrev_b64_e32 v[1:2], 2, v[1:2]
	v_lshlrev_b64_e32 v[3:4], 2, v[3:4]
	;; [unrolled: 1-line block ×4, first 2 shown]
	s_delay_alu instid0(VALU_DEP_4)
	v_add_co_u32 v1, vcc_lo, s44, v1
	s_wait_alu 0xfffd
	v_add_co_ci_u32_e64 v2, null, s45, v2, vcc_lo
	v_add_co_u32 v3, vcc_lo, s44, v3
	s_wait_alu 0xfffd
	v_add_co_ci_u32_e64 v4, null, s45, v4, vcc_lo
	;; [unrolled: 3-line block ×4, first 2 shown]
	s_clause 0x3
	global_load_b32 v1, v[1:2], off
	global_load_b32 v2, v[3:4], off
	;; [unrolled: 1-line block ×4, first 2 shown]
	v_cmp_le_i32_e32 vcc_lo, s64, v6
	s_wait_loadcnt 0x3
	v_cmp_lt_i32_e64 s9, -1, v1
	v_cmp_o_f32_e64 s12, v1, v1
	s_wait_loadcnt 0x1
	v_cmp_o_f32_e64 s10, v3, v3
	s_wait_loadcnt 0x0
	v_cmp_o_f32_e64 s11, v4, v4
	s_wait_alu 0xf1ff
	v_cndmask_b32_e64 v14, -1, 0x80000000, s9
	v_cmp_lt_i32_e64 s9, -1, v2
	s_delay_alu instid0(VALU_DEP_2) | instskip(SKIP_1) | instid1(VALU_DEP_2)
	v_xor_b32_e32 v14, v14, v1
	s_wait_alu 0xf1ff
	v_cndmask_b32_e64 v16, -1, 0x80000000, s9
	v_cmp_lt_i32_e64 s9, -1, v3
	s_delay_alu instid0(VALU_DEP_3) | instskip(NEXT) | instid1(VALU_DEP_3)
	v_cndmask_b32_e64 v1, -1, v14, s12
	v_xor_b32_e32 v16, v16, v2
	s_wait_alu 0xf1ff
	s_delay_alu instid0(VALU_DEP_3) | instskip(SKIP_4) | instid1(VALU_DEP_3)
	v_cndmask_b32_e64 v17, -1, 0x80000000, s9
	v_cmp_lt_i32_e64 s9, -1, v4
	v_and_b32_e32 v14, v1, v32
	v_bfe_u32 v1, v1, s74, 2
	s_wait_alu 0xf1ff
	v_cndmask_b32_e64 v34, -1, 0x80000000, s9
	v_cmp_o_f32_e64 s9, v2, v2
	v_xor_b32_e32 v2, v17, v3
	v_cmp_eq_u32_e64 s13, 0, v1
	v_cmp_eq_u32_e64 s17, 1, v1
	v_xor_b32_e32 v3, v34, v4
	s_wait_alu 0xf1ff
	v_cndmask_b32_e64 v4, -1, v16, s9
	v_cndmask_b32_e64 v2, -1, v2, s10
	v_cmp_eq_u32_e64 s9, v14, v24
	v_cmp_eq_u32_e64 s21, 2, v1
	v_cndmask_b32_e64 v3, -1, v3, s11
	v_and_b32_e32 v16, v4, v32
	v_bfe_u32 v4, v4, s74, 2
	v_and_b32_e32 v17, v2, v32
	v_bfe_u32 v2, v2, s74, 2
	;; [unrolled: 2-line block ×3, first 2 shown]
	v_cmp_eq_u32_e64 s10, v16, v24
	v_cmp_eq_u32_e64 s14, 0, v4
	;; [unrolled: 1-line block ×4, first 2 shown]
	s_and_b32 s13, s9, s13
	v_cmp_eq_u32_e64 s12, v34, v24
	v_cmp_eq_u32_e64 s16, 0, v3
	;; [unrolled: 1-line block ×3, first 2 shown]
	s_wait_alu 0xfffe
	v_cndmask_b32_e64 v1, 0, 1, s13
	s_and_b32 s13, s10, s14
	v_cmp_eq_u32_e64 s19, 1, v2
	v_cmp_eq_u32_e64 s23, 2, v2
	;; [unrolled: 1-line block ×3, first 2 shown]
	s_wait_alu 0xfffe
	v_cndmask_b32_e64 v2, 0, 1, s13
	s_and_b32 s13, s11, s15
	v_cmp_eq_u32_e64 s18, 1, v4
	v_cmp_eq_u32_e64 s20, 1, v3
	;; [unrolled: 1-line block ×4, first 2 shown]
	s_wait_alu 0xfffe
	v_cndmask_b32_e64 v3, 0, 1, s13
	s_and_b32 s13, s12, s16
	v_cmp_eq_u32_e64 s22, 2, v4
	v_cmp_eq_u32_e64 s26, 3, v4
	s_wait_alu 0xfffe
	v_cndmask_b32_e64 v4, 0, 1, s13
	s_and_b32 s13, s9, s17
	s_wait_alu 0xfffe
	v_cndmask_b32_e64 v14, 0, 1, s13
	s_and_b32 s13, s10, s18
	;; [unrolled: 3-line block ×4, first 2 shown]
	v_cmp_ne_u32_e64 s14, 0, v16
	s_wait_alu 0xfffe
	v_cndmask_b32_e64 v34, 0, 1, s13
	s_and_b32 s13, s9, s21
	s_and_b32 s9, s9, s25
	s_wait_alu 0xfffe
	v_cndmask_b32_e64 v35, 0, 1, s13
	s_and_b32 s13, s10, s22
	v_cndmask_b32_e64 v39, 0, 1, s9
	s_and_b32 s9, s10, s26
	s_wait_alu 0xfffe
	v_cndmask_b32_e64 v36, 0, 1, s13
	s_and_b32 s13, s11, s23
	v_cndmask_b32_e64 v40, 0, 1, s9
	;; [unrolled: 5-line block ×3, first 2 shown]
	s_and_b32 s9, s12, s28
	s_wait_alu 0xfffe
	v_cndmask_b32_e64 v38, 0, 1, s13
	v_cndmask_b32_e64 v42, 0, 1, s9
	v_cmp_ne_u32_e64 s9, 0, v1
	v_cmp_ne_u32_e64 s13, 0, v14
	;; [unrolled: 1-line block ×11, first 2 shown]
	s_bcnt1_i32_b32 s9, s9
	s_bcnt1_i32_b32 s13, s13
	;; [unrolled: 1-line block ×4, first 2 shown]
	v_cmp_ne_u32_e64 s12, 0, v4
	v_cmp_ne_u32_e64 s16, 0, v34
	;; [unrolled: 1-line block ×4, first 2 shown]
	s_bcnt1_i32_b32 s10, s10
	s_bcnt1_i32_b32 s14, s14
	s_bcnt1_i32_b32 s18, s18
	s_bcnt1_i32_b32 s22, s22
	s_wait_alu 0xfffe
	s_add_co_i32 s9, s9, s81
	s_add_co_i32 s13, s13, s80
	s_add_co_i32 s17, s17, s79
	s_add_co_i32 s21, s21, s78
	s_bcnt1_i32_b32 s11, s11
	s_bcnt1_i32_b32 s15, s15
	s_bcnt1_i32_b32 s19, s19
	s_bcnt1_i32_b32 s23, s23
	s_wait_alu 0xfffe
	s_add_co_i32 s9, s9, s10
	s_add_co_i32 s10, s13, s14
	s_add_co_i32 s13, s17, s18
	s_add_co_i32 s14, s21, s22
	;; [unrolled: 9-line block ×3, first 2 shown]
	s_wait_alu 0xfffe
	s_add_co_i32 s81, s9, s12
	s_add_co_i32 s80, s10, s16
	;; [unrolled: 1-line block ×4, first 2 shown]
	s_wait_alu 0xfffe
	v_dual_mov_b32 v1, s81 :: v_dual_mov_b32 v2, s80
	v_dual_mov_b32 v3, s79 :: v_dual_mov_b32 v4, s78
	s_or_b32 s76, vcc_lo, s76
	s_wait_alu 0xfffe
	s_and_not1_b32 exec_lo, exec_lo, s76
	s_cbranch_execnz .LBB51_58
; %bb.59:                               ;   in Loop: Header=BB51_16 Depth=1
	s_or_b32 exec_lo, exec_lo, s76
	s_delay_alu instid0(SALU_CYCLE_1)
	s_or_b32 exec_lo, exec_lo, s75
	v_mov_b32_e32 v14, 0
	s_and_saveexec_b32 s9, s6
	s_cbranch_execz .LBB51_56
.LBB51_60:                              ;   in Loop: Header=BB51_16 Depth=1
	global_load_b32 v14, v[10:11], off
	s_wait_alu 0xfffe
	s_or_b32 exec_lo, exec_lo, s9
	s_and_saveexec_b32 s13, s7
	s_cbranch_execz .LBB51_66
.LBB51_61:                              ;   in Loop: Header=BB51_16 Depth=1
	v_mov_b32_e32 v16, v28
	v_mov_b32_e32 v6, v22
	s_mov_b32 s14, 0
	s_branch .LBB51_63
.LBB51_62:                              ;   in Loop: Header=BB51_63 Depth=2
	s_wait_alu 0xfffe
	s_or_b32 exec_lo, exec_lo, s9
	s_wait_loadcnt 0x0
	v_cmp_lt_i32_e32 vcc_lo, -1, v14
	v_add_nc_u32_e32 v16, s57, v16
	s_wait_alu 0xfffd
	v_cndmask_b32_e64 v34, -1, 0x80000000, vcc_lo
	v_cmp_o_f32_e32 vcc_lo, v14, v14
	s_delay_alu instid0(VALU_DEP_2) | instskip(SKIP_1) | instid1(VALU_DEP_1)
	v_xor_b32_e32 v34, v34, v14
	s_wait_alu 0xfffd
	v_cndmask_b32_e32 v14, -1, v34, vcc_lo
	s_delay_alu instid0(VALU_DEP_1) | instskip(SKIP_1) | instid1(VALU_DEP_2)
	v_and_b32_e32 v34, v14, v32
	v_bfe_u32 v14, v14, s74, 2
	v_cmp_eq_u32_e32 vcc_lo, v34, v24
	s_delay_alu instid0(VALU_DEP_2)
	v_cmp_eq_u32_e64 s9, 0, v14
	v_cmp_eq_u32_e64 s10, 1, v14
	;; [unrolled: 1-line block ×4, first 2 shown]
	s_and_b32 s9, vcc_lo, s9
	s_wait_alu 0xfffe
	v_cndmask_b32_e64 v14, 0, 1, s9
	s_and_b32 s9, vcc_lo, s10
	s_wait_alu 0xfffe
	v_cndmask_b32_e64 v34, 0, 1, s9
	;; [unrolled: 3-line block ×3, first 2 shown]
	s_and_b32 s9, vcc_lo, s12
	v_cmp_ne_u32_e32 vcc_lo, 0, v14
	s_wait_alu 0xfffe
	v_cndmask_b32_e64 v36, 0, 1, s9
	v_cmp_ne_u32_e64 s9, 0, v34
	v_cmp_ne_u32_e64 s10, 0, v35
	v_cmp_le_i32_e64 s12, s36, v6
	s_bcnt1_i32_b32 s15, vcc_lo
	v_cmp_ne_u32_e64 s11, 0, v36
	s_bcnt1_i32_b32 s9, s9
	s_bcnt1_i32_b32 s10, s10
	s_wait_alu 0xfffe
	v_add_nc_u32_e32 v1, s15, v1
	v_add_nc_u32_e32 v2, s9, v2
	s_bcnt1_i32_b32 s11, s11
	v_dual_mov_b32 v14, v17 :: v_dual_add_nc_u32 v3, s10, v3
	s_wait_alu 0xfffe
	v_add_nc_u32_e32 v4, s11, v4
	s_or_b32 s14, s12, s14
	s_wait_alu 0xfffe
	s_and_not1_b32 exec_lo, exec_lo, s14
	s_cbranch_execz .LBB51_65
.LBB51_63:                              ;   Parent Loop BB51_16 Depth=1
                                        ; =>  This Inner Loop Header: Depth=2
	s_delay_alu instid0(VALU_DEP_1) | instskip(SKIP_1) | instid1(VALU_DEP_1)
	v_dual_mov_b32 v17, 0 :: v_dual_add_nc_u32 v6, s53, v6
	s_mov_b32 s9, exec_lo
	v_cmpx_gt_u32_e64 s36, v6
	s_cbranch_execz .LBB51_62
; %bb.64:                               ;   in Loop: Header=BB51_63 Depth=2
	v_ashrrev_i32_e32 v17, 31, v16
	s_delay_alu instid0(VALU_DEP_1) | instskip(NEXT) | instid1(VALU_DEP_1)
	v_lshlrev_b64_e32 v[34:35], 2, v[16:17]
	v_add_co_u32 v34, vcc_lo, s44, v34
	s_wait_alu 0xfffd
	s_delay_alu instid0(VALU_DEP_2)
	v_add_co_ci_u32_e64 v35, null, s45, v35, vcc_lo
	global_load_b32 v17, v[34:35], off
	s_branch .LBB51_62
.LBB51_65:                              ;   in Loop: Header=BB51_16 Depth=1
	s_or_b32 exec_lo, exec_lo, s14
.LBB51_66:                              ;   in Loop: Header=BB51_16 Depth=1
	s_wait_alu 0xfffe
	s_or_b32 exec_lo, exec_lo, s13
	s_branch .LBB51_46
.LBB51_67:                              ;   in Loop: Header=BB51_16 Depth=1
	s_mul_u64 s[10:11], s[42:43], s[46:47]
	v_dual_mov_b32 v1, 0 :: v_dual_mov_b32 v2, 0
	s_wait_alu 0xfffe
	s_mul_i32 s9, s11, s55
	v_dual_mov_b32 v3, 0 :: v_dual_mov_b32 v4, 0
	s_wait_alu 0xfffe
	s_sub_co_i32 s9, s42, s9
	s_mov_b32 s76, exec_lo
	s_wait_alu 0xfffe
	s_sub_co_i32 s10, s9, s55
	s_cmp_ge_u32 s9, s55
	s_wait_alu 0xfffe
	s_cselect_b32 s9, s10, s9
	s_wait_alu 0xfffe
	s_sub_co_i32 s10, s9, s55
	s_cmp_ge_u32 s9, s55
	s_wait_alu 0xfffe
	s_cselect_b32 s9, s10, s9
	s_wait_alu 0xfffe
	s_sub_co_i32 s75, s42, s9
	s_wait_alu 0xfffe
	v_cmpx_gt_u32_e64 s75, v18
	s_cbranch_execz .LBB51_71
; %bb.68:                               ;   in Loop: Header=BB51_16 Depth=1
	v_mov_b32_e32 v6, v29
	s_wait_loadcnt 0x0
	v_mov_b32_e32 v14, v18
	s_mov_b32 s77, 0
	s_mov_b32 s78, 0
	;; [unrolled: 1-line block ×5, first 2 shown]
.LBB51_69:                              ;   Parent Loop BB51_16 Depth=1
                                        ; =>  This Inner Loop Header: Depth=2
	ds_load_b128 v[1:4], v6
	s_wait_dscnt 0x0
	v_cmp_lt_i32_e64 s9, -1, v1
	v_cmp_o_f32_e64 s12, v1, v1
	v_cmp_o_f32_e64 s10, v3, v3
	v_cmp_o_f32_e64 s11, v4, v4
	s_wait_alu 0xf1ff
	v_cndmask_b32_e64 v16, -1, 0x80000000, s9
	v_cmp_lt_i32_e64 s9, -1, v2
	s_delay_alu instid0(VALU_DEP_2) | instskip(SKIP_1) | instid1(VALU_DEP_2)
	v_xor_b32_e32 v16, v16, v1
	s_wait_alu 0xf1ff
	v_cndmask_b32_e64 v17, -1, 0x80000000, s9
	v_cmp_lt_i32_e64 s9, -1, v3
	s_delay_alu instid0(VALU_DEP_3) | instskip(NEXT) | instid1(VALU_DEP_3)
	v_cndmask_b32_e64 v1, -1, v16, s12
	v_xor_b32_e32 v17, v17, v2
	s_wait_alu 0xf1ff
	s_delay_alu instid0(VALU_DEP_3) | instskip(SKIP_4) | instid1(VALU_DEP_3)
	v_cndmask_b32_e64 v34, -1, 0x80000000, s9
	v_cmp_lt_i32_e64 s9, -1, v4
	v_and_b32_e32 v16, v1, v32
	v_bfe_u32 v1, v1, s74, 2
	s_wait_alu 0xf1ff
	v_cndmask_b32_e64 v35, -1, 0x80000000, s9
	v_cmp_o_f32_e64 s9, v2, v2
	v_xor_b32_e32 v2, v34, v3
	v_cmp_eq_u32_e64 s13, 0, v1
	v_cmp_eq_u32_e64 s17, 1, v1
	v_xor_b32_e32 v3, v35, v4
	s_wait_alu 0xf1ff
	v_cndmask_b32_e64 v4, -1, v17, s9
	v_cndmask_b32_e64 v2, -1, v2, s10
	v_cmp_eq_u32_e64 s9, v16, v24
	v_cmp_eq_u32_e64 s21, 2, v1
	v_cndmask_b32_e64 v3, -1, v3, s11
	v_and_b32_e32 v17, v4, v32
	v_bfe_u32 v4, v4, s74, 2
	v_and_b32_e32 v34, v2, v32
	v_bfe_u32 v2, v2, s74, 2
	;; [unrolled: 2-line block ×3, first 2 shown]
	v_cmp_eq_u32_e64 s10, v17, v24
	v_cmp_eq_u32_e64 s14, 0, v4
	;; [unrolled: 1-line block ×4, first 2 shown]
	s_and_b32 s13, s9, s13
	v_cmp_eq_u32_e64 s12, v35, v24
	v_cmp_eq_u32_e64 s16, 0, v3
	;; [unrolled: 1-line block ×3, first 2 shown]
	s_wait_alu 0xfffe
	v_cndmask_b32_e64 v1, 0, 1, s13
	s_and_b32 s13, s10, s14
	v_cmp_eq_u32_e64 s19, 1, v2
	v_cmp_eq_u32_e64 s23, 2, v2
	;; [unrolled: 1-line block ×3, first 2 shown]
	s_wait_alu 0xfffe
	v_cndmask_b32_e64 v2, 0, 1, s13
	s_and_b32 s13, s11, s15
	v_cmp_eq_u32_e64 s18, 1, v4
	v_cmp_eq_u32_e64 s20, 1, v3
	;; [unrolled: 1-line block ×4, first 2 shown]
	s_wait_alu 0xfffe
	v_cndmask_b32_e64 v3, 0, 1, s13
	s_and_b32 s13, s12, s16
	v_cmp_eq_u32_e64 s22, 2, v4
	v_cmp_eq_u32_e64 s26, 3, v4
	s_wait_alu 0xfffe
	v_cndmask_b32_e64 v4, 0, 1, s13
	s_and_b32 s13, s9, s17
	s_wait_alu 0xfffe
	v_cndmask_b32_e64 v16, 0, 1, s13
	s_and_b32 s13, s10, s18
	;; [unrolled: 3-line block ×4, first 2 shown]
	v_cmp_ne_u32_e64 s14, 0, v17
	s_wait_alu 0xfffe
	v_cndmask_b32_e64 v35, 0, 1, s13
	s_and_b32 s13, s9, s21
	s_and_b32 s9, s9, s25
	s_wait_alu 0xfffe
	v_cndmask_b32_e64 v36, 0, 1, s13
	v_cndmask_b32_e64 v40, 0, 1, s9
	s_and_b32 s9, s10, s26
	s_and_b32 s13, s10, s22
	s_wait_alu 0xfffe
	v_cndmask_b32_e64 v41, 0, 1, s9
	s_and_b32 s9, s11, s27
	v_cndmask_b32_e64 v37, 0, 1, s13
	s_wait_alu 0xfffe
	v_cndmask_b32_e64 v42, 0, 1, s9
	s_and_b32 s9, s12, s28
	s_and_b32 s13, s11, s23
	s_wait_alu 0xfffe
	v_cndmask_b32_e64 v43, 0, 1, s9
	v_cmp_ne_u32_e64 s9, 0, v1
	v_cmp_ne_u32_e64 s10, 0, v2
	v_cndmask_b32_e64 v38, 0, 1, s13
	s_and_b32 s13, s12, s24
	v_cmp_ne_u32_e64 s11, 0, v3
	s_wait_alu 0xfffe
	v_cndmask_b32_e64 v39, 0, 1, s13
	v_cmp_ne_u32_e64 s13, 0, v16
	v_cmp_ne_u32_e64 s17, 0, v36
	;; [unrolled: 1-line block ×3, first 2 shown]
	s_bcnt1_i32_b32 s9, s9
	v_cmp_ne_u32_e64 s12, 0, v4
	v_cmp_ne_u32_e64 s18, 0, v37
	;; [unrolled: 1-line block ×3, first 2 shown]
	s_bcnt1_i32_b32 s10, s10
	s_wait_alu 0xfffe
	s_add_co_i32 s9, s9, s81
	v_cmp_ne_u32_e64 s15, 0, v34
	v_cmp_ne_u32_e64 s19, 0, v38
	;; [unrolled: 1-line block ×3, first 2 shown]
	s_bcnt1_i32_b32 s11, s11
	s_wait_alu 0xfffe
	s_add_co_i32 s9, s9, s10
	s_bcnt1_i32_b32 s13, s13
	s_bcnt1_i32_b32 s17, s17
	;; [unrolled: 1-line block ×3, first 2 shown]
	v_cmp_ne_u32_e64 s16, 0, v35
	v_cmp_ne_u32_e64 s20, 0, v39
	;; [unrolled: 1-line block ×3, first 2 shown]
	s_bcnt1_i32_b32 s12, s12
	s_wait_alu 0xfffe
	s_add_co_i32 s9, s9, s11
	s_bcnt1_i32_b32 s14, s14
	s_bcnt1_i32_b32 s18, s18
	;; [unrolled: 1-line block ×3, first 2 shown]
	s_add_co_i32 s13, s13, s80
	s_add_co_i32 s17, s17, s79
	;; [unrolled: 1-line block ×3, first 2 shown]
	s_wait_alu 0xfffe
	s_add_co_i32 s81, s9, s12
	s_wait_alu 0xfffe
	v_dual_mov_b32 v1, s81 :: v_dual_add_nc_u32 v14, s55, v14
	s_bcnt1_i32_b32 s15, s15
	s_bcnt1_i32_b32 s19, s19
	;; [unrolled: 1-line block ×3, first 2 shown]
	s_add_co_i32 s10, s13, s14
	s_add_co_i32 s13, s17, s18
	;; [unrolled: 1-line block ×3, first 2 shown]
	s_bcnt1_i32_b32 s16, s16
	s_bcnt1_i32_b32 s20, s20
	;; [unrolled: 1-line block ×3, first 2 shown]
	s_wait_alu 0xfffe
	s_add_co_i32 s10, s10, s15
	s_add_co_i32 s11, s13, s19
	;; [unrolled: 1-line block ×3, first 2 shown]
	v_cmp_le_i32_e32 vcc_lo, s75, v14
	s_wait_alu 0xfffe
	s_add_co_i32 s80, s10, s16
	s_add_co_i32 s79, s11, s20
	;; [unrolled: 1-line block ×3, first 2 shown]
	s_wait_alu 0xfffe
	v_dual_mov_b32 v3, s79 :: v_dual_add_nc_u32 v6, s67, v6
	v_mov_b32_e32 v2, s80
	v_mov_b32_e32 v4, s78
	s_or_b32 s77, vcc_lo, s77
	s_wait_alu 0xfffe
	s_and_not1_b32 exec_lo, exec_lo, s77
	s_cbranch_execnz .LBB51_69
; %bb.70:                               ;   in Loop: Header=BB51_16 Depth=1
	s_or_b32 exec_lo, exec_lo, s77
.LBB51_71:                              ;   in Loop: Header=BB51_16 Depth=1
	s_delay_alu instid0(SALU_CYCLE_1) | instskip(SKIP_2) | instid1(VALU_DEP_1)
	s_or_b32 exec_lo, exec_lo, s76
	v_add_nc_u32_e32 v6, s75, v0
	s_mov_b32 s14, exec_lo
	v_cmpx_gt_i32_e64 s42, v6
	s_cbranch_execz .LBB51_75
; %bb.72:                               ;   in Loop: Header=BB51_16 Depth=1
	s_wait_loadcnt 0x0
	v_lshlrev_b32_e32 v14, 2, v6
	s_mov_b32 s15, 0
.LBB51_73:                              ;   Parent Loop BB51_16 Depth=1
                                        ; =>  This Inner Loop Header: Depth=2
	ds_load_b32 v16, v14
	v_add_nc_u32_e32 v6, s53, v6
	v_add_nc_u32_e32 v14, s55, v14
	s_delay_alu instid0(VALU_DEP_2) | instskip(SKIP_3) | instid1(VALU_DEP_1)
	v_cmp_le_i32_e32 vcc_lo, s42, v6
	s_wait_dscnt 0x0
	v_cmp_lt_i32_e64 s9, -1, v16
	s_wait_alu 0xf1ff
	v_cndmask_b32_e64 v17, -1, 0x80000000, s9
	v_cmp_o_f32_e64 s9, v16, v16
	s_delay_alu instid0(VALU_DEP_2) | instskip(SKIP_1) | instid1(VALU_DEP_1)
	v_xor_b32_e32 v17, v17, v16
	s_wait_alu 0xf1ff
	v_cndmask_b32_e64 v16, -1, v17, s9
	s_delay_alu instid0(VALU_DEP_1) | instskip(SKIP_1) | instid1(VALU_DEP_2)
	v_and_b32_e32 v17, v16, v32
	v_bfe_u32 v16, v16, s74, 2
	v_cmp_eq_u32_e64 s9, v17, v24
	s_delay_alu instid0(VALU_DEP_2)
	v_cmp_eq_u32_e64 s10, 0, v16
	v_cmp_eq_u32_e64 s11, 1, v16
	v_cmp_eq_u32_e64 s12, 2, v16
	v_cmp_eq_u32_e64 s13, 3, v16
	s_and_b32 s10, s9, s10
	s_wait_alu 0xfffe
	v_cndmask_b32_e64 v16, 0, 1, s10
	s_and_b32 s10, s9, s11
	s_wait_alu 0xfffe
	v_cndmask_b32_e64 v17, 0, 1, s10
	s_and_b32 s10, s9, s12
	s_and_b32 s9, s9, s13
	s_wait_alu 0xfffe
	v_cndmask_b32_e64 v34, 0, 1, s10
	v_cndmask_b32_e64 v35, 0, 1, s9
	v_cmp_ne_u32_e64 s9, 0, v16
	v_cmp_ne_u32_e64 s10, 0, v17
	s_delay_alu instid0(VALU_DEP_4) | instskip(NEXT) | instid1(VALU_DEP_4)
	v_cmp_ne_u32_e64 s11, 0, v34
	v_cmp_ne_u32_e64 s12, 0, v35
	s_bcnt1_i32_b32 s9, s9
	s_bcnt1_i32_b32 s10, s10
	s_wait_alu 0xfffe
	v_add_nc_u32_e32 v1, s9, v1
	s_bcnt1_i32_b32 s11, s11
	s_bcnt1_i32_b32 s12, s12
	v_add_nc_u32_e32 v2, s10, v2
	s_wait_alu 0xfffe
	v_add_nc_u32_e32 v3, s11, v3
	v_add_nc_u32_e32 v4, s12, v4
	s_or_b32 s15, vcc_lo, s15
	s_wait_alu 0xfffe
	s_and_not1_b32 exec_lo, exec_lo, s15
	s_cbranch_execnz .LBB51_73
; %bb.74:                               ;   in Loop: Header=BB51_16 Depth=1
	s_or_b32 exec_lo, exec_lo, s15
.LBB51_75:                              ;   in Loop: Header=BB51_16 Depth=1
	s_wait_alu 0xfffe
	s_or_b32 exec_lo, exec_lo, s14
	v_lshlrev_b32_e32 v6, 7, v31
	s_and_saveexec_b32 s9, s4
	s_cbranch_execnz .LBB51_47
	s_branch .LBB51_48
.LBB51_76:                              ;   in Loop: Header=BB51_16 Depth=1
	s_wait_alu 0xfffe
	s_or_b32 exec_lo, exec_lo, s11
	s_wait_loadcnt_dscnt 0x0
	s_barrier_signal -1
	s_barrier_wait -1
	global_inv scope:SCOPE_SE
	s_and_saveexec_b32 s9, s2
	s_cbranch_execz .LBB51_78
; %bb.77:                               ;   in Loop: Header=BB51_16 Depth=1
	ds_load_b32 v1, v7 offset:4104
	s_wait_dscnt 0x0
	ds_store_b32 v7, v1 offset:4096
.LBB51_78:                              ;   in Loop: Header=BB51_16 Depth=1
	s_wait_alu 0xfffe
	s_or_b32 exec_lo, exec_lo, s9
	s_wait_loadcnt_dscnt 0x0
	s_barrier_signal -1
	s_mov_b32 s9, -1
	s_barrier_wait -1
	s_and_b32 vcc_lo, exec_lo, s10
	s_wait_alu 0xfffe
	s_cbranch_vccnz .LBB51_32
	s_branch .LBB51_42
.LBB51_79:                              ;   in Loop: Header=BB51_16 Depth=1
	v_mov_b32_e32 v1, 0
	s_mov_b32 s10, 0
	s_and_not1_b32 vcc_lo, exec_lo, s63
	s_wait_alu 0xfffe
	s_cbranch_vccnz .LBB51_82
.LBB51_80:                              ;   in Loop: Header=BB51_16 Depth=1
	v_lshlrev_b32_e32 v2, 9, v31
	s_lshl_b32 s10, s10, 4
	s_wait_alu 0xfffe
	s_delay_alu instid0(VALU_DEP_1)
	v_add3_u32 v2, v2, s10, v30
	s_mov_b32 s10, s60
.LBB51_81:                              ;   Parent Loop BB51_16 Depth=1
                                        ; =>  This Inner Loop Header: Depth=2
	ds_load_b32 v3, v2
	v_add_nc_u32_e32 v2, 16, v2
	s_wait_alu 0xfffe
	s_add_co_i32 s10, s10, -1
	s_wait_alu 0xfffe
	s_cmp_lg_u32 s10, 0
	s_wait_dscnt 0x0
	v_add_nc_u32_e32 v1, v3, v1
	s_cbranch_scc1 .LBB51_81
.LBB51_82:                              ;   in Loop: Header=BB51_16 Depth=1
	v_add_lshl_u32 v2, v6, v19, 2
	ds_store_b32 v2, v1 offset:3072
.LBB51_83:                              ;   in Loop: Header=BB51_16 Depth=1
	s_wait_alu 0xfffe
	s_or_b32 exec_lo, exec_lo, s9
	v_lshlrev_b32_e32 v1, 2, v6
	s_wait_loadcnt_dscnt 0x0
	s_barrier_signal -1
	s_barrier_wait -1
	global_inv scope:SCOPE_SE
	ds_load_b128 v[1:4], v1 offset:3072
	s_lshl_b32 s10, 3, s74
	v_cmp_eq_u32_e32 vcc_lo, 1, v33
	s_wait_alu 0xfffe
	s_not_b32 s17, s10
	s_mov_b32 s13, -1
	s_mov_b32 s15, -1
                                        ; implicit-def: $sgpr20
                                        ; implicit-def: $sgpr18
	s_wait_dscnt 0x0
	v_readfirstlane_b32 s12, v1
	v_readfirstlane_b32 s19, v2
	;; [unrolled: 1-line block ×4, first 2 shown]
	s_cmp_eq_u32 s12, 1
	s_cselect_b32 s11, -1, 0
	s_wait_alu 0xfffe
	s_and_b32 s14, s11, vcc_lo
	s_wait_alu 0xfffe
	s_and_saveexec_b32 s11, s14
	s_cbranch_execz .LBB51_111
; %bb.84:                               ;   in Loop: Header=BB51_16 Depth=1
	ds_load_b32 v1, v7 offset:4096
	s_wait_loadcnt_dscnt 0x0
	s_barrier_signal -1
	s_barrier_wait -1
	global_inv scope:SCOPE_SE
	v_readfirstlane_b32 s15, v1
	s_and_saveexec_b32 s18, s0
; %bb.85:                               ;   in Loop: Header=BB51_16 Depth=1
	ds_store_b32 v20, v7
; %bb.86:                               ;   in Loop: Header=BB51_16 Depth=1
	s_wait_alu 0xfffe
	s_or_b32 exec_lo, exec_lo, s18
	v_and_b32_e32 v24, s17, v24
	v_or_b32_e32 v32, s10, v32
	s_mov_b32 s18, -1
	s_mov_b32 s20, 0
	s_cmp_lt_i32 s15, 1
	s_mov_b32 s21, 0
	s_mov_b32 s22, -1
	s_wait_loadcnt_dscnt 0x0
	s_barrier_signal -1
	s_barrier_wait -1
	global_inv scope:SCOPE_SE
                                        ; implicit-def: $vgpr15
	s_cbranch_scc0 .LBB51_98
; %bb.87:                               ;   in Loop: Header=BB51_16 Depth=1
	s_mov_b32 s22, 0
                                        ; implicit-def: $vgpr15
	s_and_saveexec_b32 s23, s8
	s_cbranch_execz .LBB51_97
; %bb.88:                               ;   in Loop: Header=BB51_16 Depth=1
	v_mov_b32_e32 v1, v5
	v_mov_b32_e32 v3, v0
                                        ; implicit-def: $sgpr24
	s_branch .LBB51_92
.LBB51_89:                              ;   in Loop: Header=BB51_92 Depth=2
	s_wait_alu 0xfffe
	s_or_b32 exec_lo, exec_lo, s25
	s_wait_loadcnt_dscnt 0x0
	s_barrier_signal -1
	s_barrier_wait -1
	global_inv scope:SCOPE_SE
	ds_load_b64 v[14:15], v7 offset:3072
	s_wait_loadcnt_dscnt 0x0
	s_barrier_signal -1
	s_barrier_wait -1
	global_inv scope:SCOPE_SE
	v_cmp_neq_f32_e32 vcc_lo, 0, v14
	s_cbranch_vccnz .LBB51_95
; %bb.90:                               ;   in Loop: Header=BB51_92 Depth=2
	v_add_nc_u32_e32 v3, s53, v3
	v_add_nc_u32_e32 v1, s57, v1
	s_mov_b32 s25, 0
	s_delay_alu instid0(VALU_DEP_2)
	v_cmp_le_i32_e32 vcc_lo, s65, v3
	s_or_not1_b32 s26, vcc_lo, exec_lo
.LBB51_91:                              ;   in Loop: Header=BB51_92 Depth=2
	s_wait_alu 0xfffe
	s_and_b32 s26, exec_lo, s26
	s_wait_alu 0xfffe
	s_or_b32 s21, s26, s21
	s_and_not1_b32 s24, s24, exec_lo
	s_and_b32 s25, s25, exec_lo
	s_wait_alu 0xfffe
	s_or_b32 s24, s24, s25
	s_and_not1_b32 exec_lo, exec_lo, s21
	s_cbranch_execz .LBB51_96
.LBB51_92:                              ;   Parent Loop BB51_16 Depth=1
                                        ; =>  This Inner Loop Header: Depth=2
	s_mov_b32 s25, exec_lo
	s_delay_alu instid0(VALU_DEP_1)
	v_cmpx_gt_i32_e64 s36, v3
	s_cbranch_execz .LBB51_89
; %bb.93:                               ;   in Loop: Header=BB51_92 Depth=2
	v_ashrrev_i32_e32 v2, 31, v1
	s_delay_alu instid0(VALU_DEP_1) | instskip(NEXT) | instid1(VALU_DEP_1)
	v_lshlrev_b64_e32 v[14:15], 2, v[1:2]
	v_add_co_u32 v14, vcc_lo, s44, v14
	s_wait_alu 0xfffd
	s_delay_alu instid0(VALU_DEP_2)
	v_add_co_ci_u32_e64 v15, null, s45, v15, vcc_lo
	global_load_b32 v14, v[14:15], off
	s_wait_loadcnt 0x0
	v_cmp_lt_i32_e32 vcc_lo, -1, v14
	s_wait_alu 0xfffd
	v_cndmask_b32_e64 v2, -1, 0x80000000, vcc_lo
	v_cmp_o_f32_e32 vcc_lo, v14, v14
	s_delay_alu instid0(VALU_DEP_2) | instskip(SKIP_1) | instid1(VALU_DEP_1)
	v_xor_b32_e32 v2, v2, v14
	s_wait_alu 0xfffd
	v_cndmask_b32_e32 v2, -1, v2, vcc_lo
	s_delay_alu instid0(VALU_DEP_1) | instskip(NEXT) | instid1(VALU_DEP_1)
	v_and_b32_e32 v2, v2, v32
	v_cmp_eq_u32_e32 vcc_lo, v2, v24
	s_and_b32 exec_lo, exec_lo, vcc_lo
	s_cbranch_execz .LBB51_89
; %bb.94:                               ;   in Loop: Header=BB51_92 Depth=2
	ds_store_b64 v7, v[13:14] offset:3072
	s_branch .LBB51_89
.LBB51_95:                              ;   in Loop: Header=BB51_92 Depth=2
	s_mov_b32 s26, -1
	s_mov_b32 s25, -1
                                        ; implicit-def: $vgpr3
                                        ; implicit-def: $vgpr1
	s_branch .LBB51_91
.LBB51_96:                              ;   in Loop: Header=BB51_16 Depth=1
	s_or_b32 exec_lo, exec_lo, s21
	s_wait_alu 0xfffe
	s_and_b32 s21, s24, exec_lo
.LBB51_97:                              ;   in Loop: Header=BB51_16 Depth=1
	s_wait_alu 0xfffe
	s_or_b32 exec_lo, exec_lo, s23
.LBB51_98:                              ;   in Loop: Header=BB51_16 Depth=1
	s_wait_alu 0xfffe
	s_and_b32 vcc_lo, exec_lo, s22
	s_wait_alu 0xfffe
	s_cbranch_vccz .LBB51_110
; %bb.99:                               ;   in Loop: Header=BB51_16 Depth=1
	s_add_co_i32 s20, s15, s56
                                        ; implicit-def: $vgpr15
	s_wait_alu 0xfffe
	s_abs_i32 s42, s20
	s_wait_alu 0xfffe
	s_mul_u64 s[22:23], s[42:43], s[48:49]
	s_ashr_i32 s22, s20, 31
	s_wait_alu 0xfffe
	s_mul_i32 s18, s23, s53
	s_wait_alu 0xfffe
	s_sub_co_i32 s18, s42, s18
	s_wait_alu 0xfffe
	s_sub_co_i32 s23, s18, s53
	s_cmp_ge_u32 s18, s53
	s_wait_alu 0xfffe
	s_cselect_b32 s18, s23, s18
	s_wait_alu 0xfffe
	s_sub_co_i32 s23, s18, s53
	s_cmp_ge_u32 s18, s53
	s_wait_alu 0xfffe
	s_cselect_b32 s18, s23, s18
	s_wait_alu 0xfffe
	s_xor_b32 s18, s18, s22
	s_wait_alu 0xfffe
	s_sub_co_i32 s18, s22, s18
	s_wait_alu 0xfffe
	s_add_co_i32 s20, s20, s18
	s_mov_b32 s18, exec_lo
	s_wait_alu 0xfffe
	v_cmpx_gt_i32_e64 s20, v0
	s_cbranch_execz .LBB51_109
; %bb.100:                              ;   in Loop: Header=BB51_16 Depth=1
	v_dual_mov_b32 v1, v18 :: v_dual_mov_b32 v2, v0
	s_mov_b32 s22, 0
                                        ; implicit-def: $sgpr23
	s_branch .LBB51_104
.LBB51_101:                             ;   in Loop: Header=BB51_104 Depth=2
	s_wait_alu 0xfffe
	s_or_b32 exec_lo, exec_lo, s24
	s_wait_loadcnt_dscnt 0x0
	s_barrier_signal -1
	s_barrier_wait -1
	global_inv scope:SCOPE_SE
	ds_load_b64 v[14:15], v7 offset:3072
	s_wait_loadcnt_dscnt 0x0
	s_barrier_signal -1
	s_barrier_wait -1
	global_inv scope:SCOPE_SE
	v_cmp_neq_f32_e32 vcc_lo, 0, v14
	s_cbranch_vccnz .LBB51_107
; %bb.102:                              ;   in Loop: Header=BB51_104 Depth=2
	v_add_nc_u32_e32 v2, s53, v2
	v_add_nc_u32_e32 v1, s55, v1
	s_mov_b32 s24, 0
	s_delay_alu instid0(VALU_DEP_2)
	v_cmp_le_i32_e32 vcc_lo, s20, v2
	s_or_not1_b32 s25, vcc_lo, exec_lo
.LBB51_103:                             ;   in Loop: Header=BB51_104 Depth=2
	s_wait_alu 0xfffe
	s_and_b32 s25, exec_lo, s25
	s_wait_alu 0xfffe
	s_or_b32 s22, s25, s22
	s_and_not1_b32 s23, s23, exec_lo
	s_and_b32 s24, s24, exec_lo
	s_wait_alu 0xfffe
	s_or_b32 s23, s23, s24
	s_and_not1_b32 exec_lo, exec_lo, s22
	s_cbranch_execz .LBB51_108
.LBB51_104:                             ;   Parent Loop BB51_16 Depth=1
                                        ; =>  This Inner Loop Header: Depth=2
	s_mov_b32 s24, exec_lo
	s_delay_alu instid0(VALU_DEP_1)
	v_cmpx_gt_i32_e64 s15, v2
	s_cbranch_execz .LBB51_101
; %bb.105:                              ;   in Loop: Header=BB51_104 Depth=2
	ds_load_b32 v14, v1
	s_wait_dscnt 0x0
	v_cmp_lt_i32_e32 vcc_lo, -1, v14
	s_wait_alu 0xfffd
	v_cndmask_b32_e64 v3, -1, 0x80000000, vcc_lo
	v_cmp_o_f32_e32 vcc_lo, v14, v14
	s_delay_alu instid0(VALU_DEP_2) | instskip(SKIP_1) | instid1(VALU_DEP_1)
	v_xor_b32_e32 v3, v3, v14
	s_wait_alu 0xfffd
	v_cndmask_b32_e32 v3, -1, v3, vcc_lo
	s_delay_alu instid0(VALU_DEP_1) | instskip(NEXT) | instid1(VALU_DEP_1)
	v_and_b32_e32 v3, v3, v32
	v_cmp_eq_u32_e32 vcc_lo, v3, v24
	s_and_b32 exec_lo, exec_lo, vcc_lo
	s_cbranch_execz .LBB51_101
; %bb.106:                              ;   in Loop: Header=BB51_104 Depth=2
	ds_store_b64 v7, v[13:14] offset:3072
	s_branch .LBB51_101
.LBB51_107:                             ;   in Loop: Header=BB51_104 Depth=2
	s_mov_b32 s25, -1
	s_mov_b32 s24, -1
                                        ; implicit-def: $vgpr2
                                        ; implicit-def: $vgpr1
	s_branch .LBB51_103
.LBB51_108:                             ;   in Loop: Header=BB51_16 Depth=1
	s_or_b32 exec_lo, exec_lo, s22
	s_delay_alu instid0(SALU_CYCLE_1)
	s_and_not1_b32 s15, s21, exec_lo
	s_wait_alu 0xfffe
	s_and_b32 s20, s23, exec_lo
	s_wait_alu 0xfffe
	s_or_b32 s21, s15, s20
.LBB51_109:                             ;   in Loop: Header=BB51_16 Depth=1
	s_wait_alu 0xfffe
	s_or_b32 exec_lo, exec_lo, s18
	s_mov_b32 s18, 0
	s_mov_b32 s20, -1
.LBB51_110:                             ;   in Loop: Header=BB51_16 Depth=1
	s_or_not1_b32 s15, s21, exec_lo
.LBB51_111:                             ;   in Loop: Header=BB51_16 Depth=1
	s_wait_alu 0xfffe
	s_or_b32 exec_lo, exec_lo, s11
	v_readfirstlane_b32 s21, v0
	s_and_not1_b32 s11, s72, exec_lo
	s_and_b32 s20, s20, exec_lo
	s_and_not1_b32 s22, s70, exec_lo
	s_and_b32 s18, s18, exec_lo
	s_and_not1_b32 s69, s69, exec_lo
	s_wait_alu 0xfffe
	s_or_b32 s72, s11, s20
	s_or_b32 s70, s22, s18
                                        ; implicit-def: $vgpr4
	s_and_saveexec_b32 s11, s15
	s_cbranch_execz .LBB51_15
; %bb.112:                              ;   in Loop: Header=BB51_16 Depth=1
	v_dual_mov_b32 v4, 1 :: v_dual_mov_b32 v3, 1
	s_xor_b32 s14, s14, -1
	s_mov_b32 s20, 0
	s_wait_alu 0xfffe
	s_and_saveexec_b32 s13, s14
	s_cbranch_execz .LBB51_121
; %bb.113:                              ;   in Loop: Header=BB51_16 Depth=1
	s_mov_b32 s14, exec_lo
	v_cmpx_ge_i32_e64 s12, v33
	s_wait_alu 0xfffe
	s_xor_b32 s14, exec_lo, s14
	s_cbranch_execz .LBB51_118
; %bb.114:                              ;   in Loop: Header=BB51_16 Depth=1
	ds_load_b32 v1, v7 offset:4096
	v_and_b32_e32 v24, s17, v24
	v_or_b32_e32 v32, s10, v32
	s_wait_dscnt 0x0
	v_cmp_ne_u32_e32 vcc_lo, 0, v1
	s_cbranch_vccnz .LBB51_118
; %bb.115:                              ;   in Loop: Header=BB51_16 Depth=1
	s_and_saveexec_b32 s15, s2
; %bb.116:                              ;   in Loop: Header=BB51_16 Depth=1
	v_mov_b32_e32 v1, s12
	ds_store_b32 v7, v1 offset:4100
; %bb.117:                              ;   in Loop: Header=BB51_16 Depth=1
	s_wait_alu 0xfffe
	s_or_b32 exec_lo, exec_lo, s15
	s_wait_loadcnt_dscnt 0x0
	s_barrier_signal -1
	s_barrier_wait -1
	global_inv scope:SCOPE_SE
.LBB51_118:                             ;   in Loop: Header=BB51_16 Depth=1
	s_wait_alu 0xfffe
	s_or_saveexec_b32 s14, s14
	v_mov_b32_e32 v3, 8
	s_mov_b32 s15, 0
	s_wait_alu 0xfffe
	s_xor_b32 exec_lo, exec_lo, s14
; %bb.119:                              ;   in Loop: Header=BB51_16 Depth=1
	v_subrev_nc_u32_e32 v33, s12, v33
	v_mov_b32_e32 v3, 0
	s_mov_b32 s15, exec_lo
; %bb.120:                              ;   in Loop: Header=BB51_16 Depth=1
	s_or_b32 exec_lo, exec_lo, s14
	s_delay_alu instid0(VALU_DEP_2)
	v_mov_b32_e32 v4, v33
	s_wait_alu 0xfffe
	s_and_b32 s20, s15, exec_lo
.LBB51_121:                             ;   in Loop: Header=BB51_16 Depth=1
	s_wait_alu 0xfffe
	s_or_b32 exec_lo, exec_lo, s13
	s_mov_b32 s12, -1
	s_mov_b32 s18, -1
                                        ; implicit-def: $sgpr14
                                        ; implicit-def: $sgpr15
	s_and_saveexec_b32 s13, s20
	s_wait_alu 0xfffe
	s_xor_b32 s13, exec_lo, s13
	s_cbranch_execz .LBB51_244
; %bb.122:                              ;   in Loop: Header=BB51_16 Depth=1
	v_cmp_eq_u32_e32 vcc_lo, 1, v4
	s_cmp_eq_u32 s19, 1
	s_mov_b32 s21, -1
	s_cselect_b32 s14, -1, 0
                                        ; implicit-def: $sgpr15
	s_wait_alu 0xfffe
	s_and_b32 s20, s14, vcc_lo
                                        ; implicit-def: $sgpr14
	s_wait_alu 0xfffe
	s_and_saveexec_b32 s18, s20
	s_cbranch_execz .LBB51_150
; %bb.123:                              ;   in Loop: Header=BB51_16 Depth=1
	ds_load_b32 v1, v7 offset:4096
	s_wait_loadcnt_dscnt 0x0
	s_barrier_signal -1
	s_barrier_wait -1
	global_inv scope:SCOPE_SE
	v_readfirstlane_b32 s21, v1
	s_and_saveexec_b32 s14, s0
; %bb.124:                              ;   in Loop: Header=BB51_16 Depth=1
	ds_store_b32 v20, v7
; %bb.125:                              ;   in Loop: Header=BB51_16 Depth=1
	s_wait_alu 0xfffe
	s_or_b32 exec_lo, exec_lo, s14
	s_lshl_b32 s14, 1, s74
	v_or_b32_e32 v32, s10, v32
	s_wait_alu 0xfffe
	v_and_or_b32 v24, v24, s17, s14
	s_mov_b32 s14, -1
	s_mov_b32 s15, 0
	s_cmp_gt_i32 s21, 0
	s_mov_b32 s22, 0
	s_mov_b32 s23, -1
	s_wait_loadcnt_dscnt 0x0
	s_barrier_signal -1
	s_barrier_wait -1
	global_inv scope:SCOPE_SE
                                        ; implicit-def: $vgpr15
	s_cbranch_scc1 .LBB51_137
; %bb.126:                              ;   in Loop: Header=BB51_16 Depth=1
	s_mov_b32 s23, 0
                                        ; implicit-def: $vgpr15
	s_and_saveexec_b32 s24, s8
	s_cbranch_execz .LBB51_136
; %bb.127:                              ;   in Loop: Header=BB51_16 Depth=1
	v_dual_mov_b32 v1, v5 :: v_dual_mov_b32 v6, v0
                                        ; implicit-def: $sgpr25
	s_branch .LBB51_131
.LBB51_128:                             ;   in Loop: Header=BB51_131 Depth=2
	s_wait_alu 0xfffe
	s_or_b32 exec_lo, exec_lo, s26
	s_wait_loadcnt_dscnt 0x0
	s_barrier_signal -1
	s_barrier_wait -1
	global_inv scope:SCOPE_SE
	ds_load_b64 v[14:15], v7 offset:3072
	s_wait_loadcnt_dscnt 0x0
	s_barrier_signal -1
	s_barrier_wait -1
	global_inv scope:SCOPE_SE
	v_cmp_neq_f32_e32 vcc_lo, 0, v14
	s_cbranch_vccnz .LBB51_134
; %bb.129:                              ;   in Loop: Header=BB51_131 Depth=2
	v_add_nc_u32_e32 v6, s53, v6
	v_add_nc_u32_e32 v1, s57, v1
	s_mov_b32 s26, 0
	s_delay_alu instid0(VALU_DEP_2)
	v_cmp_le_i32_e32 vcc_lo, s65, v6
	s_or_not1_b32 s27, vcc_lo, exec_lo
.LBB51_130:                             ;   in Loop: Header=BB51_131 Depth=2
	s_wait_alu 0xfffe
	s_and_b32 s27, exec_lo, s27
	s_wait_alu 0xfffe
	s_or_b32 s22, s27, s22
	s_and_not1_b32 s25, s25, exec_lo
	s_and_b32 s26, s26, exec_lo
	s_wait_alu 0xfffe
	s_or_b32 s25, s25, s26
	s_and_not1_b32 exec_lo, exec_lo, s22
	s_cbranch_execz .LBB51_135
.LBB51_131:                             ;   Parent Loop BB51_16 Depth=1
                                        ; =>  This Inner Loop Header: Depth=2
	s_mov_b32 s26, exec_lo
	s_delay_alu instid0(VALU_DEP_1)
	v_cmpx_gt_i32_e64 s36, v6
	s_cbranch_execz .LBB51_128
; %bb.132:                              ;   in Loop: Header=BB51_131 Depth=2
	v_ashrrev_i32_e32 v2, 31, v1
	s_delay_alu instid0(VALU_DEP_1) | instskip(NEXT) | instid1(VALU_DEP_1)
	v_lshlrev_b64_e32 v[14:15], 2, v[1:2]
	v_add_co_u32 v14, vcc_lo, s44, v14
	s_wait_alu 0xfffd
	s_delay_alu instid0(VALU_DEP_2)
	v_add_co_ci_u32_e64 v15, null, s45, v15, vcc_lo
	global_load_b32 v14, v[14:15], off
	s_wait_loadcnt 0x0
	v_cmp_lt_i32_e32 vcc_lo, -1, v14
	s_wait_alu 0xfffd
	v_cndmask_b32_e64 v2, -1, 0x80000000, vcc_lo
	v_cmp_o_f32_e32 vcc_lo, v14, v14
	s_delay_alu instid0(VALU_DEP_2) | instskip(SKIP_1) | instid1(VALU_DEP_1)
	v_xor_b32_e32 v2, v2, v14
	s_wait_alu 0xfffd
	v_cndmask_b32_e32 v2, -1, v2, vcc_lo
	s_delay_alu instid0(VALU_DEP_1) | instskip(NEXT) | instid1(VALU_DEP_1)
	v_and_b32_e32 v2, v2, v32
	v_cmp_eq_u32_e32 vcc_lo, v2, v24
	s_and_b32 exec_lo, exec_lo, vcc_lo
	s_cbranch_execz .LBB51_128
; %bb.133:                              ;   in Loop: Header=BB51_131 Depth=2
	ds_store_b64 v7, v[13:14] offset:3072
	s_branch .LBB51_128
.LBB51_134:                             ;   in Loop: Header=BB51_131 Depth=2
	s_mov_b32 s27, -1
	s_mov_b32 s26, -1
                                        ; implicit-def: $vgpr6
                                        ; implicit-def: $vgpr1
	s_branch .LBB51_130
.LBB51_135:                             ;   in Loop: Header=BB51_16 Depth=1
	s_or_b32 exec_lo, exec_lo, s22
	s_wait_alu 0xfffe
	s_and_b32 s22, s25, exec_lo
.LBB51_136:                             ;   in Loop: Header=BB51_16 Depth=1
	s_wait_alu 0xfffe
	s_or_b32 exec_lo, exec_lo, s24
.LBB51_137:                             ;   in Loop: Header=BB51_16 Depth=1
	s_wait_alu 0xfffe
	s_and_b32 vcc_lo, exec_lo, s23
	s_wait_alu 0xfffe
	s_cbranch_vccz .LBB51_149
; %bb.138:                              ;   in Loop: Header=BB51_16 Depth=1
	s_add_co_i32 s23, s21, s56
                                        ; implicit-def: $vgpr15
	s_wait_alu 0xfffe
	s_abs_i32 s42, s23
	s_wait_alu 0xfffe
	s_mul_u64 s[14:15], s[42:43], s[48:49]
	s_wait_alu 0xfffe
	s_mul_i32 s14, s15, s53
	s_ashr_i32 s15, s23, 31
	s_wait_alu 0xfffe
	s_sub_co_i32 s14, s42, s14
	s_wait_alu 0xfffe
	s_sub_co_i32 s24, s14, s53
	s_cmp_ge_u32 s14, s53
	s_wait_alu 0xfffe
	s_cselect_b32 s14, s24, s14
	s_wait_alu 0xfffe
	s_sub_co_i32 s24, s14, s53
	s_cmp_ge_u32 s14, s53
	s_wait_alu 0xfffe
	s_cselect_b32 s14, s24, s14
	s_wait_alu 0xfffe
	s_xor_b32 s14, s14, s15
	s_wait_alu 0xfffe
	s_sub_co_i32 s14, s15, s14
	s_wait_alu 0xfffe
	s_add_co_i32 s15, s23, s14
	s_mov_b32 s14, exec_lo
	s_wait_alu 0xfffe
	v_cmpx_gt_i32_e64 s15, v0
	s_cbranch_execz .LBB51_148
; %bb.139:                              ;   in Loop: Header=BB51_16 Depth=1
	v_dual_mov_b32 v1, v18 :: v_dual_mov_b32 v2, v0
	s_mov_b32 s23, 0
                                        ; implicit-def: $sgpr24
	s_branch .LBB51_143
.LBB51_140:                             ;   in Loop: Header=BB51_143 Depth=2
	s_wait_alu 0xfffe
	s_or_b32 exec_lo, exec_lo, s25
	s_wait_loadcnt_dscnt 0x0
	s_barrier_signal -1
	s_barrier_wait -1
	global_inv scope:SCOPE_SE
	ds_load_b64 v[14:15], v7 offset:3072
	s_wait_loadcnt_dscnt 0x0
	s_barrier_signal -1
	s_barrier_wait -1
	global_inv scope:SCOPE_SE
	v_cmp_eq_f32_e32 vcc_lo, 0, v14
	s_cbranch_vccz .LBB51_146
; %bb.141:                              ;   in Loop: Header=BB51_143 Depth=2
	v_add_nc_u32_e32 v2, s53, v2
	v_add_nc_u32_e32 v1, s55, v1
	s_mov_b32 s25, 0
	s_delay_alu instid0(VALU_DEP_2)
	v_cmp_le_i32_e32 vcc_lo, s15, v2
	s_or_not1_b32 s26, vcc_lo, exec_lo
.LBB51_142:                             ;   in Loop: Header=BB51_143 Depth=2
	s_wait_alu 0xfffe
	s_and_b32 s26, exec_lo, s26
	s_wait_alu 0xfffe
	s_or_b32 s23, s26, s23
	s_and_not1_b32 s24, s24, exec_lo
	s_and_b32 s25, s25, exec_lo
	s_wait_alu 0xfffe
	s_or_b32 s24, s24, s25
	s_and_not1_b32 exec_lo, exec_lo, s23
	s_cbranch_execz .LBB51_147
.LBB51_143:                             ;   Parent Loop BB51_16 Depth=1
                                        ; =>  This Inner Loop Header: Depth=2
	s_mov_b32 s25, exec_lo
	s_delay_alu instid0(VALU_DEP_1)
	v_cmpx_gt_i32_e64 s21, v2
	s_cbranch_execz .LBB51_140
; %bb.144:                              ;   in Loop: Header=BB51_143 Depth=2
	ds_load_b32 v14, v1
	s_wait_dscnt 0x0
	v_cmp_lt_i32_e32 vcc_lo, -1, v14
	s_wait_alu 0xfffd
	v_cndmask_b32_e64 v6, -1, 0x80000000, vcc_lo
	v_cmp_o_f32_e32 vcc_lo, v14, v14
	s_delay_alu instid0(VALU_DEP_2) | instskip(SKIP_1) | instid1(VALU_DEP_1)
	v_xor_b32_e32 v6, v6, v14
	s_wait_alu 0xfffd
	v_cndmask_b32_e32 v6, -1, v6, vcc_lo
	s_delay_alu instid0(VALU_DEP_1) | instskip(NEXT) | instid1(VALU_DEP_1)
	v_and_b32_e32 v6, v6, v32
	v_cmp_eq_u32_e32 vcc_lo, v6, v24
	s_and_b32 exec_lo, exec_lo, vcc_lo
	s_cbranch_execz .LBB51_140
; %bb.145:                              ;   in Loop: Header=BB51_143 Depth=2
	ds_store_b64 v7, v[13:14] offset:3072
	s_branch .LBB51_140
.LBB51_146:                             ;   in Loop: Header=BB51_143 Depth=2
	s_mov_b32 s26, -1
	s_mov_b32 s25, -1
                                        ; implicit-def: $vgpr2
                                        ; implicit-def: $vgpr1
	s_branch .LBB51_142
.LBB51_147:                             ;   in Loop: Header=BB51_16 Depth=1
	s_or_b32 exec_lo, exec_lo, s23
	s_delay_alu instid0(SALU_CYCLE_1)
	s_and_not1_b32 s15, s22, exec_lo
	s_wait_alu 0xfffe
	s_and_b32 s21, s24, exec_lo
	s_wait_alu 0xfffe
	s_or_b32 s22, s15, s21
.LBB51_148:                             ;   in Loop: Header=BB51_16 Depth=1
	s_or_b32 exec_lo, exec_lo, s14
	s_mov_b32 s14, 0
	s_mov_b32 s15, -1
.LBB51_149:                             ;   in Loop: Header=BB51_16 Depth=1
	s_wait_alu 0xfffe
	s_or_not1_b32 s21, s22, exec_lo
.LBB51_150:                             ;   in Loop: Header=BB51_16 Depth=1
	s_wait_alu 0xfffe
	s_or_b32 exec_lo, exec_lo, s18
	s_mov_b32 s22, 0
	s_and_saveexec_b32 s18, s21
	s_cbranch_execz .LBB51_243
; %bb.151:                              ;   in Loop: Header=BB51_16 Depth=1
	v_dual_mov_b32 v6, 1 :: v_dual_mov_b32 v3, 1
	s_xor_b32 s21, s20, -1
	s_mov_b32 s23, 0
	s_wait_alu 0xfffe
	s_and_saveexec_b32 s20, s21
	s_cbranch_execz .LBB51_160
; %bb.152:                              ;   in Loop: Header=BB51_16 Depth=1
	s_mov_b32 s21, exec_lo
	v_cmpx_ge_i32_e64 s19, v4
	s_wait_alu 0xfffe
	s_xor_b32 s21, exec_lo, s21
	s_cbranch_execz .LBB51_157
; %bb.153:                              ;   in Loop: Header=BB51_16 Depth=1
	ds_load_b32 v1, v7 offset:4096
	s_lshl_b32 s22, 1, s74
	v_or_b32_e32 v32, s10, v32
	s_wait_alu 0xfffe
	v_and_or_b32 v24, v24, s17, s22
	s_wait_dscnt 0x0
	v_cmp_ne_u32_e32 vcc_lo, 0, v1
	s_cbranch_vccnz .LBB51_157
; %bb.154:                              ;   in Loop: Header=BB51_16 Depth=1
	s_and_saveexec_b32 s22, s2
; %bb.155:                              ;   in Loop: Header=BB51_16 Depth=1
	v_mov_b32_e32 v1, s19
	ds_store_b32 v7, v1 offset:4100
; %bb.156:                              ;   in Loop: Header=BB51_16 Depth=1
	s_wait_alu 0xfffe
	s_or_b32 exec_lo, exec_lo, s22
	s_wait_loadcnt_dscnt 0x0
	s_barrier_signal -1
	s_barrier_wait -1
	global_inv scope:SCOPE_SE
.LBB51_157:                             ;   in Loop: Header=BB51_16 Depth=1
	s_wait_alu 0xfffe
	s_or_saveexec_b32 s21, s21
	v_mov_b32_e32 v3, 8
	s_mov_b32 s22, 0
	s_wait_alu 0xfffe
	s_xor_b32 exec_lo, exec_lo, s21
; %bb.158:                              ;   in Loop: Header=BB51_16 Depth=1
	v_subrev_nc_u32_e32 v4, s19, v4
	v_mov_b32_e32 v3, 0
	s_mov_b32 s22, exec_lo
; %bb.159:                              ;   in Loop: Header=BB51_16 Depth=1
	s_or_b32 exec_lo, exec_lo, s21
	s_delay_alu instid0(VALU_DEP_2)
	v_mov_b32_e32 v6, v4
	s_wait_alu 0xfffe
	s_and_b32 s23, s22, exec_lo
.LBB51_160:                             ;   in Loop: Header=BB51_16 Depth=1
	s_wait_alu 0xfffe
	s_or_b32 exec_lo, exec_lo, s20
	s_mov_b32 s22, -1
                                        ; implicit-def: $sgpr20
                                        ; implicit-def: $sgpr21
	s_and_saveexec_b32 s19, s23
	s_cbranch_execz .LBB51_242
; %bb.161:                              ;   in Loop: Header=BB51_16 Depth=1
	v_cmp_eq_u32_e32 vcc_lo, 1, v6
	s_cmp_eq_u32 s16, 1
	s_mov_b32 s24, -1
	s_cselect_b32 s20, -1, 0
                                        ; implicit-def: $sgpr21
	s_wait_alu 0xfffe
	s_and_b32 s23, s20, vcc_lo
                                        ; implicit-def: $sgpr20
	s_wait_alu 0xfffe
	s_and_saveexec_b32 s22, s23
	s_cbranch_execz .LBB51_189
; %bb.162:                              ;   in Loop: Header=BB51_16 Depth=1
	ds_load_b32 v1, v7 offset:4096
	s_wait_loadcnt_dscnt 0x0
	s_barrier_signal -1
	s_barrier_wait -1
	global_inv scope:SCOPE_SE
	v_readfirstlane_b32 s24, v1
	s_and_saveexec_b32 s20, s0
; %bb.163:                              ;   in Loop: Header=BB51_16 Depth=1
	ds_store_b32 v20, v7
; %bb.164:                              ;   in Loop: Header=BB51_16 Depth=1
	s_wait_alu 0xfffe
	s_or_b32 exec_lo, exec_lo, s20
	s_lshl_b32 s20, 2, s74
	v_or_b32_e32 v32, s10, v32
	s_wait_alu 0xfffe
	v_and_or_b32 v24, v24, s17, s20
	s_mov_b32 s20, -1
	s_mov_b32 s21, 0
	s_cmp_gt_i32 s24, 0
	s_mov_b32 s25, 0
	s_mov_b32 s26, -1
	s_wait_loadcnt_dscnt 0x0
	s_barrier_signal -1
	s_barrier_wait -1
	global_inv scope:SCOPE_SE
                                        ; implicit-def: $vgpr15
	s_cbranch_scc1 .LBB51_176
; %bb.165:                              ;   in Loop: Header=BB51_16 Depth=1
	s_mov_b32 s26, 0
                                        ; implicit-def: $vgpr15
	s_and_saveexec_b32 s27, s8
	s_cbranch_execz .LBB51_175
; %bb.166:                              ;   in Loop: Header=BB51_16 Depth=1
	v_dual_mov_b32 v1, v5 :: v_dual_mov_b32 v4, v0
                                        ; implicit-def: $sgpr28
	s_branch .LBB51_170
.LBB51_167:                             ;   in Loop: Header=BB51_170 Depth=2
	s_wait_alu 0xfffe
	s_or_b32 exec_lo, exec_lo, s42
	s_wait_loadcnt_dscnt 0x0
	s_barrier_signal -1
	s_barrier_wait -1
	global_inv scope:SCOPE_SE
	ds_load_b64 v[14:15], v7 offset:3072
	s_wait_loadcnt_dscnt 0x0
	s_barrier_signal -1
	s_barrier_wait -1
	global_inv scope:SCOPE_SE
	v_cmp_neq_f32_e32 vcc_lo, 0, v14
	s_cbranch_vccnz .LBB51_173
; %bb.168:                              ;   in Loop: Header=BB51_170 Depth=2
	v_add_nc_u32_e32 v4, s53, v4
	v_add_nc_u32_e32 v1, s57, v1
	s_mov_b32 s42, 0
	s_delay_alu instid0(VALU_DEP_2)
	v_cmp_le_i32_e32 vcc_lo, s65, v4
	s_or_not1_b32 s75, vcc_lo, exec_lo
.LBB51_169:                             ;   in Loop: Header=BB51_170 Depth=2
	s_wait_alu 0xfffe
	s_and_b32 s75, exec_lo, s75
	s_wait_alu 0xfffe
	s_or_b32 s25, s75, s25
	s_and_not1_b32 s28, s28, exec_lo
	s_and_b32 s42, s42, exec_lo
	s_wait_alu 0xfffe
	s_or_b32 s28, s28, s42
	s_and_not1_b32 exec_lo, exec_lo, s25
	s_cbranch_execz .LBB51_174
.LBB51_170:                             ;   Parent Loop BB51_16 Depth=1
                                        ; =>  This Inner Loop Header: Depth=2
	s_mov_b32 s42, exec_lo
	s_delay_alu instid0(VALU_DEP_1)
	v_cmpx_gt_i32_e64 s36, v4
	s_cbranch_execz .LBB51_167
; %bb.171:                              ;   in Loop: Header=BB51_170 Depth=2
	v_ashrrev_i32_e32 v2, 31, v1
	s_delay_alu instid0(VALU_DEP_1) | instskip(NEXT) | instid1(VALU_DEP_1)
	v_lshlrev_b64_e32 v[14:15], 2, v[1:2]
	v_add_co_u32 v14, vcc_lo, s44, v14
	s_wait_alu 0xfffd
	s_delay_alu instid0(VALU_DEP_2)
	v_add_co_ci_u32_e64 v15, null, s45, v15, vcc_lo
	global_load_b32 v14, v[14:15], off
	s_wait_loadcnt 0x0
	v_cmp_lt_i32_e32 vcc_lo, -1, v14
	s_wait_alu 0xfffd
	v_cndmask_b32_e64 v2, -1, 0x80000000, vcc_lo
	v_cmp_o_f32_e32 vcc_lo, v14, v14
	s_delay_alu instid0(VALU_DEP_2) | instskip(SKIP_1) | instid1(VALU_DEP_1)
	v_xor_b32_e32 v2, v2, v14
	s_wait_alu 0xfffd
	v_cndmask_b32_e32 v2, -1, v2, vcc_lo
	s_delay_alu instid0(VALU_DEP_1) | instskip(NEXT) | instid1(VALU_DEP_1)
	v_and_b32_e32 v2, v2, v32
	v_cmp_eq_u32_e32 vcc_lo, v2, v24
	s_and_b32 exec_lo, exec_lo, vcc_lo
	s_cbranch_execz .LBB51_167
; %bb.172:                              ;   in Loop: Header=BB51_170 Depth=2
	ds_store_b64 v7, v[13:14] offset:3072
	s_branch .LBB51_167
.LBB51_173:                             ;   in Loop: Header=BB51_170 Depth=2
	s_mov_b32 s75, -1
	s_mov_b32 s42, -1
                                        ; implicit-def: $vgpr4
                                        ; implicit-def: $vgpr1
	s_branch .LBB51_169
.LBB51_174:                             ;   in Loop: Header=BB51_16 Depth=1
	s_or_b32 exec_lo, exec_lo, s25
	s_delay_alu instid0(SALU_CYCLE_1)
	s_and_b32 s25, s28, exec_lo
.LBB51_175:                             ;   in Loop: Header=BB51_16 Depth=1
	s_wait_alu 0xfffe
	s_or_b32 exec_lo, exec_lo, s27
.LBB51_176:                             ;   in Loop: Header=BB51_16 Depth=1
	s_wait_alu 0xfffe
	s_and_b32 vcc_lo, exec_lo, s26
	s_wait_alu 0xfffe
	s_cbranch_vccz .LBB51_188
; %bb.177:                              ;   in Loop: Header=BB51_16 Depth=1
	s_add_co_i32 s26, s24, s56
                                        ; implicit-def: $vgpr15
	s_wait_alu 0xfffe
	s_abs_i32 s42, s26
	s_wait_alu 0xfffe
	s_mul_u64 s[20:21], s[42:43], s[48:49]
	s_wait_alu 0xfffe
	s_mul_i32 s20, s21, s53
	s_ashr_i32 s21, s26, 31
	s_wait_alu 0xfffe
	s_sub_co_i32 s20, s42, s20
	s_wait_alu 0xfffe
	s_sub_co_i32 s27, s20, s53
	s_cmp_ge_u32 s20, s53
	s_wait_alu 0xfffe
	s_cselect_b32 s20, s27, s20
	s_wait_alu 0xfffe
	s_sub_co_i32 s27, s20, s53
	s_cmp_ge_u32 s20, s53
	s_wait_alu 0xfffe
	s_cselect_b32 s20, s27, s20
	s_wait_alu 0xfffe
	s_xor_b32 s20, s20, s21
	s_wait_alu 0xfffe
	s_sub_co_i32 s20, s21, s20
	s_wait_alu 0xfffe
	s_add_co_i32 s21, s26, s20
	s_mov_b32 s20, exec_lo
	s_wait_alu 0xfffe
	v_cmpx_gt_i32_e64 s21, v0
	s_cbranch_execz .LBB51_187
; %bb.178:                              ;   in Loop: Header=BB51_16 Depth=1
	v_dual_mov_b32 v1, v18 :: v_dual_mov_b32 v2, v0
	s_mov_b32 s26, 0
                                        ; implicit-def: $sgpr27
	s_branch .LBB51_182
.LBB51_179:                             ;   in Loop: Header=BB51_182 Depth=2
	s_or_b32 exec_lo, exec_lo, s28
	s_wait_loadcnt_dscnt 0x0
	s_barrier_signal -1
	s_barrier_wait -1
	global_inv scope:SCOPE_SE
	ds_load_b64 v[14:15], v7 offset:3072
	s_wait_loadcnt_dscnt 0x0
	s_barrier_signal -1
	s_barrier_wait -1
	global_inv scope:SCOPE_SE
	v_cmp_eq_f32_e32 vcc_lo, 0, v14
	s_cbranch_vccz .LBB51_185
; %bb.180:                              ;   in Loop: Header=BB51_182 Depth=2
	v_add_nc_u32_e32 v2, s53, v2
	v_add_nc_u32_e32 v1, s55, v1
	s_mov_b32 s28, 0
	s_delay_alu instid0(VALU_DEP_2)
	v_cmp_le_i32_e32 vcc_lo, s21, v2
	s_or_not1_b32 s42, vcc_lo, exec_lo
.LBB51_181:                             ;   in Loop: Header=BB51_182 Depth=2
	s_wait_alu 0xfffe
	s_and_b32 s42, exec_lo, s42
	s_wait_alu 0xfffe
	s_or_b32 s26, s42, s26
	s_and_not1_b32 s27, s27, exec_lo
	s_and_b32 s28, s28, exec_lo
	s_wait_alu 0xfffe
	s_or_b32 s27, s27, s28
	s_and_not1_b32 exec_lo, exec_lo, s26
	s_cbranch_execz .LBB51_186
.LBB51_182:                             ;   Parent Loop BB51_16 Depth=1
                                        ; =>  This Inner Loop Header: Depth=2
	s_mov_b32 s28, exec_lo
	s_delay_alu instid0(VALU_DEP_1)
	v_cmpx_gt_i32_e64 s24, v2
	s_cbranch_execz .LBB51_179
; %bb.183:                              ;   in Loop: Header=BB51_182 Depth=2
	ds_load_b32 v14, v1
	s_wait_dscnt 0x0
	v_cmp_lt_i32_e32 vcc_lo, -1, v14
	s_wait_alu 0xfffd
	v_cndmask_b32_e64 v4, -1, 0x80000000, vcc_lo
	v_cmp_o_f32_e32 vcc_lo, v14, v14
	s_delay_alu instid0(VALU_DEP_2) | instskip(SKIP_1) | instid1(VALU_DEP_1)
	v_xor_b32_e32 v4, v4, v14
	s_wait_alu 0xfffd
	v_cndmask_b32_e32 v4, -1, v4, vcc_lo
	s_delay_alu instid0(VALU_DEP_1) | instskip(NEXT) | instid1(VALU_DEP_1)
	v_and_b32_e32 v4, v4, v32
	v_cmp_eq_u32_e32 vcc_lo, v4, v24
	s_and_b32 exec_lo, exec_lo, vcc_lo
	s_cbranch_execz .LBB51_179
; %bb.184:                              ;   in Loop: Header=BB51_182 Depth=2
	ds_store_b64 v7, v[13:14] offset:3072
	s_branch .LBB51_179
.LBB51_185:                             ;   in Loop: Header=BB51_182 Depth=2
	s_mov_b32 s42, -1
	s_mov_b32 s28, -1
                                        ; implicit-def: $vgpr2
                                        ; implicit-def: $vgpr1
	s_branch .LBB51_181
.LBB51_186:                             ;   in Loop: Header=BB51_16 Depth=1
	s_or_b32 exec_lo, exec_lo, s26
	s_delay_alu instid0(SALU_CYCLE_1)
	s_and_not1_b32 s21, s25, exec_lo
	s_wait_alu 0xfffe
	s_and_b32 s24, s27, exec_lo
	s_wait_alu 0xfffe
	s_or_b32 s25, s21, s24
.LBB51_187:                             ;   in Loop: Header=BB51_16 Depth=1
	s_or_b32 exec_lo, exec_lo, s20
	s_mov_b32 s20, 0
	s_mov_b32 s21, -1
.LBB51_188:                             ;   in Loop: Header=BB51_16 Depth=1
	s_wait_alu 0xfffe
	s_or_not1_b32 s24, s25, exec_lo
.LBB51_189:                             ;   in Loop: Header=BB51_16 Depth=1
	s_wait_alu 0xfffe
	s_or_b32 exec_lo, exec_lo, s22
	s_mov_b32 s25, 0
	s_and_saveexec_b32 s22, s24
	s_cbranch_execz .LBB51_241
; %bb.190:                              ;   in Loop: Header=BB51_16 Depth=1
	v_dual_mov_b32 v4, 1 :: v_dual_mov_b32 v3, 1
	s_xor_b32 s24, s23, -1
	s_wait_alu 0xfffe
	s_and_saveexec_b32 s23, s24
	s_cbranch_execz .LBB51_199
; %bb.191:                              ;   in Loop: Header=BB51_16 Depth=1
	s_mov_b32 s24, exec_lo
	v_cmpx_ge_i32_e64 s16, v6
	s_wait_alu 0xfffe
	s_xor_b32 s24, exec_lo, s24
	s_cbranch_execz .LBB51_196
; %bb.192:                              ;   in Loop: Header=BB51_16 Depth=1
	ds_load_b32 v1, v7 offset:4096
	s_lshl_b32 s25, 2, s74
	v_or_b32_e32 v32, s10, v32
	s_wait_alu 0xfffe
	v_and_or_b32 v24, v24, s17, s25
	s_wait_dscnt 0x0
	v_cmp_ne_u32_e32 vcc_lo, 0, v1
	s_cbranch_vccnz .LBB51_196
; %bb.193:                              ;   in Loop: Header=BB51_16 Depth=1
	s_and_saveexec_b32 s17, s2
; %bb.194:                              ;   in Loop: Header=BB51_16 Depth=1
	v_mov_b32_e32 v1, s16
	ds_store_b32 v7, v1 offset:4100
; %bb.195:                              ;   in Loop: Header=BB51_16 Depth=1
	s_wait_alu 0xfffe
	s_or_b32 exec_lo, exec_lo, s17
	s_wait_loadcnt_dscnt 0x0
	s_barrier_signal -1
	s_barrier_wait -1
	global_inv scope:SCOPE_SE
.LBB51_196:                             ;   in Loop: Header=BB51_16 Depth=1
	s_wait_alu 0xfffe
	s_or_saveexec_b32 s17, s24
	v_mov_b32_e32 v3, 8
	s_mov_b32 s24, 0
	s_wait_alu 0xfffe
	s_xor_b32 exec_lo, exec_lo, s17
; %bb.197:                              ;   in Loop: Header=BB51_16 Depth=1
	v_subrev_nc_u32_e32 v6, s16, v6
	v_mov_b32_e32 v3, 0
	s_mov_b32 s24, exec_lo
; %bb.198:                              ;   in Loop: Header=BB51_16 Depth=1
	s_or_b32 exec_lo, exec_lo, s17
	s_delay_alu instid0(VALU_DEP_2)
	v_mov_b32_e32 v4, v6
	s_wait_alu 0xfffe
	s_and_b32 s25, s24, exec_lo
.LBB51_199:                             ;   in Loop: Header=BB51_16 Depth=1
	s_wait_alu 0xfffe
	s_or_b32 exec_lo, exec_lo, s23
	s_mov_b32 s17, -1
                                        ; implicit-def: $sgpr24
                                        ; implicit-def: $sgpr23
	s_and_saveexec_b32 s16, s25
	s_cbranch_execz .LBB51_240
; %bb.200:                              ;   in Loop: Header=BB51_16 Depth=1
	v_cmp_eq_u32_e32 vcc_lo, 1, v4
	s_cmp_eq_u32 s9, 1
	s_mov_b32 s26, -1
	s_cselect_b32 s17, -1, 0
                                        ; implicit-def: $sgpr24
                                        ; implicit-def: $sgpr23
	s_wait_alu 0xfffe
	s_and_b32 s17, s17, vcc_lo
	s_wait_alu 0xfffe
	s_and_saveexec_b32 s25, s17
	s_cbranch_execz .LBB51_228
; %bb.201:                              ;   in Loop: Header=BB51_16 Depth=1
	ds_load_b32 v1, v7 offset:4096
	s_wait_loadcnt_dscnt 0x0
	s_barrier_signal -1
	s_barrier_wait -1
	global_inv scope:SCOPE_SE
	v_readfirstlane_b32 s26, v1
	s_and_saveexec_b32 s23, s0
; %bb.202:                              ;   in Loop: Header=BB51_16 Depth=1
	ds_store_b32 v20, v7
; %bb.203:                              ;   in Loop: Header=BB51_16 Depth=1
	s_wait_alu 0xfffe
	s_or_b32 exec_lo, exec_lo, s23
	v_or_b32_e32 v24, s10, v24
	v_or_b32_e32 v32, s10, v32
	s_mov_b32 s23, -1
	s_mov_b32 s24, 0
	s_cmp_gt_i32 s26, 0
	s_mov_b32 s27, 0
	s_mov_b32 s28, -1
	s_wait_loadcnt_dscnt 0x0
	s_barrier_signal -1
	s_barrier_wait -1
	global_inv scope:SCOPE_SE
                                        ; implicit-def: $vgpr15
	s_cbranch_scc1 .LBB51_215
; %bb.204:                              ;   in Loop: Header=BB51_16 Depth=1
	s_mov_b32 s28, 0
                                        ; implicit-def: $vgpr15
	s_and_saveexec_b32 s42, s8
	s_cbranch_execz .LBB51_214
; %bb.205:                              ;   in Loop: Header=BB51_16 Depth=1
	v_dual_mov_b32 v1, v5 :: v_dual_mov_b32 v6, v0
                                        ; implicit-def: $sgpr75
	s_branch .LBB51_209
.LBB51_206:                             ;   in Loop: Header=BB51_209 Depth=2
	s_wait_alu 0xfffe
	s_or_b32 exec_lo, exec_lo, s76
	s_wait_loadcnt_dscnt 0x0
	s_barrier_signal -1
	s_barrier_wait -1
	global_inv scope:SCOPE_SE
	ds_load_b64 v[14:15], v7 offset:3072
	s_wait_loadcnt_dscnt 0x0
	s_barrier_signal -1
	s_barrier_wait -1
	global_inv scope:SCOPE_SE
	v_cmp_neq_f32_e32 vcc_lo, 0, v14
	s_cbranch_vccnz .LBB51_212
; %bb.207:                              ;   in Loop: Header=BB51_209 Depth=2
	v_add_nc_u32_e32 v6, s53, v6
	v_add_nc_u32_e32 v1, s57, v1
	s_mov_b32 s76, 0
	s_delay_alu instid0(VALU_DEP_2)
	v_cmp_le_i32_e32 vcc_lo, s65, v6
	s_or_not1_b32 s77, vcc_lo, exec_lo
.LBB51_208:                             ;   in Loop: Header=BB51_209 Depth=2
	s_wait_alu 0xfffe
	s_and_b32 s77, exec_lo, s77
	s_wait_alu 0xfffe
	s_or_b32 s27, s77, s27
	s_and_not1_b32 s75, s75, exec_lo
	s_and_b32 s76, s76, exec_lo
	s_wait_alu 0xfffe
	s_or_b32 s75, s75, s76
	s_and_not1_b32 exec_lo, exec_lo, s27
	s_cbranch_execz .LBB51_213
.LBB51_209:                             ;   Parent Loop BB51_16 Depth=1
                                        ; =>  This Inner Loop Header: Depth=2
	s_mov_b32 s76, exec_lo
	s_delay_alu instid0(VALU_DEP_1)
	v_cmpx_gt_i32_e64 s36, v6
	s_cbranch_execz .LBB51_206
; %bb.210:                              ;   in Loop: Header=BB51_209 Depth=2
	v_ashrrev_i32_e32 v2, 31, v1
	s_delay_alu instid0(VALU_DEP_1) | instskip(NEXT) | instid1(VALU_DEP_1)
	v_lshlrev_b64_e32 v[14:15], 2, v[1:2]
	v_add_co_u32 v14, vcc_lo, s44, v14
	s_wait_alu 0xfffd
	s_delay_alu instid0(VALU_DEP_2)
	v_add_co_ci_u32_e64 v15, null, s45, v15, vcc_lo
	global_load_b32 v14, v[14:15], off
	s_wait_loadcnt 0x0
	v_cmp_lt_i32_e32 vcc_lo, -1, v14
	s_wait_alu 0xfffd
	v_cndmask_b32_e64 v2, -1, 0x80000000, vcc_lo
	v_cmp_o_f32_e32 vcc_lo, v14, v14
	s_delay_alu instid0(VALU_DEP_2) | instskip(SKIP_1) | instid1(VALU_DEP_1)
	v_xor_b32_e32 v2, v2, v14
	s_wait_alu 0xfffd
	v_cndmask_b32_e32 v2, -1, v2, vcc_lo
	s_delay_alu instid0(VALU_DEP_1) | instskip(NEXT) | instid1(VALU_DEP_1)
	v_and_b32_e32 v2, v2, v32
	v_cmp_eq_u32_e32 vcc_lo, v2, v24
	s_and_b32 exec_lo, exec_lo, vcc_lo
	s_cbranch_execz .LBB51_206
; %bb.211:                              ;   in Loop: Header=BB51_209 Depth=2
	ds_store_b64 v7, v[13:14] offset:3072
	s_branch .LBB51_206
.LBB51_212:                             ;   in Loop: Header=BB51_209 Depth=2
	s_mov_b32 s77, -1
	s_mov_b32 s76, -1
                                        ; implicit-def: $vgpr6
                                        ; implicit-def: $vgpr1
	s_branch .LBB51_208
.LBB51_213:                             ;   in Loop: Header=BB51_16 Depth=1
	s_or_b32 exec_lo, exec_lo, s27
	s_wait_alu 0xfffe
	s_and_b32 s27, s75, exec_lo
.LBB51_214:                             ;   in Loop: Header=BB51_16 Depth=1
	s_wait_alu 0xfffe
	s_or_b32 exec_lo, exec_lo, s42
.LBB51_215:                             ;   in Loop: Header=BB51_16 Depth=1
	s_delay_alu instid0(SALU_CYCLE_1)
	s_and_b32 vcc_lo, exec_lo, s28
	s_wait_alu 0xfffe
	s_cbranch_vccz .LBB51_227
; %bb.216:                              ;   in Loop: Header=BB51_16 Depth=1
	s_add_co_i32 s24, s26, s56
                                        ; implicit-def: $vgpr15
	s_wait_alu 0xfffe
	s_abs_i32 s42, s24
	s_ashr_i32 s28, s24, 31
	s_wait_alu 0xfffe
	s_mul_u64 s[76:77], s[42:43], s[48:49]
	s_wait_alu 0xfffe
	s_mul_i32 s23, s77, s53
	s_wait_alu 0xfffe
	s_sub_co_i32 s23, s42, s23
	s_wait_alu 0xfffe
	s_sub_co_i32 s42, s23, s53
	s_cmp_ge_u32 s23, s53
	s_wait_alu 0xfffe
	s_cselect_b32 s23, s42, s23
	s_wait_alu 0xfffe
	s_sub_co_i32 s42, s23, s53
	s_cmp_ge_u32 s23, s53
	s_wait_alu 0xfffe
	s_cselect_b32 s23, s42, s23
	s_wait_alu 0xfffe
	s_xor_b32 s23, s23, s28
	s_wait_alu 0xfffe
	s_sub_co_i32 s23, s28, s23
	s_wait_alu 0xfffe
	s_add_co_i32 s24, s24, s23
	s_mov_b32 s23, exec_lo
	s_wait_alu 0xfffe
	v_cmpx_gt_i32_e64 s24, v0
	s_cbranch_execz .LBB51_226
; %bb.217:                              ;   in Loop: Header=BB51_16 Depth=1
	v_dual_mov_b32 v1, v18 :: v_dual_mov_b32 v2, v0
	s_mov_b32 s28, 0
                                        ; implicit-def: $sgpr42
	s_branch .LBB51_221
.LBB51_218:                             ;   in Loop: Header=BB51_221 Depth=2
	s_wait_alu 0xfffe
	s_or_b32 exec_lo, exec_lo, s75
	s_wait_loadcnt_dscnt 0x0
	s_barrier_signal -1
	s_barrier_wait -1
	global_inv scope:SCOPE_SE
	ds_load_b64 v[14:15], v7 offset:3072
	s_wait_loadcnt_dscnt 0x0
	s_barrier_signal -1
	s_barrier_wait -1
	global_inv scope:SCOPE_SE
	v_cmp_eq_f32_e32 vcc_lo, 0, v14
	s_cbranch_vccz .LBB51_224
; %bb.219:                              ;   in Loop: Header=BB51_221 Depth=2
	v_add_nc_u32_e32 v2, s53, v2
	v_add_nc_u32_e32 v1, s55, v1
	s_mov_b32 s75, 0
	s_delay_alu instid0(VALU_DEP_2)
	v_cmp_le_i32_e32 vcc_lo, s24, v2
	s_or_not1_b32 s76, vcc_lo, exec_lo
.LBB51_220:                             ;   in Loop: Header=BB51_221 Depth=2
	s_wait_alu 0xfffe
	s_and_b32 s76, exec_lo, s76
	s_wait_alu 0xfffe
	s_or_b32 s28, s76, s28
	s_and_not1_b32 s42, s42, exec_lo
	s_and_b32 s75, s75, exec_lo
	s_wait_alu 0xfffe
	s_or_b32 s42, s42, s75
	s_and_not1_b32 exec_lo, exec_lo, s28
	s_cbranch_execz .LBB51_225
.LBB51_221:                             ;   Parent Loop BB51_16 Depth=1
                                        ; =>  This Inner Loop Header: Depth=2
	s_mov_b32 s75, exec_lo
	s_delay_alu instid0(VALU_DEP_1)
	v_cmpx_gt_i32_e64 s26, v2
	s_cbranch_execz .LBB51_218
; %bb.222:                              ;   in Loop: Header=BB51_221 Depth=2
	ds_load_b32 v14, v1
	s_wait_dscnt 0x0
	v_cmp_lt_i32_e32 vcc_lo, -1, v14
	s_wait_alu 0xfffd
	v_cndmask_b32_e64 v6, -1, 0x80000000, vcc_lo
	v_cmp_o_f32_e32 vcc_lo, v14, v14
	s_delay_alu instid0(VALU_DEP_2) | instskip(SKIP_1) | instid1(VALU_DEP_1)
	v_xor_b32_e32 v6, v6, v14
	s_wait_alu 0xfffd
	v_cndmask_b32_e32 v6, -1, v6, vcc_lo
	s_delay_alu instid0(VALU_DEP_1) | instskip(NEXT) | instid1(VALU_DEP_1)
	v_and_b32_e32 v6, v6, v32
	v_cmp_eq_u32_e32 vcc_lo, v6, v24
	s_and_b32 exec_lo, exec_lo, vcc_lo
	s_cbranch_execz .LBB51_218
; %bb.223:                              ;   in Loop: Header=BB51_221 Depth=2
	ds_store_b64 v7, v[13:14] offset:3072
	s_branch .LBB51_218
.LBB51_224:                             ;   in Loop: Header=BB51_221 Depth=2
	s_mov_b32 s76, -1
	s_mov_b32 s75, -1
                                        ; implicit-def: $vgpr2
                                        ; implicit-def: $vgpr1
	s_branch .LBB51_220
.LBB51_225:                             ;   in Loop: Header=BB51_16 Depth=1
	s_or_b32 exec_lo, exec_lo, s28
	s_delay_alu instid0(SALU_CYCLE_1)
	s_and_not1_b32 s24, s27, exec_lo
	s_wait_alu 0xfffe
	s_and_b32 s26, s42, exec_lo
	s_wait_alu 0xfffe
	s_or_b32 s27, s24, s26
.LBB51_226:                             ;   in Loop: Header=BB51_16 Depth=1
	s_or_b32 exec_lo, exec_lo, s23
	s_mov_b32 s23, 0
	s_mov_b32 s24, -1
.LBB51_227:                             ;   in Loop: Header=BB51_16 Depth=1
	s_wait_alu 0xfffe
	s_or_not1_b32 s26, s27, exec_lo
.LBB51_228:                             ;   in Loop: Header=BB51_16 Depth=1
	s_wait_alu 0xfffe
	s_or_b32 exec_lo, exec_lo, s25
	s_mov_b32 s27, 0
	s_and_saveexec_b32 s25, s26
	s_cbranch_execz .LBB51_239
; %bb.229:                              ;   in Loop: Header=BB51_16 Depth=1
	v_mov_b32_e32 v3, 1
	v_mov_b32_e32 v1, 1
	s_xor_b32 s26, s17, -1
	s_wait_alu 0xfffe
	s_and_saveexec_b32 s17, s26
	s_cbranch_execz .LBB51_238
; %bb.230:                              ;   in Loop: Header=BB51_16 Depth=1
	s_mov_b32 s26, exec_lo
	v_cmpx_ge_i32_e64 s9, v4
	s_wait_alu 0xfffe
	s_xor_b32 s26, exec_lo, s26
	s_cbranch_execz .LBB51_235
; %bb.231:                              ;   in Loop: Header=BB51_16 Depth=1
	ds_load_b32 v1, v7 offset:4096
	v_or_b32_e32 v24, s10, v24
	v_or_b32_e32 v32, s10, v32
	s_wait_dscnt 0x0
	v_cmp_ne_u32_e32 vcc_lo, 0, v1
	s_cbranch_vccnz .LBB51_235
; %bb.232:                              ;   in Loop: Header=BB51_16 Depth=1
	s_and_saveexec_b32 s10, s2
; %bb.233:                              ;   in Loop: Header=BB51_16 Depth=1
	v_mov_b32_e32 v1, s9
	ds_store_b32 v7, v1 offset:4100
; %bb.234:                              ;   in Loop: Header=BB51_16 Depth=1
	s_wait_alu 0xfffe
	s_or_b32 exec_lo, exec_lo, s10
	s_wait_loadcnt_dscnt 0x0
	s_barrier_signal -1
	s_barrier_wait -1
	global_inv scope:SCOPE_SE
.LBB51_235:                             ;   in Loop: Header=BB51_16 Depth=1
	s_wait_alu 0xfffe
	s_and_not1_saveexec_b32 s10, s26
; %bb.236:                              ;   in Loop: Header=BB51_16 Depth=1
	v_subrev_nc_u32_e32 v4, s9, v4
; %bb.237:                              ;   in Loop: Header=BB51_16 Depth=1
	s_wait_alu 0xfffe
	s_or_b32 exec_lo, exec_lo, s10
	v_mov_b32_e32 v3, 8
	s_delay_alu instid0(VALU_DEP_2)
	v_mov_b32_e32 v1, v4
.LBB51_238:                             ;   in Loop: Header=BB51_16 Depth=1
	s_wait_alu 0xfffe
	s_or_b32 exec_lo, exec_lo, s17
	s_delay_alu instid0(VALU_DEP_1)
	v_mov_b32_e32 v4, v1
	s_mov_b32 s27, exec_lo
.LBB51_239:                             ;   in Loop: Header=BB51_16 Depth=1
	s_wait_alu 0xfffe
	s_or_b32 exec_lo, exec_lo, s25
	s_delay_alu instid0(SALU_CYCLE_1)
	s_or_not1_b32 s17, s27, exec_lo
.LBB51_240:                             ;   in Loop: Header=BB51_16 Depth=1
	s_wait_alu 0xfffe
	s_or_b32 exec_lo, exec_lo, s16
	v_mov_b32_e32 v6, v4
	s_and_not1_b32 s9, s21, exec_lo
	s_and_b32 s10, s24, exec_lo
	s_and_not1_b32 s16, s20, exec_lo
	s_and_b32 s20, s23, exec_lo
	s_wait_alu 0xfffe
	s_or_b32 s21, s9, s10
	s_or_b32 s20, s16, s20
	s_and_b32 s25, s17, exec_lo
.LBB51_241:                             ;   in Loop: Header=BB51_16 Depth=1
	s_wait_alu 0xfffe
	s_or_b32 exec_lo, exec_lo, s22
	s_delay_alu instid0(SALU_CYCLE_1)
	s_or_not1_b32 s22, s25, exec_lo
.LBB51_242:                             ;   in Loop: Header=BB51_16 Depth=1
	s_wait_alu 0xfffe
	s_or_b32 exec_lo, exec_lo, s19
	v_mov_b32_e32 v4, v6
	s_and_not1_b32 s9, s15, exec_lo
	s_and_b32 s10, s21, exec_lo
	s_and_not1_b32 s14, s14, exec_lo
	s_and_b32 s16, s20, exec_lo
	s_wait_alu 0xfffe
	s_or_b32 s15, s9, s10
	s_or_b32 s14, s14, s16
	s_and_b32 s22, s22, exec_lo
.LBB51_243:                             ;   in Loop: Header=BB51_16 Depth=1
	s_wait_alu 0xfffe
	s_or_b32 exec_lo, exec_lo, s18
	s_delay_alu instid0(SALU_CYCLE_1)
	s_or_not1_b32 s18, s22, exec_lo
.LBB51_244:                             ;   in Loop: Header=BB51_16 Depth=1
	s_wait_alu 0xfffe
	s_or_b32 exec_lo, exec_lo, s13
	s_mov_b32 s10, 0
                                        ; implicit-def: $sgpr21
	s_and_saveexec_b32 s9, s18
	s_wait_alu 0xfffe
	s_xor_b32 s9, exec_lo, s9
	s_cbranch_execz .LBB51_14
; %bb.245:                              ;   in Loop: Header=BB51_16 Depth=1
	v_and_b32_e32 v1, 7, v3
	s_mov_b32 s12, -1
	s_mov_b32 s10, -1
	s_mov_b32 s13, exec_lo
                                        ; implicit-def: $sgpr21
	s_delay_alu instid0(VALU_DEP_1)
	v_cmpx_eq_u32_e32 0, v1
	s_cbranch_execz .LBB51_13
; %bb.246:                              ;   in Loop: Header=BB51_16 Depth=1
	s_add_co_i32 s21, s74, -2
	s_cmp_eq_u32 s74, 0
	v_xor_b32_e32 v31, 1, v31
	s_cselect_b32 s12, -1, 0
	s_xor_b32 s10, exec_lo, -1
	s_wait_alu 0xfffe
	s_or_not1_b32 s12, s12, exec_lo
	s_branch .LBB51_13
.LBB51_247:
	s_or_b32 exec_lo, exec_lo, s37
	s_xor_b32 s3, s73, -1
	s_xor_b32 s1, s71, -1
	;; [unrolled: 1-line block ×3, first 2 shown]
	s_mov_b32 s0, 0
	s_and_saveexec_b32 s5, s1
	s_delay_alu instid0(SALU_CYCLE_1)
	s_xor_b32 s1, exec_lo, s5
	s_cbranch_execnz .LBB51_252
; %bb.248:
	s_and_not1_saveexec_b32 s1, s1
	s_cbranch_execnz .LBB51_272
.LBB51_249:
	s_wait_alu 0xfffe
	s_or_b32 exec_lo, exec_lo, s1
	s_and_saveexec_b32 s1, s0
.LBB51_250:
	; divergent unreachable
.LBB51_251:
	s_endpgm
.LBB51_252:
	s_wait_alu 0xfffe
	s_and_saveexec_b32 s0, s3
	s_delay_alu instid0(SALU_CYCLE_1)
	s_xor_b32 s3, exec_lo, s0
	s_cbranch_execz .LBB51_270
; %bb.253:
	s_and_saveexec_b32 s0, s4
	s_delay_alu instid0(SALU_CYCLE_1)
	s_xor_b32 s0, exec_lo, s0
; %bb.254:
	v_cmp_lt_i32_e32 vcc_lo, -1, v24
	s_wait_alu 0xfffd
	v_cndmask_b32_e64 v1, 0x80000000, -1, vcc_lo
	s_delay_alu instid0(VALU_DEP_1)
	v_xor_b32_e32 v15, v1, v24
; %bb.255:
	s_or_b32 exec_lo, exec_lo, s0
	s_and_saveexec_b32 s0, s2
; %bb.256:
	v_dual_mov_b32 v1, 0 :: v_dual_mov_b32 v2, s36
	ds_store_b32 v1, v2 offset:4108
; %bb.257:
	s_or_b32 exec_lo, exec_lo, s0
	v_mov_b32_e32 v1, 0
	s_wait_loadcnt_dscnt 0x0
	s_barrier_signal -1
	s_barrier_wait -1
	global_inv scope:SCOPE_SE
	ds_load_b32 v1, v1 offset:4108
	s_mov_b32 s4, exec_lo
	s_wait_dscnt 0x0
	v_min_i32_e32 v1, s36, v1
	s_delay_alu instid0(VALU_DEP_1)
	v_cmpx_lt_i32_e64 v0, v1
	s_cbranch_execz .LBB51_267
; %bb.258:
	v_cmp_u_f32_e32 vcc_lo, v15, v15
	s_mov_b32 s5, 0
                                        ; implicit-def: $sgpr6
                                        ; implicit-def: $sgpr9
                                        ; implicit-def: $sgpr8
	s_xor_b32 s7, vcc_lo, -1
	s_branch .LBB51_260
.LBB51_259:                             ;   in Loop: Header=BB51_260 Depth=1
	s_or_b32 exec_lo, exec_lo, s0
	s_wait_alu 0xfffe
	s_and_b32 s0, exec_lo, s9
	s_delay_alu instid0(SALU_CYCLE_1) | instskip(SKIP_2) | instid1(SALU_CYCLE_1)
	s_or_b32 s5, s0, s5
	s_and_not1_b32 s0, s6, exec_lo
	s_and_b32 s6, s8, exec_lo
	s_or_b32 s6, s0, s6
	s_and_not1_b32 exec_lo, exec_lo, s5
	s_cbranch_execz .LBB51_262
.LBB51_260:                             ; =>This Inner Loop Header: Depth=1
	v_ashrrev_i32_e32 v6, 31, v5
	s_or_b32 s8, s8, exec_lo
	s_or_b32 s9, s9, exec_lo
	s_delay_alu instid0(VALU_DEP_1) | instskip(NEXT) | instid1(VALU_DEP_1)
	v_lshlrev_b64_e32 v[2:3], 2, v[5:6]
	v_add_co_u32 v2, vcc_lo, s44, v2
	s_wait_alu 0xfffd
	s_delay_alu instid0(VALU_DEP_2)
	v_add_co_ci_u32_e64 v3, null, s45, v3, vcc_lo
	global_load_b32 v2, v[2:3], off
	s_wait_loadcnt 0x0
	v_cmp_o_f32_e32 vcc_lo, v2, v2
	v_cmp_neq_f32_e64 s0, v2, v15
	v_mov_b32_e32 v2, v0
                                        ; implicit-def: $vgpr0
	s_or_b32 s10, vcc_lo, s7
	s_wait_alu 0xfffe
	s_and_b32 s10, s0, s10
	s_wait_alu 0xfffe
	s_and_saveexec_b32 s0, s10
	s_cbranch_execz .LBB51_259
; %bb.261:                              ;   in Loop: Header=BB51_260 Depth=1
	v_add_nc_u32_e32 v0, s53, v2
	v_add_nc_u32_e32 v5, s57, v5
	s_and_not1_b32 s9, s9, exec_lo
	s_and_not1_b32 s8, s8, exec_lo
	s_delay_alu instid0(VALU_DEP_2)
	v_cmp_ge_i32_e32 vcc_lo, v0, v1
	s_and_b32 s10, vcc_lo, exec_lo
	s_wait_alu 0xfffe
	s_or_b32 s9, s9, s10
	s_branch .LBB51_259
.LBB51_262:
	s_or_b32 exec_lo, exec_lo, s5
	s_and_saveexec_b32 s0, s6
	s_delay_alu instid0(SALU_CYCLE_1)
	s_xor_b32 s0, exec_lo, s0
	s_cbranch_execz .LBB51_267
; %bb.263:
	s_mov_b32 s5, exec_lo
	s_brev_b32 s0, -2
.LBB51_264:                             ; =>This Inner Loop Header: Depth=1
	s_ctz_i32_b32 s6, s5
	s_wait_alu 0xfffe
	v_readlane_b32 s7, v2, s6
	s_lshl_b32 s6, 1, s6
	s_wait_alu 0xfffe
	s_and_not1_b32 s5, s5, s6
	s_min_i32 s0, s0, s7
	s_cmp_lg_u32 s5, 0
	s_cbranch_scc1 .LBB51_264
; %bb.265:
	v_mbcnt_lo_u32_b32 v0, exec_lo, 0
	s_mov_b32 s5, exec_lo
	s_delay_alu instid0(VALU_DEP_1)
	v_cmpx_eq_u32_e32 0, v0
	s_xor_b32 s5, exec_lo, s5
; %bb.266:
	v_dual_mov_b32 v0, 0 :: v_dual_mov_b32 v1, s0
	ds_min_i32 v0, v1 offset:4108
.LBB51_267:
	s_or_b32 exec_lo, exec_lo, s4
	s_wait_loadcnt_dscnt 0x0
	s_barrier_signal -1
	s_barrier_wait -1
	global_inv scope:SCOPE_SE
	s_and_saveexec_b32 s0, s2
	s_cbranch_execz .LBB51_269
; %bb.268:
	v_mov_b32_e32 v2, 0
	s_mul_i32 s5, s52, s33
	s_mul_i32 s2, s30, s38
	s_add_co_i32 s6, s5, s31
	s_wait_alu 0xfffe
	s_add_co_i32 s4, s2, s29
	ds_load_b32 v0, v2 offset:4108
	s_ashr_i32 s7, s6, 31
	s_ashr_i32 s5, s4, 31
	s_wait_alu 0xfffe
	s_lshl_b64 s[6:7], s[6:7], 3
	s_lshl_b64 s[4:5], s[4:5], 2
	s_wait_alu 0xfffe
	s_add_nc_u64 s[6:7], s[40:41], s[6:7]
	s_add_nc_u64 s[4:5], s[34:35], s[4:5]
	s_wait_dscnt 0x0
	v_ashrrev_i32_e32 v1, 31, v0
	s_clause 0x1
	global_store_b64 v2, v[0:1], s[6:7]
	global_store_b32 v2, v15, s[4:5]
.LBB51_269:
	s_wait_alu 0xfffe
	s_or_b32 exec_lo, exec_lo, s0
.LBB51_270:
	s_wait_alu 0xfffe
	s_or_saveexec_b32 s0, s3
	s_mov_b32 s2, 0
	s_wait_alu 0xfffe
	s_xor_b32 exec_lo, exec_lo, s0
	s_cbranch_execnz .LBB51_273
.LBB51_271:
	s_or_b32 exec_lo, exec_lo, s0
	s_wait_alu 0xfffe
	s_and_b32 s0, s2, exec_lo
	s_and_not1_saveexec_b32 s1, s1
	s_cbranch_execz .LBB51_249
.LBB51_272:
	s_wait_alu 0xfffe
	s_or_b32 s0, s0, exec_lo
	s_trap 2
	s_or_b32 exec_lo, exec_lo, s1
	s_wait_alu 0xfffe
	s_and_saveexec_b32 s1, s0
	s_cbranch_execnz .LBB51_250
	s_branch .LBB51_251
.LBB51_273:
	s_mov_b32 s2, exec_lo
	s_trap 2
	s_branch .LBB51_271
	.section	.rodata,"a",@progbits
	.p2align	6, 0x0
	.amdhsa_kernel _ZN2at6native12_GLOBAL__N_114gatherKthValueIfiLin1EEEvNS_4cuda6detail10TensorInfoIKT_T0_EES8_S8_S8_S8_NS5_IS6_S8_EENS5_IlS8_EE
		.amdhsa_group_segment_fixed_size 4112
		.amdhsa_private_segment_fixed_size 0
		.amdhsa_kernarg_size 920
		.amdhsa_user_sgpr_count 2
		.amdhsa_user_sgpr_dispatch_ptr 0
		.amdhsa_user_sgpr_queue_ptr 0
		.amdhsa_user_sgpr_kernarg_segment_ptr 1
		.amdhsa_user_sgpr_dispatch_id 0
		.amdhsa_user_sgpr_private_segment_size 0
		.amdhsa_wavefront_size32 1
		.amdhsa_uses_dynamic_stack 0
		.amdhsa_enable_private_segment 0
		.amdhsa_system_sgpr_workgroup_id_x 1
		.amdhsa_system_sgpr_workgroup_id_y 1
		.amdhsa_system_sgpr_workgroup_id_z 1
		.amdhsa_system_sgpr_workgroup_info 0
		.amdhsa_system_vgpr_workitem_id 0
		.amdhsa_next_free_vgpr 44
		.amdhsa_next_free_sgpr 82
		.amdhsa_reserve_vcc 1
		.amdhsa_float_round_mode_32 0
		.amdhsa_float_round_mode_16_64 0
		.amdhsa_float_denorm_mode_32 3
		.amdhsa_float_denorm_mode_16_64 3
		.amdhsa_fp16_overflow 0
		.amdhsa_workgroup_processor_mode 1
		.amdhsa_memory_ordered 1
		.amdhsa_forward_progress 1
		.amdhsa_inst_pref_size 96
		.amdhsa_round_robin_scheduling 0
		.amdhsa_exception_fp_ieee_invalid_op 0
		.amdhsa_exception_fp_denorm_src 0
		.amdhsa_exception_fp_ieee_div_zero 0
		.amdhsa_exception_fp_ieee_overflow 0
		.amdhsa_exception_fp_ieee_underflow 0
		.amdhsa_exception_fp_ieee_inexact 0
		.amdhsa_exception_int_div_zero 0
	.end_amdhsa_kernel
	.section	.text._ZN2at6native12_GLOBAL__N_114gatherKthValueIfiLin1EEEvNS_4cuda6detail10TensorInfoIKT_T0_EES8_S8_S8_S8_NS5_IS6_S8_EENS5_IlS8_EE,"axG",@progbits,_ZN2at6native12_GLOBAL__N_114gatherKthValueIfiLin1EEEvNS_4cuda6detail10TensorInfoIKT_T0_EES8_S8_S8_S8_NS5_IS6_S8_EENS5_IlS8_EE,comdat
.Lfunc_end51:
	.size	_ZN2at6native12_GLOBAL__N_114gatherKthValueIfiLin1EEEvNS_4cuda6detail10TensorInfoIKT_T0_EES8_S8_S8_S8_NS5_IS6_S8_EENS5_IlS8_EE, .Lfunc_end51-_ZN2at6native12_GLOBAL__N_114gatherKthValueIfiLin1EEEvNS_4cuda6detail10TensorInfoIKT_T0_EES8_S8_S8_S8_NS5_IS6_S8_EENS5_IlS8_EE
                                        ; -- End function
	.set _ZN2at6native12_GLOBAL__N_114gatherKthValueIfiLin1EEEvNS_4cuda6detail10TensorInfoIKT_T0_EES8_S8_S8_S8_NS5_IS6_S8_EENS5_IlS8_EE.num_vgpr, 44
	.set _ZN2at6native12_GLOBAL__N_114gatherKthValueIfiLin1EEEvNS_4cuda6detail10TensorInfoIKT_T0_EES8_S8_S8_S8_NS5_IS6_S8_EENS5_IlS8_EE.num_agpr, 0
	.set _ZN2at6native12_GLOBAL__N_114gatherKthValueIfiLin1EEEvNS_4cuda6detail10TensorInfoIKT_T0_EES8_S8_S8_S8_NS5_IS6_S8_EENS5_IlS8_EE.numbered_sgpr, 82
	.set _ZN2at6native12_GLOBAL__N_114gatherKthValueIfiLin1EEEvNS_4cuda6detail10TensorInfoIKT_T0_EES8_S8_S8_S8_NS5_IS6_S8_EENS5_IlS8_EE.num_named_barrier, 0
	.set _ZN2at6native12_GLOBAL__N_114gatherKthValueIfiLin1EEEvNS_4cuda6detail10TensorInfoIKT_T0_EES8_S8_S8_S8_NS5_IS6_S8_EENS5_IlS8_EE.private_seg_size, 0
	.set _ZN2at6native12_GLOBAL__N_114gatherKthValueIfiLin1EEEvNS_4cuda6detail10TensorInfoIKT_T0_EES8_S8_S8_S8_NS5_IS6_S8_EENS5_IlS8_EE.uses_vcc, 1
	.set _ZN2at6native12_GLOBAL__N_114gatherKthValueIfiLin1EEEvNS_4cuda6detail10TensorInfoIKT_T0_EES8_S8_S8_S8_NS5_IS6_S8_EENS5_IlS8_EE.uses_flat_scratch, 0
	.set _ZN2at6native12_GLOBAL__N_114gatherKthValueIfiLin1EEEvNS_4cuda6detail10TensorInfoIKT_T0_EES8_S8_S8_S8_NS5_IS6_S8_EENS5_IlS8_EE.has_dyn_sized_stack, 0
	.set _ZN2at6native12_GLOBAL__N_114gatherKthValueIfiLin1EEEvNS_4cuda6detail10TensorInfoIKT_T0_EES8_S8_S8_S8_NS5_IS6_S8_EENS5_IlS8_EE.has_recursion, 0
	.set _ZN2at6native12_GLOBAL__N_114gatherKthValueIfiLin1EEEvNS_4cuda6detail10TensorInfoIKT_T0_EES8_S8_S8_S8_NS5_IS6_S8_EENS5_IlS8_EE.has_indirect_call, 0
	.section	.AMDGPU.csdata,"",@progbits
; Kernel info:
; codeLenInByte = 12200
; TotalNumSgprs: 84
; NumVgprs: 44
; ScratchSize: 0
; MemoryBound: 0
; FloatMode: 240
; IeeeMode: 1
; LDSByteSize: 4112 bytes/workgroup (compile time only)
; SGPRBlocks: 0
; VGPRBlocks: 5
; NumSGPRsForWavesPerEU: 84
; NumVGPRsForWavesPerEU: 44
; Occupancy: 16
; WaveLimiterHint : 1
; COMPUTE_PGM_RSRC2:SCRATCH_EN: 0
; COMPUTE_PGM_RSRC2:USER_SGPR: 2
; COMPUTE_PGM_RSRC2:TRAP_HANDLER: 0
; COMPUTE_PGM_RSRC2:TGID_X_EN: 1
; COMPUTE_PGM_RSRC2:TGID_Y_EN: 1
; COMPUTE_PGM_RSRC2:TGID_Z_EN: 1
; COMPUTE_PGM_RSRC2:TIDIG_COMP_CNT: 0
	.section	.text._ZN2at6native12_GLOBAL__N_114gatherKthValueIflLi1EEEvNS_4cuda6detail10TensorInfoIKT_T0_EES8_S8_S8_S8_NS5_IS6_S8_EENS5_IlS8_EE,"axG",@progbits,_ZN2at6native12_GLOBAL__N_114gatherKthValueIflLi1EEEvNS_4cuda6detail10TensorInfoIKT_T0_EES8_S8_S8_S8_NS5_IS6_S8_EENS5_IlS8_EE,comdat
	.globl	_ZN2at6native12_GLOBAL__N_114gatherKthValueIflLi1EEEvNS_4cuda6detail10TensorInfoIKT_T0_EES8_S8_S8_S8_NS5_IS6_S8_EENS5_IlS8_EE ; -- Begin function _ZN2at6native12_GLOBAL__N_114gatherKthValueIflLi1EEEvNS_4cuda6detail10TensorInfoIKT_T0_EES8_S8_S8_S8_NS5_IS6_S8_EENS5_IlS8_EE
	.p2align	8
	.type	_ZN2at6native12_GLOBAL__N_114gatherKthValueIflLi1EEEvNS_4cuda6detail10TensorInfoIKT_T0_EES8_S8_S8_S8_NS5_IS6_S8_EENS5_IlS8_EE,@function
_ZN2at6native12_GLOBAL__N_114gatherKthValueIflLi1EEEvNS_4cuda6detail10TensorInfoIKT_T0_EES8_S8_S8_S8_NS5_IS6_S8_EENS5_IlS8_EE: ; @_ZN2at6native12_GLOBAL__N_114gatherKthValueIflLi1EEEvNS_4cuda6detail10TensorInfoIKT_T0_EES8_S8_S8_S8_NS5_IS6_S8_EENS5_IlS8_EE
; %bb.0:
	s_clause 0x1
	s_load_b64 s[8:9], s[0:1], 0x500
	s_load_b256 s[36:43], s[0:1], 0x1a0
	s_lshr_b32 s2, ttmp7, 16
	s_and_b32 s3, ttmp7, 0xffff
	s_mov_b32 s27, 0
	s_wait_kmcnt 0x0
	s_mul_i32 s2, s9, s2
	s_delay_alu instid0(SALU_CYCLE_1) | instskip(NEXT) | instid1(SALU_CYCLE_1)
	s_add_co_i32 s2, s2, s3
	s_mul_i32 s2, s2, s8
	s_delay_alu instid0(SALU_CYCLE_1) | instskip(NEXT) | instid1(SALU_CYCLE_1)
	s_add_co_i32 s26, s2, ttmp9
	v_cmp_le_i64_e64 s2, s[40:41], s[26:27]
	s_and_b32 vcc_lo, exec_lo, s2
	s_cbranch_vccnz .LBB52_276
; %bb.1:
	s_clause 0x1
	s_load_b64 s[10:11], s[0:1], 0xd0
	s_load_b64 s[4:5], s[0:1], 0x0
	v_cmp_eq_u32_e64 s2, 0, v0
	s_add_nc_u64 s[6:7], s[0:1], 0x500
	s_and_saveexec_b32 s3, s2
	s_cbranch_execz .LBB52_3
; %bb.2:
	v_dual_mov_b32 v1, 0 :: v_dual_mov_b32 v4, s37
	s_delay_alu instid0(VALU_DEP_1)
	v_dual_mov_b32 v3, s36 :: v_dual_mov_b32 v2, v1
	ds_store_b32 v1, v1 offset:5136
	ds_store_b128 v1, v[1:4] offset:5120
.LBB52_3:
	s_or_b32 exec_lo, exec_lo, s3
	v_mad_co_u64_u32 v[2:3], null, s42, v0, 0
	s_wait_kmcnt 0x0
	s_mul_u64 s[10:11], s[10:11], s[26:27]
	s_clause 0x3
	s_load_b64 s[34:35], s[0:1], 0x430
	s_load_b64 s[28:29], s[0:1], 0x360
	;; [unrolled: 1-line block ×4, first 2 shown]
	s_lshl_b64 s[10:11], s[10:11], 2
	s_wait_dscnt 0x0
	s_add_nc_u64 s[48:49], s[4:5], s[10:11]
	s_barrier_signal -1
	v_dual_mov_b32 v1, v3 :: v_dual_lshlrev_b32 v14, 2, v0
	s_barrier_wait -1
	v_mbcnt_lo_u32_b32 v32, -1, 0
	global_inv scope:SCOPE_SE
	s_load_b32 s5, s[6:7], 0xc
	v_dual_mov_b32 v26, s38 :: v_dual_lshlrev_b32 v35, 4, v0
	v_mad_co_u64_u32 v[3:4], null, s43, v0, v[1:2]
	v_lshlrev_b64_e64 v[6:7], v32, -1
	s_delay_alu instid0(VALU_DEP_3)
	v_or_b32_e32 v7, 12, v35
	v_or_b32_e32 v9, 8, v35
	v_cmp_gt_u32_e32 vcc_lo, 32, v0
	v_cmp_gt_i32_e64 s0, 4, v32
	v_or_b32_e32 v12, 4, v35
	v_lshlrev_b64_e32 v[4:5], 2, v[2:3]
	v_mad_co_u64_u32 v[16:17], null, s42, v7, 0
	v_mad_co_u64_u32 v[18:19], null, s42, v9, 0
	s_and_b32 s33, vcc_lo, s0
	v_add_co_u32 v10, vcc_lo, s48, v4
	v_mad_co_u64_u32 v[20:21], null, s42, v12, 0
	v_dual_mov_b32 v13, 0 :: v_dual_mov_b32 v4, v17
	v_add_co_ci_u32_e64 v11, null, s49, v5, vcc_lo
	v_mov_b32_e32 v5, v19
	s_wait_kmcnt 0x0
	s_and_b32 s44, s5, 0xffff
	s_bfe_u32 s5, s5, 0xb0005
	s_cmp_gt_u32 s44, 31
	v_mov_b32_e32 v1, v13
	s_cselect_b32 s81, -1, 0
	s_cmp_lt_u32 ttmp9, s8
	v_mad_co_u64_u32 v[7:8], null, s43, v7, v[4:5]
	v_not_b32_e32 v34, v6
	s_cselect_b32 s24, 12, 18
	s_add_co_i32 s8, s5, -1
	v_mov_b32_e32 v6, v21
	s_and_b32 s8, s8, 0xffff
	s_bfe_u32 s82, s44, 0x30005
	s_cmp_gt_u32 s8, 6
	s_mov_b32 s25, 0
	v_mad_co_u64_u32 v[4:5], null, s43, v9, v[5:6]
	s_cselect_b32 s83, -1, 0
	s_and_b32 s84, s5, 0x7f8
	v_mad_co_u64_u32 v[5:6], null, s43, v12, v[6:7]
	s_cmp_lg_u32 s82, 0
	s_movk_i32 s8, 0x3e0
	s_cselect_b32 s85, -1, 0
	s_lshl_b64 s[54:55], s[42:43], 2
	v_add_co_u32 v39, s5, s36, v0
	v_mul_lo_u32 v42, 0, s54
	v_cmp_lt_i64_e64 s80, 0x300, s[36:37]
	v_cmp_gt_u64_e64 s4, s[36:37], v[0:1]
	v_cmp_gt_i64_e64 s0, s[36:37], v[0:1]
	s_mov_b32 s45, s25
	v_lshlrev_b64_e32 v[21:22], 4, v[2:3]
	v_cmp_eq_u32_e64 s1, 0, v32
	v_cmp_gt_u32_e64 s3, 2, v0
	v_dual_mov_b32 v36, v7 :: v_dual_add_nc_u32 v33, 0xc00, v14
	v_dual_mov_b32 v15, v13 :: v_dual_mov_b32 v38, v5
	v_and_or_b32 v17, v0, s8, 0xc00
	v_mov_b32_e32 v37, v4
	v_add_co_ci_u32_e64 v40, null, s37, 0, s5
	v_lshl_or_b32 v41, v32, 3, 0xc00
	v_mov_b32_e32 v27, s39
	v_mov_b32_e32 v23, 1.0
	v_mov_b32_e32 v25, 0
	v_mov_b32_e32 v19, 0
	;; [unrolled: 1-line block ×3, first 2 shown]
	s_add_nc_u64 s[50:51], s[44:45], -1
	s_mul_u64 s[8:9], s[42:43], s[44:45]
	s_add_nc_u64 s[52:53], s[50:51], s[36:37]
	s_lshl_b64 s[56:57], s[42:43], 4
	s_wait_alu 0xfffe
	s_lshl_b64 s[46:47], s[8:9], 2
	s_lshl_b32 s86, s44, 2
	s_mov_b32 s87, 30
	s_add_nc_u64 s[38:39], s[6:7], s[24:25]
	s_mov_b32 s88, 0
	s_mov_b32 s89, 0
                                        ; implicit-def: $sgpr93
                                        ; implicit-def: $sgpr95
                                        ; implicit-def: $sgpr90
                                        ; implicit-def: $sgpr92
                                        ; implicit-def: $sgpr94
                                        ; implicit-def: $sgpr91
	s_branch .LBB52_7
.LBB52_4:                               ;   in Loop: Header=BB52_7 Depth=1
	s_wait_alu 0xfffe
	s_or_b32 exec_lo, exec_lo, s8
	s_delay_alu instid0(SALU_CYCLE_1)
	s_and_b32 s6, s6, exec_lo
	s_and_not1_b32 s22, s22, exec_lo
	s_and_not1_b32 s21, s21, exec_lo
	s_or_not1_b32 s18, s7, exec_lo
.LBB52_5:                               ;   in Loop: Header=BB52_7 Depth=1
	s_wait_alu 0xfffe
	s_or_b32 exec_lo, exec_lo, s5
	s_delay_alu instid0(SALU_CYCLE_1)
	s_and_not1_b32 s5, s91, exec_lo
	s_and_b32 s6, s6, exec_lo
	s_and_not1_b32 s7, s92, exec_lo
	s_wait_alu 0xfffe
	s_or_b32 s91, s5, s6
	s_and_not1_b32 s5, s94, exec_lo
	s_and_b32 s6, s22, exec_lo
	s_and_b32 s8, s21, exec_lo
	s_wait_alu 0xfffe
	s_or_b32 s94, s5, s6
	s_or_b32 s92, s7, s8
	s_or_not1_b32 s18, s18, exec_lo
.LBB52_6:                               ;   in Loop: Header=BB52_7 Depth=1
	s_wait_alu 0xfffe
	s_or_b32 exec_lo, exec_lo, s17
	s_delay_alu instid0(SALU_CYCLE_1)
	s_and_b32 s5, exec_lo, s18
	v_dual_mov_b32 v27, v7 :: v_dual_mov_b32 v26, v6
	s_wait_alu 0xfffe
	s_or_b32 s88, s5, s88
	s_and_not1_b32 s5, s90, exec_lo
	s_and_b32 s6, s91, exec_lo
	s_and_not1_b32 s7, s95, exec_lo
	s_wait_alu 0xfffe
	s_or_b32 s90, s5, s6
	s_and_b32 s5, s94, exec_lo
	s_and_not1_b32 s6, s93, exec_lo
	s_and_b32 s8, s92, exec_lo
	s_wait_alu 0xfffe
	s_or_b32 s95, s7, s5
	s_or_b32 s93, s6, s8
	s_and_not1_b32 exec_lo, exec_lo, s88
	s_cbranch_execz .LBB52_272
.LBB52_7:                               ; =>This Loop Header: Depth=1
                                        ;     Child Loop BB52_13 Depth 2
                                        ;     Child Loop BB52_26 Depth 2
                                        ;     Child Loop BB52_60 Depth 2
                                        ;     Child Loop BB52_64 Depth 2
                                        ;     Child Loop BB52_49 Depth 2
                                        ;     Child Loop BB52_54 Depth 2
                                        ;     Child Loop BB52_42 Depth 2
                                        ;     Child Loop BB52_73 Depth 2
                                        ;     Child Loop BB52_87 Depth 2
                                        ;     Child Loop BB52_102 Depth 2
                                        ;     Child Loop BB52_132 Depth 2
                                        ;     Child Loop BB52_149 Depth 2
                                        ;     Child Loop BB52_180 Depth 2
                                        ;     Child Loop BB52_197 Depth 2
                                        ;     Child Loop BB52_227 Depth 2
                                        ;     Child Loop BB52_244 Depth 2
	ds_load_b128 v[2:5], v13 offset:5120
	s_wait_dscnt 0x0
	v_readfirstlane_b32 s59, v3
	v_readfirstlane_b32 s58, v2
	s_wait_alu 0xf1ff
	s_delay_alu instid0(VALU_DEP_1)
	v_cmp_gt_i64_e64 s5, s[58:59], 0
	s_and_b32 vcc_lo, exec_lo, s5
	s_wait_alu 0xfffe
	s_cbranch_vccnz .LBB52_34
; %bb.8:                                ;   in Loop: Header=BB52_7 Depth=1
	s_and_b32 vcc_lo, exec_lo, s80
	s_wait_alu 0xfffe
	s_cbranch_vccz .LBB52_21
; %bb.9:                                ;   in Loop: Header=BB52_7 Depth=1
	v_cmp_gt_i64_e32 vcc_lo, 0x301, v[4:5]
	s_mov_b32 s7, 0
	s_mov_b32 s5, 0
	s_cbranch_vccz .LBB52_22
; %bb.10:                               ;   in Loop: Header=BB52_7 Depth=1
	s_and_saveexec_b32 s8, s4
	s_cbranch_execz .LBB52_68
; %bb.11:                               ;   in Loop: Header=BB52_7 Depth=1
	global_load_u16 v2, v13, s[38:39]
	global_load_b32 v7, v[10:11], off
	s_mov_b32 s9, 0
	s_wait_loadcnt 0x1
	v_and_b32_e32 v6, 0xffff, v2
	s_delay_alu instid0(VALU_DEP_1) | instskip(SKIP_2) | instid1(VALU_DEP_3)
	v_add_nc_u32_e32 v4, v0, v6
	v_mul_lo_u32 v5, v6, s55
	v_mul_hi_u32 v9, v6, s54
	v_mad_co_u64_u32 v[2:3], null, s54, v4, s[48:49]
	s_delay_alu instid0(VALU_DEP_1) | instskip(NEXT) | instid1(VALU_DEP_4)
	v_mad_co_u64_u32 v[3:4], null, s55, v4, v[3:4]
	v_add_nc_u32_e32 v4, v5, v42
	s_delay_alu instid0(VALU_DEP_1)
	v_add_nc_u32_e32 v9, v4, v9
	v_mov_b32_e32 v5, v1
	v_mul_lo_u32 v8, v6, s54
	v_mov_b32_e32 v4, v0
	s_branch .LBB52_13
.LBB52_12:                              ;   in Loop: Header=BB52_13 Depth=2
	s_wait_alu 0xfffe
	s_or_b32 exec_lo, exec_lo, s6
	v_add_co_u32 v2, vcc_lo, v2, v8
	s_wait_alu 0xfffd
	v_add_co_ci_u32_e64 v3, null, v3, v9, vcc_lo
	v_mov_b32_e32 v7, v12
	s_and_not1_b32 exec_lo, exec_lo, s9
	s_cbranch_execz .LBB52_68
.LBB52_13:                              ;   Parent Loop BB52_7 Depth=1
                                        ; =>  This Inner Loop Header: Depth=2
	s_delay_alu instid0(VALU_DEP_1)
	v_add_co_u32 v4, vcc_lo, v4, v6
	s_wait_alu 0xfffd
	v_add_co_ci_u32_e64 v5, null, 0, v5, vcc_lo
	s_wait_dscnt 0x0
	v_mov_b32_e32 v24, 0
	v_mov_b32_e32 v12, 0
	s_mov_b32 s6, exec_lo
	v_cmp_le_i64_e32 vcc_lo, s[36:37], v[4:5]
	v_cmpx_gt_i64_e64 s[36:37], v[4:5]
	s_cbranch_execz .LBB52_15
; %bb.14:                               ;   in Loop: Header=BB52_13 Depth=2
	global_load_b32 v12, v[2:3], off
.LBB52_15:                              ;   in Loop: Header=BB52_13 Depth=2
	s_wait_alu 0xfffe
	s_or_b32 exec_lo, exec_lo, s6
	s_wait_loadcnt 0x0
	v_cmp_lt_i32_e64 s5, -1, v7
	s_wait_alu 0xf1ff
	s_delay_alu instid0(VALU_DEP_1) | instskip(SKIP_1) | instid1(VALU_DEP_2)
	v_cndmask_b32_e64 v28, -1, 0x80000000, s5
	v_cmp_o_f32_e64 s5, v7, v7
	v_xor_b32_e32 v28, v28, v7
	s_wait_alu 0xf1ff
	s_delay_alu instid0(VALU_DEP_1) | instskip(NEXT) | instid1(VALU_DEP_1)
	v_cndmask_b32_e64 v28, -1, v28, s5
	v_and_b32_e32 v28, v28, v43
	s_delay_alu instid0(VALU_DEP_1)
	v_cmp_eq_u32_e64 s5, v28, v19
	s_cmp_lg_u32 s5, 0
	s_cselect_b32 s6, -1, 0
	s_wait_alu 0xfffe
	s_and_b32 s6, s1, s6
	s_wait_alu 0xfffe
	s_and_saveexec_b32 s10, s6
	s_cbranch_execz .LBB52_19
; %bb.16:                               ;   in Loop: Header=BB52_13 Depth=2
	s_mov_b32 s13, exec_lo
	s_bcnt1_i32_b32 s11, s5
	s_wait_alu 0xfffe
	v_mbcnt_lo_u32_b32 v24, s13, 0
	s_mov_b32 s12, exec_lo
                                        ; implicit-def: $vgpr28
	s_delay_alu instid0(VALU_DEP_1)
	v_cmpx_eq_u32_e32 0, v24
; %bb.17:                               ;   in Loop: Header=BB52_13 Depth=2
	s_bcnt1_i32_b32 s6, s13
	s_wait_alu 0xfffe
	s_mul_i32 s6, s11, s6
	s_wait_alu 0xfffe
	v_mov_b32_e32 v28, s6
	ds_add_rtn_u32 v28, v13, v28 offset:5136
; %bb.18:                               ;   in Loop: Header=BB52_13 Depth=2
	s_or_b32 exec_lo, exec_lo, s12
	s_wait_dscnt 0x0
	v_readfirstlane_b32 s6, v28
	s_wait_alu 0xf1ff
	s_delay_alu instid0(VALU_DEP_1)
	v_mad_u32_u24 v24, s11, v24, s6
.LBB52_19:                              ;   in Loop: Header=BB52_13 Depth=2
	s_wait_alu 0xfffe
	s_or_b32 exec_lo, exec_lo, s10
	ds_bpermute_b32 v24, v13, v24
	s_and_b32 s6, exec_lo, vcc_lo
	s_wait_alu 0xfffe
	s_or_b32 s9, s6, s9
	s_and_saveexec_b32 s6, s5
	s_cbranch_execz .LBB52_12
; %bb.20:                               ;   in Loop: Header=BB52_13 Depth=2
	v_and_b32_e32 v28, s5, v34
	s_delay_alu instid0(VALU_DEP_1) | instskip(NEXT) | instid1(VALU_DEP_1)
	v_bcnt_u32_b32 v28, v28, 0
	v_lshlrev_b32_e32 v28, 2, v28
	s_wait_dscnt 0x0
	s_delay_alu instid0(VALU_DEP_1)
	v_lshl_add_u32 v24, v24, 2, v28
	ds_store_b32 v24, v7
	s_branch .LBB52_12
.LBB52_21:                              ;   in Loop: Header=BB52_7 Depth=1
	s_mov_b32 s7, -1
	s_mov_b32 s5, 0
.LBB52_22:                              ;   in Loop: Header=BB52_7 Depth=1
	s_wait_alu 0xfffe
	s_and_b32 vcc_lo, exec_lo, s7
	s_wait_alu 0xfffe
	s_cbranch_vccz .LBB52_32
.LBB52_23:                              ;   in Loop: Header=BB52_7 Depth=1
	s_and_saveexec_b32 s6, s0
	s_cbranch_execz .LBB52_29
; %bb.24:                               ;   in Loop: Header=BB52_7 Depth=1
	global_load_u16 v2, v13, s[38:39]
	global_load_b32 v8, v[10:11], off
	s_mov_b32 s7, exec_lo
	s_wait_loadcnt 0x1
	v_dual_mov_b32 v2, v0 :: v_dual_and_b32 v9, 0xffff, v2
	s_delay_alu instid0(VALU_DEP_1) | instskip(NEXT) | instid1(VALU_DEP_1)
	v_add_nc_u32_e32 v12, v9, v0
	v_cmpx_gt_i64_e64 s[36:37], v[12:13]
	s_cbranch_execz .LBB52_28
; %bb.25:                               ;   in Loop: Header=BB52_7 Depth=1
	v_mul_lo_u32 v5, v9, s55
	v_mad_co_u64_u32 v[2:3], null, s54, v12, s[48:49]
	v_mul_hi_u32 v6, v9, s54
	v_mul_lo_u32 v24, v9, s54
	s_mov_b32 s8, 0
	s_delay_alu instid0(VALU_DEP_4) | instskip(NEXT) | instid1(VALU_DEP_4)
	v_add_nc_u32_e32 v7, v5, v42
	v_mad_co_u64_u32 v[3:4], null, s55, v12, v[3:4]
	v_dual_mov_b32 v4, v12 :: v_dual_mov_b32 v5, v13
	s_delay_alu instid0(VALU_DEP_3)
	v_dual_mov_b32 v7, v1 :: v_dual_add_nc_u32 v12, v7, v6
	v_mov_b32_e32 v6, v0
.LBB52_26:                              ;   Parent Loop BB52_7 Depth=1
                                        ; =>  This Inner Loop Header: Depth=2
	global_load_b32 v28, v[2:3], off
	v_dual_mov_b32 v30, v5 :: v_dual_mov_b32 v29, v4
	v_lshlrev_b32_e32 v6, 2, v6
	s_delay_alu instid0(VALU_DEP_2) | instskip(SKIP_1) | instid1(VALU_DEP_3)
	v_add_co_u32 v4, vcc_lo, v29, v9
	s_wait_alu 0xfffd
	v_add_co_ci_u32_e64 v5, null, 0, v30, vcc_lo
	v_add_co_u32 v2, vcc_lo, v2, v24
	s_wait_alu 0xfffd
	v_add_co_ci_u32_e64 v3, null, v3, v12, vcc_lo
	s_delay_alu instid0(VALU_DEP_3)
	v_cmp_le_i64_e64 s5, s[36:37], v[4:5]
	s_wait_loadcnt 0x1
	ds_store_b32 v6, v8
	v_dual_mov_b32 v6, v29 :: v_dual_mov_b32 v7, v30
	s_wait_alu 0xfffe
	s_or_b32 s8, s5, s8
	s_wait_loadcnt 0x0
	v_mov_b32_e32 v8, v28
	s_wait_alu 0xfffe
	s_and_not1_b32 exec_lo, exec_lo, s8
	s_cbranch_execnz .LBB52_26
; %bb.27:                               ;   in Loop: Header=BB52_7 Depth=1
	s_or_b32 exec_lo, exec_lo, s8
	v_sub_nc_u32_e32 v2, v4, v9
	v_mov_b32_e32 v8, v28
.LBB52_28:                              ;   in Loop: Header=BB52_7 Depth=1
	s_wait_alu 0xfffe
	s_or_b32 exec_lo, exec_lo, s7
	s_delay_alu instid0(VALU_DEP_2)
	v_lshlrev_b32_e32 v2, 2, v2
	s_wait_loadcnt 0x0
	ds_store_b32 v2, v8
.LBB52_29:                              ;   in Loop: Header=BB52_7 Depth=1
	s_wait_alu 0xfffe
	s_or_b32 exec_lo, exec_lo, s6
	s_wait_loadcnt_dscnt 0x0
	s_barrier_signal -1
	s_barrier_wait -1
	global_inv scope:SCOPE_SE
	s_and_saveexec_b32 s5, s2
; %bb.30:                               ;   in Loop: Header=BB52_7 Depth=1
	v_dual_mov_b32 v2, s36 :: v_dual_mov_b32 v3, s37
	ds_store_b64 v13, v[2:3] offset:5120
; %bb.31:                               ;   in Loop: Header=BB52_7 Depth=1
	s_wait_alu 0xfffe
	s_or_b32 exec_lo, exec_lo, s5
	s_mov_b32 s5, -1
	s_wait_loadcnt_dscnt 0x0
	s_barrier_signal -1
	s_barrier_wait -1
.LBB52_32:                              ;   in Loop: Header=BB52_7 Depth=1
	s_wait_alu 0xfffe
	s_and_b32 vcc_lo, exec_lo, s5
	s_wait_alu 0xfffe
	s_cbranch_vccz .LBB52_34
; %bb.33:                               ;   in Loop: Header=BB52_7 Depth=1
	s_wait_loadcnt 0x0
	global_inv scope:SCOPE_SE
	ds_load_b64 v[2:3], v13 offset:5120
	s_wait_dscnt 0x0
	v_readfirstlane_b32 s58, v2
.LBB52_34:                              ;   in Loop: Header=BB52_7 Depth=1
	s_delay_alu instid0(VALU_DEP_1)
	s_cmp_lt_i32 s58, 1
	s_mov_b32 s5, -1
                                        ; implicit-def: $vgpr2_vgpr3
                                        ; implicit-def: $vgpr6_vgpr7
	s_cbranch_scc1 .LBB52_44
; %bb.35:                               ;   in Loop: Header=BB52_7 Depth=1
	s_wait_alu 0xfffe
	s_and_b32 vcc_lo, exec_lo, s5
	s_wait_alu 0xfffe
	s_cbranch_vccnz .LBB52_58
.LBB52_36:                              ;   in Loop: Header=BB52_7 Depth=1
	s_lshl_b32 s5, s89, 7
	s_and_saveexec_b32 s6, s1
	s_cbranch_execz .LBB52_38
.LBB52_37:                              ;   in Loop: Header=BB52_7 Depth=1
	s_wait_alu 0xfffe
	v_lshl_add_u32 v12, s5, 3, v17
	ds_store_b128 v12, v[2:5]
	ds_store_b128 v12, v[6:9] offset:16
.LBB52_38:                              ;   in Loop: Header=BB52_7 Depth=1
	s_wait_alu 0xfffe
	s_or_b32 exec_lo, exec_lo, s6
	s_wait_loadcnt_dscnt 0x0
	s_barrier_signal -1
	s_barrier_wait -1
	global_inv scope:SCOPE_SE
	s_and_saveexec_b32 s6, s33
	s_cbranch_execz .LBB52_75
; %bb.39:                               ;   in Loop: Header=BB52_7 Depth=1
	v_mov_b32_e32 v2, 0
	v_mov_b32_e32 v3, 0
	s_and_not1_b32 vcc_lo, exec_lo, s81
	s_wait_alu 0xfffe
	s_cbranch_vccnz .LBB52_74
; %bb.40:                               ;   in Loop: Header=BB52_7 Depth=1
	v_mov_b32_e32 v2, 0
	v_mov_b32_e32 v3, 0
	s_and_not1_b32 vcc_lo, exec_lo, s83
	s_wait_alu 0xfffe
	s_cbranch_vccnz .LBB52_71
; %bb.41:                               ;   in Loop: Header=BB52_7 Depth=1
	v_lshl_add_u32 v4, s89, 10, v41
	s_mov_b32 s7, 0
.LBB52_42:                              ;   Parent Loop BB52_7 Depth=1
                                        ; =>  This Inner Loop Header: Depth=2
	ds_load_2addr_b64 v[5:8], v4 offset1:4
	ds_load_2addr_b64 v[28:31], v4 offset0:8 offset1:12
	ds_load_2addr_b64 v[44:47], v4 offset0:16 offset1:20
	s_wait_alu 0xfffe
	s_add_co_i32 s7, s7, 8
	s_wait_alu 0xfffe
	s_cmp_eq_u32 s84, s7
	s_wait_dscnt 0x2
	v_add_co_u32 v2, vcc_lo, v5, v2
	s_wait_alu 0xfffd
	v_add_co_ci_u32_e64 v3, null, v6, v3, vcc_lo
	s_delay_alu instid0(VALU_DEP_2) | instskip(SKIP_1) | instid1(VALU_DEP_2)
	v_add_co_u32 v2, vcc_lo, v7, v2
	s_wait_alu 0xfffd
	v_add_co_ci_u32_e64 v3, null, v8, v3, vcc_lo
	ds_load_2addr_b64 v[5:8], v4 offset0:24 offset1:28
	s_wait_dscnt 0x2
	v_add_co_u32 v2, vcc_lo, v28, v2
	s_wait_alu 0xfffd
	v_add_co_ci_u32_e64 v3, null, v29, v3, vcc_lo
	v_add_nc_u32_e32 v4, 0x100, v4
	s_delay_alu instid0(VALU_DEP_3) | instskip(SKIP_1) | instid1(VALU_DEP_3)
	v_add_co_u32 v2, vcc_lo, v30, v2
	s_wait_alu 0xfffd
	v_add_co_ci_u32_e64 v3, null, v31, v3, vcc_lo
	s_wait_dscnt 0x1
	s_delay_alu instid0(VALU_DEP_2) | instskip(SKIP_1) | instid1(VALU_DEP_2)
	v_add_co_u32 v2, vcc_lo, v44, v2
	s_wait_alu 0xfffd
	v_add_co_ci_u32_e64 v3, null, v45, v3, vcc_lo
	s_delay_alu instid0(VALU_DEP_2) | instskip(SKIP_1) | instid1(VALU_DEP_2)
	v_add_co_u32 v2, vcc_lo, v46, v2
	s_wait_alu 0xfffd
	v_add_co_ci_u32_e64 v3, null, v47, v3, vcc_lo
	s_wait_dscnt 0x0
	s_delay_alu instid0(VALU_DEP_2) | instskip(SKIP_1) | instid1(VALU_DEP_2)
	v_add_co_u32 v2, vcc_lo, v5, v2
	s_wait_alu 0xfffd
	v_add_co_ci_u32_e64 v3, null, v6, v3, vcc_lo
	s_delay_alu instid0(VALU_DEP_2) | instskip(SKIP_1) | instid1(VALU_DEP_2)
	v_add_co_u32 v2, vcc_lo, v7, v2
	s_wait_alu 0xfffd
	v_add_co_ci_u32_e64 v3, null, v8, v3, vcc_lo
	s_cbranch_scc0 .LBB52_42
; %bb.43:                               ;   in Loop: Header=BB52_7 Depth=1
	s_mov_b32 s7, s84
	s_and_not1_b32 vcc_lo, exec_lo, s85
	s_wait_alu 0xfffe
	s_cbranch_vccz .LBB52_72
	s_branch .LBB52_74
.LBB52_44:                              ;   in Loop: Header=BB52_7 Depth=1
	global_load_u16 v2, v13, s[38:39]
	s_mov_b32 s6, s25
	s_mov_b32 s7, s37
	s_wait_loadcnt 0x0
	v_readfirstlane_b32 s5, v2
	s_wait_alu 0xfffe
	s_and_b32 s60, s5, 0xffff
	s_wait_alu 0xfffe
	s_lshl_b32 s62, s60, 2
	s_cmp_lg_u64 s[6:7], 0
	s_cbranch_scc0 .LBB52_67
; %bb.45:                               ;   in Loop: Header=BB52_7 Depth=1
	s_mov_b32 s63, s25
	s_wait_alu 0xfffe
	s_add_nc_u64 s[6:7], s[62:63], 0
	s_wait_alu 0xfffe
	s_xor_b64 s[6:7], s[6:7], 0
	s_wait_alu 0xfffe
	s_cvt_f32_u32 s5, s6
	s_cvt_f32_u32 s8, s7
	s_sub_nc_u64 s[10:11], 0, s[6:7]
	s_wait_alu 0xfffe
	s_delay_alu instid0(SALU_CYCLE_1) | instskip(SKIP_1) | instid1(SALU_CYCLE_2)
	s_fmamk_f32 s5, s8, 0x4f800000, s5
	s_wait_alu 0xfffe
	v_s_rcp_f32 s5, s5
	s_delay_alu instid0(TRANS32_DEP_1) | instskip(SKIP_1) | instid1(SALU_CYCLE_2)
	s_mul_f32 s5, s5, 0x5f7ffffc
	s_wait_alu 0xfffe
	s_mul_f32 s8, s5, 0x2f800000
	s_wait_alu 0xfffe
	s_delay_alu instid0(SALU_CYCLE_2) | instskip(SKIP_1) | instid1(SALU_CYCLE_2)
	s_trunc_f32 s8, s8
	s_wait_alu 0xfffe
	s_fmamk_f32 s5, s8, 0xcf800000, s5
	s_cvt_u32_f32 s9, s8
	s_wait_alu 0xfffe
	s_delay_alu instid0(SALU_CYCLE_1) | instskip(SKIP_1) | instid1(SALU_CYCLE_2)
	s_cvt_u32_f32 s8, s5
	s_wait_alu 0xfffe
	s_mul_u64 s[12:13], s[10:11], s[8:9]
	s_wait_alu 0xfffe
	s_mul_hi_u32 s15, s8, s13
	s_mul_i32 s14, s8, s13
	s_mul_hi_u32 s24, s8, s12
	s_mul_i32 s16, s9, s12
	s_wait_alu 0xfffe
	s_add_nc_u64 s[14:15], s[24:25], s[14:15]
	s_mul_hi_u32 s5, s9, s12
	s_mul_hi_u32 s17, s9, s13
	s_mul_i32 s12, s9, s13
	s_add_co_u32 s13, s14, s16
	s_wait_alu 0xfffe
	s_add_co_ci_u32 s24, s15, s5
	s_add_co_ci_u32 s13, s17, 0
	s_wait_alu 0xfffe
	s_add_nc_u64 s[12:13], s[24:25], s[12:13]
	s_wait_alu 0xfffe
	s_add_co_u32 s8, s8, s12
	s_cselect_b32 s5, -1, 0
	s_wait_alu 0xfffe
	s_cmp_lg_u32 s5, 0
	s_add_co_ci_u32 s9, s9, s13
	s_wait_alu 0xfffe
	s_mul_u64 s[10:11], s[10:11], s[8:9]
	s_wait_alu 0xfffe
	s_mul_hi_u32 s13, s8, s11
	s_mul_i32 s12, s8, s11
	s_mul_hi_u32 s24, s8, s10
	s_mul_i32 s14, s9, s10
	s_wait_alu 0xfffe
	s_add_nc_u64 s[12:13], s[24:25], s[12:13]
	s_mul_hi_u32 s5, s9, s10
	s_mul_hi_u32 s15, s9, s11
	s_mul_i32 s10, s9, s11
	s_wait_alu 0xfffe
	s_add_co_u32 s11, s12, s14
	s_add_co_ci_u32 s24, s13, s5
	s_add_co_ci_u32 s11, s15, 0
	s_wait_alu 0xfffe
	s_add_nc_u64 s[10:11], s[24:25], s[10:11]
	s_wait_alu 0xfffe
	s_add_co_u32 s5, s8, s10
	s_cselect_b32 s8, -1, 0
	s_wait_alu 0xfffe
	s_cmp_lg_u32 s8, 0
	s_add_co_ci_u32 s14, s9, s11
	s_ashr_i32 s8, s37, 31
	s_wait_alu 0xfffe
	s_mov_b32 s9, s8
	s_wait_alu 0xfffe
	s_add_nc_u64 s[10:11], s[36:37], s[8:9]
	s_wait_alu 0xfffe
	s_xor_b64 s[10:11], s[10:11], s[8:9]
	s_wait_alu 0xfffe
	s_mul_hi_u32 s13, s10, s14
	s_mul_i32 s12, s10, s14
	s_mul_hi_u32 s24, s10, s5
	s_mul_hi_u32 s16, s11, s5
	s_mul_i32 s5, s11, s5
	s_wait_alu 0xfffe
	s_add_nc_u64 s[12:13], s[24:25], s[12:13]
	s_mul_hi_u32 s15, s11, s14
	s_wait_alu 0xfffe
	s_add_co_u32 s5, s12, s5
	s_add_co_ci_u32 s24, s13, s16
	s_mul_i32 s14, s11, s14
	s_add_co_ci_u32 s15, s15, 0
	s_wait_alu 0xfffe
	s_add_nc_u64 s[12:13], s[24:25], s[14:15]
	s_wait_alu 0xfffe
	s_mul_u64 s[12:13], s[6:7], s[12:13]
	s_wait_alu 0xfffe
	s_sub_co_u32 s5, s10, s12
	s_cselect_b32 s10, -1, 0
	s_sub_co_i32 s12, s11, s13
	s_wait_alu 0xfffe
	s_cmp_lg_u32 s10, 0
	s_sub_co_ci_u32 s12, s12, s7
	s_sub_co_u32 s14, s5, s6
	s_cselect_b32 s15, -1, 0
	s_delay_alu instid0(SALU_CYCLE_1)
	s_cmp_lg_u32 s15, 0
	s_wait_alu 0xfffe
	s_sub_co_ci_u32 s16, s12, 0
	s_wait_alu 0xfffe
	s_cmp_ge_u32 s16, s7
	s_cselect_b32 s17, -1, 0
	s_cmp_ge_u32 s14, s6
	s_cselect_b32 s18, -1, 0
	s_cmp_eq_u32 s16, s7
	s_wait_alu 0xfffe
	s_cselect_b32 s17, s18, s17
	s_cmp_lg_u32 s15, 0
	s_sub_co_ci_u32 s12, s12, s7
	s_sub_co_u32 s15, s14, s6
	s_cselect_b32 s18, -1, 0
	s_delay_alu instid0(SALU_CYCLE_1)
	s_cmp_lg_u32 s18, 0
	s_wait_alu 0xfffe
	s_sub_co_ci_u32 s12, s12, 0
	s_cmp_lg_u32 s17, 0
	s_cselect_b32 s14, s15, s14
	s_wait_alu 0xfffe
	s_cselect_b32 s12, s12, s16
	s_cmp_lg_u32 s10, 0
	s_sub_co_ci_u32 s10, s11, s13
	s_wait_alu 0xfffe
	s_cmp_ge_u32 s10, s7
	s_cselect_b32 s11, -1, 0
	s_cmp_ge_u32 s5, s6
	s_cselect_b32 s6, -1, 0
	s_cmp_eq_u32 s10, s7
	s_wait_alu 0xfffe
	s_cselect_b32 s6, s6, s11
	s_wait_alu 0xfffe
	s_cmp_lg_u32 s6, 0
	s_cselect_b32 s7, s12, s10
	s_cselect_b32 s6, s14, s5
	s_wait_alu 0xfffe
	s_xor_b64 s[6:7], s[6:7], s[8:9]
	s_wait_alu 0xfffe
	s_sub_nc_u64 s[64:65], s[6:7], s[8:9]
	s_cbranch_execnz .LBB52_47
.LBB52_46:                              ;   in Loop: Header=BB52_7 Depth=1
	s_wait_alu 0xfffe
	v_cvt_f32_u32_e32 v2, s62
	s_sub_co_i32 s6, 0, s62
	s_delay_alu instid0(VALU_DEP_1) | instskip(NEXT) | instid1(TRANS32_DEP_1)
	v_rcp_iflag_f32_e32 v2, v2
	v_mul_f32_e32 v2, 0x4f7ffffe, v2
	s_delay_alu instid0(VALU_DEP_1) | instskip(NEXT) | instid1(VALU_DEP_1)
	v_cvt_u32_f32_e32 v2, v2
	v_readfirstlane_b32 s5, v2
	s_wait_alu 0xfffe
	s_mul_i32 s6, s6, s5
	s_wait_alu 0xfffe
	s_mul_hi_u32 s6, s5, s6
	s_wait_alu 0xfffe
	s_add_co_i32 s5, s5, s6
	s_wait_alu 0xfffe
	s_mul_hi_u32 s5, s36, s5
	s_wait_alu 0xfffe
	s_mul_i32 s5, s5, s62
	s_wait_alu 0xfffe
	s_sub_co_i32 s5, s36, s5
	s_wait_alu 0xfffe
	s_sub_co_i32 s6, s5, s62
	s_cmp_ge_u32 s5, s62
	s_wait_alu 0xfffe
	s_cselect_b32 s5, s6, s5
	s_wait_alu 0xfffe
	s_sub_co_i32 s6, s5, s62
	s_cmp_ge_u32 s5, s62
	s_wait_alu 0xfffe
	s_cselect_b32 s24, s6, s5
	s_wait_alu 0xfffe
	s_mov_b64 s[64:65], s[24:25]
.LBB52_47:                              ;   in Loop: Header=BB52_7 Depth=1
	v_mov_b32_e32 v2, 0
	v_dual_mov_b32 v6, 0 :: v_dual_mov_b32 v3, 0
	v_dual_mov_b32 v4, 0 :: v_dual_mov_b32 v7, 0
	;; [unrolled: 1-line block ×3, first 2 shown]
	v_mov_b32_e32 v9, 0
	s_wait_alu 0xfffe
	s_sub_nc_u64 s[66:67], s[36:37], s[64:65]
	s_mov_b32 s61, s25
	s_mov_b32 s59, exec_lo
	s_wait_alu 0xfffe
	v_cmpx_gt_i64_e64 s[66:67], v[14:15]
	s_cbranch_execz .LBB52_51
; %bb.48:                               ;   in Loop: Header=BB52_7 Depth=1
	v_dual_mov_b32 v29, v15 :: v_dual_mov_b32 v28, v14
	s_mul_u64 s[68:69], s[56:57], s[60:61]
	s_mov_b64 s[70:71], 0
	s_mov_b32 s63, 0
	s_mov_b64 s[72:73], s[48:49]
	s_mov_b64 s[74:75], 0
	;; [unrolled: 1-line block ×4, first 2 shown]
.LBB52_49:                              ;   Parent Loop BB52_7 Depth=1
                                        ; =>  This Inner Loop Header: Depth=2
	s_wait_alu 0xfffe
	v_add_co_u32 v2, vcc_lo, s72, v21
	s_wait_alu 0xfffd
	v_add_co_ci_u32_e64 v3, null, s73, v22, vcc_lo
	v_add_co_u32 v4, vcc_lo, s72, v20
	s_wait_alu 0xfffd
	v_add_co_ci_u32_e64 v5, null, s73, v38, vcc_lo
	;; [unrolled: 3-line block ×4, first 2 shown]
	s_clause 0x3
	global_load_b32 v2, v[2:3], off
	global_load_b32 v3, v[4:5], off
	;; [unrolled: 1-line block ×4, first 2 shown]
	v_add_co_u32 v28, vcc_lo, v28, s62
	s_wait_alu 0xfffd
	v_add_co_ci_u32_e64 v29, null, 0, v29, vcc_lo
	s_add_nc_u64 s[72:73], s[72:73], s[68:69]
	v_cmp_le_i64_e32 vcc_lo, s[66:67], v[28:29]
	s_wait_loadcnt 0x3
	v_cmp_lt_i32_e64 s5, -1, v2
	v_cmp_o_f32_e64 s8, v2, v2
	s_wait_loadcnt 0x1
	v_cmp_o_f32_e64 s6, v4, v4
	s_wait_loadcnt 0x0
	v_cmp_o_f32_e64 s7, v5, v5
	s_wait_alu 0xf1ff
	v_cndmask_b32_e64 v6, -1, 0x80000000, s5
	v_cmp_lt_i32_e64 s5, -1, v3
	s_delay_alu instid0(VALU_DEP_2) | instskip(SKIP_1) | instid1(VALU_DEP_2)
	v_xor_b32_e32 v6, v6, v2
	s_wait_alu 0xf1ff
	v_cndmask_b32_e64 v7, -1, 0x80000000, s5
	v_cmp_lt_i32_e64 s5, -1, v4
	s_delay_alu instid0(VALU_DEP_3) | instskip(NEXT) | instid1(VALU_DEP_3)
	v_cndmask_b32_e64 v2, -1, v6, s8
	v_xor_b32_e32 v7, v7, v3
	s_wait_alu 0xf1ff
	s_delay_alu instid0(VALU_DEP_3) | instskip(SKIP_4) | instid1(VALU_DEP_3)
	v_cndmask_b32_e64 v8, -1, 0x80000000, s5
	v_cmp_lt_i32_e64 s5, -1, v5
	v_and_b32_e32 v6, v2, v43
	v_bfe_u32 v2, v2, s87, 2
	s_wait_alu 0xf1ff
	v_cndmask_b32_e64 v9, -1, 0x80000000, s5
	v_cmp_o_f32_e64 s5, v3, v3
	v_xor_b32_e32 v3, v8, v4
	v_cmp_eq_u32_e64 s9, 0, v2
	v_cmp_eq_u32_e64 s13, 1, v2
	v_xor_b32_e32 v4, v9, v5
	s_wait_alu 0xf1ff
	v_cndmask_b32_e64 v5, -1, v7, s5
	v_cndmask_b32_e64 v3, -1, v3, s6
	v_cmp_eq_u32_e64 s5, v6, v19
	v_cmp_eq_u32_e64 s17, 2, v2
	v_cndmask_b32_e64 v4, -1, v4, s7
	v_and_b32_e32 v7, v5, v43
	v_bfe_u32 v5, v5, s87, 2
	v_and_b32_e32 v8, v3, v43
	v_bfe_u32 v3, v3, s87, 2
	v_and_b32_e32 v9, v4, v43
	v_bfe_u32 v4, v4, s87, 2
	v_cmp_eq_u32_e64 s6, v7, v19
	v_cmp_eq_u32_e64 s10, 0, v5
	;; [unrolled: 1-line block ×4, first 2 shown]
	s_and_b32 s9, s5, s9
	v_cmp_eq_u32_e64 s8, v9, v19
	v_cmp_eq_u32_e64 s12, 0, v4
	;; [unrolled: 1-line block ×3, first 2 shown]
	s_wait_alu 0xfffe
	v_cndmask_b32_e64 v2, 0, 1, s9
	s_and_b32 s9, s6, s10
	v_cmp_eq_u32_e64 s15, 1, v3
	v_cmp_eq_u32_e64 s19, 2, v3
	;; [unrolled: 1-line block ×3, first 2 shown]
	s_wait_alu 0xfffe
	v_cndmask_b32_e64 v3, 0, 1, s9
	s_and_b32 s9, s7, s11
	v_cmp_eq_u32_e64 s14, 1, v5
	v_cmp_eq_u32_e64 s16, 1, v4
	;; [unrolled: 1-line block ×4, first 2 shown]
	s_wait_alu 0xfffe
	v_cndmask_b32_e64 v4, 0, 1, s9
	s_and_b32 s9, s8, s12
	v_cmp_eq_u32_e64 s18, 2, v5
	v_cmp_eq_u32_e64 s22, 3, v5
	s_wait_alu 0xfffe
	v_cndmask_b32_e64 v5, 0, 1, s9
	s_and_b32 s9, s5, s13
	s_wait_alu 0xfffe
	v_cndmask_b32_e64 v6, 0, 1, s9
	s_and_b32 s9, s6, s14
	;; [unrolled: 3-line block ×4, first 2 shown]
	v_cmp_ne_u32_e64 s10, 0, v7
	s_wait_alu 0xfffe
	v_cndmask_b32_e64 v9, 0, 1, s9
	s_and_b32 s9, s5, s17
	s_and_b32 s5, s5, s21
	s_wait_alu 0xfffe
	v_cndmask_b32_e64 v12, 0, 1, s9
	v_cndmask_b32_e64 v44, 0, 1, s5
	s_and_b32 s5, s6, s22
	s_and_b32 s9, s6, s18
	s_wait_alu 0xfffe
	v_cndmask_b32_e64 v45, 0, 1, s5
	s_and_b32 s5, s7, s23
	v_cndmask_b32_e64 v24, 0, 1, s9
	s_and_b32 s9, s7, s19
	s_wait_alu 0xfffe
	v_cndmask_b32_e64 v46, 0, 1, s5
	s_and_b32 s5, s8, s24
	v_cndmask_b32_e64 v30, 0, 1, s9
	s_and_b32 s9, s8, s20
	s_wait_alu 0xfffe
	v_cndmask_b32_e64 v47, 0, 1, s5
	v_cmp_ne_u32_e64 s5, 0, v2
	v_cmp_ne_u32_e64 s6, 0, v3
	v_cndmask_b32_e64 v31, 0, 1, s9
	v_cmp_ne_u32_e64 s7, 0, v4
	v_cmp_ne_u32_e64 s9, 0, v6
	;; [unrolled: 1-line block ×6, first 2 shown]
	s_bcnt1_i32_b32 s5, s5
	s_bcnt1_i32_b32 s6, s6
	v_cmp_ne_u32_e64 s12, 0, v9
	v_cmp_ne_u32_e64 s15, 0, v30
	;; [unrolled: 1-line block ×4, first 2 shown]
	s_bcnt1_i32_b32 s7, s7
	s_bcnt1_i32_b32 s9, s9
	;; [unrolled: 1-line block ×3, first 2 shown]
	s_wait_alu 0xfffe
	s_add_co_i32 s5, s6, s5
	v_cmp_ne_u32_e64 s16, 0, v31
	v_cmp_ne_u32_e64 s19, 0, v46
	s_bcnt1_i32_b32 s8, s8
	s_bcnt1_i32_b32 s11, s11
	;; [unrolled: 1-line block ×4, first 2 shown]
	s_add_co_i32 s6, s10, s9
	s_wait_alu 0xfffe
	s_add_co_i32 s5, s5, s7
	v_cmp_ne_u32_e64 s20, 0, v47
	s_bcnt1_i32_b32 s12, s12
	s_bcnt1_i32_b32 s15, s15
	;; [unrolled: 1-line block ×4, first 2 shown]
	s_add_co_i32 s9, s14, s13
	s_add_co_i32 s6, s6, s11
	s_wait_alu 0xfffe
	s_add_co_i32 s24, s5, s8
	s_bcnt1_i32_b32 s16, s16
	s_bcnt1_i32_b32 s19, s19
	s_add_co_i32 s10, s18, s17
	s_add_co_i32 s7, s9, s15
	s_wait_alu 0xfffe
	s_add_nc_u64 s[78:79], s[78:79], s[24:25]
	s_add_co_i32 s24, s6, s12
	s_bcnt1_i32_b32 s20, s20
	s_add_co_i32 s9, s10, s19
	s_wait_alu 0xfffe
	s_add_nc_u64 s[76:77], s[76:77], s[24:25]
	s_add_co_i32 s24, s7, s16
	v_mov_b32_e32 v2, s78
	s_wait_alu 0xfffe
	s_add_nc_u64 s[74:75], s[74:75], s[24:25]
	s_add_co_i32 s24, s9, s20
	v_mov_b32_e32 v4, s76
	s_wait_alu 0xfffe
	s_add_nc_u64 s[70:71], s[70:71], s[24:25]
	v_mov_b32_e32 v3, s79
	v_dual_mov_b32 v5, s77 :: v_dual_mov_b32 v6, s74
	s_wait_alu 0xfffe
	v_dual_mov_b32 v7, s75 :: v_dual_mov_b32 v8, s70
	v_mov_b32_e32 v9, s71
	s_or_b32 s63, vcc_lo, s63
	s_wait_alu 0xfffe
	s_and_not1_b32 exec_lo, exec_lo, s63
	s_cbranch_execnz .LBB52_49
; %bb.50:                               ;   in Loop: Header=BB52_7 Depth=1
	s_or_b32 exec_lo, exec_lo, s63
.LBB52_51:                              ;   in Loop: Header=BB52_7 Depth=1
	s_wait_alu 0xfffe
	s_or_b32 exec_lo, exec_lo, s59
	v_add_co_u32 v28, s5, s66, v0
	s_wait_alu 0xf1ff
	v_add_co_ci_u32_e64 v29, null, s67, 0, s5
	s_mov_b32 s9, exec_lo
	v_cmpx_gt_i64_e64 s[36:37], v[28:29]
	s_cbranch_execz .LBB52_57
; %bb.52:                               ;   in Loop: Header=BB52_7 Depth=1
	v_mul_lo_u32 v12, v29, s42
	v_mul_lo_u32 v24, v28, s43
	v_mad_co_u64_u32 v[30:31], null, v28, s42, 0
	s_mul_u64 s[10:11], s[54:55], s[60:61]
	s_mov_b32 s12, 0
	v_add3_u32 v31, v31, v24, v12
	s_delay_alu instid0(VALU_DEP_1) | instskip(NEXT) | instid1(VALU_DEP_1)
	v_lshlrev_b64_e32 v[30:31], 2, v[30:31]
	v_add_co_u32 v30, vcc_lo, s48, v30
	s_wait_alu 0xfffd
	s_delay_alu instid0(VALU_DEP_2)
	v_add_co_ci_u32_e64 v31, null, s49, v31, vcc_lo
	v_add_co_u32 v12, vcc_lo, v39, s60
	global_load_b32 v24, v[30:31], off
	s_wait_alu 0xfffd
	v_add_co_ci_u32_e64 v30, null, 0, v40, vcc_lo
	v_sub_co_u32 v12, vcc_lo, v12, s64
	s_wait_alu 0xfffd
	s_delay_alu instid0(VALU_DEP_2) | instskip(NEXT) | instid1(VALU_DEP_2)
	v_subrev_co_ci_u32_e64 v30, null, s65, v30, vcc_lo
	v_mul_lo_u32 v45, s55, v12
	s_delay_alu instid0(VALU_DEP_2) | instskip(SKIP_1) | instid1(VALU_DEP_1)
	v_mul_lo_u32 v44, s54, v30
	v_mad_co_u64_u32 v[30:31], null, s54, v12, s[48:49]
	v_add3_u32 v31, v45, v31, v44
	s_branch .LBB52_54
.LBB52_53:                              ;   in Loop: Header=BB52_54 Depth=2
	s_wait_alu 0xfffe
	s_or_b32 exec_lo, exec_lo, s6
	s_wait_loadcnt 0x0
	v_cmp_lt_i32_e64 s5, -1, v24
	s_and_b32 s6, exec_lo, vcc_lo
	s_wait_alu 0xfffe
	s_or_b32 s12, s6, s12
	v_cndmask_b32_e64 v44, -1, 0x80000000, s5
	v_cmp_o_f32_e64 s5, v24, v24
	s_delay_alu instid0(VALU_DEP_2) | instskip(SKIP_1) | instid1(VALU_DEP_1)
	v_xor_b32_e32 v44, v44, v24
	s_wait_alu 0xf1ff
	v_cndmask_b32_e64 v24, -1, v44, s5
	s_delay_alu instid0(VALU_DEP_1) | instskip(SKIP_1) | instid1(VALU_DEP_2)
	v_and_b32_e32 v44, v24, v43
	v_bfe_u32 v24, v24, s87, 2
	v_cmp_eq_u32_e32 vcc_lo, v44, v19
	s_delay_alu instid0(VALU_DEP_2)
	v_cmp_eq_u32_e64 s5, 0, v24
	v_cmp_eq_u32_e64 s6, 1, v24
	;; [unrolled: 1-line block ×4, first 2 shown]
	s_and_b32 s5, vcc_lo, s5
	s_wait_alu 0xfffe
	v_cndmask_b32_e64 v24, 0, 1, s5
	s_and_b32 s5, vcc_lo, s6
	s_wait_alu 0xfffe
	v_cndmask_b32_e64 v44, 0, 1, s5
	;; [unrolled: 3-line block ×3, first 2 shown]
	s_and_b32 s5, vcc_lo, s8
	v_cmp_ne_u32_e32 vcc_lo, 0, v24
	s_wait_alu 0xfffe
	v_cndmask_b32_e64 v46, 0, 1, s5
	v_cmp_ne_u32_e64 s5, 0, v44
	v_cmp_ne_u32_e64 s6, 0, v45
	v_mov_b32_e32 v24, v12
	s_bcnt1_i32_b32 s8, vcc_lo
	v_cmp_ne_u32_e64 s7, 0, v46
	s_bcnt1_i32_b32 s5, s5
	s_wait_alu 0xfffe
	v_add_co_u32 v2, vcc_lo, v2, s8
	s_bcnt1_i32_b32 s6, s6
	s_wait_alu 0xfffd
	v_add_co_ci_u32_e64 v3, null, 0, v3, vcc_lo
	v_add_co_u32 v4, vcc_lo, v4, s5
	s_wait_alu 0xfffd
	v_add_co_ci_u32_e64 v5, null, 0, v5, vcc_lo
	s_wait_alu 0xfffe
	v_add_co_u32 v6, vcc_lo, v6, s6
	s_bcnt1_i32_b32 s5, s7
	s_wait_alu 0xfffd
	v_add_co_ci_u32_e64 v7, null, 0, v7, vcc_lo
	s_wait_alu 0xfffe
	v_add_co_u32 v8, vcc_lo, v8, s5
	s_wait_alu 0xfffd
	v_add_co_ci_u32_e64 v9, null, 0, v9, vcc_lo
	v_add_co_u32 v30, vcc_lo, v30, s10
	s_wait_alu 0xfffd
	v_add_co_ci_u32_e64 v31, null, s11, v31, vcc_lo
	s_and_not1_b32 exec_lo, exec_lo, s12
	s_cbranch_execz .LBB52_56
.LBB52_54:                              ;   Parent Loop BB52_7 Depth=1
                                        ; =>  This Inner Loop Header: Depth=2
	v_add_co_u32 v28, vcc_lo, v28, s60
	s_wait_alu 0xfffd
	v_add_co_ci_u32_e64 v29, null, 0, v29, vcc_lo
	v_mov_b32_e32 v12, 0
	s_mov_b32 s6, exec_lo
	s_delay_alu instid0(VALU_DEP_2)
	v_cmp_le_i64_e32 vcc_lo, s[36:37], v[28:29]
	v_cmpx_gt_i64_e64 s[36:37], v[28:29]
	s_cbranch_execz .LBB52_53
; %bb.55:                               ;   in Loop: Header=BB52_54 Depth=2
	global_load_b32 v12, v[30:31], off
	s_branch .LBB52_53
.LBB52_56:                              ;   in Loop: Header=BB52_7 Depth=1
	s_or_b32 exec_lo, exec_lo, s12
.LBB52_57:                              ;   in Loop: Header=BB52_7 Depth=1
	s_wait_alu 0xfffe
	s_or_b32 exec_lo, exec_lo, s9
	s_branch .LBB52_36
.LBB52_58:                              ;   in Loop: Header=BB52_7 Depth=1
	global_load_u16 v2, v13, s[38:39]
	v_mov_b32_e32 v4, 0
	v_mov_b32_e32 v6, 0
	v_dual_mov_b32 v8, 0 :: v_dual_mov_b32 v7, 0
	v_mov_b32_e32 v9, 0
	s_mov_b32 s70, exec_lo
	v_mov_b32_e32 v5, 0
	s_wait_loadcnt 0x0
	v_readfirstlane_b32 s5, v2
	v_and_b32_e32 v12, 0xffff, v2
	s_and_b32 s68, 0xffff, s5
	s_wait_alu 0xfffe
	s_lshl_b32 s59, s68, 2
	s_wait_alu 0xfffe
	s_cvt_f32_u32 s5, s59
	s_sub_co_i32 s6, 0, s59
	s_wait_alu 0xfffe
	s_delay_alu instid0(SALU_CYCLE_1) | instskip(NEXT) | instid1(TRANS32_DEP_1)
	v_rcp_iflag_f32_e32 v3, s5
	v_readfirstlane_b32 s5, v3
	s_mul_f32 s5, s5, 0x4f7ffffe
	s_wait_alu 0xfffe
	s_delay_alu instid0(SALU_CYCLE_2) | instskip(SKIP_1) | instid1(SALU_CYCLE_2)
	s_cvt_u32_f32 s5, s5
	s_wait_alu 0xfffe
	s_mul_i32 s6, s6, s5
	s_wait_alu 0xfffe
	s_mul_hi_u32 s6, s5, s6
	s_wait_alu 0xfffe
	s_add_co_i32 s5, s5, s6
	s_wait_alu 0xfffe
	s_mul_hi_u32 s5, s58, s5
	s_wait_alu 0xfffe
	s_mul_i32 s6, s5, s59
	s_add_co_i32 s7, s5, 1
	s_wait_alu 0xfffe
	s_sub_co_i32 s6, s58, s6
	s_wait_alu 0xfffe
	s_sub_co_i32 s8, s6, s59
	s_cmp_ge_u32 s6, s59
	s_cselect_b32 s5, s7, s5
	s_wait_alu 0xfffe
	s_cselect_b32 s6, s8, s6
	s_add_co_i32 s7, s5, 1
	s_wait_alu 0xfffe
	s_cmp_ge_u32 s6, s59
	s_cselect_b32 s69, s7, s5
	s_wait_alu 0xfffe
	v_mul_hi_u32 v3, s69, v12
	v_mul_lo_u32 v2, s69, v12
	s_delay_alu instid0(VALU_DEP_1) | instskip(SKIP_2) | instid1(VALU_DEP_3)
	v_lshlrev_b64_e32 v[28:29], 2, v[2:3]
	v_mov_b32_e32 v2, 0
	v_mov_b32_e32 v3, 0
	v_cmpx_gt_u64_e64 v[28:29], v[14:15]
	s_cbranch_execz .LBB52_62
; %bb.59:                               ;   in Loop: Header=BB52_7 Depth=1
	v_dual_mov_b32 v24, v35 :: v_dual_mov_b32 v31, v15
	v_mov_b32_e32 v30, v14
	s_lshl_b32 s71, s68, 4
	s_mov_b64 s[60:61], 0
	s_mov_b32 s72, 0
	s_mov_b64 s[62:63], 0
	s_mov_b64 s[64:65], 0
	;; [unrolled: 1-line block ×3, first 2 shown]
.LBB52_60:                              ;   Parent Loop BB52_7 Depth=1
                                        ; =>  This Inner Loop Header: Depth=2
	ds_load_b128 v[2:5], v24
	v_add_co_u32 v30, vcc_lo, v30, s59
	s_wait_alu 0xfffd
	v_add_co_ci_u32_e64 v31, null, 0, v31, vcc_lo
	s_delay_alu instid0(VALU_DEP_1)
	v_cmp_ge_u64_e32 vcc_lo, v[30:31], v[28:29]
	s_wait_dscnt 0x0
	v_cmp_lt_i32_e64 s5, -1, v2
	v_cmp_o_f32_e64 s8, v2, v2
	v_cmp_o_f32_e64 s6, v4, v4
	;; [unrolled: 1-line block ×3, first 2 shown]
	s_wait_alu 0xf1ff
	v_cndmask_b32_e64 v6, -1, 0x80000000, s5
	v_cmp_lt_i32_e64 s5, -1, v3
	s_delay_alu instid0(VALU_DEP_2) | instskip(SKIP_1) | instid1(VALU_DEP_2)
	v_xor_b32_e32 v6, v6, v2
	s_wait_alu 0xf1ff
	v_cndmask_b32_e64 v7, -1, 0x80000000, s5
	v_cmp_lt_i32_e64 s5, -1, v4
	s_delay_alu instid0(VALU_DEP_3) | instskip(NEXT) | instid1(VALU_DEP_3)
	v_cndmask_b32_e64 v2, -1, v6, s8
	v_xor_b32_e32 v7, v7, v3
	s_wait_alu 0xf1ff
	s_delay_alu instid0(VALU_DEP_3) | instskip(SKIP_4) | instid1(VALU_DEP_3)
	v_cndmask_b32_e64 v8, -1, 0x80000000, s5
	v_cmp_lt_i32_e64 s5, -1, v5
	v_and_b32_e32 v6, v2, v43
	v_bfe_u32 v2, v2, s87, 2
	s_wait_alu 0xf1ff
	v_cndmask_b32_e64 v9, -1, 0x80000000, s5
	v_cmp_o_f32_e64 s5, v3, v3
	v_xor_b32_e32 v3, v8, v4
	v_cmp_eq_u32_e64 s9, 0, v2
	v_cmp_eq_u32_e64 s13, 1, v2
	v_xor_b32_e32 v4, v9, v5
	s_wait_alu 0xf1ff
	v_cndmask_b32_e64 v5, -1, v7, s5
	v_cndmask_b32_e64 v3, -1, v3, s6
	v_cmp_eq_u32_e64 s5, v6, v19
	v_cmp_eq_u32_e64 s17, 2, v2
	v_cndmask_b32_e64 v4, -1, v4, s7
	v_and_b32_e32 v7, v5, v43
	v_bfe_u32 v5, v5, s87, 2
	v_and_b32_e32 v8, v3, v43
	v_bfe_u32 v3, v3, s87, 2
	;; [unrolled: 2-line block ×3, first 2 shown]
	v_cmp_eq_u32_e64 s6, v7, v19
	v_cmp_eq_u32_e64 s10, 0, v5
	;; [unrolled: 1-line block ×4, first 2 shown]
	s_and_b32 s9, s5, s9
	v_cmp_eq_u32_e64 s8, v9, v19
	v_cmp_eq_u32_e64 s12, 0, v4
	;; [unrolled: 1-line block ×3, first 2 shown]
	s_wait_alu 0xfffe
	v_cndmask_b32_e64 v2, 0, 1, s9
	s_and_b32 s9, s6, s10
	v_cmp_eq_u32_e64 s15, 1, v3
	v_cmp_eq_u32_e64 s19, 2, v3
	;; [unrolled: 1-line block ×3, first 2 shown]
	s_wait_alu 0xfffe
	v_cndmask_b32_e64 v3, 0, 1, s9
	s_and_b32 s9, s7, s11
	v_cmp_eq_u32_e64 s14, 1, v5
	v_cmp_eq_u32_e64 s16, 1, v4
	;; [unrolled: 1-line block ×4, first 2 shown]
	s_wait_alu 0xfffe
	v_cndmask_b32_e64 v4, 0, 1, s9
	s_and_b32 s9, s8, s12
	v_cmp_eq_u32_e64 s18, 2, v5
	v_cmp_eq_u32_e64 s22, 3, v5
	s_wait_alu 0xfffe
	v_cndmask_b32_e64 v5, 0, 1, s9
	s_and_b32 s9, s5, s13
	s_wait_alu 0xfffe
	v_cndmask_b32_e64 v6, 0, 1, s9
	s_and_b32 s9, s6, s14
	;; [unrolled: 3-line block ×4, first 2 shown]
	v_cmp_ne_u32_e64 s10, 0, v7
	s_wait_alu 0xfffe
	v_cndmask_b32_e64 v9, 0, 1, s9
	s_and_b32 s9, s5, s17
	s_and_b32 s5, s5, s21
	s_wait_alu 0xfffe
	v_cndmask_b32_e64 v44, 0, 1, s9
	v_cndmask_b32_e64 v48, 0, 1, s5
	s_and_b32 s5, s6, s22
	s_and_b32 s9, s6, s18
	s_wait_alu 0xfffe
	v_cndmask_b32_e64 v49, 0, 1, s5
	s_and_b32 s5, s7, s23
	v_cndmask_b32_e64 v45, 0, 1, s9
	s_and_b32 s9, s7, s19
	s_wait_alu 0xfffe
	v_cndmask_b32_e64 v50, 0, 1, s5
	s_and_b32 s5, s8, s24
	v_cndmask_b32_e64 v46, 0, 1, s9
	s_and_b32 s9, s8, s20
	s_wait_alu 0xfffe
	v_cndmask_b32_e64 v51, 0, 1, s5
	v_cmp_ne_u32_e64 s5, 0, v2
	v_cmp_ne_u32_e64 s6, 0, v3
	v_cndmask_b32_e64 v47, 0, 1, s9
	v_cmp_ne_u32_e64 s7, 0, v4
	v_cmp_ne_u32_e64 s9, 0, v6
	;; [unrolled: 1-line block ×6, first 2 shown]
	s_bcnt1_i32_b32 s5, s5
	s_bcnt1_i32_b32 s6, s6
	v_cmp_ne_u32_e64 s12, 0, v9
	v_cmp_ne_u32_e64 s15, 0, v46
	;; [unrolled: 1-line block ×4, first 2 shown]
	s_bcnt1_i32_b32 s7, s7
	s_bcnt1_i32_b32 s9, s9
	;; [unrolled: 1-line block ×3, first 2 shown]
	s_wait_alu 0xfffe
	s_add_co_i32 s5, s6, s5
	v_cmp_ne_u32_e64 s16, 0, v47
	v_cmp_ne_u32_e64 s19, 0, v50
	s_bcnt1_i32_b32 s8, s8
	s_bcnt1_i32_b32 s11, s11
	;; [unrolled: 1-line block ×4, first 2 shown]
	s_add_co_i32 s6, s10, s9
	s_wait_alu 0xfffe
	s_add_co_i32 s5, s5, s7
	v_cmp_ne_u32_e64 s20, 0, v51
	s_bcnt1_i32_b32 s12, s12
	s_bcnt1_i32_b32 s15, s15
	;; [unrolled: 1-line block ×4, first 2 shown]
	s_add_co_i32 s9, s14, s13
	s_add_co_i32 s6, s6, s11
	s_wait_alu 0xfffe
	s_add_co_i32 s24, s5, s8
	s_bcnt1_i32_b32 s16, s16
	s_bcnt1_i32_b32 s19, s19
	s_add_co_i32 s10, s18, s17
	s_add_co_i32 s7, s9, s15
	s_wait_alu 0xfffe
	s_add_nc_u64 s[66:67], s[66:67], s[24:25]
	s_add_co_i32 s24, s6, s12
	s_bcnt1_i32_b32 s20, s20
	s_add_co_i32 s9, s10, s19
	s_wait_alu 0xfffe
	s_add_nc_u64 s[64:65], s[64:65], s[24:25]
	s_add_co_i32 s24, s7, s16
	v_mov_b32_e32 v2, s66
	s_wait_alu 0xfffe
	s_add_nc_u64 s[62:63], s[62:63], s[24:25]
	s_add_co_i32 s24, s9, s20
	v_mov_b32_e32 v4, s64
	s_wait_alu 0xfffe
	s_add_nc_u64 s[60:61], s[60:61], s[24:25]
	v_mov_b32_e32 v6, s62
	s_wait_alu 0xfffe
	v_mov_b32_e32 v8, s60
	v_dual_mov_b32 v3, s67 :: v_dual_add_nc_u32 v24, s71, v24
	v_mov_b32_e32 v5, s65
	v_mov_b32_e32 v7, s63
	;; [unrolled: 1-line block ×3, first 2 shown]
	s_or_b32 s72, vcc_lo, s72
	s_wait_alu 0xfffe
	s_and_not1_b32 exec_lo, exec_lo, s72
	s_cbranch_execnz .LBB52_60
; %bb.61:                               ;   in Loop: Header=BB52_7 Depth=1
	s_or_b32 exec_lo, exec_lo, s72
.LBB52_62:                              ;   in Loop: Header=BB52_7 Depth=1
	s_delay_alu instid0(SALU_CYCLE_1)
	s_or_b32 exec_lo, exec_lo, s70
	v_add_co_u32 v28, vcc_lo, v28, v0
	s_wait_alu 0xfffd
	v_add_co_ci_u32_e64 v29, null, 0, v29, vcc_lo
	s_and_b32 s24, s58, 0x7fffffff
	s_mov_b32 s10, exec_lo
	s_wait_alu 0xfffe
	v_cmpx_gt_u64_e64 s[24:25], v[28:29]
	s_cbranch_execz .LBB52_66
; %bb.63:                               ;   in Loop: Header=BB52_7 Depth=1
	s_mul_i32 s69, s69, s68
	s_mov_b32 s11, 0
	s_wait_alu 0xfffe
	v_lshl_add_u32 v24, s69, 4, v14
.LBB52_64:                              ;   Parent Loop BB52_7 Depth=1
                                        ; =>  This Inner Loop Header: Depth=2
	ds_load_b32 v30, v24
	v_add_co_u32 v28, vcc_lo, v28, v12
	s_wait_alu 0xfffd
	v_add_co_ci_u32_e64 v29, null, 0, v29, vcc_lo
	v_add_nc_u32_e32 v24, s59, v24
	s_delay_alu instid0(VALU_DEP_2) | instskip(SKIP_3) | instid1(VALU_DEP_1)
	v_cmp_le_u64_e32 vcc_lo, s[24:25], v[28:29]
	s_wait_dscnt 0x0
	v_cmp_lt_i32_e64 s5, -1, v30
	s_wait_alu 0xf1ff
	v_cndmask_b32_e64 v31, -1, 0x80000000, s5
	v_cmp_o_f32_e64 s5, v30, v30
	s_delay_alu instid0(VALU_DEP_2) | instskip(SKIP_1) | instid1(VALU_DEP_1)
	v_xor_b32_e32 v31, v31, v30
	s_wait_alu 0xf1ff
	v_cndmask_b32_e64 v30, -1, v31, s5
	s_delay_alu instid0(VALU_DEP_1) | instskip(SKIP_1) | instid1(VALU_DEP_2)
	v_and_b32_e32 v31, v30, v43
	v_bfe_u32 v30, v30, s87, 2
	v_cmp_eq_u32_e64 s5, v31, v19
	s_delay_alu instid0(VALU_DEP_2)
	v_cmp_eq_u32_e64 s6, 0, v30
	v_cmp_eq_u32_e64 s7, 1, v30
	;; [unrolled: 1-line block ×4, first 2 shown]
	s_and_b32 s6, s5, s6
	s_wait_alu 0xfffe
	v_cndmask_b32_e64 v30, 0, 1, s6
	s_and_b32 s6, s5, s7
	s_wait_alu 0xfffe
	v_cndmask_b32_e64 v31, 0, 1, s6
	s_and_b32 s6, s5, s8
	s_and_b32 s5, s5, s9
	s_wait_alu 0xfffe
	v_cndmask_b32_e64 v44, 0, 1, s6
	v_cndmask_b32_e64 v45, 0, 1, s5
	v_cmp_ne_u32_e64 s5, 0, v30
	v_cmp_ne_u32_e64 s6, 0, v31
	s_delay_alu instid0(VALU_DEP_4) | instskip(NEXT) | instid1(VALU_DEP_4)
	v_cmp_ne_u32_e64 s7, 0, v44
	v_cmp_ne_u32_e64 s8, 0, v45
	s_bcnt1_i32_b32 s5, s5
	s_bcnt1_i32_b32 s6, s6
	s_wait_alu 0xfffe
	v_add_co_u32 v2, s5, v2, s5
	s_bcnt1_i32_b32 s7, s7
	v_add_co_ci_u32_e64 v3, null, 0, v3, s5
	v_add_co_u32 v4, s5, v4, s6
	s_bcnt1_i32_b32 s8, s8
	v_add_co_ci_u32_e64 v5, null, 0, v5, s5
	s_wait_alu 0xfffe
	v_add_co_u32 v6, s5, v6, s7
	s_wait_alu 0xf1ff
	v_add_co_ci_u32_e64 v7, null, 0, v7, s5
	v_add_co_u32 v8, s5, v8, s8
	s_wait_alu 0xf1ff
	v_add_co_ci_u32_e64 v9, null, 0, v9, s5
	s_or_b32 s11, vcc_lo, s11
	s_wait_alu 0xfffe
	s_and_not1_b32 exec_lo, exec_lo, s11
	s_cbranch_execnz .LBB52_64
; %bb.65:                               ;   in Loop: Header=BB52_7 Depth=1
	s_or_b32 exec_lo, exec_lo, s11
.LBB52_66:                              ;   in Loop: Header=BB52_7 Depth=1
	s_wait_alu 0xfffe
	s_or_b32 exec_lo, exec_lo, s10
	s_lshl_b32 s5, s89, 7
	s_and_saveexec_b32 s6, s1
	s_cbranch_execnz .LBB52_37
	s_branch .LBB52_38
.LBB52_67:                              ;   in Loop: Header=BB52_7 Depth=1
                                        ; implicit-def: $sgpr64_sgpr65
	s_branch .LBB52_46
.LBB52_68:                              ;   in Loop: Header=BB52_7 Depth=1
	s_wait_alu 0xfffe
	s_or_b32 exec_lo, exec_lo, s8
	s_wait_loadcnt_dscnt 0x0
	s_barrier_signal -1
	s_barrier_wait -1
	global_inv scope:SCOPE_SE
	s_and_saveexec_b32 s5, s2
	s_cbranch_execz .LBB52_70
; %bb.69:                               ;   in Loop: Header=BB52_7 Depth=1
	ds_load_b32 v2, v13 offset:5136
	s_wait_dscnt 0x0
	v_ashrrev_i32_e32 v3, 31, v2
	ds_store_b64 v13, v[2:3] offset:5120
.LBB52_70:                              ;   in Loop: Header=BB52_7 Depth=1
	s_wait_alu 0xfffe
	s_or_b32 exec_lo, exec_lo, s5
	s_wait_loadcnt_dscnt 0x0
	s_barrier_signal -1
	s_mov_b32 s5, -1
	s_barrier_wait -1
	s_and_b32 vcc_lo, exec_lo, s7
	s_wait_alu 0xfffe
	s_cbranch_vccnz .LBB52_23
	s_branch .LBB52_32
.LBB52_71:                              ;   in Loop: Header=BB52_7 Depth=1
	s_mov_b32 s7, 0
	s_and_not1_b32 vcc_lo, exec_lo, s85
	s_wait_alu 0xfffe
	s_cbranch_vccnz .LBB52_74
.LBB52_72:                              ;   in Loop: Header=BB52_7 Depth=1
	s_lshl_b32 s8, s89, 10
	s_lshl_b32 s7, s7, 5
	s_wait_alu 0xfffe
	v_add3_u32 v4, s8, s7, v41
	s_mov_b32 s7, s82
.LBB52_73:                              ;   Parent Loop BB52_7 Depth=1
                                        ; =>  This Inner Loop Header: Depth=2
	ds_load_b64 v[5:6], v4
	v_add_nc_u32_e32 v4, 32, v4
	s_wait_alu 0xfffe
	s_add_co_i32 s7, s7, -1
	s_wait_alu 0xfffe
	s_cmp_lg_u32 s7, 0
	s_wait_dscnt 0x0
	v_add_co_u32 v2, vcc_lo, v5, v2
	s_wait_alu 0xfffd
	v_add_co_ci_u32_e64 v3, null, v6, v3, vcc_lo
	s_cbranch_scc1 .LBB52_73
.LBB52_74:                              ;   in Loop: Header=BB52_7 Depth=1
	v_add_lshl_u32 v4, s5, v32, 3
	ds_store_b64 v4, v[2:3] offset:3072
.LBB52_75:                              ;   in Loop: Header=BB52_7 Depth=1
	s_wait_alu 0xfffe
	s_or_b32 exec_lo, exec_lo, s6
	s_lshl_b32 s5, s5, 3
	s_wait_loadcnt_dscnt 0x0
	s_wait_alu 0xfffe
	v_mov_b32_e32 v6, s5
	s_barrier_signal -1
	s_barrier_wait -1
	global_inv scope:SCOPE_SE
	v_cmp_eq_u64_e32 vcc_lo, 1, v[26:27]
	ds_load_b128 v[2:5], v6 offset:3072
	ds_load_b128 v[6:9], v6 offset:3088
	s_lshl_b32 s16, 3, s87
	s_mov_b32 s18, -1
	s_wait_alu 0xfffe
	s_not_b32 s20, s16
                                        ; implicit-def: $sgpr15
                                        ; implicit-def: $sgpr14
	s_wait_dscnt 0x1
	v_cmp_eq_u64_e64 s5, 1, v[2:3]
	s_wait_dscnt 0x0
	v_readfirstlane_b32 s8, v6
	v_readfirstlane_b32 s9, v7
	;; [unrolled: 1-line block ×4, first 2 shown]
	s_and_b32 s19, s5, vcc_lo
	s_mov_b32 s5, -1
	s_and_saveexec_b32 s17, s19
	s_cbranch_execz .LBB52_109
; %bb.76:                               ;   in Loop: Header=BB52_7 Depth=1
	ds_load_b64 v[6:7], v13 offset:5120
	s_wait_loadcnt_dscnt 0x0
	s_barrier_signal -1
	s_barrier_wait -1
	global_inv scope:SCOPE_SE
	v_readfirstlane_b32 s10, v6
	v_readfirstlane_b32 s11, v7
	s_and_saveexec_b32 s5, s3
; %bb.77:                               ;   in Loop: Header=BB52_7 Depth=1
	ds_store_b32 v33, v13
; %bb.78:                               ;   in Loop: Header=BB52_7 Depth=1
	s_wait_alu 0xfffe
	s_or_b32 exec_lo, exec_lo, s5
	v_cmp_lt_i64_e64 s5, s[10:11], 1
	v_and_b32_e32 v19, s20, v19
	v_or_b32_e32 v43, s16, v43
	s_mov_b32 s14, -1
	s_mov_b32 s15, 0
	s_mov_b32 s21, -1
	s_and_b32 vcc_lo, exec_lo, s5
	s_mov_b32 s5, 0
	s_wait_loadcnt_dscnt 0x0
	s_barrier_signal -1
	s_barrier_wait -1
	global_inv scope:SCOPE_SE
                                        ; implicit-def: $vgpr25
	s_wait_alu 0xfffe
	s_cbranch_vccz .LBB52_93
; %bb.79:                               ;   in Loop: Header=BB52_7 Depth=1
	s_mov_b32 s12, s25
	s_mov_b32 s13, s53
	s_wait_alu 0xfffe
	s_cmp_lg_u64 s[12:13], 0
	s_cbranch_scc0 .LBB52_136
; %bb.80:                               ;   in Loop: Header=BB52_7 Depth=1
	s_add_nc_u64 s[12:13], s[44:45], 0
	s_wait_alu 0xfffe
	s_xor_b64 s[12:13], s[12:13], 0
	s_wait_alu 0xfffe
	s_cvt_f32_u32 s5, s12
	s_cvt_f32_u32 s21, s13
	s_sub_nc_u64 s[58:59], 0, s[12:13]
	s_wait_alu 0xfffe
	s_delay_alu instid0(SALU_CYCLE_1) | instskip(SKIP_1) | instid1(SALU_CYCLE_2)
	s_fmamk_f32 s5, s21, 0x4f800000, s5
	s_wait_alu 0xfffe
	v_s_rcp_f32 s5, s5
	s_delay_alu instid0(TRANS32_DEP_1) | instskip(SKIP_1) | instid1(SALU_CYCLE_2)
	s_mul_f32 s5, s5, 0x5f7ffffc
	s_wait_alu 0xfffe
	s_mul_f32 s21, s5, 0x2f800000
	s_wait_alu 0xfffe
	s_delay_alu instid0(SALU_CYCLE_2) | instskip(SKIP_1) | instid1(SALU_CYCLE_2)
	s_trunc_f32 s21, s21
	s_wait_alu 0xfffe
	s_fmamk_f32 s5, s21, 0xcf800000, s5
	s_cvt_u32_f32 s23, s21
	s_wait_alu 0xfffe
	s_delay_alu instid0(SALU_CYCLE_1) | instskip(NEXT) | instid1(SALU_CYCLE_3)
	s_cvt_u32_f32 s22, s5
	s_mul_u64 s[60:61], s[58:59], s[22:23]
	s_wait_alu 0xfffe
	s_mul_hi_u32 s63, s22, s61
	s_mul_i32 s62, s22, s61
	s_mul_hi_u32 s24, s22, s60
	s_mul_i32 s21, s23, s60
	s_wait_alu 0xfffe
	s_add_nc_u64 s[62:63], s[24:25], s[62:63]
	s_mul_hi_u32 s5, s23, s60
	s_mul_hi_u32 s64, s23, s61
	s_wait_alu 0xfffe
	s_add_co_u32 s21, s62, s21
	s_add_co_ci_u32 s24, s63, s5
	s_mul_i32 s60, s23, s61
	s_add_co_ci_u32 s61, s64, 0
	s_wait_alu 0xfffe
	s_add_nc_u64 s[60:61], s[24:25], s[60:61]
	s_wait_alu 0xfffe
	s_add_co_u32 s22, s22, s60
	s_cselect_b32 s5, -1, 0
	s_wait_alu 0xfffe
	s_cmp_lg_u32 s5, 0
	s_add_co_ci_u32 s23, s23, s61
	s_delay_alu instid0(SALU_CYCLE_1)
	s_mul_u64 s[58:59], s[58:59], s[22:23]
	s_wait_alu 0xfffe
	s_mul_hi_u32 s61, s22, s59
	s_mul_i32 s60, s22, s59
	s_mul_hi_u32 s24, s22, s58
	s_mul_i32 s21, s23, s58
	s_wait_alu 0xfffe
	s_add_nc_u64 s[60:61], s[24:25], s[60:61]
	s_mul_hi_u32 s5, s23, s58
	s_mul_hi_u32 s62, s23, s59
	s_wait_alu 0xfffe
	s_add_co_u32 s21, s60, s21
	s_add_co_ci_u32 s24, s61, s5
	s_mul_i32 s58, s23, s59
	s_add_co_ci_u32 s59, s62, 0
	s_wait_alu 0xfffe
	s_add_nc_u64 s[58:59], s[24:25], s[58:59]
	s_wait_alu 0xfffe
	s_add_co_u32 s5, s22, s58
	s_cselect_b32 s21, -1, 0
	s_wait_alu 0xfffe
	s_cmp_lg_u32 s21, 0
	s_add_co_ci_u32 s21, s23, s59
	s_ashr_i32 s22, s53, 31
	s_delay_alu instid0(SALU_CYCLE_1) | instskip(NEXT) | instid1(SALU_CYCLE_1)
	s_mov_b32 s23, s22
	s_add_nc_u64 s[58:59], s[52:53], s[22:23]
	s_wait_alu 0xfffe
	s_xor_b64 s[58:59], s[58:59], s[22:23]
	s_wait_alu 0xfffe
	s_mul_hi_u32 s61, s58, s21
	s_mul_i32 s60, s58, s21
	s_mul_hi_u32 s24, s58, s5
	s_mul_hi_u32 s64, s59, s5
	s_mul_i32 s5, s59, s5
	s_wait_alu 0xfffe
	s_add_nc_u64 s[60:61], s[24:25], s[60:61]
	s_mul_hi_u32 s63, s59, s21
	s_wait_alu 0xfffe
	s_add_co_u32 s5, s60, s5
	s_add_co_ci_u32 s24, s61, s64
	s_mul_i32 s62, s59, s21
	s_add_co_ci_u32 s63, s63, 0
	s_wait_alu 0xfffe
	s_add_nc_u64 s[60:61], s[24:25], s[62:63]
	s_wait_alu 0xfffe
	s_mul_u64 s[60:61], s[12:13], s[60:61]
	s_wait_alu 0xfffe
	s_sub_co_u32 s5, s58, s60
	s_cselect_b32 s21, -1, 0
	s_sub_co_i32 s24, s59, s61
	s_wait_alu 0xfffe
	s_cmp_lg_u32 s21, 0
	s_sub_co_ci_u32 s24, s24, s13
	s_sub_co_u32 s58, s5, s12
	s_cselect_b32 s60, -1, 0
	s_wait_alu 0xfffe
	s_cmp_lg_u32 s60, 0
	s_sub_co_ci_u32 s62, s24, 0
	s_wait_alu 0xfffe
	s_cmp_ge_u32 s62, s13
	s_cselect_b32 s63, -1, 0
	s_cmp_ge_u32 s58, s12
	s_cselect_b32 s64, -1, 0
	s_cmp_eq_u32 s62, s13
	s_wait_alu 0xfffe
	s_cselect_b32 s63, s64, s63
	s_cmp_lg_u32 s60, 0
	s_sub_co_ci_u32 s24, s24, s13
	s_sub_co_u32 s60, s58, s12
	s_cselect_b32 s64, -1, 0
	s_wait_alu 0xfffe
	s_cmp_lg_u32 s64, 0
	s_sub_co_ci_u32 s24, s24, 0
	s_cmp_lg_u32 s63, 0
	s_cselect_b32 s58, s60, s58
	s_wait_alu 0xfffe
	s_cselect_b32 s24, s24, s62
	s_cmp_lg_u32 s21, 0
	s_sub_co_ci_u32 s21, s59, s61
	s_wait_alu 0xfffe
	s_cmp_ge_u32 s21, s13
	s_cselect_b32 s59, -1, 0
	s_cmp_ge_u32 s5, s12
	s_cselect_b32 s12, -1, 0
	s_cmp_eq_u32 s21, s13
	s_wait_alu 0xfffe
	s_cselect_b32 s12, s12, s59
	s_wait_alu 0xfffe
	s_cmp_lg_u32 s12, 0
	s_cselect_b32 s13, s24, s21
	s_cselect_b32 s12, s58, s5
	s_wait_alu 0xfffe
	s_xor_b64 s[12:13], s[12:13], s[22:23]
	s_wait_alu 0xfffe
	s_sub_nc_u64 s[12:13], s[12:13], s[22:23]
	s_cbranch_execnz .LBB52_82
.LBB52_81:                              ;   in Loop: Header=BB52_7 Depth=1
	v_cvt_f32_u32_e32 v6, s44
	s_sub_co_i32 s12, 0, s44
	s_delay_alu instid0(VALU_DEP_1) | instskip(NEXT) | instid1(TRANS32_DEP_1)
	v_rcp_iflag_f32_e32 v6, v6
	v_mul_f32_e32 v6, 0x4f7ffffe, v6
	s_delay_alu instid0(VALU_DEP_1) | instskip(NEXT) | instid1(VALU_DEP_1)
	v_cvt_u32_f32_e32 v6, v6
	v_readfirstlane_b32 s5, v6
	s_wait_alu 0xfffe
	s_mul_i32 s12, s12, s5
	s_wait_alu 0xfffe
	s_mul_hi_u32 s12, s5, s12
	s_wait_alu 0xfffe
	s_add_co_i32 s5, s5, s12
	s_wait_alu 0xfffe
	s_mul_hi_u32 s5, s52, s5
	s_wait_alu 0xfffe
	s_mul_i32 s5, s5, s44
	s_wait_alu 0xfffe
	s_sub_co_i32 s5, s52, s5
	s_wait_alu 0xfffe
	s_sub_co_i32 s12, s5, s44
	s_cmp_ge_u32 s5, s44
	s_wait_alu 0xfffe
	s_cselect_b32 s5, s12, s5
	s_wait_alu 0xfffe
	s_sub_co_i32 s12, s5, s44
	s_cmp_ge_u32 s5, s44
	s_wait_alu 0xfffe
	s_cselect_b32 s24, s12, s5
	s_wait_alu 0xfffe
	s_mov_b64 s[12:13], s[24:25]
.LBB52_82:                              ;   in Loop: Header=BB52_7 Depth=1
	s_wait_alu 0xfffe
	s_sub_nc_u64 s[12:13], s[52:53], s[12:13]
	s_mov_b32 s21, 0
	s_mov_b32 s5, 0
	s_mov_b32 s22, exec_lo
                                        ; implicit-def: $vgpr25
	s_wait_alu 0xfffe
	v_cmpx_gt_i64_e64 s[12:13], v[0:1]
	s_cbranch_execz .LBB52_92
; %bb.83:                               ;   in Loop: Header=BB52_7 Depth=1
	v_dual_mov_b32 v6, v10 :: v_dual_mov_b32 v7, v11
	v_dual_mov_b32 v9, v1 :: v_dual_mov_b32 v8, v0
	s_mov_b32 s23, 0
                                        ; implicit-def: $sgpr24
	s_branch .LBB52_87
.LBB52_84:                              ;   in Loop: Header=BB52_87 Depth=2
	s_wait_alu 0xfffe
	s_or_b32 exec_lo, exec_lo, s5
	s_wait_loadcnt_dscnt 0x0
	s_barrier_signal -1
	s_barrier_wait -1
	global_inv scope:SCOPE_SE
	ds_load_b64 v[24:25], v13 offset:3072
	s_wait_loadcnt_dscnt 0x0
	s_barrier_signal -1
	s_barrier_wait -1
	global_inv scope:SCOPE_SE
	v_cmp_neq_f32_e32 vcc_lo, 0, v24
	s_cbranch_vccnz .LBB52_90
; %bb.85:                               ;   in Loop: Header=BB52_87 Depth=2
	v_add_co_u32 v8, vcc_lo, v8, s44
	s_wait_alu 0xfffd
	v_add_co_ci_u32_e64 v9, null, 0, v9, vcc_lo
	v_add_co_u32 v6, s5, v6, s46
	s_wait_alu 0xf1ff
	v_add_co_ci_u32_e64 v7, null, s47, v7, s5
	s_delay_alu instid0(VALU_DEP_3)
	v_cmp_le_i64_e32 vcc_lo, s[12:13], v[8:9]
	s_mov_b32 s5, 0
	s_or_not1_b32 s58, vcc_lo, exec_lo
.LBB52_86:                              ;   in Loop: Header=BB52_87 Depth=2
	s_wait_alu 0xfffe
	s_and_b32 s58, exec_lo, s58
	s_wait_alu 0xfffe
	s_or_b32 s23, s58, s23
	s_and_not1_b32 s24, s24, exec_lo
	s_and_b32 s5, s5, exec_lo
	s_wait_alu 0xfffe
	s_or_b32 s24, s24, s5
	s_and_not1_b32 exec_lo, exec_lo, s23
	s_cbranch_execz .LBB52_91
.LBB52_87:                              ;   Parent Loop BB52_7 Depth=1
                                        ; =>  This Inner Loop Header: Depth=2
	s_mov_b32 s5, exec_lo
	s_delay_alu instid0(VALU_DEP_1)
	v_cmpx_gt_i64_e64 s[36:37], v[8:9]
	s_cbranch_execz .LBB52_84
; %bb.88:                               ;   in Loop: Header=BB52_87 Depth=2
	global_load_b32 v24, v[6:7], off
	s_wait_loadcnt 0x0
	v_cmp_lt_i32_e32 vcc_lo, -1, v24
	s_wait_alu 0xfffd
	v_cndmask_b32_e64 v12, -1, 0x80000000, vcc_lo
	v_cmp_o_f32_e32 vcc_lo, v24, v24
	s_delay_alu instid0(VALU_DEP_2) | instskip(SKIP_1) | instid1(VALU_DEP_1)
	v_xor_b32_e32 v12, v12, v24
	s_wait_alu 0xfffd
	v_cndmask_b32_e32 v12, -1, v12, vcc_lo
	s_delay_alu instid0(VALU_DEP_1) | instskip(NEXT) | instid1(VALU_DEP_1)
	v_and_b32_e32 v12, v12, v43
	v_cmp_eq_u32_e32 vcc_lo, v12, v19
	s_and_b32 exec_lo, exec_lo, vcc_lo
	s_cbranch_execz .LBB52_84
; %bb.89:                               ;   in Loop: Header=BB52_87 Depth=2
	ds_store_b64 v13, v[23:24] offset:3072
	s_branch .LBB52_84
.LBB52_90:                              ;   in Loop: Header=BB52_87 Depth=2
	s_mov_b32 s58, -1
	s_mov_b32 s5, -1
                                        ; implicit-def: $vgpr8_vgpr9
                                        ; implicit-def: $vgpr6_vgpr7
	s_branch .LBB52_86
.LBB52_91:                              ;   in Loop: Header=BB52_7 Depth=1
	s_or_b32 exec_lo, exec_lo, s23
	s_wait_alu 0xfffe
	s_and_b32 s5, s24, exec_lo
.LBB52_92:                              ;   in Loop: Header=BB52_7 Depth=1
	s_or_b32 exec_lo, exec_lo, s22
.LBB52_93:                              ;   in Loop: Header=BB52_7 Depth=1
	s_delay_alu instid0(SALU_CYCLE_1)
	s_and_b32 vcc_lo, exec_lo, s21
	s_wait_alu 0xfffe
	s_cbranch_vccz .LBB52_108
; %bb.94:                               ;   in Loop: Header=BB52_7 Depth=1
	s_add_nc_u64 s[12:13], s[10:11], s[50:51]
	s_mov_b32 s14, s25
	s_wait_alu 0xfffe
	s_mov_b32 s15, s13
	s_delay_alu instid0(SALU_CYCLE_1)
	s_cmp_lg_u64 s[14:15], 0
	s_cbranch_scc0 .LBB52_137
; %bb.95:                               ;   in Loop: Header=BB52_7 Depth=1
	s_add_nc_u64 s[14:15], s[44:45], 0
	s_delay_alu instid0(SALU_CYCLE_1) | instskip(NEXT) | instid1(SALU_CYCLE_1)
	s_xor_b64 s[14:15], s[14:15], 0
	s_cvt_f32_u32 s21, s14
	s_cvt_f32_u32 s22, s15
	s_sub_nc_u64 s[58:59], 0, s[14:15]
	s_wait_alu 0xfffe
	s_delay_alu instid0(SALU_CYCLE_1) | instskip(SKIP_1) | instid1(SALU_CYCLE_2)
	s_fmamk_f32 s21, s22, 0x4f800000, s21
	s_wait_alu 0xfffe
	v_s_rcp_f32 s21, s21
	s_delay_alu instid0(TRANS32_DEP_1) | instskip(SKIP_1) | instid1(SALU_CYCLE_2)
	s_mul_f32 s21, s21, 0x5f7ffffc
	s_wait_alu 0xfffe
	s_mul_f32 s22, s21, 0x2f800000
	s_delay_alu instid0(SALU_CYCLE_3) | instskip(NEXT) | instid1(SALU_CYCLE_3)
	s_trunc_f32 s22, s22
	s_fmamk_f32 s21, s22, 0xcf800000, s21
	s_cvt_u32_f32 s23, s22
	s_wait_alu 0xfffe
	s_delay_alu instid0(SALU_CYCLE_1) | instskip(NEXT) | instid1(SALU_CYCLE_3)
	s_cvt_u32_f32 s22, s21
	s_mul_u64 s[60:61], s[58:59], s[22:23]
	s_wait_alu 0xfffe
	s_mul_hi_u32 s63, s22, s61
	s_mul_i32 s62, s22, s61
	s_mul_hi_u32 s24, s22, s60
	s_mul_i32 s64, s23, s60
	s_wait_alu 0xfffe
	s_add_nc_u64 s[62:63], s[24:25], s[62:63]
	s_mul_hi_u32 s21, s23, s60
	s_mul_hi_u32 s65, s23, s61
	s_wait_alu 0xfffe
	s_add_co_u32 s24, s62, s64
	s_add_co_ci_u32 s24, s63, s21
	s_mul_i32 s60, s23, s61
	s_add_co_ci_u32 s61, s65, 0
	s_wait_alu 0xfffe
	s_add_nc_u64 s[60:61], s[24:25], s[60:61]
	s_wait_alu 0xfffe
	s_add_co_u32 s22, s22, s60
	s_cselect_b32 s21, -1, 0
	s_wait_alu 0xfffe
	s_cmp_lg_u32 s21, 0
	s_add_co_ci_u32 s23, s23, s61
	s_delay_alu instid0(SALU_CYCLE_1)
	s_mul_u64 s[58:59], s[58:59], s[22:23]
	s_wait_alu 0xfffe
	s_mul_hi_u32 s61, s22, s59
	s_mul_i32 s60, s22, s59
	s_mul_hi_u32 s24, s22, s58
	s_mul_i32 s62, s23, s58
	s_wait_alu 0xfffe
	s_add_nc_u64 s[60:61], s[24:25], s[60:61]
	s_mul_hi_u32 s21, s23, s58
	s_mul_hi_u32 s63, s23, s59
	s_wait_alu 0xfffe
	s_add_co_u32 s24, s60, s62
	s_add_co_ci_u32 s24, s61, s21
	s_mul_i32 s58, s23, s59
	s_add_co_ci_u32 s59, s63, 0
	s_wait_alu 0xfffe
	s_add_nc_u64 s[58:59], s[24:25], s[58:59]
	s_wait_alu 0xfffe
	s_add_co_u32 s21, s22, s58
	s_cselect_b32 s22, -1, 0
	s_delay_alu instid0(SALU_CYCLE_1) | instskip(SKIP_2) | instid1(SALU_CYCLE_1)
	s_cmp_lg_u32 s22, 0
	s_add_co_ci_u32 s62, s23, s59
	s_ashr_i32 s22, s13, 31
	s_mov_b32 s23, s22
	s_delay_alu instid0(SALU_CYCLE_1)
	s_add_nc_u64 s[58:59], s[12:13], s[22:23]
	s_wait_alu 0xfffe
	s_xor_b64 s[58:59], s[58:59], s[22:23]
	s_wait_alu 0xfffe
	s_mul_hi_u32 s61, s58, s62
	s_mul_i32 s60, s58, s62
	s_mul_hi_u32 s24, s58, s21
	s_mul_hi_u32 s64, s59, s21
	s_mul_i32 s21, s59, s21
	s_wait_alu 0xfffe
	s_add_nc_u64 s[60:61], s[24:25], s[60:61]
	s_mul_hi_u32 s63, s59, s62
	s_wait_alu 0xfffe
	s_add_co_u32 s21, s60, s21
	s_add_co_ci_u32 s24, s61, s64
	s_mul_i32 s62, s59, s62
	s_add_co_ci_u32 s63, s63, 0
	s_wait_alu 0xfffe
	s_add_nc_u64 s[60:61], s[24:25], s[62:63]
	s_wait_alu 0xfffe
	s_mul_u64 s[60:61], s[14:15], s[60:61]
	s_wait_alu 0xfffe
	s_sub_co_u32 s21, s58, s60
	s_cselect_b32 s24, -1, 0
	s_sub_co_i32 s58, s59, s61
	s_wait_alu 0xfffe
	s_cmp_lg_u32 s24, 0
	s_sub_co_ci_u32 s58, s58, s15
	s_sub_co_u32 s60, s21, s14
	s_cselect_b32 s62, -1, 0
	s_wait_alu 0xfffe
	s_cmp_lg_u32 s62, 0
	s_sub_co_ci_u32 s63, s58, 0
	s_wait_alu 0xfffe
	s_cmp_ge_u32 s63, s15
	s_cselect_b32 s64, -1, 0
	s_cmp_ge_u32 s60, s14
	s_cselect_b32 s65, -1, 0
	s_cmp_eq_u32 s63, s15
	s_wait_alu 0xfffe
	s_cselect_b32 s64, s65, s64
	s_cmp_lg_u32 s62, 0
	s_sub_co_ci_u32 s58, s58, s15
	s_sub_co_u32 s62, s60, s14
	s_cselect_b32 s65, -1, 0
	s_wait_alu 0xfffe
	s_cmp_lg_u32 s65, 0
	s_sub_co_ci_u32 s58, s58, 0
	s_cmp_lg_u32 s64, 0
	s_cselect_b32 s60, s62, s60
	s_wait_alu 0xfffe
	s_cselect_b32 s58, s58, s63
	s_cmp_lg_u32 s24, 0
	s_sub_co_ci_u32 s24, s59, s61
	s_wait_alu 0xfffe
	s_cmp_ge_u32 s24, s15
	s_cselect_b32 s59, -1, 0
	s_cmp_ge_u32 s21, s14
	s_cselect_b32 s14, -1, 0
	s_cmp_eq_u32 s24, s15
	s_wait_alu 0xfffe
	s_cselect_b32 s14, s14, s59
	s_delay_alu instid0(SALU_CYCLE_1) | instskip(SKIP_2) | instid1(SALU_CYCLE_1)
	s_cmp_lg_u32 s14, 0
	s_cselect_b32 s15, s58, s24
	s_cselect_b32 s14, s60, s21
	s_xor_b64 s[14:15], s[14:15], s[22:23]
	s_delay_alu instid0(SALU_CYCLE_1)
	s_sub_nc_u64 s[14:15], s[14:15], s[22:23]
	s_cbranch_execnz .LBB52_97
.LBB52_96:                              ;   in Loop: Header=BB52_7 Depth=1
	v_cvt_f32_u32_e32 v6, s44
	s_sub_co_i32 s15, 0, s44
	s_delay_alu instid0(VALU_DEP_1) | instskip(NEXT) | instid1(TRANS32_DEP_1)
	v_rcp_iflag_f32_e32 v6, v6
	v_mul_f32_e32 v6, 0x4f7ffffe, v6
	s_delay_alu instid0(VALU_DEP_1) | instskip(NEXT) | instid1(VALU_DEP_1)
	v_cvt_u32_f32_e32 v6, v6
	v_readfirstlane_b32 s14, v6
	s_mul_i32 s15, s15, s14
	s_delay_alu instid0(SALU_CYCLE_1) | instskip(NEXT) | instid1(SALU_CYCLE_1)
	s_mul_hi_u32 s15, s14, s15
	s_add_co_i32 s14, s14, s15
	s_delay_alu instid0(SALU_CYCLE_1) | instskip(NEXT) | instid1(SALU_CYCLE_1)
	s_mul_hi_u32 s14, s12, s14
	s_mul_i32 s14, s14, s44
	s_delay_alu instid0(SALU_CYCLE_1) | instskip(NEXT) | instid1(SALU_CYCLE_1)
	s_sub_co_i32 s14, s12, s14
	s_sub_co_i32 s15, s14, s44
	s_cmp_ge_u32 s14, s44
	s_cselect_b32 s14, s15, s14
	s_delay_alu instid0(SALU_CYCLE_1)
	s_sub_co_i32 s15, s14, s44
	s_cmp_ge_u32 s14, s44
	s_cselect_b32 s24, s15, s14
	s_wait_alu 0xfffe
	s_mov_b64 s[14:15], s[24:25]
.LBB52_97:                              ;   in Loop: Header=BB52_7 Depth=1
	s_delay_alu instid0(SALU_CYCLE_1)
	s_sub_nc_u64 s[12:13], s[12:13], s[14:15]
	s_mov_b32 s14, exec_lo
                                        ; implicit-def: $vgpr25
	s_wait_alu 0xfffe
	v_cmpx_gt_i64_e64 s[12:13], v[0:1]
	s_cbranch_execz .LBB52_107
; %bb.98:                               ;   in Loop: Header=BB52_7 Depth=1
	v_dual_mov_b32 v8, v14 :: v_dual_mov_b32 v7, v1
	v_mov_b32_e32 v6, v0
	s_mov_b32 s15, 0
                                        ; implicit-def: $sgpr21
	s_branch .LBB52_102
.LBB52_99:                              ;   in Loop: Header=BB52_102 Depth=2
	s_or_b32 exec_lo, exec_lo, s22
	s_wait_loadcnt_dscnt 0x0
	s_barrier_signal -1
	s_barrier_wait -1
	global_inv scope:SCOPE_SE
	ds_load_b64 v[24:25], v13 offset:3072
	s_wait_loadcnt_dscnt 0x0
	s_barrier_signal -1
	s_barrier_wait -1
	global_inv scope:SCOPE_SE
	v_cmp_neq_f32_e32 vcc_lo, 0, v24
	s_cbranch_vccnz .LBB52_105
; %bb.100:                              ;   in Loop: Header=BB52_102 Depth=2
	v_add_co_u32 v6, vcc_lo, v6, s44
	s_wait_alu 0xfffd
	v_add_co_ci_u32_e64 v7, null, 0, v7, vcc_lo
	v_add_nc_u32_e32 v8, s86, v8
	s_mov_b32 s22, 0
	s_delay_alu instid0(VALU_DEP_2)
	v_cmp_le_i64_e32 vcc_lo, s[12:13], v[6:7]
	s_or_not1_b32 s23, vcc_lo, exec_lo
.LBB52_101:                             ;   in Loop: Header=BB52_102 Depth=2
	s_delay_alu instid0(SALU_CYCLE_1) | instskip(NEXT) | instid1(SALU_CYCLE_1)
	s_and_b32 s23, exec_lo, s23
	s_or_b32 s15, s23, s15
	s_wait_alu 0xfffe
	s_and_not1_b32 s21, s21, exec_lo
	s_and_b32 s22, s22, exec_lo
	s_wait_alu 0xfffe
	s_or_b32 s21, s21, s22
	s_and_not1_b32 exec_lo, exec_lo, s15
	s_cbranch_execz .LBB52_106
.LBB52_102:                             ;   Parent Loop BB52_7 Depth=1
                                        ; =>  This Inner Loop Header: Depth=2
	s_mov_b32 s22, exec_lo
	s_delay_alu instid0(VALU_DEP_1)
	v_cmpx_gt_u64_e64 s[10:11], v[6:7]
	s_cbranch_execz .LBB52_99
; %bb.103:                              ;   in Loop: Header=BB52_102 Depth=2
	ds_load_b32 v24, v8
	s_wait_dscnt 0x0
	v_cmp_lt_i32_e32 vcc_lo, -1, v24
	s_wait_alu 0xfffd
	v_cndmask_b32_e64 v9, -1, 0x80000000, vcc_lo
	v_cmp_o_f32_e32 vcc_lo, v24, v24
	s_delay_alu instid0(VALU_DEP_2) | instskip(SKIP_1) | instid1(VALU_DEP_1)
	v_xor_b32_e32 v9, v9, v24
	s_wait_alu 0xfffd
	v_cndmask_b32_e32 v9, -1, v9, vcc_lo
	s_delay_alu instid0(VALU_DEP_1) | instskip(NEXT) | instid1(VALU_DEP_1)
	v_and_b32_e32 v9, v9, v43
	v_cmp_eq_u32_e32 vcc_lo, v9, v19
	s_and_b32 exec_lo, exec_lo, vcc_lo
	s_cbranch_execz .LBB52_99
; %bb.104:                              ;   in Loop: Header=BB52_102 Depth=2
	ds_store_b64 v13, v[23:24] offset:3072
	s_branch .LBB52_99
.LBB52_105:                             ;   in Loop: Header=BB52_102 Depth=2
	s_mov_b32 s23, -1
	s_mov_b32 s22, -1
                                        ; implicit-def: $vgpr6_vgpr7
                                        ; implicit-def: $vgpr8
	s_branch .LBB52_101
.LBB52_106:                             ;   in Loop: Header=BB52_7 Depth=1
	s_or_b32 exec_lo, exec_lo, s15
	s_delay_alu instid0(SALU_CYCLE_1)
	s_and_not1_b32 s5, s5, exec_lo
	s_wait_alu 0xfffe
	s_and_b32 s10, s21, exec_lo
	s_wait_alu 0xfffe
	s_or_b32 s5, s5, s10
.LBB52_107:                             ;   in Loop: Header=BB52_7 Depth=1
	s_or_b32 exec_lo, exec_lo, s14
	s_mov_b32 s14, 0
	s_mov_b32 s15, -1
.LBB52_108:                             ;   in Loop: Header=BB52_7 Depth=1
	s_wait_alu 0xfffe
	s_or_not1_b32 s5, s5, exec_lo
.LBB52_109:                             ;   in Loop: Header=BB52_7 Depth=1
	s_wait_alu 0xfffe
	s_or_b32 exec_lo, exec_lo, s17
	s_delay_alu instid0(SALU_CYCLE_1)
	s_and_not1_b32 s10, s94, exec_lo
	s_and_b32 s11, s15, exec_lo
	s_and_not1_b32 s12, s92, exec_lo
	s_and_b32 s13, s14, exec_lo
	s_and_not1_b32 s91, s91, exec_lo
	s_wait_alu 0xfffe
	s_or_b32 s94, s10, s11
	s_or_b32 s92, s12, s13
                                        ; implicit-def: $vgpr6_vgpr7
	s_and_saveexec_b32 s17, s5
	s_cbranch_execz .LBB52_6
; %bb.110:                              ;   in Loop: Header=BB52_7 Depth=1
	v_mov_b32_e32 v6, 1
	v_dual_mov_b32 v7, 0 :: v_dual_mov_b32 v12, 1
	s_xor_b32 s11, s19, -1
	s_mov_b32 s10, 0
	s_wait_alu 0xfffe
	s_and_saveexec_b32 s5, s11
	s_cbranch_execz .LBB52_119
; %bb.111:                              ;   in Loop: Header=BB52_7 Depth=1
	s_mov_b32 s10, exec_lo
	v_cmpx_le_i64_e64 v[26:27], v[2:3]
	s_wait_alu 0xfffe
	s_xor_b32 s10, exec_lo, s10
	s_cbranch_execz .LBB52_116
; %bb.112:                              ;   in Loop: Header=BB52_7 Depth=1
	ds_load_b64 v[6:7], v13 offset:5120
	v_and_b32_e32 v19, s20, v19
	v_or_b32_e32 v43, s16, v43
	s_wait_dscnt 0x0
	v_cmp_ne_u64_e32 vcc_lo, 0, v[6:7]
	s_cbranch_vccnz .LBB52_116
; %bb.113:                              ;   in Loop: Header=BB52_7 Depth=1
	s_and_saveexec_b32 s11, s2
; %bb.114:                              ;   in Loop: Header=BB52_7 Depth=1
	ds_store_b64 v13, v[2:3] offset:5128
; %bb.115:                              ;   in Loop: Header=BB52_7 Depth=1
	s_wait_alu 0xfffe
	s_or_b32 exec_lo, exec_lo, s11
	s_wait_loadcnt_dscnt 0x0
	s_barrier_signal -1
	s_barrier_wait -1
	global_inv scope:SCOPE_SE
.LBB52_116:                             ;   in Loop: Header=BB52_7 Depth=1
	s_wait_alu 0xfffe
	s_or_saveexec_b32 s10, s10
	v_mov_b32_e32 v12, 8
	s_mov_b32 s11, 0
	s_wait_alu 0xfffe
	s_xor_b32 exec_lo, exec_lo, s10
; %bb.117:                              ;   in Loop: Header=BB52_7 Depth=1
	v_sub_co_u32 v26, vcc_lo, v26, v2
	s_wait_alu 0xfffd
	v_sub_co_ci_u32_e64 v27, null, v27, v3, vcc_lo
	v_mov_b32_e32 v12, 0
	s_mov_b32 s11, exec_lo
; %bb.118:                              ;   in Loop: Header=BB52_7 Depth=1
	s_or_b32 exec_lo, exec_lo, s10
	s_delay_alu instid0(VALU_DEP_2)
	v_dual_mov_b32 v6, v26 :: v_dual_mov_b32 v7, v27
	s_wait_alu 0xfffe
	s_and_b32 s10, s11, exec_lo
.LBB52_119:                             ;   in Loop: Header=BB52_7 Depth=1
	s_wait_alu 0xfffe
	s_or_b32 exec_lo, exec_lo, s5
	s_mov_b32 s18, -1
	s_mov_b32 s5, -1
                                        ; implicit-def: $sgpr21
                                        ; implicit-def: $sgpr22
	s_and_saveexec_b32 s11, s10
	s_wait_alu 0xfffe
	s_xor_b32 s19, exec_lo, s11
	s_cbranch_execz .LBB52_267
; %bb.120:                              ;   in Loop: Header=BB52_7 Depth=1
	v_cmp_eq_u64_e32 vcc_lo, 1, v[4:5]
	v_cmp_eq_u64_e64 s5, 1, v[6:7]
                                        ; implicit-def: $sgpr22
                                        ; implicit-def: $sgpr21
	s_and_b32 s58, vcc_lo, s5
	s_mov_b32 s5, -1
	s_wait_alu 0xfffe
	s_and_saveexec_b32 s23, s58
	s_cbranch_execz .LBB52_156
; %bb.121:                              ;   in Loop: Header=BB52_7 Depth=1
	ds_load_b64 v[2:3], v13 offset:5120
	s_wait_loadcnt_dscnt 0x0
	s_barrier_signal -1
	s_barrier_wait -1
	global_inv scope:SCOPE_SE
	v_readfirstlane_b32 s10, v2
	v_readfirstlane_b32 s11, v3
	s_and_saveexec_b32 s5, s3
; %bb.122:                              ;   in Loop: Header=BB52_7 Depth=1
	ds_store_b32 v33, v13
; %bb.123:                              ;   in Loop: Header=BB52_7 Depth=1
	s_wait_alu 0xfffe
	s_or_b32 exec_lo, exec_lo, s5
	s_lshl_b32 s5, 1, s87
	v_or_b32_e32 v43, s16, v43
	s_wait_alu 0xfffe
	v_and_or_b32 v19, v19, s20, s5
	v_cmp_gt_i64_e64 s5, s[10:11], 0
	s_mov_b32 s21, -1
	s_mov_b32 s22, 0
	s_mov_b32 s14, -1
	s_wait_loadcnt_dscnt 0x0
	s_barrier_signal -1
	s_and_b32 vcc_lo, exec_lo, s5
	s_mov_b32 s5, 0
	s_barrier_wait -1
	global_inv scope:SCOPE_SE
                                        ; implicit-def: $vgpr25
	s_wait_alu 0xfffe
	s_cbranch_vccnz .LBB52_140
; %bb.124:                              ;   in Loop: Header=BB52_7 Depth=1
	s_mov_b32 s12, s25
	s_mov_b32 s13, s53
	s_wait_alu 0xfffe
	s_cmp_lg_u64 s[12:13], 0
	s_cbranch_scc0 .LBB52_184
; %bb.125:                              ;   in Loop: Header=BB52_7 Depth=1
	s_add_nc_u64 s[12:13], s[44:45], 0
	s_wait_alu 0xfffe
	s_xor_b64 s[12:13], s[12:13], 0
	s_wait_alu 0xfffe
	s_cvt_f32_u32 s5, s12
	s_cvt_f32_u32 s14, s13
	s_sub_nc_u64 s[60:61], 0, s[12:13]
	s_wait_alu 0xfffe
	s_delay_alu instid0(SALU_CYCLE_1) | instskip(SKIP_1) | instid1(SALU_CYCLE_2)
	s_fmamk_f32 s5, s14, 0x4f800000, s5
	s_wait_alu 0xfffe
	v_s_rcp_f32 s5, s5
	s_delay_alu instid0(TRANS32_DEP_1) | instskip(SKIP_1) | instid1(SALU_CYCLE_2)
	s_mul_f32 s5, s5, 0x5f7ffffc
	s_wait_alu 0xfffe
	s_mul_f32 s14, s5, 0x2f800000
	s_delay_alu instid0(SALU_CYCLE_3) | instskip(NEXT) | instid1(SALU_CYCLE_3)
	s_trunc_f32 s14, s14
	s_fmamk_f32 s5, s14, 0xcf800000, s5
	s_cvt_u32_f32 s15, s14
	s_wait_alu 0xfffe
	s_delay_alu instid0(SALU_CYCLE_1) | instskip(NEXT) | instid1(SALU_CYCLE_3)
	s_cvt_u32_f32 s14, s5
	s_mul_u64 s[62:63], s[60:61], s[14:15]
	s_wait_alu 0xfffe
	s_mul_hi_u32 s65, s14, s63
	s_mul_i32 s64, s14, s63
	s_mul_hi_u32 s24, s14, s62
	s_mul_i32 s59, s15, s62
	s_wait_alu 0xfffe
	s_add_nc_u64 s[64:65], s[24:25], s[64:65]
	s_mul_hi_u32 s5, s15, s62
	s_mul_hi_u32 s66, s15, s63
	s_wait_alu 0xfffe
	s_add_co_u32 s24, s64, s59
	s_add_co_ci_u32 s24, s65, s5
	s_mul_i32 s62, s15, s63
	s_add_co_ci_u32 s63, s66, 0
	s_wait_alu 0xfffe
	s_add_nc_u64 s[62:63], s[24:25], s[62:63]
	s_wait_alu 0xfffe
	s_add_co_u32 s14, s14, s62
	s_cselect_b32 s5, -1, 0
	s_wait_alu 0xfffe
	s_cmp_lg_u32 s5, 0
	s_add_co_ci_u32 s15, s15, s63
	s_delay_alu instid0(SALU_CYCLE_1)
	s_mul_u64 s[60:61], s[60:61], s[14:15]
	s_wait_alu 0xfffe
	s_mul_hi_u32 s63, s14, s61
	s_mul_i32 s62, s14, s61
	s_mul_hi_u32 s24, s14, s60
	s_mul_i32 s59, s15, s60
	s_wait_alu 0xfffe
	s_add_nc_u64 s[62:63], s[24:25], s[62:63]
	s_mul_hi_u32 s5, s15, s60
	s_mul_hi_u32 s64, s15, s61
	s_wait_alu 0xfffe
	s_add_co_u32 s24, s62, s59
	s_add_co_ci_u32 s24, s63, s5
	s_mul_i32 s60, s15, s61
	s_add_co_ci_u32 s61, s64, 0
	s_wait_alu 0xfffe
	s_add_nc_u64 s[60:61], s[24:25], s[60:61]
	s_wait_alu 0xfffe
	s_add_co_u32 s5, s14, s60
	s_cselect_b32 s14, -1, 0
	s_delay_alu instid0(SALU_CYCLE_1) | instskip(SKIP_2) | instid1(SALU_CYCLE_1)
	s_cmp_lg_u32 s14, 0
	s_add_co_ci_u32 s59, s15, s61
	s_ashr_i32 s14, s53, 31
	s_mov_b32 s15, s14
	s_delay_alu instid0(SALU_CYCLE_1)
	s_add_nc_u64 s[60:61], s[52:53], s[14:15]
	s_wait_alu 0xfffe
	s_xor_b64 s[60:61], s[60:61], s[14:15]
	s_wait_alu 0xfffe
	s_mul_hi_u32 s63, s60, s59
	s_mul_i32 s62, s60, s59
	s_mul_hi_u32 s24, s60, s5
	s_mul_hi_u32 s66, s61, s5
	s_mul_i32 s5, s61, s5
	s_wait_alu 0xfffe
	s_add_nc_u64 s[62:63], s[24:25], s[62:63]
	s_mul_hi_u32 s65, s61, s59
	s_wait_alu 0xfffe
	s_add_co_u32 s5, s62, s5
	s_add_co_ci_u32 s24, s63, s66
	s_mul_i32 s64, s61, s59
	s_add_co_ci_u32 s65, s65, 0
	s_wait_alu 0xfffe
	s_add_nc_u64 s[62:63], s[24:25], s[64:65]
	s_wait_alu 0xfffe
	s_mul_u64 s[62:63], s[12:13], s[62:63]
	s_wait_alu 0xfffe
	s_sub_co_u32 s5, s60, s62
	s_cselect_b32 s24, -1, 0
	s_sub_co_i32 s59, s61, s63
	s_wait_alu 0xfffe
	s_cmp_lg_u32 s24, 0
	s_sub_co_ci_u32 s59, s59, s13
	s_sub_co_u32 s60, s5, s12
	s_cselect_b32 s62, -1, 0
	s_wait_alu 0xfffe
	s_cmp_lg_u32 s62, 0
	s_sub_co_ci_u32 s64, s59, 0
	s_wait_alu 0xfffe
	s_cmp_ge_u32 s64, s13
	s_cselect_b32 s65, -1, 0
	s_cmp_ge_u32 s60, s12
	s_cselect_b32 s66, -1, 0
	s_cmp_eq_u32 s64, s13
	s_wait_alu 0xfffe
	s_cselect_b32 s65, s66, s65
	s_cmp_lg_u32 s62, 0
	s_sub_co_ci_u32 s59, s59, s13
	s_sub_co_u32 s62, s60, s12
	s_cselect_b32 s66, -1, 0
	s_wait_alu 0xfffe
	s_cmp_lg_u32 s66, 0
	s_sub_co_ci_u32 s59, s59, 0
	s_cmp_lg_u32 s65, 0
	s_cselect_b32 s60, s62, s60
	s_wait_alu 0xfffe
	s_cselect_b32 s59, s59, s64
	s_cmp_lg_u32 s24, 0
	s_sub_co_ci_u32 s24, s61, s63
	s_wait_alu 0xfffe
	s_cmp_ge_u32 s24, s13
	s_cselect_b32 s61, -1, 0
	s_cmp_ge_u32 s5, s12
	s_cselect_b32 s12, -1, 0
	s_cmp_eq_u32 s24, s13
	s_wait_alu 0xfffe
	s_cselect_b32 s12, s12, s61
	s_wait_alu 0xfffe
	s_cmp_lg_u32 s12, 0
	s_cselect_b32 s13, s59, s24
	s_cselect_b32 s12, s60, s5
	s_wait_alu 0xfffe
	s_xor_b64 s[12:13], s[12:13], s[14:15]
	s_wait_alu 0xfffe
	s_sub_nc_u64 s[12:13], s[12:13], s[14:15]
	s_cbranch_execnz .LBB52_127
.LBB52_126:                             ;   in Loop: Header=BB52_7 Depth=1
	v_cvt_f32_u32_e32 v2, s44
	s_sub_co_i32 s12, 0, s44
	s_delay_alu instid0(VALU_DEP_1) | instskip(NEXT) | instid1(TRANS32_DEP_1)
	v_rcp_iflag_f32_e32 v2, v2
	v_mul_f32_e32 v2, 0x4f7ffffe, v2
	s_delay_alu instid0(VALU_DEP_1) | instskip(NEXT) | instid1(VALU_DEP_1)
	v_cvt_u32_f32_e32 v2, v2
	v_readfirstlane_b32 s5, v2
	s_wait_alu 0xfffe
	s_mul_i32 s12, s12, s5
	s_wait_alu 0xfffe
	s_mul_hi_u32 s12, s5, s12
	s_wait_alu 0xfffe
	s_add_co_i32 s5, s5, s12
	s_wait_alu 0xfffe
	s_mul_hi_u32 s5, s52, s5
	s_wait_alu 0xfffe
	s_mul_i32 s5, s5, s44
	s_wait_alu 0xfffe
	s_sub_co_i32 s5, s52, s5
	s_wait_alu 0xfffe
	s_sub_co_i32 s12, s5, s44
	s_cmp_ge_u32 s5, s44
	s_wait_alu 0xfffe
	s_cselect_b32 s5, s12, s5
	s_wait_alu 0xfffe
	s_sub_co_i32 s12, s5, s44
	s_cmp_ge_u32 s5, s44
	s_wait_alu 0xfffe
	s_cselect_b32 s24, s12, s5
	s_wait_alu 0xfffe
	s_mov_b64 s[12:13], s[24:25]
.LBB52_127:                             ;   in Loop: Header=BB52_7 Depth=1
	s_wait_alu 0xfffe
	s_sub_nc_u64 s[12:13], s[52:53], s[12:13]
	s_mov_b32 s14, 0
	s_mov_b32 s5, 0
	s_mov_b32 s15, exec_lo
                                        ; implicit-def: $vgpr25
	s_wait_alu 0xfffe
	v_cmpx_gt_i64_e64 s[12:13], v[0:1]
	s_cbranch_execz .LBB52_139
; %bb.128:                              ;   in Loop: Header=BB52_7 Depth=1
	v_dual_mov_b32 v2, v10 :: v_dual_mov_b32 v3, v11
	v_dual_mov_b32 v9, v1 :: v_dual_mov_b32 v8, v0
	s_mov_b32 s24, 0
                                        ; implicit-def: $sgpr59
	s_branch .LBB52_132
.LBB52_129:                             ;   in Loop: Header=BB52_132 Depth=2
	s_wait_alu 0xfffe
	s_or_b32 exec_lo, exec_lo, s5
	s_wait_loadcnt_dscnt 0x0
	s_barrier_signal -1
	s_barrier_wait -1
	global_inv scope:SCOPE_SE
	ds_load_b64 v[24:25], v13 offset:3072
	s_wait_loadcnt_dscnt 0x0
	s_barrier_signal -1
	s_barrier_wait -1
	global_inv scope:SCOPE_SE
	v_cmp_neq_f32_e32 vcc_lo, 0, v24
	s_cbranch_vccnz .LBB52_135
; %bb.130:                              ;   in Loop: Header=BB52_132 Depth=2
	v_add_co_u32 v8, vcc_lo, v8, s44
	s_wait_alu 0xfffd
	v_add_co_ci_u32_e64 v9, null, 0, v9, vcc_lo
	v_add_co_u32 v2, s5, v2, s46
	s_wait_alu 0xf1ff
	v_add_co_ci_u32_e64 v3, null, s47, v3, s5
	s_delay_alu instid0(VALU_DEP_3)
	v_cmp_le_i64_e32 vcc_lo, s[12:13], v[8:9]
	s_mov_b32 s5, 0
	s_or_not1_b32 s60, vcc_lo, exec_lo
.LBB52_131:                             ;   in Loop: Header=BB52_132 Depth=2
	s_wait_alu 0xfffe
	s_and_b32 s60, exec_lo, s60
	s_wait_alu 0xfffe
	s_or_b32 s24, s60, s24
	s_and_not1_b32 s59, s59, exec_lo
	s_and_b32 s5, s5, exec_lo
	s_wait_alu 0xfffe
	s_or_b32 s59, s59, s5
	s_and_not1_b32 exec_lo, exec_lo, s24
	s_cbranch_execz .LBB52_138
.LBB52_132:                             ;   Parent Loop BB52_7 Depth=1
                                        ; =>  This Inner Loop Header: Depth=2
	s_mov_b32 s5, exec_lo
	s_delay_alu instid0(VALU_DEP_1)
	v_cmpx_gt_i64_e64 s[36:37], v[8:9]
	s_cbranch_execz .LBB52_129
; %bb.133:                              ;   in Loop: Header=BB52_132 Depth=2
	global_load_b32 v24, v[2:3], off
	s_wait_loadcnt 0x0
	v_cmp_lt_i32_e32 vcc_lo, -1, v24
	s_wait_alu 0xfffd
	v_cndmask_b32_e64 v25, -1, 0x80000000, vcc_lo
	v_cmp_o_f32_e32 vcc_lo, v24, v24
	s_delay_alu instid0(VALU_DEP_2) | instskip(SKIP_1) | instid1(VALU_DEP_1)
	v_xor_b32_e32 v25, v25, v24
	s_wait_alu 0xfffd
	v_cndmask_b32_e32 v25, -1, v25, vcc_lo
	s_delay_alu instid0(VALU_DEP_1) | instskip(NEXT) | instid1(VALU_DEP_1)
	v_and_b32_e32 v25, v25, v43
	v_cmp_eq_u32_e32 vcc_lo, v25, v19
	s_and_b32 exec_lo, exec_lo, vcc_lo
	s_cbranch_execz .LBB52_129
; %bb.134:                              ;   in Loop: Header=BB52_132 Depth=2
	ds_store_b64 v13, v[23:24] offset:3072
	s_branch .LBB52_129
.LBB52_135:                             ;   in Loop: Header=BB52_132 Depth=2
	s_mov_b32 s60, -1
	s_mov_b32 s5, -1
                                        ; implicit-def: $vgpr8_vgpr9
                                        ; implicit-def: $vgpr2_vgpr3
	s_branch .LBB52_131
.LBB52_136:                             ;   in Loop: Header=BB52_7 Depth=1
                                        ; implicit-def: $sgpr12_sgpr13
	s_branch .LBB52_81
.LBB52_137:                             ;   in Loop: Header=BB52_7 Depth=1
                                        ; implicit-def: $sgpr14_sgpr15
	s_branch .LBB52_96
.LBB52_138:                             ;   in Loop: Header=BB52_7 Depth=1
	s_or_b32 exec_lo, exec_lo, s24
	s_wait_alu 0xfffe
	s_and_b32 s5, s59, exec_lo
.LBB52_139:                             ;   in Loop: Header=BB52_7 Depth=1
	s_or_b32 exec_lo, exec_lo, s15
.LBB52_140:                             ;   in Loop: Header=BB52_7 Depth=1
	s_delay_alu instid0(SALU_CYCLE_1)
	s_and_b32 vcc_lo, exec_lo, s14
	s_wait_alu 0xfffe
	s_cbranch_vccz .LBB52_155
; %bb.141:                              ;   in Loop: Header=BB52_7 Depth=1
	s_add_nc_u64 s[12:13], s[10:11], s[50:51]
	s_mov_b32 s14, s25
	s_wait_alu 0xfffe
	s_mov_b32 s15, s13
	s_delay_alu instid0(SALU_CYCLE_1)
	s_cmp_lg_u64 s[14:15], 0
	s_cbranch_scc0 .LBB52_185
; %bb.142:                              ;   in Loop: Header=BB52_7 Depth=1
	s_add_nc_u64 s[14:15], s[44:45], 0
	s_delay_alu instid0(SALU_CYCLE_1) | instskip(NEXT) | instid1(SALU_CYCLE_1)
	s_xor_b64 s[14:15], s[14:15], 0
	s_cvt_f32_u32 s21, s14
	s_cvt_f32_u32 s22, s15
	s_sub_nc_u64 s[62:63], 0, s[14:15]
	s_wait_alu 0xfffe
	s_delay_alu instid0(SALU_CYCLE_1) | instskip(SKIP_1) | instid1(SALU_CYCLE_2)
	s_fmamk_f32 s21, s22, 0x4f800000, s21
	s_wait_alu 0xfffe
	v_s_rcp_f32 s21, s21
	s_delay_alu instid0(TRANS32_DEP_1) | instskip(SKIP_1) | instid1(SALU_CYCLE_2)
	s_mul_f32 s21, s21, 0x5f7ffffc
	s_wait_alu 0xfffe
	s_mul_f32 s22, s21, 0x2f800000
	s_delay_alu instid0(SALU_CYCLE_3) | instskip(NEXT) | instid1(SALU_CYCLE_3)
	s_trunc_f32 s22, s22
	s_fmamk_f32 s21, s22, 0xcf800000, s21
	s_cvt_u32_f32 s61, s22
	s_wait_alu 0xfffe
	s_delay_alu instid0(SALU_CYCLE_1) | instskip(SKIP_1) | instid1(SALU_CYCLE_2)
	s_cvt_u32_f32 s60, s21
	s_wait_alu 0xfffe
	s_mul_u64 s[64:65], s[62:63], s[60:61]
	s_wait_alu 0xfffe
	s_mul_hi_u32 s67, s60, s65
	s_mul_i32 s66, s60, s65
	s_mul_hi_u32 s24, s60, s64
	s_mul_i32 s22, s61, s64
	s_wait_alu 0xfffe
	s_add_nc_u64 s[66:67], s[24:25], s[66:67]
	s_mul_hi_u32 s21, s61, s64
	s_mul_hi_u32 s59, s61, s65
	s_wait_alu 0xfffe
	s_add_co_u32 s22, s66, s22
	s_add_co_ci_u32 s24, s67, s21
	s_mul_i32 s64, s61, s65
	s_add_co_ci_u32 s65, s59, 0
	s_wait_alu 0xfffe
	s_add_nc_u64 s[64:65], s[24:25], s[64:65]
	s_wait_alu 0xfffe
	s_add_co_u32 s60, s60, s64
	s_cselect_b32 s21, -1, 0
	s_wait_alu 0xfffe
	s_cmp_lg_u32 s21, 0
	s_add_co_ci_u32 s61, s61, s65
	s_wait_alu 0xfffe
	s_mul_u64 s[62:63], s[62:63], s[60:61]
	s_wait_alu 0xfffe
	s_mul_hi_u32 s65, s60, s63
	s_mul_i32 s64, s60, s63
	s_mul_hi_u32 s24, s60, s62
	s_mul_i32 s22, s61, s62
	s_wait_alu 0xfffe
	s_add_nc_u64 s[64:65], s[24:25], s[64:65]
	s_mul_hi_u32 s21, s61, s62
	s_mul_hi_u32 s59, s61, s63
	s_wait_alu 0xfffe
	s_add_co_u32 s22, s64, s22
	s_add_co_ci_u32 s24, s65, s21
	s_mul_i32 s62, s61, s63
	s_add_co_ci_u32 s63, s59, 0
	s_wait_alu 0xfffe
	s_add_nc_u64 s[62:63], s[24:25], s[62:63]
	s_wait_alu 0xfffe
	s_add_co_u32 s21, s60, s62
	s_cselect_b32 s22, -1, 0
	s_delay_alu instid0(SALU_CYCLE_1)
	s_cmp_lg_u32 s22, 0
	s_add_co_ci_u32 s22, s61, s63
	s_ashr_i32 s60, s13, 31
	s_wait_alu 0xfffe
	s_mov_b32 s61, s60
	s_wait_alu 0xfffe
	s_add_nc_u64 s[62:63], s[12:13], s[60:61]
	s_wait_alu 0xfffe
	s_xor_b64 s[62:63], s[62:63], s[60:61]
	s_wait_alu 0xfffe
	s_mul_hi_u32 s65, s62, s22
	s_mul_i32 s64, s62, s22
	s_mul_hi_u32 s24, s62, s21
	s_mul_hi_u32 s67, s63, s21
	s_mul_i32 s21, s63, s21
	s_wait_alu 0xfffe
	s_add_nc_u64 s[64:65], s[24:25], s[64:65]
	s_mul_hi_u32 s59, s63, s22
	s_wait_alu 0xfffe
	s_add_co_u32 s21, s64, s21
	s_add_co_ci_u32 s24, s65, s67
	s_mul_i32 s66, s63, s22
	s_add_co_ci_u32 s67, s59, 0
	s_wait_alu 0xfffe
	s_add_nc_u64 s[64:65], s[24:25], s[66:67]
	s_wait_alu 0xfffe
	s_mul_u64 s[64:65], s[14:15], s[64:65]
	s_wait_alu 0xfffe
	s_sub_co_u32 s21, s62, s64
	s_cselect_b32 s22, -1, 0
	s_sub_co_i32 s24, s63, s65
	s_cmp_lg_u32 s22, 0
	s_wait_alu 0xfffe
	s_sub_co_ci_u32 s24, s24, s15
	s_sub_co_u32 s59, s21, s14
	s_cselect_b32 s62, -1, 0
	s_wait_alu 0xfffe
	s_cmp_lg_u32 s62, 0
	s_sub_co_ci_u32 s64, s24, 0
	s_wait_alu 0xfffe
	s_cmp_ge_u32 s64, s15
	s_cselect_b32 s66, -1, 0
	s_cmp_ge_u32 s59, s14
	s_cselect_b32 s67, -1, 0
	s_cmp_eq_u32 s64, s15
	s_wait_alu 0xfffe
	s_cselect_b32 s66, s67, s66
	s_cmp_lg_u32 s62, 0
	s_sub_co_ci_u32 s24, s24, s15
	s_sub_co_u32 s62, s59, s14
	s_cselect_b32 s67, -1, 0
	s_wait_alu 0xfffe
	s_cmp_lg_u32 s67, 0
	s_sub_co_ci_u32 s24, s24, 0
	s_cmp_lg_u32 s66, 0
	s_cselect_b32 s59, s62, s59
	s_wait_alu 0xfffe
	s_cselect_b32 s24, s24, s64
	s_cmp_lg_u32 s22, 0
	s_sub_co_ci_u32 s22, s63, s65
	s_delay_alu instid0(SALU_CYCLE_1)
	s_cmp_ge_u32 s22, s15
	s_cselect_b32 s62, -1, 0
	s_cmp_ge_u32 s21, s14
	s_cselect_b32 s14, -1, 0
	s_cmp_eq_u32 s22, s15
	s_wait_alu 0xfffe
	s_cselect_b32 s14, s14, s62
	s_delay_alu instid0(SALU_CYCLE_1) | instskip(SKIP_2) | instid1(SALU_CYCLE_1)
	s_cmp_lg_u32 s14, 0
	s_cselect_b32 s15, s24, s22
	s_cselect_b32 s14, s59, s21
	s_xor_b64 s[14:15], s[14:15], s[60:61]
	s_delay_alu instid0(SALU_CYCLE_1)
	s_sub_nc_u64 s[14:15], s[14:15], s[60:61]
	s_cbranch_execnz .LBB52_144
.LBB52_143:                             ;   in Loop: Header=BB52_7 Depth=1
	v_cvt_f32_u32_e32 v2, s44
	s_sub_co_i32 s15, 0, s44
	s_delay_alu instid0(VALU_DEP_1) | instskip(NEXT) | instid1(TRANS32_DEP_1)
	v_rcp_iflag_f32_e32 v2, v2
	v_mul_f32_e32 v2, 0x4f7ffffe, v2
	s_delay_alu instid0(VALU_DEP_1) | instskip(NEXT) | instid1(VALU_DEP_1)
	v_cvt_u32_f32_e32 v2, v2
	v_readfirstlane_b32 s14, v2
	s_mul_i32 s15, s15, s14
	s_delay_alu instid0(SALU_CYCLE_1) | instskip(NEXT) | instid1(SALU_CYCLE_1)
	s_mul_hi_u32 s15, s14, s15
	s_add_co_i32 s14, s14, s15
	s_delay_alu instid0(SALU_CYCLE_1) | instskip(NEXT) | instid1(SALU_CYCLE_1)
	s_mul_hi_u32 s14, s12, s14
	s_mul_i32 s14, s14, s44
	s_delay_alu instid0(SALU_CYCLE_1) | instskip(NEXT) | instid1(SALU_CYCLE_1)
	s_sub_co_i32 s14, s12, s14
	s_sub_co_i32 s15, s14, s44
	s_cmp_ge_u32 s14, s44
	s_cselect_b32 s14, s15, s14
	s_delay_alu instid0(SALU_CYCLE_1)
	s_sub_co_i32 s15, s14, s44
	s_cmp_ge_u32 s14, s44
	s_cselect_b32 s24, s15, s14
	s_wait_alu 0xfffe
	s_mov_b64 s[14:15], s[24:25]
.LBB52_144:                             ;   in Loop: Header=BB52_7 Depth=1
	s_delay_alu instid0(SALU_CYCLE_1)
	s_sub_nc_u64 s[12:13], s[12:13], s[14:15]
	s_mov_b32 s14, exec_lo
                                        ; implicit-def: $vgpr25
	s_wait_alu 0xfffe
	v_cmpx_gt_i64_e64 s[12:13], v[0:1]
	s_cbranch_execz .LBB52_154
; %bb.145:                              ;   in Loop: Header=BB52_7 Depth=1
	v_dual_mov_b32 v8, v14 :: v_dual_mov_b32 v3, v1
	v_mov_b32_e32 v2, v0
	s_mov_b32 s15, 0
                                        ; implicit-def: $sgpr21
	s_branch .LBB52_149
.LBB52_146:                             ;   in Loop: Header=BB52_149 Depth=2
	s_or_b32 exec_lo, exec_lo, s22
	s_wait_loadcnt_dscnt 0x0
	s_barrier_signal -1
	s_barrier_wait -1
	global_inv scope:SCOPE_SE
	ds_load_b64 v[24:25], v13 offset:3072
	s_wait_loadcnt_dscnt 0x0
	s_barrier_signal -1
	s_barrier_wait -1
	global_inv scope:SCOPE_SE
	v_cmp_eq_f32_e32 vcc_lo, 0, v24
	s_cbranch_vccz .LBB52_152
; %bb.147:                              ;   in Loop: Header=BB52_149 Depth=2
	v_add_co_u32 v2, vcc_lo, v2, s44
	s_wait_alu 0xfffd
	v_add_co_ci_u32_e64 v3, null, 0, v3, vcc_lo
	v_add_nc_u32_e32 v8, s86, v8
	s_mov_b32 s22, 0
	s_delay_alu instid0(VALU_DEP_2)
	v_cmp_le_i64_e32 vcc_lo, s[12:13], v[2:3]
	s_or_not1_b32 s24, vcc_lo, exec_lo
.LBB52_148:                             ;   in Loop: Header=BB52_149 Depth=2
	s_wait_alu 0xfffe
	s_and_b32 s24, exec_lo, s24
	s_wait_alu 0xfffe
	s_or_b32 s15, s24, s15
	s_and_not1_b32 s21, s21, exec_lo
	s_and_b32 s22, s22, exec_lo
	s_wait_alu 0xfffe
	s_or_b32 s21, s21, s22
	s_and_not1_b32 exec_lo, exec_lo, s15
	s_cbranch_execz .LBB52_153
.LBB52_149:                             ;   Parent Loop BB52_7 Depth=1
                                        ; =>  This Inner Loop Header: Depth=2
	s_mov_b32 s22, exec_lo
	s_delay_alu instid0(VALU_DEP_1)
	v_cmpx_gt_u64_e64 s[10:11], v[2:3]
	s_cbranch_execz .LBB52_146
; %bb.150:                              ;   in Loop: Header=BB52_149 Depth=2
	ds_load_b32 v24, v8
	s_wait_dscnt 0x0
	v_cmp_lt_i32_e32 vcc_lo, -1, v24
	s_wait_alu 0xfffd
	v_cndmask_b32_e64 v9, -1, 0x80000000, vcc_lo
	v_cmp_o_f32_e32 vcc_lo, v24, v24
	s_delay_alu instid0(VALU_DEP_2) | instskip(SKIP_1) | instid1(VALU_DEP_1)
	v_xor_b32_e32 v9, v9, v24
	s_wait_alu 0xfffd
	v_cndmask_b32_e32 v9, -1, v9, vcc_lo
	s_delay_alu instid0(VALU_DEP_1) | instskip(NEXT) | instid1(VALU_DEP_1)
	v_and_b32_e32 v9, v9, v43
	v_cmp_eq_u32_e32 vcc_lo, v9, v19
	s_and_b32 exec_lo, exec_lo, vcc_lo
	s_cbranch_execz .LBB52_146
; %bb.151:                              ;   in Loop: Header=BB52_149 Depth=2
	ds_store_b64 v13, v[23:24] offset:3072
	s_branch .LBB52_146
.LBB52_152:                             ;   in Loop: Header=BB52_149 Depth=2
	s_mov_b32 s24, -1
	s_mov_b32 s22, -1
                                        ; implicit-def: $vgpr2_vgpr3
                                        ; implicit-def: $vgpr8
	s_branch .LBB52_148
.LBB52_153:                             ;   in Loop: Header=BB52_7 Depth=1
	s_or_b32 exec_lo, exec_lo, s15
	s_delay_alu instid0(SALU_CYCLE_1)
	s_and_not1_b32 s5, s5, exec_lo
	s_wait_alu 0xfffe
	s_and_b32 s10, s21, exec_lo
	s_wait_alu 0xfffe
	s_or_b32 s5, s5, s10
.LBB52_154:                             ;   in Loop: Header=BB52_7 Depth=1
	s_or_b32 exec_lo, exec_lo, s14
	s_mov_b32 s21, 0
	s_mov_b32 s22, -1
.LBB52_155:                             ;   in Loop: Header=BB52_7 Depth=1
	s_wait_alu 0xfffe
	s_or_not1_b32 s5, s5, exec_lo
.LBB52_156:                             ;   in Loop: Header=BB52_7 Depth=1
	s_or_b32 exec_lo, exec_lo, s23
	s_mov_b32 s10, 0
	s_wait_alu 0xfffe
	s_and_saveexec_b32 s23, s5
	s_cbranch_execz .LBB52_266
; %bb.157:                              ;   in Loop: Header=BB52_7 Depth=1
	v_mov_b32_e32 v2, 1
	v_dual_mov_b32 v3, 0 :: v_dual_mov_b32 v12, 1
	s_xor_b32 s11, s58, -1
	s_wait_alu 0xfffe
	s_and_saveexec_b32 s5, s11
	s_cbranch_execz .LBB52_167
; %bb.158:                              ;   in Loop: Header=BB52_7 Depth=1
	s_mov_b32 s10, exec_lo
	v_cmpx_le_i64_e64 v[6:7], v[4:5]
	s_wait_alu 0xfffe
	s_xor_b32 s10, exec_lo, s10
	s_cbranch_execz .LBB52_164
; %bb.159:                              ;   in Loop: Header=BB52_7 Depth=1
	ds_load_b64 v[2:3], v13 offset:5120
	s_lshl_b32 s11, 1, s87
	v_or_b32_e32 v43, s16, v43
	s_wait_alu 0xfffe
	v_and_or_b32 v19, v19, s20, s11
	s_wait_dscnt 0x0
	v_cmp_ne_u64_e32 vcc_lo, 0, v[2:3]
	s_cbranch_vccnz .LBB52_163
; %bb.160:                              ;   in Loop: Header=BB52_7 Depth=1
	s_and_saveexec_b32 s11, s2
; %bb.161:                              ;   in Loop: Header=BB52_7 Depth=1
	ds_store_b64 v13, v[4:5] offset:5128
; %bb.162:                              ;   in Loop: Header=BB52_7 Depth=1
	s_wait_alu 0xfffe
	s_or_b32 exec_lo, exec_lo, s11
	s_wait_loadcnt_dscnt 0x0
	s_barrier_signal -1
	s_barrier_wait -1
	global_inv scope:SCOPE_SE
.LBB52_163:                             ;   in Loop: Header=BB52_7 Depth=1
                                        ; implicit-def: $vgpr2_vgpr3_vgpr4_vgpr5
.LBB52_164:                             ;   in Loop: Header=BB52_7 Depth=1
	s_wait_alu 0xfffe
	s_or_saveexec_b32 s10, s10
	v_mov_b32_e32 v12, 8
	s_mov_b32 s11, 0
	s_wait_alu 0xfffe
	s_xor_b32 exec_lo, exec_lo, s10
; %bb.165:                              ;   in Loop: Header=BB52_7 Depth=1
	v_sub_co_u32 v6, vcc_lo, v6, v4
	s_wait_alu 0xfffd
	v_sub_co_ci_u32_e64 v7, null, v7, v5, vcc_lo
	v_mov_b32_e32 v12, 0
	s_mov_b32 s11, exec_lo
; %bb.166:                              ;   in Loop: Header=BB52_7 Depth=1
	s_or_b32 exec_lo, exec_lo, s10
	s_delay_alu instid0(VALU_DEP_2)
	v_dual_mov_b32 v2, v6 :: v_dual_mov_b32 v3, v7
	s_wait_alu 0xfffe
	s_and_b32 s10, s11, exec_lo
.LBB52_167:                             ;   in Loop: Header=BB52_7 Depth=1
	s_wait_alu 0xfffe
	s_or_b32 exec_lo, exec_lo, s5
	s_mov_b32 s5, -1
                                        ; implicit-def: $sgpr14
                                        ; implicit-def: $sgpr15
	s_and_saveexec_b32 s58, s10
	s_cbranch_execz .LBB52_265
; %bb.168:                              ;   in Loop: Header=BB52_7 Depth=1
	v_cmp_eq_u64_e32 vcc_lo, 1, v[2:3]
	s_cmp_eq_u64 s[8:9], 1
                                        ; implicit-def: $sgpr15
                                        ; implicit-def: $sgpr14
	s_cselect_b32 s5, -1, 0
	s_wait_alu 0xfffe
	s_and_b32 s60, s5, vcc_lo
	s_mov_b32 s5, -1
	s_wait_alu 0xfffe
	s_and_saveexec_b32 s59, s60
	s_cbranch_execz .LBB52_204
; %bb.169:                              ;   in Loop: Header=BB52_7 Depth=1
	ds_load_b64 v[4:5], v13 offset:5120
	s_wait_loadcnt_dscnt 0x0
	s_barrier_signal -1
	s_barrier_wait -1
	global_inv scope:SCOPE_SE
	v_readfirstlane_b32 s10, v4
	v_readfirstlane_b32 s11, v5
	s_and_saveexec_b32 s5, s3
; %bb.170:                              ;   in Loop: Header=BB52_7 Depth=1
	ds_store_b32 v33, v13
; %bb.171:                              ;   in Loop: Header=BB52_7 Depth=1
	s_wait_alu 0xfffe
	s_or_b32 exec_lo, exec_lo, s5
	s_lshl_b32 s5, 2, s87
	v_or_b32_e32 v43, s16, v43
	s_wait_alu 0xfffe
	v_and_or_b32 v19, v19, s20, s5
	v_cmp_gt_i64_e64 s5, s[10:11], 0
	s_mov_b32 s14, -1
	s_mov_b32 s15, 0
	s_mov_b32 s24, -1
	s_wait_loadcnt_dscnt 0x0
	s_barrier_signal -1
	s_and_b32 vcc_lo, exec_lo, s5
	s_mov_b32 s5, 0
	s_barrier_wait -1
	global_inv scope:SCOPE_SE
                                        ; implicit-def: $vgpr25
	s_wait_alu 0xfffe
	s_cbranch_vccnz .LBB52_188
; %bb.172:                              ;   in Loop: Header=BB52_7 Depth=1
	s_mov_b32 s12, s25
	s_mov_b32 s13, s53
	s_wait_alu 0xfffe
	s_cmp_lg_u64 s[12:13], 0
	s_cbranch_scc0 .LBB52_231
; %bb.173:                              ;   in Loop: Header=BB52_7 Depth=1
	s_add_nc_u64 s[12:13], s[44:45], 0
	s_wait_alu 0xfffe
	s_xor_b64 s[12:13], s[12:13], 0
	s_wait_alu 0xfffe
	s_cvt_f32_u32 s5, s12
	s_cvt_f32_u32 s24, s13
	s_sub_nc_u64 s[64:65], 0, s[12:13]
	s_wait_alu 0xfffe
	s_delay_alu instid0(SALU_CYCLE_1) | instskip(SKIP_1) | instid1(SALU_CYCLE_2)
	s_fmamk_f32 s5, s24, 0x4f800000, s5
	s_wait_alu 0xfffe
	v_s_rcp_f32 s5, s5
	s_delay_alu instid0(TRANS32_DEP_1) | instskip(SKIP_1) | instid1(SALU_CYCLE_2)
	s_mul_f32 s5, s5, 0x5f7ffffc
	s_wait_alu 0xfffe
	s_mul_f32 s24, s5, 0x2f800000
	s_wait_alu 0xfffe
	s_delay_alu instid0(SALU_CYCLE_2) | instskip(SKIP_1) | instid1(SALU_CYCLE_2)
	s_trunc_f32 s24, s24
	s_wait_alu 0xfffe
	s_fmamk_f32 s5, s24, 0xcf800000, s5
	s_cvt_u32_f32 s63, s24
	s_wait_alu 0xfffe
	s_delay_alu instid0(SALU_CYCLE_1) | instskip(SKIP_1) | instid1(SALU_CYCLE_2)
	s_cvt_u32_f32 s62, s5
	s_wait_alu 0xfffe
	s_mul_u64 s[66:67], s[64:65], s[62:63]
	s_wait_alu 0xfffe
	s_mul_hi_u32 s69, s62, s67
	s_mul_i32 s68, s62, s67
	s_mul_hi_u32 s24, s62, s66
	s_mul_i32 s61, s63, s66
	s_wait_alu 0xfffe
	s_add_nc_u64 s[68:69], s[24:25], s[68:69]
	s_mul_hi_u32 s5, s63, s66
	s_mul_hi_u32 s70, s63, s67
	s_wait_alu 0xfffe
	s_add_co_u32 s24, s68, s61
	s_add_co_ci_u32 s24, s69, s5
	s_mul_i32 s66, s63, s67
	s_add_co_ci_u32 s67, s70, 0
	s_wait_alu 0xfffe
	s_add_nc_u64 s[66:67], s[24:25], s[66:67]
	s_wait_alu 0xfffe
	s_add_co_u32 s62, s62, s66
	s_cselect_b32 s5, -1, 0
	s_wait_alu 0xfffe
	s_cmp_lg_u32 s5, 0
	s_add_co_ci_u32 s63, s63, s67
	s_wait_alu 0xfffe
	s_mul_u64 s[64:65], s[64:65], s[62:63]
	s_wait_alu 0xfffe
	s_mul_hi_u32 s67, s62, s65
	s_mul_i32 s66, s62, s65
	s_mul_hi_u32 s24, s62, s64
	s_mul_i32 s61, s63, s64
	s_wait_alu 0xfffe
	s_add_nc_u64 s[66:67], s[24:25], s[66:67]
	s_mul_hi_u32 s5, s63, s64
	s_mul_hi_u32 s68, s63, s65
	s_wait_alu 0xfffe
	s_add_co_u32 s24, s66, s61
	s_add_co_ci_u32 s24, s67, s5
	s_mul_i32 s64, s63, s65
	s_add_co_ci_u32 s65, s68, 0
	s_wait_alu 0xfffe
	s_add_nc_u64 s[64:65], s[24:25], s[64:65]
	s_wait_alu 0xfffe
	s_add_co_u32 s5, s62, s64
	s_cselect_b32 s24, -1, 0
	s_wait_alu 0xfffe
	s_cmp_lg_u32 s24, 0
	s_add_co_ci_u32 s61, s63, s65
	s_ashr_i32 s62, s53, 31
	s_wait_alu 0xfffe
	s_mov_b32 s63, s62
	s_wait_alu 0xfffe
	s_add_nc_u64 s[64:65], s[52:53], s[62:63]
	s_wait_alu 0xfffe
	s_xor_b64 s[64:65], s[64:65], s[62:63]
	s_wait_alu 0xfffe
	s_mul_hi_u32 s67, s64, s61
	s_mul_i32 s66, s64, s61
	s_mul_hi_u32 s24, s64, s5
	s_mul_hi_u32 s70, s65, s5
	s_mul_i32 s5, s65, s5
	s_wait_alu 0xfffe
	s_add_nc_u64 s[66:67], s[24:25], s[66:67]
	s_mul_hi_u32 s69, s65, s61
	s_wait_alu 0xfffe
	s_add_co_u32 s5, s66, s5
	s_add_co_ci_u32 s24, s67, s70
	s_mul_i32 s68, s65, s61
	s_add_co_ci_u32 s69, s69, 0
	s_wait_alu 0xfffe
	s_add_nc_u64 s[66:67], s[24:25], s[68:69]
	s_wait_alu 0xfffe
	s_mul_u64 s[66:67], s[12:13], s[66:67]
	s_wait_alu 0xfffe
	s_sub_co_u32 s5, s64, s66
	s_cselect_b32 s24, -1, 0
	s_sub_co_i32 s61, s65, s67
	s_wait_alu 0xfffe
	s_cmp_lg_u32 s24, 0
	s_sub_co_ci_u32 s61, s61, s13
	s_sub_co_u32 s64, s5, s12
	s_cselect_b32 s66, -1, 0
	s_wait_alu 0xfffe
	s_cmp_lg_u32 s66, 0
	s_sub_co_ci_u32 s68, s61, 0
	s_wait_alu 0xfffe
	s_cmp_ge_u32 s68, s13
	s_cselect_b32 s69, -1, 0
	s_cmp_ge_u32 s64, s12
	s_cselect_b32 s70, -1, 0
	s_cmp_eq_u32 s68, s13
	s_wait_alu 0xfffe
	s_cselect_b32 s69, s70, s69
	s_cmp_lg_u32 s66, 0
	s_sub_co_ci_u32 s61, s61, s13
	s_sub_co_u32 s66, s64, s12
	s_cselect_b32 s70, -1, 0
	s_wait_alu 0xfffe
	s_cmp_lg_u32 s70, 0
	s_sub_co_ci_u32 s61, s61, 0
	s_cmp_lg_u32 s69, 0
	s_cselect_b32 s64, s66, s64
	s_wait_alu 0xfffe
	s_cselect_b32 s61, s61, s68
	s_cmp_lg_u32 s24, 0
	s_sub_co_ci_u32 s24, s65, s67
	s_wait_alu 0xfffe
	s_cmp_ge_u32 s24, s13
	s_cselect_b32 s65, -1, 0
	s_cmp_ge_u32 s5, s12
	s_cselect_b32 s12, -1, 0
	s_cmp_eq_u32 s24, s13
	s_wait_alu 0xfffe
	s_cselect_b32 s12, s12, s65
	s_wait_alu 0xfffe
	s_cmp_lg_u32 s12, 0
	s_cselect_b32 s13, s61, s24
	s_cselect_b32 s12, s64, s5
	s_wait_alu 0xfffe
	s_xor_b64 s[12:13], s[12:13], s[62:63]
	s_wait_alu 0xfffe
	s_sub_nc_u64 s[12:13], s[12:13], s[62:63]
	s_cbranch_execnz .LBB52_175
.LBB52_174:                             ;   in Loop: Header=BB52_7 Depth=1
	v_cvt_f32_u32_e32 v4, s44
	s_sub_co_i32 s12, 0, s44
	s_delay_alu instid0(VALU_DEP_1) | instskip(NEXT) | instid1(TRANS32_DEP_1)
	v_rcp_iflag_f32_e32 v4, v4
	v_mul_f32_e32 v4, 0x4f7ffffe, v4
	s_delay_alu instid0(VALU_DEP_1) | instskip(NEXT) | instid1(VALU_DEP_1)
	v_cvt_u32_f32_e32 v4, v4
	v_readfirstlane_b32 s5, v4
	s_wait_alu 0xfffe
	s_mul_i32 s12, s12, s5
	s_wait_alu 0xfffe
	s_mul_hi_u32 s12, s5, s12
	s_wait_alu 0xfffe
	s_add_co_i32 s5, s5, s12
	s_wait_alu 0xfffe
	s_mul_hi_u32 s5, s52, s5
	s_wait_alu 0xfffe
	s_mul_i32 s5, s5, s44
	s_wait_alu 0xfffe
	s_sub_co_i32 s5, s52, s5
	s_wait_alu 0xfffe
	s_sub_co_i32 s12, s5, s44
	s_cmp_ge_u32 s5, s44
	s_wait_alu 0xfffe
	s_cselect_b32 s5, s12, s5
	s_wait_alu 0xfffe
	s_sub_co_i32 s12, s5, s44
	s_cmp_ge_u32 s5, s44
	s_wait_alu 0xfffe
	s_cselect_b32 s24, s12, s5
	s_wait_alu 0xfffe
	s_mov_b64 s[12:13], s[24:25]
.LBB52_175:                             ;   in Loop: Header=BB52_7 Depth=1
	s_wait_alu 0xfffe
	s_sub_nc_u64 s[12:13], s[52:53], s[12:13]
	s_mov_b32 s24, 0
	s_mov_b32 s5, 0
	s_mov_b32 s61, exec_lo
                                        ; implicit-def: $vgpr25
	s_wait_alu 0xfffe
	v_cmpx_gt_i64_e64 s[12:13], v[0:1]
	s_cbranch_execz .LBB52_187
; %bb.176:                              ;   in Loop: Header=BB52_7 Depth=1
	v_dual_mov_b32 v4, v10 :: v_dual_mov_b32 v5, v11
	v_dual_mov_b32 v7, v1 :: v_dual_mov_b32 v6, v0
	s_mov_b32 s62, 0
                                        ; implicit-def: $sgpr63
	s_branch .LBB52_180
.LBB52_177:                             ;   in Loop: Header=BB52_180 Depth=2
	s_wait_alu 0xfffe
	s_or_b32 exec_lo, exec_lo, s5
	s_wait_loadcnt_dscnt 0x0
	s_barrier_signal -1
	s_barrier_wait -1
	global_inv scope:SCOPE_SE
	ds_load_b64 v[24:25], v13 offset:3072
	s_wait_loadcnt_dscnt 0x0
	s_barrier_signal -1
	s_barrier_wait -1
	global_inv scope:SCOPE_SE
	v_cmp_neq_f32_e32 vcc_lo, 0, v24
	s_cbranch_vccnz .LBB52_183
; %bb.178:                              ;   in Loop: Header=BB52_180 Depth=2
	v_add_co_u32 v6, vcc_lo, v6, s44
	s_wait_alu 0xfffd
	v_add_co_ci_u32_e64 v7, null, 0, v7, vcc_lo
	v_add_co_u32 v4, s5, v4, s46
	s_wait_alu 0xf1ff
	v_add_co_ci_u32_e64 v5, null, s47, v5, s5
	s_delay_alu instid0(VALU_DEP_3)
	v_cmp_le_i64_e32 vcc_lo, s[12:13], v[6:7]
	s_mov_b32 s5, 0
	s_or_not1_b32 s64, vcc_lo, exec_lo
.LBB52_179:                             ;   in Loop: Header=BB52_180 Depth=2
	s_wait_alu 0xfffe
	s_and_b32 s64, exec_lo, s64
	s_wait_alu 0xfffe
	s_or_b32 s62, s64, s62
	s_and_not1_b32 s63, s63, exec_lo
	s_and_b32 s5, s5, exec_lo
	s_wait_alu 0xfffe
	s_or_b32 s63, s63, s5
	s_and_not1_b32 exec_lo, exec_lo, s62
	s_cbranch_execz .LBB52_186
.LBB52_180:                             ;   Parent Loop BB52_7 Depth=1
                                        ; =>  This Inner Loop Header: Depth=2
	s_mov_b32 s5, exec_lo
	s_delay_alu instid0(VALU_DEP_1)
	v_cmpx_gt_i64_e64 s[36:37], v[6:7]
	s_cbranch_execz .LBB52_177
; %bb.181:                              ;   in Loop: Header=BB52_180 Depth=2
	global_load_b32 v24, v[4:5], off
	s_wait_loadcnt 0x0
	v_cmp_lt_i32_e32 vcc_lo, -1, v24
	s_wait_alu 0xfffd
	v_cndmask_b32_e64 v8, -1, 0x80000000, vcc_lo
	v_cmp_o_f32_e32 vcc_lo, v24, v24
	s_delay_alu instid0(VALU_DEP_2) | instskip(SKIP_1) | instid1(VALU_DEP_1)
	v_xor_b32_e32 v8, v8, v24
	s_wait_alu 0xfffd
	v_cndmask_b32_e32 v8, -1, v8, vcc_lo
	s_delay_alu instid0(VALU_DEP_1) | instskip(NEXT) | instid1(VALU_DEP_1)
	v_and_b32_e32 v8, v8, v43
	v_cmp_eq_u32_e32 vcc_lo, v8, v19
	s_and_b32 exec_lo, exec_lo, vcc_lo
	s_cbranch_execz .LBB52_177
; %bb.182:                              ;   in Loop: Header=BB52_180 Depth=2
	ds_store_b64 v13, v[23:24] offset:3072
	s_branch .LBB52_177
.LBB52_183:                             ;   in Loop: Header=BB52_180 Depth=2
	s_mov_b32 s64, -1
	s_mov_b32 s5, -1
                                        ; implicit-def: $vgpr6_vgpr7
                                        ; implicit-def: $vgpr4_vgpr5
	s_branch .LBB52_179
.LBB52_184:                             ;   in Loop: Header=BB52_7 Depth=1
                                        ; implicit-def: $sgpr12_sgpr13
	s_branch .LBB52_126
.LBB52_185:                             ;   in Loop: Header=BB52_7 Depth=1
                                        ; implicit-def: $sgpr14_sgpr15
	s_branch .LBB52_143
.LBB52_186:                             ;   in Loop: Header=BB52_7 Depth=1
	s_or_b32 exec_lo, exec_lo, s62
	s_wait_alu 0xfffe
	s_and_b32 s5, s63, exec_lo
.LBB52_187:                             ;   in Loop: Header=BB52_7 Depth=1
	s_or_b32 exec_lo, exec_lo, s61
.LBB52_188:                             ;   in Loop: Header=BB52_7 Depth=1
	s_delay_alu instid0(SALU_CYCLE_1)
	s_and_b32 vcc_lo, exec_lo, s24
	s_wait_alu 0xfffe
	s_cbranch_vccz .LBB52_203
; %bb.189:                              ;   in Loop: Header=BB52_7 Depth=1
	s_add_nc_u64 s[12:13], s[10:11], s[50:51]
	s_mov_b32 s14, s25
	s_wait_alu 0xfffe
	s_mov_b32 s15, s13
	s_delay_alu instid0(SALU_CYCLE_1)
	s_cmp_lg_u64 s[14:15], 0
	s_cbranch_scc0 .LBB52_232
; %bb.190:                              ;   in Loop: Header=BB52_7 Depth=1
	s_add_nc_u64 s[14:15], s[44:45], 0
	s_delay_alu instid0(SALU_CYCLE_1) | instskip(NEXT) | instid1(SALU_CYCLE_1)
	s_xor_b64 s[14:15], s[14:15], 0
	s_cvt_f32_u32 s24, s14
	s_cvt_f32_u32 s61, s15
	s_sub_nc_u64 s[64:65], 0, s[14:15]
	s_wait_alu 0xfffe
	s_delay_alu instid0(SALU_CYCLE_1) | instskip(SKIP_1) | instid1(SALU_CYCLE_2)
	s_fmamk_f32 s24, s61, 0x4f800000, s24
	s_wait_alu 0xfffe
	v_s_rcp_f32 s24, s24
	s_delay_alu instid0(TRANS32_DEP_1) | instskip(SKIP_1) | instid1(SALU_CYCLE_2)
	s_mul_f32 s24, s24, 0x5f7ffffc
	s_wait_alu 0xfffe
	s_mul_f32 s61, s24, 0x2f800000
	s_wait_alu 0xfffe
	s_delay_alu instid0(SALU_CYCLE_2) | instskip(SKIP_1) | instid1(SALU_CYCLE_2)
	s_trunc_f32 s61, s61
	s_wait_alu 0xfffe
	s_fmamk_f32 s24, s61, 0xcf800000, s24
	s_cvt_u32_f32 s63, s61
	s_wait_alu 0xfffe
	s_delay_alu instid0(SALU_CYCLE_1) | instskip(SKIP_1) | instid1(SALU_CYCLE_2)
	s_cvt_u32_f32 s62, s24
	s_wait_alu 0xfffe
	s_mul_u64 s[66:67], s[64:65], s[62:63]
	s_wait_alu 0xfffe
	s_mul_hi_u32 s69, s62, s67
	s_mul_i32 s68, s62, s67
	s_mul_hi_u32 s24, s62, s66
	s_mul_i32 s70, s63, s66
	s_wait_alu 0xfffe
	s_add_nc_u64 s[68:69], s[24:25], s[68:69]
	s_mul_hi_u32 s61, s63, s66
	s_mul_hi_u32 s71, s63, s67
	s_wait_alu 0xfffe
	s_add_co_u32 s24, s68, s70
	s_add_co_ci_u32 s24, s69, s61
	s_mul_i32 s66, s63, s67
	s_add_co_ci_u32 s67, s71, 0
	s_wait_alu 0xfffe
	s_add_nc_u64 s[66:67], s[24:25], s[66:67]
	s_wait_alu 0xfffe
	s_add_co_u32 s62, s62, s66
	s_cselect_b32 s24, -1, 0
	s_wait_alu 0xfffe
	s_cmp_lg_u32 s24, 0
	s_add_co_ci_u32 s63, s63, s67
	s_wait_alu 0xfffe
	s_mul_u64 s[64:65], s[64:65], s[62:63]
	s_wait_alu 0xfffe
	s_mul_hi_u32 s67, s62, s65
	s_mul_i32 s66, s62, s65
	s_mul_hi_u32 s24, s62, s64
	s_mul_i32 s68, s63, s64
	s_wait_alu 0xfffe
	s_add_nc_u64 s[66:67], s[24:25], s[66:67]
	s_mul_hi_u32 s61, s63, s64
	s_mul_hi_u32 s69, s63, s65
	s_wait_alu 0xfffe
	s_add_co_u32 s24, s66, s68
	s_add_co_ci_u32 s24, s67, s61
	s_mul_i32 s64, s63, s65
	s_add_co_ci_u32 s65, s69, 0
	s_wait_alu 0xfffe
	s_add_nc_u64 s[64:65], s[24:25], s[64:65]
	s_wait_alu 0xfffe
	s_add_co_u32 s61, s62, s64
	s_cselect_b32 s24, -1, 0
	s_wait_alu 0xfffe
	s_cmp_lg_u32 s24, 0
	s_add_co_ci_u32 s68, s63, s65
	s_ashr_i32 s62, s13, 31
	s_wait_alu 0xfffe
	s_mov_b32 s63, s62
	s_wait_alu 0xfffe
	s_add_nc_u64 s[64:65], s[12:13], s[62:63]
	s_wait_alu 0xfffe
	s_xor_b64 s[64:65], s[64:65], s[62:63]
	s_wait_alu 0xfffe
	s_mul_hi_u32 s67, s64, s68
	s_mul_i32 s66, s64, s68
	s_mul_hi_u32 s24, s64, s61
	s_mul_hi_u32 s70, s65, s61
	s_mul_i32 s61, s65, s61
	s_wait_alu 0xfffe
	s_add_nc_u64 s[66:67], s[24:25], s[66:67]
	s_mul_hi_u32 s69, s65, s68
	s_wait_alu 0xfffe
	s_add_co_u32 s24, s66, s61
	s_add_co_ci_u32 s24, s67, s70
	s_mul_i32 s68, s65, s68
	s_add_co_ci_u32 s69, s69, 0
	s_wait_alu 0xfffe
	s_add_nc_u64 s[66:67], s[24:25], s[68:69]
	s_wait_alu 0xfffe
	s_mul_u64 s[66:67], s[14:15], s[66:67]
	s_wait_alu 0xfffe
	s_sub_co_u32 s24, s64, s66
	s_cselect_b32 s61, -1, 0
	s_sub_co_i32 s64, s65, s67
	s_wait_alu 0xfffe
	s_cmp_lg_u32 s61, 0
	s_sub_co_ci_u32 s64, s64, s15
	s_sub_co_u32 s66, s24, s14
	s_cselect_b32 s68, -1, 0
	s_wait_alu 0xfffe
	s_cmp_lg_u32 s68, 0
	s_sub_co_ci_u32 s69, s64, 0
	s_wait_alu 0xfffe
	s_cmp_ge_u32 s69, s15
	s_cselect_b32 s70, -1, 0
	s_cmp_ge_u32 s66, s14
	s_cselect_b32 s71, -1, 0
	s_cmp_eq_u32 s69, s15
	s_wait_alu 0xfffe
	s_cselect_b32 s70, s71, s70
	s_cmp_lg_u32 s68, 0
	s_sub_co_ci_u32 s64, s64, s15
	s_sub_co_u32 s68, s66, s14
	s_cselect_b32 s71, -1, 0
	s_wait_alu 0xfffe
	s_cmp_lg_u32 s71, 0
	s_sub_co_ci_u32 s64, s64, 0
	s_cmp_lg_u32 s70, 0
	s_cselect_b32 s66, s68, s66
	s_wait_alu 0xfffe
	s_cselect_b32 s64, s64, s69
	s_cmp_lg_u32 s61, 0
	s_sub_co_ci_u32 s61, s65, s67
	s_wait_alu 0xfffe
	s_cmp_ge_u32 s61, s15
	s_cselect_b32 s65, -1, 0
	s_cmp_ge_u32 s24, s14
	s_cselect_b32 s14, -1, 0
	s_cmp_eq_u32 s61, s15
	s_wait_alu 0xfffe
	s_cselect_b32 s14, s14, s65
	s_delay_alu instid0(SALU_CYCLE_1) | instskip(SKIP_2) | instid1(SALU_CYCLE_1)
	s_cmp_lg_u32 s14, 0
	s_cselect_b32 s15, s64, s61
	s_cselect_b32 s14, s66, s24
	s_xor_b64 s[14:15], s[14:15], s[62:63]
	s_delay_alu instid0(SALU_CYCLE_1)
	s_sub_nc_u64 s[14:15], s[14:15], s[62:63]
	s_cbranch_execnz .LBB52_192
.LBB52_191:                             ;   in Loop: Header=BB52_7 Depth=1
	v_cvt_f32_u32_e32 v4, s44
	s_sub_co_i32 s15, 0, s44
	s_delay_alu instid0(VALU_DEP_1) | instskip(NEXT) | instid1(TRANS32_DEP_1)
	v_rcp_iflag_f32_e32 v4, v4
	v_mul_f32_e32 v4, 0x4f7ffffe, v4
	s_delay_alu instid0(VALU_DEP_1) | instskip(NEXT) | instid1(VALU_DEP_1)
	v_cvt_u32_f32_e32 v4, v4
	v_readfirstlane_b32 s14, v4
	s_mul_i32 s15, s15, s14
	s_delay_alu instid0(SALU_CYCLE_1) | instskip(NEXT) | instid1(SALU_CYCLE_1)
	s_mul_hi_u32 s15, s14, s15
	s_add_co_i32 s14, s14, s15
	s_delay_alu instid0(SALU_CYCLE_1) | instskip(NEXT) | instid1(SALU_CYCLE_1)
	s_mul_hi_u32 s14, s12, s14
	s_mul_i32 s14, s14, s44
	s_delay_alu instid0(SALU_CYCLE_1) | instskip(NEXT) | instid1(SALU_CYCLE_1)
	s_sub_co_i32 s14, s12, s14
	s_sub_co_i32 s15, s14, s44
	s_cmp_ge_u32 s14, s44
	s_cselect_b32 s14, s15, s14
	s_delay_alu instid0(SALU_CYCLE_1)
	s_sub_co_i32 s15, s14, s44
	s_cmp_ge_u32 s14, s44
	s_cselect_b32 s24, s15, s14
	s_wait_alu 0xfffe
	s_mov_b64 s[14:15], s[24:25]
.LBB52_192:                             ;   in Loop: Header=BB52_7 Depth=1
	s_delay_alu instid0(SALU_CYCLE_1)
	s_sub_nc_u64 s[12:13], s[12:13], s[14:15]
	s_mov_b32 s14, exec_lo
                                        ; implicit-def: $vgpr25
	s_wait_alu 0xfffe
	v_cmpx_gt_i64_e64 s[12:13], v[0:1]
	s_cbranch_execz .LBB52_202
; %bb.193:                              ;   in Loop: Header=BB52_7 Depth=1
	v_dual_mov_b32 v6, v14 :: v_dual_mov_b32 v5, v1
	v_mov_b32_e32 v4, v0
	s_mov_b32 s15, 0
                                        ; implicit-def: $sgpr24
	s_branch .LBB52_197
.LBB52_194:                             ;   in Loop: Header=BB52_197 Depth=2
	s_wait_alu 0xfffe
	s_or_b32 exec_lo, exec_lo, s61
	s_wait_loadcnt_dscnt 0x0
	s_barrier_signal -1
	s_barrier_wait -1
	global_inv scope:SCOPE_SE
	ds_load_b64 v[24:25], v13 offset:3072
	s_wait_loadcnt_dscnt 0x0
	s_barrier_signal -1
	s_barrier_wait -1
	global_inv scope:SCOPE_SE
	v_cmp_eq_f32_e32 vcc_lo, 0, v24
	s_cbranch_vccz .LBB52_200
; %bb.195:                              ;   in Loop: Header=BB52_197 Depth=2
	v_add_co_u32 v4, vcc_lo, v4, s44
	s_wait_alu 0xfffd
	v_add_co_ci_u32_e64 v5, null, 0, v5, vcc_lo
	v_add_nc_u32_e32 v6, s86, v6
	s_mov_b32 s61, 0
	s_delay_alu instid0(VALU_DEP_2)
	v_cmp_le_i64_e32 vcc_lo, s[12:13], v[4:5]
	s_or_not1_b32 s62, vcc_lo, exec_lo
.LBB52_196:                             ;   in Loop: Header=BB52_197 Depth=2
	s_wait_alu 0xfffe
	s_and_b32 s62, exec_lo, s62
	s_wait_alu 0xfffe
	s_or_b32 s15, s62, s15
	s_and_not1_b32 s24, s24, exec_lo
	s_and_b32 s61, s61, exec_lo
	s_wait_alu 0xfffe
	s_or_b32 s24, s24, s61
	s_and_not1_b32 exec_lo, exec_lo, s15
	s_cbranch_execz .LBB52_201
.LBB52_197:                             ;   Parent Loop BB52_7 Depth=1
                                        ; =>  This Inner Loop Header: Depth=2
	s_mov_b32 s61, exec_lo
	s_delay_alu instid0(VALU_DEP_1)
	v_cmpx_gt_u64_e64 s[10:11], v[4:5]
	s_cbranch_execz .LBB52_194
; %bb.198:                              ;   in Loop: Header=BB52_197 Depth=2
	ds_load_b32 v24, v6
	s_wait_dscnt 0x0
	v_cmp_lt_i32_e32 vcc_lo, -1, v24
	s_wait_alu 0xfffd
	v_cndmask_b32_e64 v7, -1, 0x80000000, vcc_lo
	v_cmp_o_f32_e32 vcc_lo, v24, v24
	s_delay_alu instid0(VALU_DEP_2) | instskip(SKIP_1) | instid1(VALU_DEP_1)
	v_xor_b32_e32 v7, v7, v24
	s_wait_alu 0xfffd
	v_cndmask_b32_e32 v7, -1, v7, vcc_lo
	s_delay_alu instid0(VALU_DEP_1) | instskip(NEXT) | instid1(VALU_DEP_1)
	v_and_b32_e32 v7, v7, v43
	v_cmp_eq_u32_e32 vcc_lo, v7, v19
	s_and_b32 exec_lo, exec_lo, vcc_lo
	s_cbranch_execz .LBB52_194
; %bb.199:                              ;   in Loop: Header=BB52_197 Depth=2
	ds_store_b64 v13, v[23:24] offset:3072
	s_branch .LBB52_194
.LBB52_200:                             ;   in Loop: Header=BB52_197 Depth=2
	s_mov_b32 s62, -1
	s_mov_b32 s61, -1
                                        ; implicit-def: $vgpr4_vgpr5
                                        ; implicit-def: $vgpr6
	s_branch .LBB52_196
.LBB52_201:                             ;   in Loop: Header=BB52_7 Depth=1
	s_or_b32 exec_lo, exec_lo, s15
	s_delay_alu instid0(SALU_CYCLE_1)
	s_and_not1_b32 s5, s5, exec_lo
	s_wait_alu 0xfffe
	s_and_b32 s10, s24, exec_lo
	s_wait_alu 0xfffe
	s_or_b32 s5, s5, s10
.LBB52_202:                             ;   in Loop: Header=BB52_7 Depth=1
	s_or_b32 exec_lo, exec_lo, s14
	s_mov_b32 s14, 0
	s_mov_b32 s15, -1
.LBB52_203:                             ;   in Loop: Header=BB52_7 Depth=1
	s_wait_alu 0xfffe
	s_or_not1_b32 s5, s5, exec_lo
.LBB52_204:                             ;   in Loop: Header=BB52_7 Depth=1
	s_wait_alu 0xfffe
	s_or_b32 exec_lo, exec_lo, s59
	s_mov_b32 s10, 0
	s_and_saveexec_b32 s59, s5
	s_cbranch_execz .LBB52_264
; %bb.205:                              ;   in Loop: Header=BB52_7 Depth=1
	v_mov_b32_e32 v4, 1
	v_dual_mov_b32 v5, 0 :: v_dual_mov_b32 v12, 1
	s_xor_b32 s11, s60, -1
	s_wait_alu 0xfffe
	s_and_saveexec_b32 s5, s11
	s_cbranch_execz .LBB52_214
; %bb.206:                              ;   in Loop: Header=BB52_7 Depth=1
	s_mov_b32 s10, exec_lo
	v_cmpx_ge_i64_e64 s[8:9], v[2:3]
	s_wait_alu 0xfffe
	s_xor_b32 s10, exec_lo, s10
	s_cbranch_execz .LBB52_211
; %bb.207:                              ;   in Loop: Header=BB52_7 Depth=1
	ds_load_b64 v[4:5], v13 offset:5120
	s_lshl_b32 s11, 2, s87
	v_or_b32_e32 v43, s16, v43
	s_wait_alu 0xfffe
	v_and_or_b32 v19, v19, s20, s11
	s_wait_dscnt 0x0
	v_cmp_ne_u64_e32 vcc_lo, 0, v[4:5]
	s_cbranch_vccnz .LBB52_211
; %bb.208:                              ;   in Loop: Header=BB52_7 Depth=1
	s_and_saveexec_b32 s11, s2
; %bb.209:                              ;   in Loop: Header=BB52_7 Depth=1
	v_dual_mov_b32 v4, s8 :: v_dual_mov_b32 v5, s9
	ds_store_b64 v13, v[4:5] offset:5128
; %bb.210:                              ;   in Loop: Header=BB52_7 Depth=1
	s_wait_alu 0xfffe
	s_or_b32 exec_lo, exec_lo, s11
	s_wait_loadcnt_dscnt 0x0
	s_barrier_signal -1
	s_barrier_wait -1
	global_inv scope:SCOPE_SE
.LBB52_211:                             ;   in Loop: Header=BB52_7 Depth=1
	s_wait_alu 0xfffe
	s_or_saveexec_b32 s10, s10
	v_mov_b32_e32 v12, 8
	s_mov_b32 s11, 0
	s_wait_alu 0xfffe
	s_xor_b32 exec_lo, exec_lo, s10
; %bb.212:                              ;   in Loop: Header=BB52_7 Depth=1
	v_sub_co_u32 v2, vcc_lo, v2, s8
	s_wait_alu 0xfffd
	v_subrev_co_ci_u32_e64 v3, null, s9, v3, vcc_lo
	v_mov_b32_e32 v12, 0
	s_mov_b32 s11, exec_lo
; %bb.213:                              ;   in Loop: Header=BB52_7 Depth=1
	s_or_b32 exec_lo, exec_lo, s10
	s_delay_alu instid0(VALU_DEP_2)
	v_dual_mov_b32 v5, v3 :: v_dual_mov_b32 v4, v2
	s_wait_alu 0xfffe
	s_and_b32 s10, s11, exec_lo
.LBB52_214:                             ;   in Loop: Header=BB52_7 Depth=1
	s_wait_alu 0xfffe
	s_or_b32 exec_lo, exec_lo, s5
	s_mov_b32 s5, -1
                                        ; implicit-def: $sgpr13
                                        ; implicit-def: $sgpr12
	s_and_saveexec_b32 s20, s10
	s_cbranch_execz .LBB52_263
; %bb.215:                              ;   in Loop: Header=BB52_7 Depth=1
	v_cmp_eq_u64_e32 vcc_lo, 1, v[4:5]
	s_cmp_eq_u64 s[6:7], 1
	s_mov_b32 s8, -1
	s_cselect_b32 s5, -1, 0
                                        ; implicit-def: $sgpr13
                                        ; implicit-def: $sgpr12
	s_wait_alu 0xfffe
	s_and_b32 s60, s5, vcc_lo
	s_wait_alu 0xfffe
	s_and_saveexec_b32 s61, s60
	s_cbranch_execz .LBB52_251
; %bb.216:                              ;   in Loop: Header=BB52_7 Depth=1
	ds_load_b64 v[2:3], v13 offset:5120
	s_wait_loadcnt_dscnt 0x0
	s_barrier_signal -1
	s_barrier_wait -1
	global_inv scope:SCOPE_SE
	v_readfirstlane_b32 s8, v2
	v_readfirstlane_b32 s9, v3
	s_and_saveexec_b32 s5, s3
; %bb.217:                              ;   in Loop: Header=BB52_7 Depth=1
	ds_store_b32 v33, v13
; %bb.218:                              ;   in Loop: Header=BB52_7 Depth=1
	s_wait_alu 0xfffe
	s_or_b32 exec_lo, exec_lo, s5
	v_cmp_gt_i64_e64 s5, s[8:9], 0
	v_or_b32_e32 v19, s16, v19
	v_or_b32_e32 v43, s16, v43
	s_mov_b32 s12, -1
	s_mov_b32 s13, 0
	s_mov_b32 s24, -1
	s_and_b32 vcc_lo, exec_lo, s5
	s_mov_b32 s5, 0
	s_wait_loadcnt_dscnt 0x0
	s_barrier_signal -1
	s_barrier_wait -1
	global_inv scope:SCOPE_SE
                                        ; implicit-def: $vgpr25
	s_wait_alu 0xfffe
	s_cbranch_vccnz .LBB52_235
; %bb.219:                              ;   in Loop: Header=BB52_7 Depth=1
	s_mov_b32 s10, s25
	s_mov_b32 s11, s53
	s_wait_alu 0xfffe
	s_cmp_lg_u64 s[10:11], 0
	s_cbranch_scc0 .LBB52_270
; %bb.220:                              ;   in Loop: Header=BB52_7 Depth=1
	s_add_nc_u64 s[10:11], s[44:45], 0
	s_wait_alu 0xfffe
	s_xor_b64 s[10:11], s[10:11], 0
	s_wait_alu 0xfffe
	s_cvt_f32_u32 s5, s10
	s_cvt_f32_u32 s24, s11
	s_sub_nc_u64 s[64:65], 0, s[10:11]
	s_wait_alu 0xfffe
	s_delay_alu instid0(SALU_CYCLE_1) | instskip(SKIP_1) | instid1(SALU_CYCLE_2)
	s_fmamk_f32 s5, s24, 0x4f800000, s5
	s_wait_alu 0xfffe
	v_s_rcp_f32 s5, s5
	s_delay_alu instid0(TRANS32_DEP_1) | instskip(SKIP_1) | instid1(SALU_CYCLE_2)
	s_mul_f32 s5, s5, 0x5f7ffffc
	s_wait_alu 0xfffe
	s_mul_f32 s24, s5, 0x2f800000
	s_wait_alu 0xfffe
	s_delay_alu instid0(SALU_CYCLE_2) | instskip(SKIP_1) | instid1(SALU_CYCLE_2)
	s_trunc_f32 s24, s24
	s_wait_alu 0xfffe
	s_fmamk_f32 s5, s24, 0xcf800000, s5
	s_cvt_u32_f32 s63, s24
	s_wait_alu 0xfffe
	s_delay_alu instid0(SALU_CYCLE_1) | instskip(SKIP_1) | instid1(SALU_CYCLE_2)
	s_cvt_u32_f32 s62, s5
	s_wait_alu 0xfffe
	s_mul_u64 s[66:67], s[64:65], s[62:63]
	s_wait_alu 0xfffe
	s_mul_hi_u32 s69, s62, s67
	s_mul_i32 s68, s62, s67
	s_mul_hi_u32 s24, s62, s66
	s_mul_i32 s70, s63, s66
	s_wait_alu 0xfffe
	s_add_nc_u64 s[68:69], s[24:25], s[68:69]
	s_mul_hi_u32 s5, s63, s66
	s_mul_hi_u32 s71, s63, s67
	s_wait_alu 0xfffe
	s_add_co_u32 s24, s68, s70
	s_add_co_ci_u32 s24, s69, s5
	s_mul_i32 s66, s63, s67
	s_add_co_ci_u32 s67, s71, 0
	s_wait_alu 0xfffe
	s_add_nc_u64 s[66:67], s[24:25], s[66:67]
	s_wait_alu 0xfffe
	s_add_co_u32 s62, s62, s66
	s_cselect_b32 s5, -1, 0
	s_wait_alu 0xfffe
	s_cmp_lg_u32 s5, 0
	s_add_co_ci_u32 s63, s63, s67
	s_wait_alu 0xfffe
	s_mul_u64 s[64:65], s[64:65], s[62:63]
	s_wait_alu 0xfffe
	s_mul_hi_u32 s67, s62, s65
	s_mul_i32 s66, s62, s65
	s_mul_hi_u32 s24, s62, s64
	s_mul_i32 s68, s63, s64
	s_wait_alu 0xfffe
	s_add_nc_u64 s[66:67], s[24:25], s[66:67]
	s_mul_hi_u32 s5, s63, s64
	s_mul_hi_u32 s69, s63, s65
	s_wait_alu 0xfffe
	s_add_co_u32 s24, s66, s68
	s_add_co_ci_u32 s24, s67, s5
	s_mul_i32 s64, s63, s65
	s_add_co_ci_u32 s65, s69, 0
	s_wait_alu 0xfffe
	s_add_nc_u64 s[64:65], s[24:25], s[64:65]
	s_wait_alu 0xfffe
	s_add_co_u32 s5, s62, s64
	s_cselect_b32 s24, -1, 0
	s_wait_alu 0xfffe
	s_cmp_lg_u32 s24, 0
	s_add_co_ci_u32 s68, s63, s65
	s_ashr_i32 s62, s53, 31
	s_wait_alu 0xfffe
	s_mov_b32 s63, s62
	s_wait_alu 0xfffe
	s_add_nc_u64 s[64:65], s[52:53], s[62:63]
	s_wait_alu 0xfffe
	s_xor_b64 s[64:65], s[64:65], s[62:63]
	s_wait_alu 0xfffe
	s_mul_hi_u32 s67, s64, s68
	s_mul_i32 s66, s64, s68
	s_mul_hi_u32 s24, s64, s5
	s_mul_hi_u32 s70, s65, s5
	s_mul_i32 s5, s65, s5
	s_wait_alu 0xfffe
	s_add_nc_u64 s[66:67], s[24:25], s[66:67]
	s_mul_hi_u32 s69, s65, s68
	s_wait_alu 0xfffe
	s_add_co_u32 s5, s66, s5
	s_add_co_ci_u32 s24, s67, s70
	s_mul_i32 s68, s65, s68
	s_add_co_ci_u32 s69, s69, 0
	s_wait_alu 0xfffe
	s_add_nc_u64 s[66:67], s[24:25], s[68:69]
	s_wait_alu 0xfffe
	s_mul_u64 s[66:67], s[10:11], s[66:67]
	s_wait_alu 0xfffe
	s_sub_co_u32 s5, s64, s66
	s_cselect_b32 s24, -1, 0
	s_sub_co_i32 s64, s65, s67
	s_wait_alu 0xfffe
	s_cmp_lg_u32 s24, 0
	s_sub_co_ci_u32 s64, s64, s11
	s_sub_co_u32 s66, s5, s10
	s_cselect_b32 s68, -1, 0
	s_wait_alu 0xfffe
	s_cmp_lg_u32 s68, 0
	s_sub_co_ci_u32 s69, s64, 0
	s_wait_alu 0xfffe
	s_cmp_ge_u32 s69, s11
	s_cselect_b32 s70, -1, 0
	s_cmp_ge_u32 s66, s10
	s_cselect_b32 s71, -1, 0
	s_cmp_eq_u32 s69, s11
	s_wait_alu 0xfffe
	s_cselect_b32 s70, s71, s70
	s_cmp_lg_u32 s68, 0
	s_sub_co_ci_u32 s64, s64, s11
	s_sub_co_u32 s68, s66, s10
	s_cselect_b32 s71, -1, 0
	s_wait_alu 0xfffe
	s_cmp_lg_u32 s71, 0
	s_sub_co_ci_u32 s64, s64, 0
	s_cmp_lg_u32 s70, 0
	s_cselect_b32 s66, s68, s66
	s_wait_alu 0xfffe
	s_cselect_b32 s64, s64, s69
	s_cmp_lg_u32 s24, 0
	s_sub_co_ci_u32 s24, s65, s67
	s_wait_alu 0xfffe
	s_cmp_ge_u32 s24, s11
	s_cselect_b32 s65, -1, 0
	s_cmp_ge_u32 s5, s10
	s_cselect_b32 s10, -1, 0
	s_cmp_eq_u32 s24, s11
	s_wait_alu 0xfffe
	s_cselect_b32 s10, s10, s65
	s_wait_alu 0xfffe
	s_cmp_lg_u32 s10, 0
	s_cselect_b32 s11, s64, s24
	s_cselect_b32 s10, s66, s5
	s_wait_alu 0xfffe
	s_xor_b64 s[10:11], s[10:11], s[62:63]
	s_wait_alu 0xfffe
	s_sub_nc_u64 s[10:11], s[10:11], s[62:63]
	s_cbranch_execnz .LBB52_222
.LBB52_221:                             ;   in Loop: Header=BB52_7 Depth=1
	v_cvt_f32_u32_e32 v2, s44
	s_sub_co_i32 s10, 0, s44
	s_delay_alu instid0(VALU_DEP_1) | instskip(NEXT) | instid1(TRANS32_DEP_1)
	v_rcp_iflag_f32_e32 v2, v2
	v_mul_f32_e32 v2, 0x4f7ffffe, v2
	s_delay_alu instid0(VALU_DEP_1) | instskip(NEXT) | instid1(VALU_DEP_1)
	v_cvt_u32_f32_e32 v2, v2
	v_readfirstlane_b32 s5, v2
	s_wait_alu 0xfffe
	s_mul_i32 s10, s10, s5
	s_wait_alu 0xfffe
	s_mul_hi_u32 s10, s5, s10
	s_wait_alu 0xfffe
	s_add_co_i32 s5, s5, s10
	s_wait_alu 0xfffe
	s_mul_hi_u32 s5, s52, s5
	s_wait_alu 0xfffe
	s_mul_i32 s5, s5, s44
	s_wait_alu 0xfffe
	s_sub_co_i32 s5, s52, s5
	s_wait_alu 0xfffe
	s_sub_co_i32 s10, s5, s44
	s_cmp_ge_u32 s5, s44
	s_wait_alu 0xfffe
	s_cselect_b32 s5, s10, s5
	s_wait_alu 0xfffe
	s_sub_co_i32 s10, s5, s44
	s_cmp_ge_u32 s5, s44
	s_wait_alu 0xfffe
	s_cselect_b32 s24, s10, s5
	s_wait_alu 0xfffe
	s_mov_b64 s[10:11], s[24:25]
.LBB52_222:                             ;   in Loop: Header=BB52_7 Depth=1
	s_wait_alu 0xfffe
	s_sub_nc_u64 s[10:11], s[52:53], s[10:11]
	s_mov_b32 s24, 0
	s_mov_b32 s5, 0
	s_mov_b32 s62, exec_lo
                                        ; implicit-def: $vgpr25
	s_wait_alu 0xfffe
	v_cmpx_gt_i64_e64 s[10:11], v[0:1]
	s_cbranch_execz .LBB52_234
; %bb.223:                              ;   in Loop: Header=BB52_7 Depth=1
	v_dual_mov_b32 v2, v10 :: v_dual_mov_b32 v3, v11
	v_dual_mov_b32 v7, v1 :: v_dual_mov_b32 v6, v0
	s_mov_b32 s63, 0
                                        ; implicit-def: $sgpr64
	s_branch .LBB52_227
.LBB52_224:                             ;   in Loop: Header=BB52_227 Depth=2
	s_wait_alu 0xfffe
	s_or_b32 exec_lo, exec_lo, s5
	s_wait_loadcnt_dscnt 0x0
	s_barrier_signal -1
	s_barrier_wait -1
	global_inv scope:SCOPE_SE
	ds_load_b64 v[24:25], v13 offset:3072
	s_wait_loadcnt_dscnt 0x0
	s_barrier_signal -1
	s_barrier_wait -1
	global_inv scope:SCOPE_SE
	v_cmp_neq_f32_e32 vcc_lo, 0, v24
	s_cbranch_vccnz .LBB52_230
; %bb.225:                              ;   in Loop: Header=BB52_227 Depth=2
	v_add_co_u32 v6, vcc_lo, v6, s44
	s_wait_alu 0xfffd
	v_add_co_ci_u32_e64 v7, null, 0, v7, vcc_lo
	v_add_co_u32 v2, s5, v2, s46
	s_wait_alu 0xf1ff
	v_add_co_ci_u32_e64 v3, null, s47, v3, s5
	s_delay_alu instid0(VALU_DEP_3)
	v_cmp_le_i64_e32 vcc_lo, s[10:11], v[6:7]
	s_mov_b32 s5, 0
	s_or_not1_b32 s65, vcc_lo, exec_lo
.LBB52_226:                             ;   in Loop: Header=BB52_227 Depth=2
	s_wait_alu 0xfffe
	s_and_b32 s65, exec_lo, s65
	s_wait_alu 0xfffe
	s_or_b32 s63, s65, s63
	s_and_not1_b32 s64, s64, exec_lo
	s_and_b32 s5, s5, exec_lo
	s_wait_alu 0xfffe
	s_or_b32 s64, s64, s5
	s_and_not1_b32 exec_lo, exec_lo, s63
	s_cbranch_execz .LBB52_233
.LBB52_227:                             ;   Parent Loop BB52_7 Depth=1
                                        ; =>  This Inner Loop Header: Depth=2
	s_mov_b32 s5, exec_lo
	s_delay_alu instid0(VALU_DEP_1)
	v_cmpx_gt_i64_e64 s[36:37], v[6:7]
	s_cbranch_execz .LBB52_224
; %bb.228:                              ;   in Loop: Header=BB52_227 Depth=2
	global_load_b32 v24, v[2:3], off
	s_wait_loadcnt 0x0
	v_cmp_lt_i32_e32 vcc_lo, -1, v24
	s_wait_alu 0xfffd
	v_cndmask_b32_e64 v8, -1, 0x80000000, vcc_lo
	v_cmp_o_f32_e32 vcc_lo, v24, v24
	s_delay_alu instid0(VALU_DEP_2) | instskip(SKIP_1) | instid1(VALU_DEP_1)
	v_xor_b32_e32 v8, v8, v24
	s_wait_alu 0xfffd
	v_cndmask_b32_e32 v8, -1, v8, vcc_lo
	s_delay_alu instid0(VALU_DEP_1) | instskip(NEXT) | instid1(VALU_DEP_1)
	v_and_b32_e32 v8, v8, v43
	v_cmp_eq_u32_e32 vcc_lo, v8, v19
	s_and_b32 exec_lo, exec_lo, vcc_lo
	s_cbranch_execz .LBB52_224
; %bb.229:                              ;   in Loop: Header=BB52_227 Depth=2
	ds_store_b64 v13, v[23:24] offset:3072
	s_branch .LBB52_224
.LBB52_230:                             ;   in Loop: Header=BB52_227 Depth=2
	s_mov_b32 s65, -1
	s_mov_b32 s5, -1
                                        ; implicit-def: $vgpr6_vgpr7
                                        ; implicit-def: $vgpr2_vgpr3
	s_branch .LBB52_226
.LBB52_231:                             ;   in Loop: Header=BB52_7 Depth=1
                                        ; implicit-def: $sgpr12_sgpr13
	s_branch .LBB52_174
.LBB52_232:                             ;   in Loop: Header=BB52_7 Depth=1
                                        ; implicit-def: $sgpr14_sgpr15
	s_branch .LBB52_191
.LBB52_233:                             ;   in Loop: Header=BB52_7 Depth=1
	s_or_b32 exec_lo, exec_lo, s63
	s_wait_alu 0xfffe
	s_and_b32 s5, s64, exec_lo
.LBB52_234:                             ;   in Loop: Header=BB52_7 Depth=1
	s_or_b32 exec_lo, exec_lo, s62
.LBB52_235:                             ;   in Loop: Header=BB52_7 Depth=1
	s_delay_alu instid0(SALU_CYCLE_1)
	s_and_b32 vcc_lo, exec_lo, s24
	s_wait_alu 0xfffe
	s_cbranch_vccz .LBB52_250
; %bb.236:                              ;   in Loop: Header=BB52_7 Depth=1
	s_add_nc_u64 s[10:11], s[8:9], s[50:51]
	s_mov_b32 s12, s25
	s_wait_alu 0xfffe
	s_mov_b32 s13, s11
	s_wait_alu 0xfffe
	s_cmp_lg_u64 s[12:13], 0
	s_cbranch_scc0 .LBB52_271
; %bb.237:                              ;   in Loop: Header=BB52_7 Depth=1
	s_add_nc_u64 s[12:13], s[44:45], 0
	s_wait_alu 0xfffe
	s_xor_b64 s[12:13], s[12:13], 0
	s_wait_alu 0xfffe
	s_cvt_f32_u32 s24, s12
	s_cvt_f32_u32 s62, s13
	s_sub_nc_u64 s[64:65], 0, s[12:13]
	s_wait_alu 0xfffe
	s_delay_alu instid0(SALU_CYCLE_1) | instskip(SKIP_1) | instid1(SALU_CYCLE_2)
	s_fmamk_f32 s24, s62, 0x4f800000, s24
	s_wait_alu 0xfffe
	v_s_rcp_f32 s24, s24
	s_delay_alu instid0(TRANS32_DEP_1) | instskip(SKIP_1) | instid1(SALU_CYCLE_2)
	s_mul_f32 s24, s24, 0x5f7ffffc
	s_wait_alu 0xfffe
	s_mul_f32 s62, s24, 0x2f800000
	s_wait_alu 0xfffe
	s_delay_alu instid0(SALU_CYCLE_2) | instskip(SKIP_1) | instid1(SALU_CYCLE_2)
	s_trunc_f32 s62, s62
	s_wait_alu 0xfffe
	s_fmamk_f32 s24, s62, 0xcf800000, s24
	s_cvt_u32_f32 s63, s62
	s_wait_alu 0xfffe
	s_delay_alu instid0(SALU_CYCLE_1) | instskip(SKIP_1) | instid1(SALU_CYCLE_2)
	s_cvt_u32_f32 s62, s24
	s_wait_alu 0xfffe
	s_mul_u64 s[66:67], s[64:65], s[62:63]
	s_wait_alu 0xfffe
	s_mul_hi_u32 s69, s62, s67
	s_mul_i32 s68, s62, s67
	s_mul_hi_u32 s24, s62, s66
	s_mul_i32 s71, s63, s66
	s_wait_alu 0xfffe
	s_add_nc_u64 s[68:69], s[24:25], s[68:69]
	s_mul_hi_u32 s70, s63, s66
	s_mul_hi_u32 s72, s63, s67
	s_wait_alu 0xfffe
	s_add_co_u32 s24, s68, s71
	s_add_co_ci_u32 s24, s69, s70
	s_mul_i32 s66, s63, s67
	s_add_co_ci_u32 s67, s72, 0
	s_wait_alu 0xfffe
	s_add_nc_u64 s[66:67], s[24:25], s[66:67]
	s_wait_alu 0xfffe
	s_add_co_u32 s62, s62, s66
	s_cselect_b32 s24, -1, 0
	s_wait_alu 0xfffe
	s_cmp_lg_u32 s24, 0
	s_add_co_ci_u32 s63, s63, s67
	s_wait_alu 0xfffe
	s_mul_u64 s[64:65], s[64:65], s[62:63]
	s_wait_alu 0xfffe
	s_mul_hi_u32 s67, s62, s65
	s_mul_i32 s66, s62, s65
	s_mul_hi_u32 s24, s62, s64
	s_mul_i32 s69, s63, s64
	s_wait_alu 0xfffe
	s_add_nc_u64 s[66:67], s[24:25], s[66:67]
	s_mul_hi_u32 s68, s63, s64
	s_mul_hi_u32 s70, s63, s65
	s_wait_alu 0xfffe
	s_add_co_u32 s24, s66, s69
	s_add_co_ci_u32 s24, s67, s68
	s_mul_i32 s64, s63, s65
	s_add_co_ci_u32 s65, s70, 0
	s_wait_alu 0xfffe
	s_add_nc_u64 s[64:65], s[24:25], s[64:65]
	s_wait_alu 0xfffe
	s_add_co_u32 s68, s62, s64
	s_cselect_b32 s24, -1, 0
	s_wait_alu 0xfffe
	s_cmp_lg_u32 s24, 0
	s_add_co_ci_u32 s69, s63, s65
	s_ashr_i32 s62, s11, 31
	s_wait_alu 0xfffe
	s_mov_b32 s63, s62
	s_wait_alu 0xfffe
	s_add_nc_u64 s[64:65], s[10:11], s[62:63]
	s_wait_alu 0xfffe
	s_xor_b64 s[64:65], s[64:65], s[62:63]
	s_wait_alu 0xfffe
	s_mul_hi_u32 s67, s64, s69
	s_mul_i32 s66, s64, s69
	s_mul_hi_u32 s24, s64, s68
	s_mul_i32 s72, s65, s68
	s_wait_alu 0xfffe
	s_add_nc_u64 s[66:67], s[24:25], s[66:67]
	s_mul_hi_u32 s71, s65, s68
	s_mul_hi_u32 s70, s65, s69
	s_wait_alu 0xfffe
	s_add_co_u32 s24, s66, s72
	s_add_co_ci_u32 s24, s67, s71
	s_mul_i32 s68, s65, s69
	s_add_co_ci_u32 s69, s70, 0
	s_wait_alu 0xfffe
	s_add_nc_u64 s[66:67], s[24:25], s[68:69]
	s_wait_alu 0xfffe
	s_mul_u64 s[66:67], s[12:13], s[66:67]
	s_wait_alu 0xfffe
	s_sub_co_u32 s24, s64, s66
	s_cselect_b32 s64, -1, 0
	s_sub_co_i32 s66, s65, s67
	s_wait_alu 0xfffe
	s_cmp_lg_u32 s64, 0
	s_sub_co_ci_u32 s66, s66, s13
	s_sub_co_u32 s68, s24, s12
	s_cselect_b32 s69, -1, 0
	s_wait_alu 0xfffe
	s_cmp_lg_u32 s69, 0
	s_sub_co_ci_u32 s70, s66, 0
	s_wait_alu 0xfffe
	s_cmp_ge_u32 s70, s13
	s_cselect_b32 s71, -1, 0
	s_cmp_ge_u32 s68, s12
	s_cselect_b32 s72, -1, 0
	s_cmp_eq_u32 s70, s13
	s_wait_alu 0xfffe
	s_cselect_b32 s71, s72, s71
	s_cmp_lg_u32 s69, 0
	s_sub_co_ci_u32 s66, s66, s13
	s_sub_co_u32 s69, s68, s12
	s_cselect_b32 s72, -1, 0
	s_wait_alu 0xfffe
	s_cmp_lg_u32 s72, 0
	s_sub_co_ci_u32 s66, s66, 0
	s_cmp_lg_u32 s71, 0
	s_cselect_b32 s68, s69, s68
	s_wait_alu 0xfffe
	s_cselect_b32 s66, s66, s70
	s_cmp_lg_u32 s64, 0
	s_sub_co_ci_u32 s64, s65, s67
	s_wait_alu 0xfffe
	s_cmp_ge_u32 s64, s13
	s_cselect_b32 s65, -1, 0
	s_cmp_ge_u32 s24, s12
	s_cselect_b32 s12, -1, 0
	s_cmp_eq_u32 s64, s13
	s_wait_alu 0xfffe
	s_cselect_b32 s12, s12, s65
	s_wait_alu 0xfffe
	s_cmp_lg_u32 s12, 0
	s_cselect_b32 s13, s66, s64
	s_cselect_b32 s12, s68, s24
	s_wait_alu 0xfffe
	s_xor_b64 s[12:13], s[12:13], s[62:63]
	s_wait_alu 0xfffe
	s_sub_nc_u64 s[12:13], s[12:13], s[62:63]
	s_cbranch_execnz .LBB52_239
.LBB52_238:                             ;   in Loop: Header=BB52_7 Depth=1
	v_cvt_f32_u32_e32 v2, s44
	s_sub_co_i32 s13, 0, s44
	s_delay_alu instid0(VALU_DEP_1) | instskip(NEXT) | instid1(TRANS32_DEP_1)
	v_rcp_iflag_f32_e32 v2, v2
	v_mul_f32_e32 v2, 0x4f7ffffe, v2
	s_delay_alu instid0(VALU_DEP_1) | instskip(NEXT) | instid1(VALU_DEP_1)
	v_cvt_u32_f32_e32 v2, v2
	v_readfirstlane_b32 s12, v2
	s_wait_alu 0xfffe
	s_mul_i32 s13, s13, s12
	s_wait_alu 0xfffe
	s_mul_hi_u32 s13, s12, s13
	s_wait_alu 0xfffe
	s_add_co_i32 s12, s12, s13
	s_wait_alu 0xfffe
	s_mul_hi_u32 s12, s10, s12
	s_wait_alu 0xfffe
	s_mul_i32 s12, s12, s44
	s_wait_alu 0xfffe
	s_sub_co_i32 s12, s10, s12
	s_wait_alu 0xfffe
	s_sub_co_i32 s13, s12, s44
	s_cmp_ge_u32 s12, s44
	s_wait_alu 0xfffe
	s_cselect_b32 s12, s13, s12
	s_wait_alu 0xfffe
	s_sub_co_i32 s13, s12, s44
	s_cmp_ge_u32 s12, s44
	s_wait_alu 0xfffe
	s_cselect_b32 s24, s13, s12
	s_wait_alu 0xfffe
	s_mov_b64 s[12:13], s[24:25]
.LBB52_239:                             ;   in Loop: Header=BB52_7 Depth=1
	s_wait_alu 0xfffe
	s_sub_nc_u64 s[10:11], s[10:11], s[12:13]
	s_mov_b32 s12, exec_lo
                                        ; implicit-def: $vgpr25
	s_wait_alu 0xfffe
	v_cmpx_gt_i64_e64 s[10:11], v[0:1]
	s_cbranch_execz .LBB52_249
; %bb.240:                              ;   in Loop: Header=BB52_7 Depth=1
	v_dual_mov_b32 v6, v14 :: v_dual_mov_b32 v3, v1
	v_mov_b32_e32 v2, v0
	s_mov_b32 s13, 0
                                        ; implicit-def: $sgpr24
	s_branch .LBB52_244
.LBB52_241:                             ;   in Loop: Header=BB52_244 Depth=2
	s_wait_alu 0xfffe
	s_or_b32 exec_lo, exec_lo, s62
	s_wait_loadcnt_dscnt 0x0
	s_barrier_signal -1
	s_barrier_wait -1
	global_inv scope:SCOPE_SE
	ds_load_b64 v[24:25], v13 offset:3072
	s_wait_loadcnt_dscnt 0x0
	s_barrier_signal -1
	s_barrier_wait -1
	global_inv scope:SCOPE_SE
	v_cmp_eq_f32_e32 vcc_lo, 0, v24
	s_cbranch_vccz .LBB52_247
; %bb.242:                              ;   in Loop: Header=BB52_244 Depth=2
	v_add_co_u32 v2, vcc_lo, v2, s44
	s_wait_alu 0xfffd
	v_add_co_ci_u32_e64 v3, null, 0, v3, vcc_lo
	v_add_nc_u32_e32 v6, s86, v6
	s_mov_b32 s62, 0
	s_delay_alu instid0(VALU_DEP_2)
	v_cmp_le_i64_e32 vcc_lo, s[10:11], v[2:3]
	s_or_not1_b32 s63, vcc_lo, exec_lo
.LBB52_243:                             ;   in Loop: Header=BB52_244 Depth=2
	s_wait_alu 0xfffe
	s_and_b32 s63, exec_lo, s63
	s_wait_alu 0xfffe
	s_or_b32 s13, s63, s13
	s_and_not1_b32 s24, s24, exec_lo
	s_and_b32 s62, s62, exec_lo
	s_wait_alu 0xfffe
	s_or_b32 s24, s24, s62
	s_and_not1_b32 exec_lo, exec_lo, s13
	s_cbranch_execz .LBB52_248
.LBB52_244:                             ;   Parent Loop BB52_7 Depth=1
                                        ; =>  This Inner Loop Header: Depth=2
	s_mov_b32 s62, exec_lo
	s_delay_alu instid0(VALU_DEP_1)
	v_cmpx_gt_u64_e64 s[8:9], v[2:3]
	s_cbranch_execz .LBB52_241
; %bb.245:                              ;   in Loop: Header=BB52_244 Depth=2
	ds_load_b32 v24, v6
	s_wait_dscnt 0x0
	v_cmp_lt_i32_e32 vcc_lo, -1, v24
	s_wait_alu 0xfffd
	v_cndmask_b32_e64 v7, -1, 0x80000000, vcc_lo
	v_cmp_o_f32_e32 vcc_lo, v24, v24
	s_delay_alu instid0(VALU_DEP_2) | instskip(SKIP_1) | instid1(VALU_DEP_1)
	v_xor_b32_e32 v7, v7, v24
	s_wait_alu 0xfffd
	v_cndmask_b32_e32 v7, -1, v7, vcc_lo
	s_delay_alu instid0(VALU_DEP_1) | instskip(NEXT) | instid1(VALU_DEP_1)
	v_and_b32_e32 v7, v7, v43
	v_cmp_eq_u32_e32 vcc_lo, v7, v19
	s_and_b32 exec_lo, exec_lo, vcc_lo
	s_cbranch_execz .LBB52_241
; %bb.246:                              ;   in Loop: Header=BB52_244 Depth=2
	ds_store_b64 v13, v[23:24] offset:3072
	s_branch .LBB52_241
.LBB52_247:                             ;   in Loop: Header=BB52_244 Depth=2
	s_mov_b32 s63, -1
	s_mov_b32 s62, -1
                                        ; implicit-def: $vgpr2_vgpr3
                                        ; implicit-def: $vgpr6
	s_branch .LBB52_243
.LBB52_248:                             ;   in Loop: Header=BB52_7 Depth=1
	s_or_b32 exec_lo, exec_lo, s13
	s_delay_alu instid0(SALU_CYCLE_1)
	s_and_not1_b32 s5, s5, exec_lo
	s_wait_alu 0xfffe
	s_and_b32 s8, s24, exec_lo
	s_wait_alu 0xfffe
	s_or_b32 s5, s5, s8
.LBB52_249:                             ;   in Loop: Header=BB52_7 Depth=1
	s_or_b32 exec_lo, exec_lo, s12
	s_mov_b32 s12, 0
	s_mov_b32 s13, -1
.LBB52_250:                             ;   in Loop: Header=BB52_7 Depth=1
	s_wait_alu 0xfffe
	s_or_not1_b32 s8, s5, exec_lo
.LBB52_251:                             ;   in Loop: Header=BB52_7 Depth=1
	s_wait_alu 0xfffe
	s_or_b32 exec_lo, exec_lo, s61
	s_mov_b32 s9, 0
	s_and_saveexec_b32 s5, s8
	s_cbranch_execz .LBB52_262
; %bb.252:                              ;   in Loop: Header=BB52_7 Depth=1
	v_mov_b32_e32 v2, 1
	v_dual_mov_b32 v3, 0 :: v_dual_mov_b32 v12, 1
	s_xor_b32 s9, s60, -1
	s_wait_alu 0xfffe
	s_and_saveexec_b32 s8, s9
	s_cbranch_execz .LBB52_261
; %bb.253:                              ;   in Loop: Header=BB52_7 Depth=1
	s_mov_b32 s9, exec_lo
	v_cmpx_ge_i64_e64 s[6:7], v[4:5]
	s_wait_alu 0xfffe
	s_xor_b32 s9, exec_lo, s9
	s_cbranch_execz .LBB52_258
; %bb.254:                              ;   in Loop: Header=BB52_7 Depth=1
	ds_load_b64 v[2:3], v13 offset:5120
	v_or_b32_e32 v19, s16, v19
	v_or_b32_e32 v43, s16, v43
	s_wait_dscnt 0x0
	v_cmp_ne_u64_e32 vcc_lo, 0, v[2:3]
	s_cbranch_vccnz .LBB52_258
; %bb.255:                              ;   in Loop: Header=BB52_7 Depth=1
	s_and_saveexec_b32 s10, s2
; %bb.256:                              ;   in Loop: Header=BB52_7 Depth=1
	v_dual_mov_b32 v2, s6 :: v_dual_mov_b32 v3, s7
	ds_store_b64 v13, v[2:3] offset:5128
; %bb.257:                              ;   in Loop: Header=BB52_7 Depth=1
	s_wait_alu 0xfffe
	s_or_b32 exec_lo, exec_lo, s10
	s_wait_loadcnt_dscnt 0x0
	s_barrier_signal -1
	s_barrier_wait -1
	global_inv scope:SCOPE_SE
.LBB52_258:                             ;   in Loop: Header=BB52_7 Depth=1
	s_wait_alu 0xfffe
	s_and_not1_saveexec_b32 s9, s9
; %bb.259:                              ;   in Loop: Header=BB52_7 Depth=1
	v_sub_co_u32 v4, vcc_lo, v4, s6
	s_wait_alu 0xfffd
	v_subrev_co_ci_u32_e64 v5, null, s7, v5, vcc_lo
; %bb.260:                              ;   in Loop: Header=BB52_7 Depth=1
	s_wait_alu 0xfffe
	s_or_b32 exec_lo, exec_lo, s9
	v_mov_b32_e32 v2, v4
	s_delay_alu instid0(VALU_DEP_2)
	v_dual_mov_b32 v12, 8 :: v_dual_mov_b32 v3, v5
.LBB52_261:                             ;   in Loop: Header=BB52_7 Depth=1
	s_wait_alu 0xfffe
	s_or_b32 exec_lo, exec_lo, s8
	s_delay_alu instid0(VALU_DEP_1)
	v_dual_mov_b32 v5, v3 :: v_dual_mov_b32 v4, v2
	s_mov_b32 s9, exec_lo
.LBB52_262:                             ;   in Loop: Header=BB52_7 Depth=1
	s_wait_alu 0xfffe
	s_or_b32 exec_lo, exec_lo, s5
	s_delay_alu instid0(SALU_CYCLE_1)
	s_or_not1_b32 s5, s9, exec_lo
.LBB52_263:                             ;   in Loop: Header=BB52_7 Depth=1
	s_wait_alu 0xfffe
	s_or_b32 exec_lo, exec_lo, s20
	v_dual_mov_b32 v2, v4 :: v_dual_mov_b32 v3, v5
	s_and_not1_b32 s6, s15, exec_lo
	s_and_b32 s7, s13, exec_lo
	s_and_not1_b32 s8, s14, exec_lo
	s_and_b32 s9, s12, exec_lo
	s_wait_alu 0xfffe
	s_or_b32 s15, s6, s7
	s_or_b32 s14, s8, s9
	s_and_b32 s10, s5, exec_lo
.LBB52_264:                             ;   in Loop: Header=BB52_7 Depth=1
	s_wait_alu 0xfffe
	s_or_b32 exec_lo, exec_lo, s59
	s_delay_alu instid0(SALU_CYCLE_1)
	s_or_not1_b32 s5, s10, exec_lo
.LBB52_265:                             ;   in Loop: Header=BB52_7 Depth=1
	s_wait_alu 0xfffe
	s_or_b32 exec_lo, exec_lo, s58
	v_dual_mov_b32 v7, v3 :: v_dual_mov_b32 v6, v2
	s_and_not1_b32 s6, s22, exec_lo
	s_and_b32 s7, s15, exec_lo
	s_and_not1_b32 s8, s21, exec_lo
	s_and_b32 s9, s14, exec_lo
	s_wait_alu 0xfffe
	s_or_b32 s22, s6, s7
	s_or_b32 s21, s8, s9
	s_and_b32 s10, s5, exec_lo
.LBB52_266:                             ;   in Loop: Header=BB52_7 Depth=1
	s_or_b32 exec_lo, exec_lo, s23
	s_wait_alu 0xfffe
	s_or_not1_b32 s5, s10, exec_lo
.LBB52_267:                             ;   in Loop: Header=BB52_7 Depth=1
	s_or_b32 exec_lo, exec_lo, s19
	s_mov_b32 s6, 0
	s_wait_alu 0xfffe
	s_and_saveexec_b32 s7, s5
	s_wait_alu 0xfffe
	s_xor_b32 s5, exec_lo, s7
	s_cbranch_execz .LBB52_5
; %bb.268:                              ;   in Loop: Header=BB52_7 Depth=1
	v_and_b32_e32 v2, 7, v12
	s_mov_b32 s7, -1
	s_mov_b32 s6, -1
	s_mov_b32 s8, exec_lo
	s_delay_alu instid0(VALU_DEP_1)
	v_cmpx_eq_u32_e32 0, v2
	s_cbranch_execz .LBB52_4
; %bb.269:                              ;   in Loop: Header=BB52_7 Depth=1
	s_xor_b32 s89, s89, 1
	s_add_co_i32 s9, s87, -2
	s_cmp_eq_u32 s87, 0
	s_wait_alu 0xfffe
	s_mov_b32 s87, s9
	s_cselect_b32 s7, -1, 0
	s_xor_b32 s6, exec_lo, -1
	s_wait_alu 0xfffe
	s_or_not1_b32 s7, s7, exec_lo
	s_branch .LBB52_4
.LBB52_270:                             ;   in Loop: Header=BB52_7 Depth=1
                                        ; implicit-def: $sgpr10_sgpr11
	s_branch .LBB52_221
.LBB52_271:                             ;   in Loop: Header=BB52_7 Depth=1
                                        ; implicit-def: $sgpr12_sgpr13
	s_branch .LBB52_238
.LBB52_272:
	s_or_b32 exec_lo, exec_lo, s88
	s_xor_b32 s5, s95, -1
	s_xor_b32 s1, s93, -1
	;; [unrolled: 1-line block ×3, first 2 shown]
	s_mov_b32 s3, 0
	s_and_saveexec_b32 s6, s1
	s_wait_alu 0xfffe
	s_xor_b32 s1, exec_lo, s6
	s_cbranch_execnz .LBB52_277
; %bb.273:
	s_and_not1_saveexec_b32 s0, s1
	s_cbranch_execnz .LBB52_299
.LBB52_274:
	s_wait_alu 0xfffe
	s_or_b32 exec_lo, exec_lo, s0
	s_and_saveexec_b32 s0, s3
.LBB52_275:
	; divergent unreachable
.LBB52_276:
	s_endpgm
.LBB52_277:
	s_and_saveexec_b32 s3, s5
	s_delay_alu instid0(SALU_CYCLE_1)
	s_xor_b32 s3, exec_lo, s3
	s_cbranch_execz .LBB52_297
; %bb.278:
	s_and_saveexec_b32 s5, s4
	s_wait_alu 0xfffe
	s_xor_b32 s4, exec_lo, s5
; %bb.279:
	v_cmp_lt_i32_e32 vcc_lo, -1, v19
	s_wait_alu 0xfffd
	v_cndmask_b32_e64 v2, 0x80000000, -1, vcc_lo
	s_delay_alu instid0(VALU_DEP_1)
	v_xor_b32_e32 v25, v2, v19
; %bb.280:
	s_wait_alu 0xfffe
	s_or_b32 exec_lo, exec_lo, s4
	s_and_saveexec_b32 s4, s2
; %bb.281:
	v_dual_mov_b32 v2, 0 :: v_dual_mov_b32 v3, s36
	ds_store_b32 v2, v3 offset:5140
; %bb.282:
	s_wait_alu 0xfffe
	s_or_b32 exec_lo, exec_lo, s4
	s_wait_loadcnt_dscnt 0x0
	s_barrier_signal -1
	s_barrier_wait -1
	global_inv scope:SCOPE_SE
	s_and_saveexec_b32 s4, s0
	s_cbranch_execz .LBB52_294
; %bb.283:
	v_mov_b32_e32 v2, 0
	v_cmp_u_f32_e32 vcc_lo, v25, v25
	s_mov_b32 s5, 0
                                        ; implicit-def: $sgpr7
                                        ; implicit-def: $sgpr8
                                        ; implicit-def: $sgpr9
	ds_load_b32 v4, v2 offset:5140
	s_xor_b32 s6, vcc_lo, -1
	s_wait_dscnt 0x0
	v_ashrrev_i32_e32 v5, 31, v4
	s_branch .LBB52_286
.LBB52_284:                             ;   in Loop: Header=BB52_286 Depth=1
	s_wait_alu 0xfffe
	s_or_b32 exec_lo, exec_lo, s13
	s_delay_alu instid0(SALU_CYCLE_1)
	s_and_not1_b32 s0, s9, exec_lo
	s_and_b32 s9, s11, exec_lo
	s_and_not1_b32 s8, s8, exec_lo
	s_and_b32 s11, s12, exec_lo
	s_wait_alu 0xfffe
	s_or_b32 s9, s0, s9
	s_or_b32 s8, s8, s11
.LBB52_285:                             ;   in Loop: Header=BB52_286 Depth=1
	s_wait_alu 0xfffe
	s_or_b32 exec_lo, exec_lo, s10
	s_delay_alu instid0(SALU_CYCLE_1)
	s_and_b32 s0, exec_lo, s8
	s_wait_alu 0xfffe
	s_or_b32 s5, s0, s5
	s_and_not1_b32 s0, s7, exec_lo
	s_and_b32 s7, s9, exec_lo
	s_wait_alu 0xfffe
	s_or_b32 s7, s0, s7
	s_and_not1_b32 exec_lo, exec_lo, s5
	s_cbranch_execz .LBB52_289
.LBB52_286:                             ; =>This Inner Loop Header: Depth=1
	v_dual_mov_b32 v3, v1 :: v_dual_mov_b32 v2, v0
	s_or_b32 s9, s9, exec_lo
	s_or_b32 s8, s8, exec_lo
	s_mov_b32 s10, exec_lo
                                        ; implicit-def: $vgpr0_vgpr1
	s_delay_alu instid0(VALU_DEP_1)
	v_cmpx_lt_i64_e64 v[2:3], v[4:5]
	s_cbranch_execz .LBB52_285
; %bb.287:                              ;   in Loop: Header=BB52_286 Depth=1
	global_load_b32 v0, v[10:11], off
	s_mov_b32 s12, -1
	s_wait_loadcnt 0x0
	v_cmp_o_f32_e32 vcc_lo, v0, v0
	v_cmp_neq_f32_e64 s0, v0, v25
                                        ; implicit-def: $vgpr0_vgpr1
	s_wait_alu 0xfffe
	s_or_b32 s11, vcc_lo, s6
	s_wait_alu 0xfffe
	s_and_b32 s0, s0, s11
	s_mov_b32 s11, 0
	s_wait_alu 0xfffe
	s_and_saveexec_b32 s13, s0
	s_cbranch_execz .LBB52_284
; %bb.288:                              ;   in Loop: Header=BB52_286 Depth=1
	v_add_co_u32 v0, vcc_lo, v2, s44
	s_wait_alu 0xfffd
	v_add_co_ci_u32_e64 v1, null, 0, v3, vcc_lo
	v_add_co_u32 v10, s0, v10, s46
	s_wait_alu 0xf1ff
	v_add_co_ci_u32_e64 v11, null, s47, v11, s0
	s_delay_alu instid0(VALU_DEP_3)
	v_cmp_le_i64_e32 vcc_lo, s[36:37], v[0:1]
	s_mov_b32 s11, exec_lo
	s_or_not1_b32 s12, vcc_lo, exec_lo
	s_branch .LBB52_284
.LBB52_289:
	s_or_b32 exec_lo, exec_lo, s5
	s_wait_alu 0xfffe
	s_xor_b32 s0, s7, -1
	s_wait_alu 0xfffe
	s_and_saveexec_b32 s5, s0
	s_wait_alu 0xfffe
	s_xor_b32 s5, exec_lo, s5
	s_cbranch_execz .LBB52_294
; %bb.290:
	s_mov_b32 s5, exec_lo
	s_brev_b32 s0, -2
.LBB52_291:                             ; =>This Inner Loop Header: Depth=1
	s_wait_alu 0xfffe
	s_ctz_i32_b32 s6, s5
	s_wait_alu 0xfffe
	v_readlane_b32 s7, v2, s6
	s_lshl_b32 s6, 1, s6
	s_wait_alu 0xfffe
	s_and_not1_b32 s5, s5, s6
	s_min_i32 s0, s0, s7
	s_wait_alu 0xfffe
	s_cmp_lg_u32 s5, 0
	s_cbranch_scc1 .LBB52_291
; %bb.292:
	v_mbcnt_lo_u32_b32 v0, exec_lo, 0
	s_mov_b32 s5, exec_lo
	s_delay_alu instid0(VALU_DEP_1)
	v_cmpx_eq_u32_e32 0, v0
	s_wait_alu 0xfffe
	s_xor_b32 s5, exec_lo, s5
; %bb.293:
	v_dual_mov_b32 v0, 0 :: v_dual_mov_b32 v1, s0
	ds_min_i32 v0, v1 offset:5140
.LBB52_294:
	s_wait_alu 0xfffe
	s_or_b32 exec_lo, exec_lo, s4
	s_wait_loadcnt_dscnt 0x0
	s_barrier_signal -1
	s_barrier_wait -1
	global_inv scope:SCOPE_SE
	s_and_saveexec_b32 s0, s2
	s_cbranch_execz .LBB52_296
; %bb.295:
	v_mov_b32_e32 v2, 0
	s_mul_u64 s[6:7], s[34:35], s[26:27]
	s_mul_u64 s[4:5], s[40:41], s[26:27]
	s_wait_alu 0xfffe
	s_lshl_b64 s[6:7], s[6:7], 3
	s_lshl_b64 s[4:5], s[4:5], 2
	ds_load_b32 v0, v2 offset:5140
	s_wait_alu 0xfffe
	s_add_nc_u64 s[6:7], s[28:29], s[6:7]
	s_add_nc_u64 s[4:5], s[30:31], s[4:5]
	s_wait_dscnt 0x0
	v_ashrrev_i32_e32 v1, 31, v0
	s_clause 0x1
	global_store_b64 v2, v[0:1], s[6:7]
	global_store_b32 v2, v25, s[4:5]
.LBB52_296:
	s_wait_alu 0xfffe
	s_or_b32 exec_lo, exec_lo, s0
.LBB52_297:
	s_or_saveexec_b32 s0, s3
	s_mov_b32 s2, 0
	s_wait_alu 0xfffe
	s_xor_b32 exec_lo, exec_lo, s0
	s_cbranch_execnz .LBB52_300
.LBB52_298:
	s_or_b32 exec_lo, exec_lo, s0
	s_delay_alu instid0(SALU_CYCLE_1)
	s_and_b32 s3, s2, exec_lo
	s_and_not1_saveexec_b32 s0, s1
	s_cbranch_execz .LBB52_274
.LBB52_299:
	s_or_b32 s3, s3, exec_lo
	s_trap 2
	s_wait_alu 0xfffe
	s_or_b32 exec_lo, exec_lo, s0
	s_and_saveexec_b32 s0, s3
	s_cbranch_execnz .LBB52_275
	s_branch .LBB52_276
.LBB52_300:
	s_mov_b32 s2, exec_lo
	s_trap 2
	s_branch .LBB52_298
	.section	.rodata,"a",@progbits
	.p2align	6, 0x0
	.amdhsa_kernel _ZN2at6native12_GLOBAL__N_114gatherKthValueIflLi1EEEvNS_4cuda6detail10TensorInfoIKT_T0_EES8_S8_S8_S8_NS5_IS6_S8_EENS5_IlS8_EE
		.amdhsa_group_segment_fixed_size 5144
		.amdhsa_private_segment_fixed_size 0
		.amdhsa_kernarg_size 1536
		.amdhsa_user_sgpr_count 2
		.amdhsa_user_sgpr_dispatch_ptr 0
		.amdhsa_user_sgpr_queue_ptr 0
		.amdhsa_user_sgpr_kernarg_segment_ptr 1
		.amdhsa_user_sgpr_dispatch_id 0
		.amdhsa_user_sgpr_private_segment_size 0
		.amdhsa_wavefront_size32 1
		.amdhsa_uses_dynamic_stack 0
		.amdhsa_enable_private_segment 0
		.amdhsa_system_sgpr_workgroup_id_x 1
		.amdhsa_system_sgpr_workgroup_id_y 1
		.amdhsa_system_sgpr_workgroup_id_z 1
		.amdhsa_system_sgpr_workgroup_info 0
		.amdhsa_system_vgpr_workitem_id 0
		.amdhsa_next_free_vgpr 52
		.amdhsa_next_free_sgpr 96
		.amdhsa_reserve_vcc 1
		.amdhsa_float_round_mode_32 0
		.amdhsa_float_round_mode_16_64 0
		.amdhsa_float_denorm_mode_32 3
		.amdhsa_float_denorm_mode_16_64 3
		.amdhsa_fp16_overflow 0
		.amdhsa_workgroup_processor_mode 1
		.amdhsa_memory_ordered 1
		.amdhsa_forward_progress 1
		.amdhsa_inst_pref_size 149
		.amdhsa_round_robin_scheduling 0
		.amdhsa_exception_fp_ieee_invalid_op 0
		.amdhsa_exception_fp_denorm_src 0
		.amdhsa_exception_fp_ieee_div_zero 0
		.amdhsa_exception_fp_ieee_overflow 0
		.amdhsa_exception_fp_ieee_underflow 0
		.amdhsa_exception_fp_ieee_inexact 0
		.amdhsa_exception_int_div_zero 0
	.end_amdhsa_kernel
	.section	.text._ZN2at6native12_GLOBAL__N_114gatherKthValueIflLi1EEEvNS_4cuda6detail10TensorInfoIKT_T0_EES8_S8_S8_S8_NS5_IS6_S8_EENS5_IlS8_EE,"axG",@progbits,_ZN2at6native12_GLOBAL__N_114gatherKthValueIflLi1EEEvNS_4cuda6detail10TensorInfoIKT_T0_EES8_S8_S8_S8_NS5_IS6_S8_EENS5_IlS8_EE,comdat
.Lfunc_end52:
	.size	_ZN2at6native12_GLOBAL__N_114gatherKthValueIflLi1EEEvNS_4cuda6detail10TensorInfoIKT_T0_EES8_S8_S8_S8_NS5_IS6_S8_EENS5_IlS8_EE, .Lfunc_end52-_ZN2at6native12_GLOBAL__N_114gatherKthValueIflLi1EEEvNS_4cuda6detail10TensorInfoIKT_T0_EES8_S8_S8_S8_NS5_IS6_S8_EENS5_IlS8_EE
                                        ; -- End function
	.set _ZN2at6native12_GLOBAL__N_114gatherKthValueIflLi1EEEvNS_4cuda6detail10TensorInfoIKT_T0_EES8_S8_S8_S8_NS5_IS6_S8_EENS5_IlS8_EE.num_vgpr, 52
	.set _ZN2at6native12_GLOBAL__N_114gatherKthValueIflLi1EEEvNS_4cuda6detail10TensorInfoIKT_T0_EES8_S8_S8_S8_NS5_IS6_S8_EENS5_IlS8_EE.num_agpr, 0
	.set _ZN2at6native12_GLOBAL__N_114gatherKthValueIflLi1EEEvNS_4cuda6detail10TensorInfoIKT_T0_EES8_S8_S8_S8_NS5_IS6_S8_EENS5_IlS8_EE.numbered_sgpr, 96
	.set _ZN2at6native12_GLOBAL__N_114gatherKthValueIflLi1EEEvNS_4cuda6detail10TensorInfoIKT_T0_EES8_S8_S8_S8_NS5_IS6_S8_EENS5_IlS8_EE.num_named_barrier, 0
	.set _ZN2at6native12_GLOBAL__N_114gatherKthValueIflLi1EEEvNS_4cuda6detail10TensorInfoIKT_T0_EES8_S8_S8_S8_NS5_IS6_S8_EENS5_IlS8_EE.private_seg_size, 0
	.set _ZN2at6native12_GLOBAL__N_114gatherKthValueIflLi1EEEvNS_4cuda6detail10TensorInfoIKT_T0_EES8_S8_S8_S8_NS5_IS6_S8_EENS5_IlS8_EE.uses_vcc, 1
	.set _ZN2at6native12_GLOBAL__N_114gatherKthValueIflLi1EEEvNS_4cuda6detail10TensorInfoIKT_T0_EES8_S8_S8_S8_NS5_IS6_S8_EENS5_IlS8_EE.uses_flat_scratch, 0
	.set _ZN2at6native12_GLOBAL__N_114gatherKthValueIflLi1EEEvNS_4cuda6detail10TensorInfoIKT_T0_EES8_S8_S8_S8_NS5_IS6_S8_EENS5_IlS8_EE.has_dyn_sized_stack, 0
	.set _ZN2at6native12_GLOBAL__N_114gatherKthValueIflLi1EEEvNS_4cuda6detail10TensorInfoIKT_T0_EES8_S8_S8_S8_NS5_IS6_S8_EENS5_IlS8_EE.has_recursion, 0
	.set _ZN2at6native12_GLOBAL__N_114gatherKthValueIflLi1EEEvNS_4cuda6detail10TensorInfoIKT_T0_EES8_S8_S8_S8_NS5_IS6_S8_EENS5_IlS8_EE.has_indirect_call, 0
	.section	.AMDGPU.csdata,"",@progbits
; Kernel info:
; codeLenInByte = 18956
; TotalNumSgprs: 98
; NumVgprs: 52
; ScratchSize: 0
; MemoryBound: 0
; FloatMode: 240
; IeeeMode: 1
; LDSByteSize: 5144 bytes/workgroup (compile time only)
; SGPRBlocks: 0
; VGPRBlocks: 6
; NumSGPRsForWavesPerEU: 98
; NumVGPRsForWavesPerEU: 52
; Occupancy: 16
; WaveLimiterHint : 1
; COMPUTE_PGM_RSRC2:SCRATCH_EN: 0
; COMPUTE_PGM_RSRC2:USER_SGPR: 2
; COMPUTE_PGM_RSRC2:TRAP_HANDLER: 0
; COMPUTE_PGM_RSRC2:TGID_X_EN: 1
; COMPUTE_PGM_RSRC2:TGID_Y_EN: 1
; COMPUTE_PGM_RSRC2:TGID_Z_EN: 1
; COMPUTE_PGM_RSRC2:TIDIG_COMP_CNT: 0
	.section	.text._ZN2at6native12_GLOBAL__N_114gatherKthValueIflLi2EEEvNS_4cuda6detail10TensorInfoIKT_T0_EES8_S8_S8_S8_NS5_IS6_S8_EENS5_IlS8_EE,"axG",@progbits,_ZN2at6native12_GLOBAL__N_114gatherKthValueIflLi2EEEvNS_4cuda6detail10TensorInfoIKT_T0_EES8_S8_S8_S8_NS5_IS6_S8_EENS5_IlS8_EE,comdat
	.globl	_ZN2at6native12_GLOBAL__N_114gatherKthValueIflLi2EEEvNS_4cuda6detail10TensorInfoIKT_T0_EES8_S8_S8_S8_NS5_IS6_S8_EENS5_IlS8_EE ; -- Begin function _ZN2at6native12_GLOBAL__N_114gatherKthValueIflLi2EEEvNS_4cuda6detail10TensorInfoIKT_T0_EES8_S8_S8_S8_NS5_IS6_S8_EENS5_IlS8_EE
	.p2align	8
	.type	_ZN2at6native12_GLOBAL__N_114gatherKthValueIflLi2EEEvNS_4cuda6detail10TensorInfoIKT_T0_EES8_S8_S8_S8_NS5_IS6_S8_EENS5_IlS8_EE,@function
_ZN2at6native12_GLOBAL__N_114gatherKthValueIflLi2EEEvNS_4cuda6detail10TensorInfoIKT_T0_EES8_S8_S8_S8_NS5_IS6_S8_EENS5_IlS8_EE: ; @_ZN2at6native12_GLOBAL__N_114gatherKthValueIflLi2EEEvNS_4cuda6detail10TensorInfoIKT_T0_EES8_S8_S8_S8_NS5_IS6_S8_EENS5_IlS8_EE
; %bb.0:
	s_clause 0x1
	s_load_b64 s[8:9], s[0:1], 0x500
	s_load_b256 s[36:43], s[0:1], 0x1a0
	s_lshr_b32 s2, ttmp7, 16
	s_and_b32 s3, ttmp7, 0xffff
	s_mov_b32 s27, 0
	s_wait_kmcnt 0x0
	s_mul_i32 s2, s9, s2
	s_delay_alu instid0(SALU_CYCLE_1) | instskip(NEXT) | instid1(SALU_CYCLE_1)
	s_add_co_i32 s2, s2, s3
	s_mul_i32 s2, s2, s8
	s_delay_alu instid0(SALU_CYCLE_1) | instskip(NEXT) | instid1(SALU_CYCLE_1)
	s_add_co_i32 s26, s2, ttmp9
	v_cmp_le_i64_e64 s2, s[40:41], s[26:27]
	s_and_b32 vcc_lo, exec_lo, s2
	s_cbranch_vccnz .LBB53_285
; %bb.1:
	s_clause 0x1
	s_load_b64 s[10:11], s[0:1], 0x10
	s_load_b64 s[34:35], s[0:1], 0x1d0
	s_mov_b32 s2, s27
	s_wait_kmcnt 0x0
	s_mov_b32 s3, s11
	s_delay_alu instid0(SALU_CYCLE_1)
	s_cmp_lg_u64 s[2:3], 0
	s_add_nc_u64 s[2:3], s[26:27], 0
	s_cbranch_scc0 .LBB53_298
; %bb.2:
	s_ashr_i32 s4, s11, 31
	s_mov_b32 s15, 0
	s_mov_b32 s5, s4
	s_delay_alu instid0(SALU_CYCLE_1) | instskip(NEXT) | instid1(SALU_CYCLE_1)
	s_add_nc_u64 s[6:7], s[10:11], s[4:5]
	s_xor_b64 s[6:7], s[6:7], s[4:5]
	s_delay_alu instid0(SALU_CYCLE_1) | instskip(SKIP_2) | instid1(SALU_CYCLE_2)
	s_cvt_f32_u32 s9, s6
	s_cvt_f32_u32 s12, s7
	s_sub_nc_u64 s[16:17], 0, s[6:7]
	s_fmamk_f32 s9, s12, 0x4f800000, s9
	s_delay_alu instid0(SALU_CYCLE_3) | instskip(NEXT) | instid1(TRANS32_DEP_1)
	v_s_rcp_f32 s9, s9
	s_mul_f32 s9, s9, 0x5f7ffffc
	s_wait_alu 0xfffe
	s_delay_alu instid0(SALU_CYCLE_2) | instskip(NEXT) | instid1(SALU_CYCLE_3)
	s_mul_f32 s12, s9, 0x2f800000
	s_trunc_f32 s12, s12
	s_delay_alu instid0(SALU_CYCLE_3) | instskip(SKIP_2) | instid1(SALU_CYCLE_1)
	s_fmamk_f32 s9, s12, 0xcf800000, s9
	s_cvt_u32_f32 s13, s12
	s_wait_alu 0xfffe
	s_cvt_u32_f32 s12, s9
	s_delay_alu instid0(SALU_CYCLE_3) | instskip(NEXT) | instid1(SALU_CYCLE_1)
	s_mul_u64 s[18:19], s[16:17], s[12:13]
	s_mul_hi_u32 s21, s12, s19
	s_mul_i32 s20, s12, s19
	s_mul_hi_u32 s14, s12, s18
	s_mul_i32 s22, s13, s18
	s_add_nc_u64 s[20:21], s[14:15], s[20:21]
	s_mul_hi_u32 s9, s13, s18
	s_mul_hi_u32 s23, s13, s19
	s_add_co_u32 s14, s20, s22
	s_wait_alu 0xfffe
	s_add_co_ci_u32 s14, s21, s9
	s_mul_i32 s18, s13, s19
	s_add_co_ci_u32 s19, s23, 0
	s_delay_alu instid0(SALU_CYCLE_1) | instskip(NEXT) | instid1(SALU_CYCLE_1)
	s_add_nc_u64 s[18:19], s[14:15], s[18:19]
	s_add_co_u32 s12, s12, s18
	s_cselect_b32 s9, -1, 0
	s_wait_alu 0xfffe
	s_cmp_lg_u32 s9, 0
	s_add_co_ci_u32 s13, s13, s19
	s_delay_alu instid0(SALU_CYCLE_1) | instskip(NEXT) | instid1(SALU_CYCLE_1)
	s_mul_u64 s[16:17], s[16:17], s[12:13]
	s_mul_hi_u32 s19, s12, s17
	s_mul_i32 s18, s12, s17
	s_mul_hi_u32 s14, s12, s16
	s_mul_i32 s20, s13, s16
	s_add_nc_u64 s[18:19], s[14:15], s[18:19]
	s_mul_hi_u32 s9, s13, s16
	s_mul_hi_u32 s21, s13, s17
	s_add_co_u32 s14, s18, s20
	s_wait_alu 0xfffe
	s_add_co_ci_u32 s14, s19, s9
	s_mul_i32 s16, s13, s17
	s_add_co_ci_u32 s17, s21, 0
	s_delay_alu instid0(SALU_CYCLE_1) | instskip(NEXT) | instid1(SALU_CYCLE_1)
	s_add_nc_u64 s[16:17], s[14:15], s[16:17]
	s_add_co_u32 s9, s12, s16
	s_cselect_b32 s12, -1, 0
	s_delay_alu instid0(SALU_CYCLE_1) | instskip(SKIP_2) | instid1(SALU_CYCLE_1)
	s_cmp_lg_u32 s12, 0
	s_add_co_ci_u32 s18, s13, s17
	s_xor_b64 s[12:13], s[2:3], 0
	s_mul_hi_u32 s17, s12, s18
	s_mul_i32 s16, s12, s18
	s_wait_alu 0xfffe
	s_mul_hi_u32 s14, s12, s9
	s_mul_hi_u32 s20, s13, s9
	s_mul_i32 s9, s13, s9
	s_add_nc_u64 s[16:17], s[14:15], s[16:17]
	s_mul_hi_u32 s19, s13, s18
	s_wait_alu 0xfffe
	s_add_co_u32 s9, s16, s9
	s_add_co_ci_u32 s14, s17, s20
	s_mul_i32 s18, s13, s18
	s_add_co_ci_u32 s19, s19, 0
	s_delay_alu instid0(SALU_CYCLE_1) | instskip(NEXT) | instid1(SALU_CYCLE_1)
	s_add_nc_u64 s[16:17], s[14:15], s[18:19]
	s_mul_u64 s[18:19], s[6:7], s[16:17]
	s_delay_alu instid0(SALU_CYCLE_1)
	s_sub_co_u32 s9, s12, s18
	s_cselect_b32 s12, -1, 0
	s_sub_co_i32 s14, s13, s19
	s_cmp_lg_u32 s12, 0
	s_sub_co_ci_u32 s14, s14, s7
	s_wait_alu 0xfffe
	s_sub_co_u32 s18, s9, s6
	s_cselect_b32 s20, -1, 0
	s_delay_alu instid0(SALU_CYCLE_1) | instskip(SKIP_2) | instid1(SALU_CYCLE_1)
	s_cmp_lg_u32 s20, 0
	s_add_nc_u64 s[20:21], s[16:17], 1
	s_sub_co_ci_u32 s14, s14, 0
	s_cmp_ge_u32 s14, s7
	s_cselect_b32 s22, -1, 0
	s_cmp_ge_u32 s18, s6
	s_cselect_b32 s18, -1, 0
	s_cmp_eq_u32 s14, s7
	s_cselect_b32 s14, s18, s22
	s_add_nc_u64 s[22:23], s[16:17], 2
	s_cmp_lg_u32 s14, 0
	s_cselect_b32 s14, s22, s20
	s_cselect_b32 s18, s23, s21
	s_cmp_lg_u32 s12, 0
	s_sub_co_ci_u32 s12, s13, s19
	s_delay_alu instid0(SALU_CYCLE_1)
	s_cmp_ge_u32 s12, s7
	s_cselect_b32 s13, -1, 0
	s_cmp_ge_u32 s9, s6
	s_cselect_b32 s6, -1, 0
	s_cmp_eq_u32 s12, s7
	s_cselect_b32 s6, s6, s13
	s_delay_alu instid0(SALU_CYCLE_1) | instskip(SKIP_3) | instid1(SALU_CYCLE_1)
	s_cmp_lg_u32 s6, 0
	s_cselect_b32 s7, s18, s17
	s_cselect_b32 s6, s14, s16
	s_xor_b64 s[4:5], 0, s[4:5]
	s_xor_b64 s[6:7], s[6:7], s[4:5]
	s_delay_alu instid0(SALU_CYCLE_1)
	s_sub_nc_u64 s[12:13], s[6:7], s[4:5]
	s_cbranch_execnz .LBB53_4
.LBB53_3:
	v_cvt_f32_u32_e32 v1, s10
	s_sub_co_i32 s5, 0, s10
	s_mov_b32 s13, 0
	s_delay_alu instid0(VALU_DEP_1) | instskip(NEXT) | instid1(TRANS32_DEP_1)
	v_rcp_iflag_f32_e32 v1, v1
	v_mul_f32_e32 v1, 0x4f7ffffe, v1
	s_delay_alu instid0(VALU_DEP_1) | instskip(NEXT) | instid1(VALU_DEP_1)
	v_cvt_u32_f32_e32 v1, v1
	v_readfirstlane_b32 s4, v1
	s_mul_i32 s5, s5, s4
	s_delay_alu instid0(SALU_CYCLE_1) | instskip(NEXT) | instid1(SALU_CYCLE_1)
	s_mul_hi_u32 s5, s4, s5
	s_add_co_i32 s4, s4, s5
	s_delay_alu instid0(SALU_CYCLE_1) | instskip(NEXT) | instid1(SALU_CYCLE_1)
	s_mul_hi_u32 s4, s26, s4
	s_mul_i32 s5, s4, s10
	s_add_co_i32 s6, s4, 1
	s_sub_co_i32 s5, s26, s5
	s_delay_alu instid0(SALU_CYCLE_1)
	s_sub_co_i32 s7, s5, s10
	s_cmp_ge_u32 s5, s10
	s_cselect_b32 s4, s6, s4
	s_cselect_b32 s5, s7, s5
	s_add_co_i32 s6, s4, 1
	s_cmp_ge_u32 s5, s10
	s_cselect_b32 s12, s6, s4
.LBB53_4:
	s_load_b64 s[40:41], s[0:1], 0x370
	s_mov_b32 s4, 0
	s_mov_b32 s5, s35
	s_delay_alu instid0(SALU_CYCLE_1)
	s_cmp_lg_u64 s[4:5], 0
	s_cbranch_scc0 .LBB53_299
; %bb.5:
	s_ashr_i32 s6, s35, 31
	s_mov_b32 s21, s4
	s_mov_b32 s7, s6
	;; [unrolled: 1-line block ×3, first 2 shown]
	s_add_nc_u64 s[14:15], s[34:35], s[6:7]
	s_delay_alu instid0(SALU_CYCLE_1) | instskip(NEXT) | instid1(SALU_CYCLE_1)
	s_xor_b64 s[14:15], s[14:15], s[6:7]
	s_cvt_f32_u32 s5, s14
	s_cvt_f32_u32 s9, s15
	s_sub_nc_u64 s[18:19], 0, s[14:15]
	s_wait_alu 0xfffe
	s_delay_alu instid0(SALU_CYCLE_1) | instskip(NEXT) | instid1(SALU_CYCLE_3)
	s_fmamk_f32 s5, s9, 0x4f800000, s5
	v_s_rcp_f32 s5, s5
	s_delay_alu instid0(TRANS32_DEP_1) | instskip(SKIP_1) | instid1(SALU_CYCLE_2)
	s_mul_f32 s5, s5, 0x5f7ffffc
	s_wait_alu 0xfffe
	s_mul_f32 s9, s5, 0x2f800000
	s_wait_alu 0xfffe
	s_delay_alu instid0(SALU_CYCLE_2) | instskip(SKIP_1) | instid1(SALU_CYCLE_2)
	s_trunc_f32 s9, s9
	s_wait_alu 0xfffe
	s_fmamk_f32 s5, s9, 0xcf800000, s5
	s_cvt_u32_f32 s17, s9
	s_wait_alu 0xfffe
	s_delay_alu instid0(SALU_CYCLE_1) | instskip(NEXT) | instid1(SALU_CYCLE_3)
	s_cvt_u32_f32 s16, s5
	s_mul_u64 s[22:23], s[18:19], s[16:17]
	s_delay_alu instid0(SALU_CYCLE_1)
	s_mul_hi_u32 s29, s16, s23
	s_mul_i32 s28, s16, s23
	s_mul_hi_u32 s20, s16, s22
	s_mul_i32 s9, s17, s22
	s_add_nc_u64 s[20:21], s[20:21], s[28:29]
	s_mul_hi_u32 s5, s17, s22
	s_mul_hi_u32 s30, s17, s23
	s_wait_alu 0xfffe
	s_add_co_u32 s9, s20, s9
	s_add_co_ci_u32 s24, s21, s5
	s_mul_i32 s22, s17, s23
	s_add_co_ci_u32 s23, s30, 0
	s_delay_alu instid0(SALU_CYCLE_1)
	s_add_nc_u64 s[20:21], s[24:25], s[22:23]
	s_mov_b32 s23, s4
	s_add_co_u32 s16, s16, s20
	s_cselect_b32 s5, -1, 0
	s_wait_alu 0xfffe
	s_cmp_lg_u32 s5, 0
	s_add_co_ci_u32 s17, s17, s21
	s_mov_b32 s21, s4
	s_mul_u64 s[18:19], s[18:19], s[16:17]
	s_delay_alu instid0(SALU_CYCLE_1)
	s_mul_hi_u32 s25, s16, s19
	s_mul_i32 s24, s16, s19
	s_mul_hi_u32 s20, s16, s18
	s_mul_i32 s9, s17, s18
	s_add_nc_u64 s[20:21], s[20:21], s[24:25]
	s_mul_hi_u32 s5, s17, s18
	s_mul_hi_u32 s28, s17, s19
	s_wait_alu 0xfffe
	s_add_co_u32 s9, s20, s9
	s_add_co_ci_u32 s22, s21, s5
	s_mul_i32 s18, s17, s19
	s_add_co_ci_u32 s19, s28, 0
	s_mov_b32 s21, s4
	s_add_nc_u64 s[18:19], s[22:23], s[18:19]
	s_delay_alu instid0(SALU_CYCLE_1)
	s_add_co_u32 s5, s16, s18
	s_cselect_b32 s9, -1, 0
	s_wait_alu 0xfffe
	s_cmp_lg_u32 s9, 0
	s_add_co_ci_u32 s9, s17, s19
	s_xor_b64 s[16:17], s[2:3], 0
	s_mov_b32 s19, s4
	s_wait_alu 0xfffe
	s_mul_hi_u32 s23, s16, s9
	s_mul_i32 s22, s16, s9
	s_mul_hi_u32 s20, s16, s5
	s_mul_hi_u32 s18, s17, s5
	s_mul_i32 s5, s17, s5
	s_add_nc_u64 s[20:21], s[20:21], s[22:23]
	s_mul_hi_u32 s24, s17, s9
	s_wait_alu 0xfffe
	s_add_co_u32 s5, s20, s5
	s_add_co_ci_u32 s18, s21, s18
	s_mul_i32 s22, s17, s9
	s_add_co_ci_u32 s23, s24, 0
	s_delay_alu instid0(SALU_CYCLE_1) | instskip(NEXT) | instid1(SALU_CYCLE_1)
	s_add_nc_u64 s[18:19], s[18:19], s[22:23]
	s_mul_u64 s[20:21], s[14:15], s[18:19]
	s_delay_alu instid0(SALU_CYCLE_1)
	s_sub_co_u32 s5, s16, s20
	s_cselect_b32 s9, -1, 0
	s_sub_co_i32 s16, s17, s21
	s_wait_alu 0xfffe
	s_cmp_lg_u32 s9, 0
	s_sub_co_ci_u32 s16, s16, s15
	s_sub_co_u32 s20, s5, s14
	s_cselect_b32 s22, -1, 0
	s_delay_alu instid0(SALU_CYCLE_1) | instskip(SKIP_2) | instid1(SALU_CYCLE_1)
	s_cmp_lg_u32 s22, 0
	s_add_nc_u64 s[22:23], s[18:19], 1
	s_sub_co_ci_u32 s16, s16, 0
	s_cmp_ge_u32 s16, s15
	s_cselect_b32 s24, -1, 0
	s_cmp_ge_u32 s20, s14
	s_cselect_b32 s20, -1, 0
	s_cmp_eq_u32 s16, s15
	s_cselect_b32 s16, s20, s24
	s_add_nc_u64 s[24:25], s[18:19], 2
	s_cmp_lg_u32 s16, 0
	s_cselect_b32 s16, s24, s22
	s_cselect_b32 s20, s25, s23
	s_cmp_lg_u32 s9, 0
	s_sub_co_ci_u32 s9, s17, s21
	s_wait_alu 0xfffe
	s_cmp_ge_u32 s9, s15
	s_cselect_b32 s17, -1, 0
	s_cmp_ge_u32 s5, s14
	s_cselect_b32 s5, -1, 0
	s_cmp_eq_u32 s9, s15
	s_wait_alu 0xfffe
	s_cselect_b32 s5, s5, s17
	s_wait_alu 0xfffe
	s_cmp_lg_u32 s5, 0
	s_cselect_b32 s15, s20, s19
	s_cselect_b32 s14, s16, s18
	s_xor_b64 s[6:7], 0, s[6:7]
	s_delay_alu instid0(SALU_CYCLE_1) | instskip(NEXT) | instid1(SALU_CYCLE_1)
	s_xor_b64 s[14:15], s[14:15], s[6:7]
	s_sub_nc_u64 s[48:49], s[14:15], s[6:7]
	s_and_not1_b32 vcc_lo, exec_lo, s4
	s_cbranch_vccnz .LBB53_7
.LBB53_6:
	v_cvt_f32_u32_e32 v1, s34
	s_sub_co_i32 s5, 0, s34
	s_mov_b32 s49, 0
	s_delay_alu instid0(VALU_DEP_1) | instskip(NEXT) | instid1(TRANS32_DEP_1)
	v_rcp_iflag_f32_e32 v1, v1
	v_mul_f32_e32 v1, 0x4f7ffffe, v1
	s_delay_alu instid0(VALU_DEP_1) | instskip(NEXT) | instid1(VALU_DEP_1)
	v_cvt_u32_f32_e32 v1, v1
	v_readfirstlane_b32 s4, v1
	s_wait_alu 0xfffe
	s_mul_i32 s5, s5, s4
	s_wait_alu 0xfffe
	s_mul_hi_u32 s5, s4, s5
	s_wait_alu 0xfffe
	s_add_co_i32 s4, s4, s5
	s_wait_alu 0xfffe
	s_mul_hi_u32 s4, s26, s4
	s_wait_alu 0xfffe
	s_mul_i32 s5, s4, s34
	s_add_co_i32 s6, s4, 1
	s_wait_alu 0xfffe
	s_sub_co_i32 s5, s26, s5
	s_wait_alu 0xfffe
	s_sub_co_i32 s7, s5, s34
	s_cmp_ge_u32 s5, s34
	s_cselect_b32 s4, s6, s4
	s_cselect_b32 s5, s7, s5
	s_wait_alu 0xfffe
	s_add_co_i32 s6, s4, 1
	s_cmp_ge_u32 s5, s34
	s_cselect_b32 s48, s6, s4
.LBB53_7:
	s_mov_b32 s4, 0
	s_wait_kmcnt 0x0
	s_mov_b32 s5, s41
	s_wait_alu 0xfffe
	s_cmp_lg_u64 s[4:5], 0
	s_cbranch_scc0 .LBB53_300
; %bb.8:
	s_ashr_i32 s6, s41, 31
	s_mov_b32 s21, s4
	s_mov_b32 s7, s6
	;; [unrolled: 1-line block ×3, first 2 shown]
	s_add_nc_u64 s[14:15], s[40:41], s[6:7]
	s_delay_alu instid0(SALU_CYCLE_1) | instskip(NEXT) | instid1(SALU_CYCLE_1)
	s_xor_b64 s[14:15], s[14:15], s[6:7]
	s_cvt_f32_u32 s5, s14
	s_cvt_f32_u32 s9, s15
	s_sub_nc_u64 s[18:19], 0, s[14:15]
	s_wait_alu 0xfffe
	s_delay_alu instid0(SALU_CYCLE_1) | instskip(SKIP_1) | instid1(SALU_CYCLE_2)
	s_fmamk_f32 s5, s9, 0x4f800000, s5
	s_wait_alu 0xfffe
	v_s_rcp_f32 s5, s5
	s_delay_alu instid0(TRANS32_DEP_1) | instskip(SKIP_1) | instid1(SALU_CYCLE_2)
	s_mul_f32 s5, s5, 0x5f7ffffc
	s_wait_alu 0xfffe
	s_mul_f32 s9, s5, 0x2f800000
	s_wait_alu 0xfffe
	s_delay_alu instid0(SALU_CYCLE_2) | instskip(SKIP_1) | instid1(SALU_CYCLE_2)
	s_trunc_f32 s9, s9
	s_wait_alu 0xfffe
	s_fmamk_f32 s5, s9, 0xcf800000, s5
	s_cvt_u32_f32 s17, s9
	s_wait_alu 0xfffe
	s_delay_alu instid0(SALU_CYCLE_1) | instskip(NEXT) | instid1(SALU_CYCLE_3)
	s_cvt_u32_f32 s16, s5
	s_mul_u64 s[22:23], s[18:19], s[16:17]
	s_delay_alu instid0(SALU_CYCLE_1)
	s_mul_hi_u32 s29, s16, s23
	s_mul_i32 s28, s16, s23
	s_mul_hi_u32 s20, s16, s22
	s_mul_i32 s9, s17, s22
	s_add_nc_u64 s[20:21], s[20:21], s[28:29]
	s_mul_hi_u32 s5, s17, s22
	s_mul_hi_u32 s30, s17, s23
	s_wait_alu 0xfffe
	s_add_co_u32 s9, s20, s9
	s_add_co_ci_u32 s24, s21, s5
	s_mul_i32 s22, s17, s23
	s_add_co_ci_u32 s23, s30, 0
	s_delay_alu instid0(SALU_CYCLE_1)
	s_add_nc_u64 s[20:21], s[24:25], s[22:23]
	s_mov_b32 s23, s4
	s_add_co_u32 s16, s16, s20
	s_cselect_b32 s5, -1, 0
	s_wait_alu 0xfffe
	s_cmp_lg_u32 s5, 0
	s_add_co_ci_u32 s17, s17, s21
	s_mov_b32 s21, s4
	s_mul_u64 s[18:19], s[18:19], s[16:17]
	s_delay_alu instid0(SALU_CYCLE_1)
	s_mul_hi_u32 s25, s16, s19
	s_mul_i32 s24, s16, s19
	s_mul_hi_u32 s20, s16, s18
	s_mul_i32 s9, s17, s18
	s_add_nc_u64 s[20:21], s[20:21], s[24:25]
	s_mul_hi_u32 s5, s17, s18
	s_mul_hi_u32 s28, s17, s19
	s_wait_alu 0xfffe
	s_add_co_u32 s9, s20, s9
	s_add_co_ci_u32 s22, s21, s5
	s_mul_i32 s18, s17, s19
	s_add_co_ci_u32 s19, s28, 0
	s_mov_b32 s21, s4
	s_add_nc_u64 s[18:19], s[22:23], s[18:19]
	s_delay_alu instid0(SALU_CYCLE_1)
	s_add_co_u32 s5, s16, s18
	s_cselect_b32 s9, -1, 0
	s_wait_alu 0xfffe
	s_cmp_lg_u32 s9, 0
	s_add_co_ci_u32 s9, s17, s19
	s_xor_b64 s[2:3], s[2:3], 0
	s_mov_b32 s17, s4
	s_wait_alu 0xfffe
	s_mul_hi_u32 s19, s2, s9
	s_mul_i32 s18, s2, s9
	s_mul_hi_u32 s20, s2, s5
	s_mul_hi_u32 s16, s3, s5
	s_mul_i32 s5, s3, s5
	s_add_nc_u64 s[18:19], s[20:21], s[18:19]
	s_mul_hi_u32 s22, s3, s9
	s_wait_alu 0xfffe
	s_add_co_u32 s5, s18, s5
	s_add_co_ci_u32 s16, s19, s16
	s_mul_i32 s20, s3, s9
	s_add_co_ci_u32 s21, s22, 0
	s_delay_alu instid0(SALU_CYCLE_1) | instskip(NEXT) | instid1(SALU_CYCLE_1)
	s_add_nc_u64 s[16:17], s[16:17], s[20:21]
	s_mul_u64 s[18:19], s[14:15], s[16:17]
	s_delay_alu instid0(SALU_CYCLE_1)
	s_sub_co_u32 s2, s2, s18
	s_cselect_b32 s5, -1, 0
	s_sub_co_i32 s9, s3, s19
	s_wait_alu 0xfffe
	s_cmp_lg_u32 s5, 0
	s_sub_co_ci_u32 s9, s9, s15
	s_sub_co_u32 s18, s2, s14
	s_cselect_b32 s20, -1, 0
	s_delay_alu instid0(SALU_CYCLE_1)
	s_cmp_lg_u32 s20, 0
	s_add_nc_u64 s[20:21], s[16:17], 1
	s_wait_alu 0xfffe
	s_sub_co_ci_u32 s9, s9, 0
	s_wait_alu 0xfffe
	s_cmp_ge_u32 s9, s15
	s_cselect_b32 s22, -1, 0
	s_cmp_ge_u32 s18, s14
	s_cselect_b32 s18, -1, 0
	s_cmp_eq_u32 s9, s15
	s_cselect_b32 s9, s18, s22
	s_add_nc_u64 s[22:23], s[16:17], 2
	s_wait_alu 0xfffe
	s_cmp_lg_u32 s9, 0
	s_cselect_b32 s9, s22, s20
	s_cselect_b32 s18, s23, s21
	s_cmp_lg_u32 s5, 0
	s_sub_co_ci_u32 s3, s3, s19
	s_delay_alu instid0(SALU_CYCLE_1)
	s_cmp_ge_u32 s3, s15
	s_cselect_b32 s5, -1, 0
	s_cmp_ge_u32 s2, s14
	s_cselect_b32 s2, -1, 0
	s_cmp_eq_u32 s3, s15
	s_wait_alu 0xfffe
	s_cselect_b32 s2, s2, s5
	s_delay_alu instid0(SALU_CYCLE_1) | instskip(SKIP_3) | instid1(SALU_CYCLE_1)
	s_cmp_lg_u32 s2, 0
	s_cselect_b32 s3, s18, s17
	s_cselect_b32 s2, s9, s16
	s_xor_b64 s[6:7], 0, s[6:7]
	s_xor_b64 s[2:3], s[2:3], s[6:7]
	s_delay_alu instid0(SALU_CYCLE_1)
	s_sub_nc_u64 s[50:51], s[2:3], s[6:7]
	s_and_not1_b32 vcc_lo, exec_lo, s4
	s_cbranch_vccnz .LBB53_10
.LBB53_9:
	v_cvt_f32_u32_e32 v1, s40
	s_sub_co_i32 s3, 0, s40
	s_mov_b32 s51, 0
	s_delay_alu instid0(VALU_DEP_1) | instskip(NEXT) | instid1(TRANS32_DEP_1)
	v_rcp_iflag_f32_e32 v1, v1
	v_mul_f32_e32 v1, 0x4f7ffffe, v1
	s_delay_alu instid0(VALU_DEP_1) | instskip(NEXT) | instid1(VALU_DEP_1)
	v_cvt_u32_f32_e32 v1, v1
	v_readfirstlane_b32 s2, v1
	s_mul_i32 s3, s3, s2
	s_delay_alu instid0(SALU_CYCLE_1) | instskip(NEXT) | instid1(SALU_CYCLE_1)
	s_mul_hi_u32 s3, s2, s3
	s_add_co_i32 s2, s2, s3
	s_delay_alu instid0(SALU_CYCLE_1) | instskip(NEXT) | instid1(SALU_CYCLE_1)
	s_mul_hi_u32 s2, s26, s2
	s_mul_i32 s3, s2, s40
	s_add_co_i32 s4, s2, 1
	s_sub_co_i32 s3, s26, s3
	s_delay_alu instid0(SALU_CYCLE_1)
	s_sub_co_i32 s5, s3, s40
	s_cmp_ge_u32 s3, s40
	s_wait_alu 0xfffe
	s_cselect_b32 s2, s4, s2
	s_cselect_b32 s3, s5, s3
	s_add_co_i32 s4, s2, 1
	s_cmp_ge_u32 s3, s40
	s_wait_alu 0xfffe
	s_cselect_b32 s50, s4, s2
.LBB53_10:
	s_clause 0x1
	s_load_b128 s[4:7], s[0:1], 0xd0
	s_load_b64 s[16:17], s[0:1], 0x0
	v_cmp_eq_u32_e64 s2, 0, v0
	s_add_nc_u64 s[14:15], s[0:1], 0x500
	s_mov_b32 s25, 0
	s_and_saveexec_b32 s3, s2
	s_cbranch_execz .LBB53_12
; %bb.11:
	v_dual_mov_b32 v1, 0 :: v_dual_mov_b32 v4, s37
	s_delay_alu instid0(VALU_DEP_1)
	v_dual_mov_b32 v3, s36 :: v_dual_mov_b32 v2, v1
	ds_store_b32 v1, v1 offset:5136
	ds_store_b128 v1, v[1:4] offset:5120
.LBB53_12:
	s_or_b32 exec_lo, exec_lo, s3
	s_mul_u64 s[10:11], s[12:13], s[10:11]
	s_wait_kmcnt 0x0
	s_mul_u64 s[4:5], s[12:13], s[4:5]
	s_wait_alu 0xfffe
	s_sub_nc_u64 s[18:19], s[26:27], s[10:11]
	s_lshl_b64 s[10:11], s[4:5], 2
	s_mul_u64 s[4:5], s[18:19], s[6:7]
	s_clause 0x1
	s_load_b128 s[28:31], s[0:1], 0x430
	s_load_b64 s[52:53], s[0:1], 0x360
	s_lshl_b64 s[6:7], s[4:5], 2
	s_clause 0x1
	s_load_b128 s[44:47], s[0:1], 0x290
	s_load_b64 s[54:55], s[0:1], 0x1c0
	s_wait_dscnt 0x0
	s_barrier_signal -1
	s_barrier_wait -1
	global_inv scope:SCOPE_SE
	s_load_b32 s5, s[14:15], 0xc
	v_dual_mov_b32 v46, 0 :: v_dual_lshlrev_b32 v37, 4, v0
	v_mbcnt_lo_u32_b32 v34, -1, 0
	v_mad_co_u64_u32 v[2:3], null, s42, v0, 0
	s_delay_alu instid0(VALU_DEP_3) | instskip(SKIP_1) | instid1(VALU_DEP_4)
	v_or_b32_e32 v9, 12, v37
	v_or_b32_e32 v11, 8, v37
	v_lshlrev_b64_e64 v[6:7], v34, -1
	v_or_b32_e32 v12, 4, v37
	v_cmp_gt_u32_e32 vcc_lo, 32, v0
	v_mad_co_u64_u32 v[18:19], null, s42, v9, 0
	v_mad_co_u64_u32 v[20:21], null, s42, v11, 0
	v_cmp_gt_i32_e64 s0, 4, v34
	v_dual_mov_b32 v1, v3 :: v_dual_lshlrev_b32 v14, 2, v0
	v_mad_co_u64_u32 v[22:23], null, s42, v12, 0
	v_mov_b32_e32 v13, 0
	v_not_b32_e32 v36, v6
	v_dual_mov_b32 v6, v19 :: v_dual_mov_b32 v7, v21
	s_wait_kmcnt 0x0
	s_and_b32 s56, s5, 0xffff
	s_and_b32 s33, vcc_lo, s0
	s_bfe_u32 s5, s5, 0xb0005
	v_mad_co_u64_u32 v[3:4], null, s43, v0, v[1:2]
	s_cmp_gt_u32 s56, 31
	v_mad_co_u64_u32 v[9:10], null, s43, v9, v[6:7]
	s_cselect_b32 s89, -1, 0
	s_cmp_lt_u32 ttmp9, s8
	v_dual_mov_b32 v1, v13 :: v_dual_mov_b32 v8, v23
	s_cselect_b32 s24, 12, 18
	s_wait_alu 0xfffe
	s_add_co_i32 s9, s5, -1
	s_bfe_u32 s90, s56, 0x30005
	s_wait_alu 0xfffe
	s_and_b32 s9, s9, 0xffff
	v_lshlrev_b64_e32 v[4:5], 2, v[2:3]
	s_wait_alu 0xfffe
	s_cmp_gt_u32 s9, 6
	v_mad_co_u64_u32 v[6:7], null, s43, v11, v[7:8]
	s_add_nc_u64 s[12:13], s[16:17], s[10:11]
	s_cselect_b32 s91, -1, 0
	s_and_b32 s92, s5, 0x7f8
	v_mad_co_u64_u32 v[7:8], null, s43, v12, v[8:9]
	s_cmp_lg_u32 s90, 0
	s_add_nc_u64 s[60:61], s[12:13], s[6:7]
	s_add_nc_u64 s[6:7], s[10:11], s[6:7]
	s_cselect_b32 s93, -1, 0
	s_lshl_b64 s[68:69], s[42:43], 2
	s_lshl_b64 s[70:71], s[42:43], 4
	v_add_co_u32 v16, vcc_lo, s60, v4
	s_add_nc_u64 s[66:67], s[16:17], s[6:7]
	v_mul_lo_u32 v44, 0, s68
	v_mul_lo_u32 v45, 0, s70
	v_add_co_ci_u32_e64 v17, null, s61, v5, vcc_lo
	s_movk_i32 s8, 0x3e0
	v_add_co_u32 v41, s5, s36, v0
	v_add_co_u32 v10, vcc_lo, s66, v4
	v_cmp_lt_i64_e64 s88, 0x300, s[36:37]
	v_cmp_gt_u64_e64 s4, s[36:37], v[0:1]
	v_cmp_gt_i64_e64 s0, s[36:37], v[0:1]
	v_dual_mov_b32 v15, v13 :: v_dual_mov_b32 v28, s38
	s_mov_b32 s57, s25
	v_lshlrev_b64_e32 v[23:24], 4, v[2:3]
	v_cmp_eq_u32_e64 s1, 0, v34
	v_cmp_gt_u32_e64 s3, 2, v0
	v_dual_mov_b32 v40, v7 :: v_dual_add_nc_u32 v35, 0xc00, v14
	s_wait_alu 0xfffe
	v_and_or_b32 v38, v0, s8, 0xc00
	v_mov_b32_e32 v19, v9
	v_mov_b32_e32 v21, v6
	s_wait_alu 0xf1ff
	v_add_co_ci_u32_e64 v42, null, s37, 0, s5
	v_lshl_or_b32 v43, v34, 3, 0xc00
	s_wait_alu 0xfffd
	v_add_co_ci_u32_e64 v11, null, s67, v5, vcc_lo
	v_mov_b32_e32 v29, s39
	v_mov_b32_e32 v25, 1.0
	v_mov_b32_e32 v27, 0
	v_mov_b32_e32 v39, 0
	s_add_nc_u64 s[62:63], s[56:57], -1
	s_mul_u64 s[6:7], s[42:43], s[56:57]
	s_add_nc_u64 s[64:65], s[62:63], s[36:37]
	s_lshl_b64 s[58:59], s[6:7], 2
	s_lshl_b32 s94, s56, 2
	s_mov_b32 s95, 30
	s_add_nc_u64 s[38:39], s[14:15], s[24:25]
	s_mov_b32 s96, 0
	s_mov_b32 s97, 0
                                        ; implicit-def: $sgpr101
                                        ; implicit-def: $sgpr103
                                        ; implicit-def: $sgpr98
                                        ; implicit-def: $sgpr100
                                        ; implicit-def: $sgpr102
                                        ; implicit-def: $sgpr99
	s_branch .LBB53_16
.LBB53_13:                              ;   in Loop: Header=BB53_16 Depth=1
	s_wait_alu 0xfffe
	s_or_b32 exec_lo, exec_lo, s8
	s_delay_alu instid0(SALU_CYCLE_1)
	s_and_b32 s6, s6, exec_lo
	s_and_not1_b32 s22, s22, exec_lo
	s_and_not1_b32 s21, s21, exec_lo
	s_or_not1_b32 s18, s7, exec_lo
.LBB53_14:                              ;   in Loop: Header=BB53_16 Depth=1
	s_wait_alu 0xfffe
	s_or_b32 exec_lo, exec_lo, s5
	s_delay_alu instid0(SALU_CYCLE_1)
	s_and_not1_b32 s5, s99, exec_lo
	s_and_b32 s6, s6, exec_lo
	s_and_not1_b32 s7, s100, exec_lo
	s_wait_alu 0xfffe
	s_or_b32 s99, s5, s6
	s_and_not1_b32 s5, s102, exec_lo
	s_and_b32 s6, s22, exec_lo
	s_and_b32 s8, s21, exec_lo
	s_wait_alu 0xfffe
	s_or_b32 s102, s5, s6
	s_or_b32 s100, s7, s8
	s_or_not1_b32 s18, s18, exec_lo
.LBB53_15:                              ;   in Loop: Header=BB53_16 Depth=1
	s_wait_alu 0xfffe
	s_or_b32 exec_lo, exec_lo, s17
	s_delay_alu instid0(SALU_CYCLE_1)
	s_and_b32 s5, exec_lo, s18
	v_dual_mov_b32 v29, v7 :: v_dual_mov_b32 v28, v6
	s_wait_alu 0xfffe
	s_or_b32 s96, s5, s96
	s_and_not1_b32 s5, s98, exec_lo
	s_and_b32 s6, s99, exec_lo
	s_and_not1_b32 s7, s103, exec_lo
	s_wait_alu 0xfffe
	s_or_b32 s98, s5, s6
	s_and_b32 s5, s102, exec_lo
	s_and_not1_b32 s6, s101, exec_lo
	s_and_b32 s8, s100, exec_lo
	s_wait_alu 0xfffe
	s_or_b32 s103, s7, s5
	s_or_b32 s101, s6, s8
	s_and_not1_b32 exec_lo, exec_lo, s96
	s_cbranch_execz .LBB53_281
.LBB53_16:                              ; =>This Loop Header: Depth=1
                                        ;     Child Loop BB53_22 Depth 2
                                        ;     Child Loop BB53_35 Depth 2
                                        ;     Child Loop BB53_69 Depth 2
                                        ;     Child Loop BB53_73 Depth 2
                                        ;     Child Loop BB53_58 Depth 2
                                        ;     Child Loop BB53_63 Depth 2
                                        ;     Child Loop BB53_51 Depth 2
                                        ;     Child Loop BB53_82 Depth 2
                                        ;     Child Loop BB53_96 Depth 2
                                        ;     Child Loop BB53_111 Depth 2
                                        ;     Child Loop BB53_141 Depth 2
                                        ;     Child Loop BB53_158 Depth 2
                                        ;     Child Loop BB53_189 Depth 2
                                        ;     Child Loop BB53_206 Depth 2
                                        ;     Child Loop BB53_236 Depth 2
                                        ;     Child Loop BB53_253 Depth 2
	ds_load_b128 v[2:5], v13 offset:5120
	s_wait_dscnt 0x0
	v_readfirstlane_b32 s73, v3
	v_readfirstlane_b32 s72, v2
	s_wait_alu 0xf1ff
	s_delay_alu instid0(VALU_DEP_1)
	v_cmp_gt_i64_e64 s5, s[72:73], 0
	s_and_b32 vcc_lo, exec_lo, s5
	s_wait_alu 0xfffe
	s_cbranch_vccnz .LBB53_43
; %bb.17:                               ;   in Loop: Header=BB53_16 Depth=1
	s_and_b32 vcc_lo, exec_lo, s88
	s_wait_alu 0xfffe
	s_cbranch_vccz .LBB53_30
; %bb.18:                               ;   in Loop: Header=BB53_16 Depth=1
	v_cmp_gt_i64_e32 vcc_lo, 0x301, v[4:5]
	s_mov_b32 s7, 0
	s_mov_b32 s5, 0
	s_cbranch_vccz .LBB53_31
; %bb.19:                               ;   in Loop: Header=BB53_16 Depth=1
	s_and_saveexec_b32 s8, s4
	s_cbranch_execz .LBB53_77
; %bb.20:                               ;   in Loop: Header=BB53_16 Depth=1
	global_load_u16 v2, v13, s[38:39]
	global_load_b32 v7, v[16:17], off
	s_mov_b32 s9, 0
	s_wait_loadcnt 0x1
	v_and_b32_e32 v6, 0xffff, v2
	s_delay_alu instid0(VALU_DEP_1) | instskip(SKIP_2) | instid1(VALU_DEP_3)
	v_add_nc_u32_e32 v4, v0, v6
	v_mul_lo_u32 v5, v6, s69
	v_mul_hi_u32 v9, v6, s68
	v_mad_co_u64_u32 v[2:3], null, s68, v4, s[66:67]
	s_delay_alu instid0(VALU_DEP_1) | instskip(NEXT) | instid1(VALU_DEP_4)
	v_mad_co_u64_u32 v[3:4], null, s69, v4, v[3:4]
	v_add_nc_u32_e32 v4, v5, v44
	s_delay_alu instid0(VALU_DEP_1)
	v_add_nc_u32_e32 v9, v4, v9
	v_mov_b32_e32 v5, v1
	v_mul_lo_u32 v8, v6, s68
	v_mov_b32_e32 v4, v0
	s_branch .LBB53_22
.LBB53_21:                              ;   in Loop: Header=BB53_22 Depth=2
	s_wait_alu 0xfffe
	s_or_b32 exec_lo, exec_lo, s6
	v_add_co_u32 v2, vcc_lo, v2, v8
	s_wait_alu 0xfffd
	v_add_co_ci_u32_e64 v3, null, v3, v9, vcc_lo
	v_mov_b32_e32 v7, v12
	s_and_not1_b32 exec_lo, exec_lo, s9
	s_cbranch_execz .LBB53_77
.LBB53_22:                              ;   Parent Loop BB53_16 Depth=1
                                        ; =>  This Inner Loop Header: Depth=2
	s_delay_alu instid0(VALU_DEP_1)
	v_add_co_u32 v4, vcc_lo, v4, v6
	s_wait_alu 0xfffd
	v_add_co_ci_u32_e64 v5, null, 0, v5, vcc_lo
	s_wait_dscnt 0x0
	v_mov_b32_e32 v26, 0
	v_mov_b32_e32 v12, 0
	s_mov_b32 s6, exec_lo
	v_cmp_le_i64_e32 vcc_lo, s[36:37], v[4:5]
	v_cmpx_gt_i64_e64 s[36:37], v[4:5]
	s_cbranch_execz .LBB53_24
; %bb.23:                               ;   in Loop: Header=BB53_22 Depth=2
	global_load_b32 v12, v[2:3], off
.LBB53_24:                              ;   in Loop: Header=BB53_22 Depth=2
	s_wait_alu 0xfffe
	s_or_b32 exec_lo, exec_lo, s6
	s_wait_loadcnt 0x0
	v_cmp_lt_i32_e64 s5, -1, v7
	s_wait_alu 0xf1ff
	s_delay_alu instid0(VALU_DEP_1) | instskip(SKIP_1) | instid1(VALU_DEP_2)
	v_cndmask_b32_e64 v30, -1, 0x80000000, s5
	v_cmp_o_f32_e64 s5, v7, v7
	v_xor_b32_e32 v30, v30, v7
	s_wait_alu 0xf1ff
	s_delay_alu instid0(VALU_DEP_1) | instskip(NEXT) | instid1(VALU_DEP_1)
	v_cndmask_b32_e64 v30, -1, v30, s5
	v_and_b32_e32 v30, v30, v46
	s_delay_alu instid0(VALU_DEP_1)
	v_cmp_eq_u32_e64 s5, v30, v39
	s_cmp_lg_u32 s5, 0
	s_cselect_b32 s6, -1, 0
	s_wait_alu 0xfffe
	s_and_b32 s6, s1, s6
	s_wait_alu 0xfffe
	s_and_saveexec_b32 s10, s6
	s_cbranch_execz .LBB53_28
; %bb.25:                               ;   in Loop: Header=BB53_22 Depth=2
	s_mov_b32 s13, exec_lo
	s_bcnt1_i32_b32 s11, s5
	s_wait_alu 0xfffe
	v_mbcnt_lo_u32_b32 v26, s13, 0
	s_mov_b32 s12, exec_lo
                                        ; implicit-def: $vgpr30
	s_delay_alu instid0(VALU_DEP_1)
	v_cmpx_eq_u32_e32 0, v26
; %bb.26:                               ;   in Loop: Header=BB53_22 Depth=2
	s_bcnt1_i32_b32 s6, s13
	s_wait_alu 0xfffe
	s_mul_i32 s6, s11, s6
	s_wait_alu 0xfffe
	v_mov_b32_e32 v30, s6
	ds_add_rtn_u32 v30, v13, v30 offset:5136
; %bb.27:                               ;   in Loop: Header=BB53_22 Depth=2
	s_or_b32 exec_lo, exec_lo, s12
	s_wait_dscnt 0x0
	v_readfirstlane_b32 s6, v30
	s_wait_alu 0xf1ff
	s_delay_alu instid0(VALU_DEP_1)
	v_mad_u32_u24 v26, s11, v26, s6
.LBB53_28:                              ;   in Loop: Header=BB53_22 Depth=2
	s_wait_alu 0xfffe
	s_or_b32 exec_lo, exec_lo, s10
	ds_bpermute_b32 v26, v13, v26
	s_and_b32 s6, exec_lo, vcc_lo
	s_wait_alu 0xfffe
	s_or_b32 s9, s6, s9
	s_and_saveexec_b32 s6, s5
	s_cbranch_execz .LBB53_21
; %bb.29:                               ;   in Loop: Header=BB53_22 Depth=2
	v_and_b32_e32 v30, s5, v36
	s_delay_alu instid0(VALU_DEP_1) | instskip(NEXT) | instid1(VALU_DEP_1)
	v_bcnt_u32_b32 v30, v30, 0
	v_lshlrev_b32_e32 v30, 2, v30
	s_wait_dscnt 0x0
	s_delay_alu instid0(VALU_DEP_1)
	v_lshl_add_u32 v26, v26, 2, v30
	ds_store_b32 v26, v7
	s_branch .LBB53_21
.LBB53_30:                              ;   in Loop: Header=BB53_16 Depth=1
	s_mov_b32 s7, -1
	s_mov_b32 s5, 0
.LBB53_31:                              ;   in Loop: Header=BB53_16 Depth=1
	s_wait_alu 0xfffe
	s_and_b32 vcc_lo, exec_lo, s7
	s_wait_alu 0xfffe
	s_cbranch_vccz .LBB53_41
.LBB53_32:                              ;   in Loop: Header=BB53_16 Depth=1
	s_and_saveexec_b32 s6, s0
	s_cbranch_execz .LBB53_38
; %bb.33:                               ;   in Loop: Header=BB53_16 Depth=1
	global_load_u16 v2, v13, s[38:39]
	global_load_b32 v8, v[16:17], off
	s_mov_b32 s7, exec_lo
	s_wait_loadcnt 0x1
	v_dual_mov_b32 v2, v0 :: v_dual_and_b32 v9, 0xffff, v2
	s_delay_alu instid0(VALU_DEP_1) | instskip(NEXT) | instid1(VALU_DEP_1)
	v_add_nc_u32_e32 v12, v9, v0
	v_cmpx_gt_i64_e64 s[36:37], v[12:13]
	s_cbranch_execz .LBB53_37
; %bb.34:                               ;   in Loop: Header=BB53_16 Depth=1
	v_mul_lo_u32 v5, v9, s69
	v_mad_co_u64_u32 v[2:3], null, s68, v12, s[66:67]
	v_mul_hi_u32 v6, v9, s68
	v_mul_lo_u32 v26, v9, s68
	s_mov_b32 s8, 0
	s_delay_alu instid0(VALU_DEP_4) | instskip(NEXT) | instid1(VALU_DEP_4)
	v_add_nc_u32_e32 v7, v5, v44
	v_mad_co_u64_u32 v[3:4], null, s69, v12, v[3:4]
	v_dual_mov_b32 v4, v12 :: v_dual_mov_b32 v5, v13
	s_delay_alu instid0(VALU_DEP_3)
	v_dual_mov_b32 v7, v1 :: v_dual_add_nc_u32 v12, v7, v6
	v_mov_b32_e32 v6, v0
.LBB53_35:                              ;   Parent Loop BB53_16 Depth=1
                                        ; =>  This Inner Loop Header: Depth=2
	global_load_b32 v30, v[2:3], off
	v_dual_mov_b32 v32, v5 :: v_dual_mov_b32 v31, v4
	v_lshlrev_b32_e32 v6, 2, v6
	s_delay_alu instid0(VALU_DEP_2) | instskip(SKIP_1) | instid1(VALU_DEP_3)
	v_add_co_u32 v4, vcc_lo, v31, v9
	s_wait_alu 0xfffd
	v_add_co_ci_u32_e64 v5, null, 0, v32, vcc_lo
	v_add_co_u32 v2, vcc_lo, v2, v26
	s_wait_alu 0xfffd
	v_add_co_ci_u32_e64 v3, null, v3, v12, vcc_lo
	s_delay_alu instid0(VALU_DEP_3)
	v_cmp_le_i64_e64 s5, s[36:37], v[4:5]
	s_wait_loadcnt 0x1
	ds_store_b32 v6, v8
	v_dual_mov_b32 v6, v31 :: v_dual_mov_b32 v7, v32
	s_wait_alu 0xfffe
	s_or_b32 s8, s5, s8
	s_wait_loadcnt 0x0
	v_mov_b32_e32 v8, v30
	s_wait_alu 0xfffe
	s_and_not1_b32 exec_lo, exec_lo, s8
	s_cbranch_execnz .LBB53_35
; %bb.36:                               ;   in Loop: Header=BB53_16 Depth=1
	s_or_b32 exec_lo, exec_lo, s8
	v_sub_nc_u32_e32 v2, v4, v9
	v_mov_b32_e32 v8, v30
.LBB53_37:                              ;   in Loop: Header=BB53_16 Depth=1
	s_wait_alu 0xfffe
	s_or_b32 exec_lo, exec_lo, s7
	s_delay_alu instid0(VALU_DEP_2)
	v_lshlrev_b32_e32 v2, 2, v2
	s_wait_loadcnt 0x0
	ds_store_b32 v2, v8
.LBB53_38:                              ;   in Loop: Header=BB53_16 Depth=1
	s_wait_alu 0xfffe
	s_or_b32 exec_lo, exec_lo, s6
	s_wait_loadcnt_dscnt 0x0
	s_barrier_signal -1
	s_barrier_wait -1
	global_inv scope:SCOPE_SE
	s_and_saveexec_b32 s5, s2
; %bb.39:                               ;   in Loop: Header=BB53_16 Depth=1
	v_dual_mov_b32 v2, s36 :: v_dual_mov_b32 v3, s37
	ds_store_b64 v13, v[2:3] offset:5120
; %bb.40:                               ;   in Loop: Header=BB53_16 Depth=1
	s_wait_alu 0xfffe
	s_or_b32 exec_lo, exec_lo, s5
	s_mov_b32 s5, -1
	s_wait_loadcnt_dscnt 0x0
	s_barrier_signal -1
	s_barrier_wait -1
.LBB53_41:                              ;   in Loop: Header=BB53_16 Depth=1
	s_wait_alu 0xfffe
	s_and_b32 vcc_lo, exec_lo, s5
	s_wait_alu 0xfffe
	s_cbranch_vccz .LBB53_43
; %bb.42:                               ;   in Loop: Header=BB53_16 Depth=1
	s_wait_loadcnt 0x0
	global_inv scope:SCOPE_SE
	ds_load_b64 v[2:3], v13 offset:5120
	s_wait_dscnt 0x0
	v_readfirstlane_b32 s72, v2
.LBB53_43:                              ;   in Loop: Header=BB53_16 Depth=1
	s_delay_alu instid0(VALU_DEP_1)
	s_cmp_lt_i32 s72, 1
	s_mov_b32 s5, -1
                                        ; implicit-def: $vgpr2_vgpr3
                                        ; implicit-def: $vgpr6_vgpr7
	s_cbranch_scc1 .LBB53_53
; %bb.44:                               ;   in Loop: Header=BB53_16 Depth=1
	s_wait_alu 0xfffe
	s_and_b32 vcc_lo, exec_lo, s5
	s_wait_alu 0xfffe
	s_cbranch_vccnz .LBB53_67
.LBB53_45:                              ;   in Loop: Header=BB53_16 Depth=1
	s_lshl_b32 s5, s97, 7
	s_and_saveexec_b32 s6, s1
	s_cbranch_execz .LBB53_47
.LBB53_46:                              ;   in Loop: Header=BB53_16 Depth=1
	s_wait_alu 0xfffe
	v_lshl_add_u32 v12, s5, 3, v38
	ds_store_b128 v12, v[2:5]
	ds_store_b128 v12, v[6:9] offset:16
.LBB53_47:                              ;   in Loop: Header=BB53_16 Depth=1
	s_wait_alu 0xfffe
	s_or_b32 exec_lo, exec_lo, s6
	s_wait_loadcnt_dscnt 0x0
	s_barrier_signal -1
	s_barrier_wait -1
	global_inv scope:SCOPE_SE
	s_and_saveexec_b32 s6, s33
	s_cbranch_execz .LBB53_84
; %bb.48:                               ;   in Loop: Header=BB53_16 Depth=1
	v_mov_b32_e32 v2, 0
	v_mov_b32_e32 v3, 0
	s_and_not1_b32 vcc_lo, exec_lo, s89
	s_wait_alu 0xfffe
	s_cbranch_vccnz .LBB53_83
; %bb.49:                               ;   in Loop: Header=BB53_16 Depth=1
	v_mov_b32_e32 v2, 0
	v_mov_b32_e32 v3, 0
	s_and_not1_b32 vcc_lo, exec_lo, s91
	s_wait_alu 0xfffe
	s_cbranch_vccnz .LBB53_80
; %bb.50:                               ;   in Loop: Header=BB53_16 Depth=1
	v_lshl_add_u32 v4, s97, 10, v43
	s_mov_b32 s7, 0
.LBB53_51:                              ;   Parent Loop BB53_16 Depth=1
                                        ; =>  This Inner Loop Header: Depth=2
	ds_load_2addr_b64 v[5:8], v4 offset1:4
	ds_load_2addr_b64 v[30:33], v4 offset0:8 offset1:12
	ds_load_2addr_b64 v[47:50], v4 offset0:16 offset1:20
	s_wait_alu 0xfffe
	s_add_co_i32 s7, s7, 8
	s_wait_alu 0xfffe
	s_cmp_eq_u32 s92, s7
	s_wait_dscnt 0x2
	v_add_co_u32 v2, vcc_lo, v5, v2
	s_wait_alu 0xfffd
	v_add_co_ci_u32_e64 v3, null, v6, v3, vcc_lo
	s_delay_alu instid0(VALU_DEP_2) | instskip(SKIP_1) | instid1(VALU_DEP_2)
	v_add_co_u32 v2, vcc_lo, v7, v2
	s_wait_alu 0xfffd
	v_add_co_ci_u32_e64 v3, null, v8, v3, vcc_lo
	ds_load_2addr_b64 v[5:8], v4 offset0:24 offset1:28
	s_wait_dscnt 0x2
	v_add_co_u32 v2, vcc_lo, v30, v2
	s_wait_alu 0xfffd
	v_add_co_ci_u32_e64 v3, null, v31, v3, vcc_lo
	v_add_nc_u32_e32 v4, 0x100, v4
	s_delay_alu instid0(VALU_DEP_3) | instskip(SKIP_1) | instid1(VALU_DEP_3)
	v_add_co_u32 v2, vcc_lo, v32, v2
	s_wait_alu 0xfffd
	v_add_co_ci_u32_e64 v3, null, v33, v3, vcc_lo
	s_wait_dscnt 0x1
	s_delay_alu instid0(VALU_DEP_2) | instskip(SKIP_1) | instid1(VALU_DEP_2)
	v_add_co_u32 v2, vcc_lo, v47, v2
	s_wait_alu 0xfffd
	v_add_co_ci_u32_e64 v3, null, v48, v3, vcc_lo
	s_delay_alu instid0(VALU_DEP_2) | instskip(SKIP_1) | instid1(VALU_DEP_2)
	v_add_co_u32 v2, vcc_lo, v49, v2
	s_wait_alu 0xfffd
	v_add_co_ci_u32_e64 v3, null, v50, v3, vcc_lo
	s_wait_dscnt 0x0
	s_delay_alu instid0(VALU_DEP_2) | instskip(SKIP_1) | instid1(VALU_DEP_2)
	v_add_co_u32 v2, vcc_lo, v5, v2
	s_wait_alu 0xfffd
	v_add_co_ci_u32_e64 v3, null, v6, v3, vcc_lo
	s_delay_alu instid0(VALU_DEP_2) | instskip(SKIP_1) | instid1(VALU_DEP_2)
	v_add_co_u32 v2, vcc_lo, v7, v2
	s_wait_alu 0xfffd
	v_add_co_ci_u32_e64 v3, null, v8, v3, vcc_lo
	s_cbranch_scc0 .LBB53_51
; %bb.52:                               ;   in Loop: Header=BB53_16 Depth=1
	s_mov_b32 s7, s92
	s_and_not1_b32 vcc_lo, exec_lo, s93
	s_wait_alu 0xfffe
	s_cbranch_vccz .LBB53_81
	s_branch .LBB53_83
.LBB53_53:                              ;   in Loop: Header=BB53_16 Depth=1
	global_load_u16 v12, v13, s[38:39]
	s_mov_b32 s6, s25
	s_mov_b32 s7, s37
	s_wait_loadcnt 0x0
	v_readfirstlane_b32 s5, v12
	s_wait_alu 0xfffe
	s_and_b32 s5, 0xffff, s5
	s_wait_alu 0xfffe
	s_lshl_b32 s74, s5, 2
	s_cmp_lg_u64 s[6:7], 0
	s_cbranch_scc0 .LBB53_76
; %bb.54:                               ;   in Loop: Header=BB53_16 Depth=1
	s_mov_b32 s75, s25
	s_wait_alu 0xfffe
	s_add_nc_u64 s[6:7], s[74:75], 0
	s_wait_alu 0xfffe
	s_xor_b64 s[6:7], s[6:7], 0
	s_wait_alu 0xfffe
	s_cvt_f32_u32 s5, s6
	s_cvt_f32_u32 s8, s7
	s_sub_nc_u64 s[10:11], 0, s[6:7]
	s_wait_alu 0xfffe
	s_delay_alu instid0(SALU_CYCLE_1) | instskip(SKIP_1) | instid1(SALU_CYCLE_2)
	s_fmamk_f32 s5, s8, 0x4f800000, s5
	s_wait_alu 0xfffe
	v_s_rcp_f32 s5, s5
	s_delay_alu instid0(TRANS32_DEP_1) | instskip(SKIP_1) | instid1(SALU_CYCLE_2)
	s_mul_f32 s5, s5, 0x5f7ffffc
	s_wait_alu 0xfffe
	s_mul_f32 s8, s5, 0x2f800000
	s_wait_alu 0xfffe
	s_delay_alu instid0(SALU_CYCLE_2) | instskip(SKIP_1) | instid1(SALU_CYCLE_2)
	s_trunc_f32 s8, s8
	s_wait_alu 0xfffe
	s_fmamk_f32 s5, s8, 0xcf800000, s5
	s_cvt_u32_f32 s9, s8
	s_wait_alu 0xfffe
	s_delay_alu instid0(SALU_CYCLE_1) | instskip(SKIP_1) | instid1(SALU_CYCLE_2)
	s_cvt_u32_f32 s8, s5
	s_wait_alu 0xfffe
	s_mul_u64 s[12:13], s[10:11], s[8:9]
	s_wait_alu 0xfffe
	s_mul_hi_u32 s15, s8, s13
	s_mul_i32 s14, s8, s13
	s_mul_hi_u32 s24, s8, s12
	s_mul_i32 s16, s9, s12
	s_wait_alu 0xfffe
	s_add_nc_u64 s[14:15], s[24:25], s[14:15]
	s_mul_hi_u32 s5, s9, s12
	s_mul_hi_u32 s17, s9, s13
	s_mul_i32 s12, s9, s13
	s_add_co_u32 s13, s14, s16
	s_wait_alu 0xfffe
	s_add_co_ci_u32 s24, s15, s5
	s_add_co_ci_u32 s13, s17, 0
	s_wait_alu 0xfffe
	s_add_nc_u64 s[12:13], s[24:25], s[12:13]
	s_wait_alu 0xfffe
	s_add_co_u32 s8, s8, s12
	s_cselect_b32 s5, -1, 0
	s_wait_alu 0xfffe
	s_cmp_lg_u32 s5, 0
	s_add_co_ci_u32 s9, s9, s13
	s_wait_alu 0xfffe
	s_mul_u64 s[10:11], s[10:11], s[8:9]
	s_wait_alu 0xfffe
	s_mul_hi_u32 s13, s8, s11
	s_mul_i32 s12, s8, s11
	s_mul_hi_u32 s24, s8, s10
	s_mul_i32 s14, s9, s10
	s_wait_alu 0xfffe
	s_add_nc_u64 s[12:13], s[24:25], s[12:13]
	s_mul_hi_u32 s5, s9, s10
	s_mul_hi_u32 s15, s9, s11
	s_mul_i32 s10, s9, s11
	s_wait_alu 0xfffe
	s_add_co_u32 s11, s12, s14
	s_add_co_ci_u32 s24, s13, s5
	s_add_co_ci_u32 s11, s15, 0
	s_wait_alu 0xfffe
	s_add_nc_u64 s[10:11], s[24:25], s[10:11]
	s_wait_alu 0xfffe
	s_add_co_u32 s5, s8, s10
	s_cselect_b32 s8, -1, 0
	s_wait_alu 0xfffe
	s_cmp_lg_u32 s8, 0
	s_add_co_ci_u32 s14, s9, s11
	s_ashr_i32 s8, s37, 31
	s_wait_alu 0xfffe
	s_mov_b32 s9, s8
	s_wait_alu 0xfffe
	s_add_nc_u64 s[10:11], s[36:37], s[8:9]
	s_wait_alu 0xfffe
	s_xor_b64 s[10:11], s[10:11], s[8:9]
	s_wait_alu 0xfffe
	s_mul_hi_u32 s13, s10, s14
	s_mul_i32 s12, s10, s14
	s_mul_hi_u32 s24, s10, s5
	s_mul_hi_u32 s16, s11, s5
	s_mul_i32 s5, s11, s5
	s_wait_alu 0xfffe
	s_add_nc_u64 s[12:13], s[24:25], s[12:13]
	s_mul_hi_u32 s15, s11, s14
	s_wait_alu 0xfffe
	s_add_co_u32 s5, s12, s5
	s_add_co_ci_u32 s24, s13, s16
	s_mul_i32 s14, s11, s14
	s_add_co_ci_u32 s15, s15, 0
	s_wait_alu 0xfffe
	s_add_nc_u64 s[12:13], s[24:25], s[14:15]
	s_wait_alu 0xfffe
	s_mul_u64 s[12:13], s[6:7], s[12:13]
	s_wait_alu 0xfffe
	s_sub_co_u32 s5, s10, s12
	s_cselect_b32 s10, -1, 0
	s_sub_co_i32 s12, s11, s13
	s_wait_alu 0xfffe
	s_cmp_lg_u32 s10, 0
	s_sub_co_ci_u32 s12, s12, s7
	s_sub_co_u32 s14, s5, s6
	s_cselect_b32 s15, -1, 0
	s_delay_alu instid0(SALU_CYCLE_1)
	s_cmp_lg_u32 s15, 0
	s_wait_alu 0xfffe
	s_sub_co_ci_u32 s16, s12, 0
	s_wait_alu 0xfffe
	s_cmp_ge_u32 s16, s7
	s_cselect_b32 s17, -1, 0
	s_cmp_ge_u32 s14, s6
	s_cselect_b32 s18, -1, 0
	s_cmp_eq_u32 s16, s7
	s_wait_alu 0xfffe
	s_cselect_b32 s17, s18, s17
	s_cmp_lg_u32 s15, 0
	s_sub_co_ci_u32 s12, s12, s7
	s_sub_co_u32 s15, s14, s6
	s_cselect_b32 s18, -1, 0
	s_delay_alu instid0(SALU_CYCLE_1)
	s_cmp_lg_u32 s18, 0
	s_wait_alu 0xfffe
	s_sub_co_ci_u32 s12, s12, 0
	s_cmp_lg_u32 s17, 0
	s_cselect_b32 s14, s15, s14
	s_wait_alu 0xfffe
	s_cselect_b32 s12, s12, s16
	s_cmp_lg_u32 s10, 0
	s_sub_co_ci_u32 s10, s11, s13
	s_wait_alu 0xfffe
	s_cmp_ge_u32 s10, s7
	s_cselect_b32 s11, -1, 0
	s_cmp_ge_u32 s5, s6
	s_cselect_b32 s6, -1, 0
	s_cmp_eq_u32 s10, s7
	s_wait_alu 0xfffe
	s_cselect_b32 s6, s6, s11
	s_wait_alu 0xfffe
	s_cmp_lg_u32 s6, 0
	s_cselect_b32 s7, s12, s10
	s_cselect_b32 s6, s14, s5
	s_wait_alu 0xfffe
	s_xor_b64 s[6:7], s[6:7], s[8:9]
	s_wait_alu 0xfffe
	s_sub_nc_u64 s[76:77], s[6:7], s[8:9]
	s_cbranch_execnz .LBB53_56
.LBB53_55:                              ;   in Loop: Header=BB53_16 Depth=1
	s_wait_alu 0xfffe
	v_cvt_f32_u32_e32 v2, s74
	s_sub_co_i32 s6, 0, s74
	s_delay_alu instid0(VALU_DEP_1) | instskip(NEXT) | instid1(TRANS32_DEP_1)
	v_rcp_iflag_f32_e32 v2, v2
	v_mul_f32_e32 v2, 0x4f7ffffe, v2
	s_delay_alu instid0(VALU_DEP_1) | instskip(NEXT) | instid1(VALU_DEP_1)
	v_cvt_u32_f32_e32 v2, v2
	v_readfirstlane_b32 s5, v2
	s_wait_alu 0xfffe
	s_mul_i32 s6, s6, s5
	s_wait_alu 0xfffe
	s_mul_hi_u32 s6, s5, s6
	s_wait_alu 0xfffe
	s_add_co_i32 s5, s5, s6
	s_wait_alu 0xfffe
	s_mul_hi_u32 s5, s36, s5
	s_wait_alu 0xfffe
	s_mul_i32 s5, s5, s74
	s_wait_alu 0xfffe
	s_sub_co_i32 s5, s36, s5
	s_wait_alu 0xfffe
	s_sub_co_i32 s6, s5, s74
	s_cmp_ge_u32 s5, s74
	s_wait_alu 0xfffe
	s_cselect_b32 s5, s6, s5
	s_wait_alu 0xfffe
	s_sub_co_i32 s6, s5, s74
	s_cmp_ge_u32 s5, s74
	s_wait_alu 0xfffe
	s_cselect_b32 s24, s6, s5
	s_wait_alu 0xfffe
	s_mov_b64 s[76:77], s[24:25]
.LBB53_56:                              ;   in Loop: Header=BB53_16 Depth=1
	v_mov_b32_e32 v2, 0
	v_dual_mov_b32 v6, 0 :: v_dual_mov_b32 v3, 0
	v_dual_mov_b32 v4, 0 :: v_dual_mov_b32 v7, 0
	;; [unrolled: 1-line block ×3, first 2 shown]
	v_dual_mov_b32 v9, 0 :: v_dual_and_b32 v12, 0xffff, v12
	s_wait_alu 0xfffe
	s_sub_nc_u64 s[78:79], s[36:37], s[76:77]
	s_mov_b32 s73, exec_lo
	s_wait_alu 0xfffe
	v_cmpx_gt_i64_e64 s[78:79], v[14:15]
	s_cbranch_execz .LBB53_60
; %bb.57:                               ;   in Loop: Header=BB53_16 Depth=1
	v_mul_lo_u32 v2, v12, s71
	v_mul_hi_u32 v3, v12, s70
	v_mul_lo_u32 v26, v12, s70
	v_dual_mov_b32 v33, v15 :: v_dual_mov_b32 v32, v14
	s_mov_b64 s[80:81], 0
	s_mov_b32 s75, 0
	s_mov_b64 s[82:83], 0
	s_delay_alu instid0(VALU_DEP_4) | instskip(SKIP_3) | instid1(VALU_DEP_2)
	v_add_nc_u32_e32 v2, v2, v45
	v_dual_mov_b32 v30, s60 :: v_dual_mov_b32 v31, s61
	s_mov_b64 s[84:85], 0
	s_mov_b64 s[86:87], 0
	v_add_nc_u32_e32 v47, v2, v3
.LBB53_58:                              ;   Parent Loop BB53_16 Depth=1
                                        ; =>  This Inner Loop Header: Depth=2
	s_delay_alu instid0(VALU_DEP_2)
	v_add_co_u32 v2, vcc_lo, v30, v23
	s_wait_alu 0xfffd
	v_add_co_ci_u32_e64 v3, null, v31, v24, vcc_lo
	v_add_co_u32 v4, vcc_lo, v30, v22
	s_wait_alu 0xfffd
	v_add_co_ci_u32_e64 v5, null, v31, v40, vcc_lo
	;; [unrolled: 3-line block ×4, first 2 shown]
	s_clause 0x3
	global_load_b32 v2, v[2:3], off
	global_load_b32 v3, v[4:5], off
	;; [unrolled: 1-line block ×4, first 2 shown]
	v_add_co_u32 v32, vcc_lo, v32, s74
	s_wait_alu 0xfffd
	v_add_co_ci_u32_e64 v33, null, 0, v33, vcc_lo
	v_add_co_u32 v30, vcc_lo, v30, v26
	s_wait_alu 0xfffd
	v_add_co_ci_u32_e64 v31, null, v31, v47, vcc_lo
	s_delay_alu instid0(VALU_DEP_3)
	v_cmp_le_i64_e32 vcc_lo, s[78:79], v[32:33]
	s_wait_loadcnt 0x3
	v_cmp_lt_i32_e64 s5, -1, v2
	v_cmp_o_f32_e64 s8, v2, v2
	s_wait_loadcnt 0x1
	v_cmp_o_f32_e64 s6, v4, v4
	s_wait_loadcnt 0x0
	v_cmp_o_f32_e64 s7, v5, v5
	s_wait_alu 0xf1ff
	v_cndmask_b32_e64 v6, -1, 0x80000000, s5
	v_cmp_lt_i32_e64 s5, -1, v3
	s_delay_alu instid0(VALU_DEP_2) | instskip(SKIP_1) | instid1(VALU_DEP_2)
	v_xor_b32_e32 v6, v6, v2
	s_wait_alu 0xf1ff
	v_cndmask_b32_e64 v7, -1, 0x80000000, s5
	v_cmp_lt_i32_e64 s5, -1, v4
	s_delay_alu instid0(VALU_DEP_3) | instskip(NEXT) | instid1(VALU_DEP_3)
	v_cndmask_b32_e64 v2, -1, v6, s8
	v_xor_b32_e32 v7, v7, v3
	s_wait_alu 0xf1ff
	s_delay_alu instid0(VALU_DEP_3) | instskip(SKIP_4) | instid1(VALU_DEP_3)
	v_cndmask_b32_e64 v8, -1, 0x80000000, s5
	v_cmp_lt_i32_e64 s5, -1, v5
	v_and_b32_e32 v6, v2, v46
	v_bfe_u32 v2, v2, s95, 2
	s_wait_alu 0xf1ff
	v_cndmask_b32_e64 v9, -1, 0x80000000, s5
	v_cmp_o_f32_e64 s5, v3, v3
	v_xor_b32_e32 v3, v8, v4
	v_cmp_eq_u32_e64 s9, 0, v2
	v_cmp_eq_u32_e64 s13, 1, v2
	v_xor_b32_e32 v4, v9, v5
	s_wait_alu 0xf1ff
	v_cndmask_b32_e64 v5, -1, v7, s5
	v_cndmask_b32_e64 v3, -1, v3, s6
	v_cmp_eq_u32_e64 s5, v6, v39
	v_cmp_eq_u32_e64 s17, 2, v2
	v_cndmask_b32_e64 v4, -1, v4, s7
	v_and_b32_e32 v7, v5, v46
	v_bfe_u32 v5, v5, s95, 2
	v_and_b32_e32 v8, v3, v46
	v_bfe_u32 v3, v3, s95, 2
	;; [unrolled: 2-line block ×3, first 2 shown]
	v_cmp_eq_u32_e64 s6, v7, v39
	v_cmp_eq_u32_e64 s10, 0, v5
	;; [unrolled: 1-line block ×4, first 2 shown]
	s_and_b32 s9, s5, s9
	v_cmp_eq_u32_e64 s8, v9, v39
	v_cmp_eq_u32_e64 s12, 0, v4
	;; [unrolled: 1-line block ×3, first 2 shown]
	s_wait_alu 0xfffe
	v_cndmask_b32_e64 v2, 0, 1, s9
	s_and_b32 s9, s6, s10
	v_cmp_eq_u32_e64 s15, 1, v3
	v_cmp_eq_u32_e64 s19, 2, v3
	;; [unrolled: 1-line block ×3, first 2 shown]
	s_wait_alu 0xfffe
	v_cndmask_b32_e64 v3, 0, 1, s9
	s_and_b32 s9, s7, s11
	v_cmp_eq_u32_e64 s14, 1, v5
	v_cmp_eq_u32_e64 s16, 1, v4
	;; [unrolled: 1-line block ×4, first 2 shown]
	s_wait_alu 0xfffe
	v_cndmask_b32_e64 v4, 0, 1, s9
	s_and_b32 s9, s8, s12
	v_cmp_eq_u32_e64 s18, 2, v5
	v_cmp_eq_u32_e64 s22, 3, v5
	s_wait_alu 0xfffe
	v_cndmask_b32_e64 v5, 0, 1, s9
	s_and_b32 s9, s5, s13
	s_wait_alu 0xfffe
	v_cndmask_b32_e64 v6, 0, 1, s9
	s_and_b32 s9, s6, s14
	s_wait_alu 0xfffe
	v_cndmask_b32_e64 v7, 0, 1, s9
	s_and_b32 s9, s7, s15
	s_wait_alu 0xfffe
	v_cndmask_b32_e64 v8, 0, 1, s9
	s_and_b32 s9, s8, s16
	v_cmp_ne_u32_e64 s10, 0, v7
	s_wait_alu 0xfffe
	v_cndmask_b32_e64 v9, 0, 1, s9
	s_and_b32 s9, s5, s17
	s_and_b32 s5, s5, s21
	s_wait_alu 0xfffe
	v_cndmask_b32_e64 v48, 0, 1, s9
	v_cndmask_b32_e64 v52, 0, 1, s5
	s_and_b32 s5, s6, s22
	s_and_b32 s9, s6, s18
	s_wait_alu 0xfffe
	v_cndmask_b32_e64 v53, 0, 1, s5
	s_and_b32 s5, s7, s23
	v_cndmask_b32_e64 v49, 0, 1, s9
	s_and_b32 s9, s7, s19
	s_wait_alu 0xfffe
	v_cndmask_b32_e64 v54, 0, 1, s5
	s_and_b32 s5, s8, s24
	v_cndmask_b32_e64 v50, 0, 1, s9
	s_and_b32 s9, s8, s20
	s_wait_alu 0xfffe
	v_cndmask_b32_e64 v55, 0, 1, s5
	v_cmp_ne_u32_e64 s5, 0, v2
	v_cmp_ne_u32_e64 s6, 0, v3
	v_cndmask_b32_e64 v51, 0, 1, s9
	v_cmp_ne_u32_e64 s7, 0, v4
	v_cmp_ne_u32_e64 s9, 0, v6
	;; [unrolled: 1-line block ×6, first 2 shown]
	s_bcnt1_i32_b32 s5, s5
	s_bcnt1_i32_b32 s6, s6
	v_cmp_ne_u32_e64 s12, 0, v9
	v_cmp_ne_u32_e64 s15, 0, v50
	;; [unrolled: 1-line block ×4, first 2 shown]
	s_bcnt1_i32_b32 s7, s7
	s_bcnt1_i32_b32 s9, s9
	;; [unrolled: 1-line block ×3, first 2 shown]
	s_wait_alu 0xfffe
	s_add_co_i32 s5, s6, s5
	v_cmp_ne_u32_e64 s16, 0, v51
	v_cmp_ne_u32_e64 s19, 0, v54
	s_bcnt1_i32_b32 s8, s8
	s_bcnt1_i32_b32 s11, s11
	;; [unrolled: 1-line block ×4, first 2 shown]
	s_add_co_i32 s6, s10, s9
	s_wait_alu 0xfffe
	s_add_co_i32 s5, s5, s7
	v_cmp_ne_u32_e64 s20, 0, v55
	s_bcnt1_i32_b32 s12, s12
	s_bcnt1_i32_b32 s15, s15
	;; [unrolled: 1-line block ×4, first 2 shown]
	s_add_co_i32 s9, s14, s13
	s_add_co_i32 s6, s6, s11
	s_wait_alu 0xfffe
	s_add_co_i32 s24, s5, s8
	s_bcnt1_i32_b32 s16, s16
	s_bcnt1_i32_b32 s19, s19
	s_add_co_i32 s10, s18, s17
	s_add_co_i32 s7, s9, s15
	s_wait_alu 0xfffe
	s_add_nc_u64 s[86:87], s[86:87], s[24:25]
	s_add_co_i32 s24, s6, s12
	s_bcnt1_i32_b32 s20, s20
	s_add_co_i32 s9, s10, s19
	s_wait_alu 0xfffe
	s_add_nc_u64 s[84:85], s[84:85], s[24:25]
	s_add_co_i32 s24, s7, s16
	v_mov_b32_e32 v2, s86
	s_wait_alu 0xfffe
	s_add_nc_u64 s[82:83], s[82:83], s[24:25]
	s_add_co_i32 s24, s9, s20
	v_mov_b32_e32 v4, s84
	s_wait_alu 0xfffe
	s_add_nc_u64 s[80:81], s[80:81], s[24:25]
	v_mov_b32_e32 v3, s87
	v_dual_mov_b32 v5, s85 :: v_dual_mov_b32 v6, s82
	s_wait_alu 0xfffe
	v_dual_mov_b32 v7, s83 :: v_dual_mov_b32 v8, s80
	v_mov_b32_e32 v9, s81
	s_or_b32 s75, vcc_lo, s75
	s_wait_alu 0xfffe
	s_and_not1_b32 exec_lo, exec_lo, s75
	s_cbranch_execnz .LBB53_58
; %bb.59:                               ;   in Loop: Header=BB53_16 Depth=1
	s_or_b32 exec_lo, exec_lo, s75
.LBB53_60:                              ;   in Loop: Header=BB53_16 Depth=1
	s_wait_alu 0xfffe
	s_or_b32 exec_lo, exec_lo, s73
	v_add_co_u32 v30, s5, s78, v0
	s_wait_alu 0xf1ff
	v_add_co_ci_u32_e64 v31, null, s79, 0, s5
	s_mov_b32 s9, exec_lo
	v_cmpx_gt_i64_e64 s[36:37], v[30:31]
	s_cbranch_execz .LBB53_66
; %bb.61:                               ;   in Loop: Header=BB53_16 Depth=1
	v_mul_lo_u32 v26, v31, s42
	v_mul_lo_u32 v47, v30, s43
	v_mad_co_u64_u32 v[32:33], null, v30, s42, 0
	v_mul_hi_u32 v51, v12, s68
	s_mov_b32 s10, 0
	s_delay_alu instid0(VALU_DEP_2) | instskip(SKIP_1) | instid1(VALU_DEP_2)
	v_add3_u32 v33, v33, v47, v26
	v_mul_lo_u32 v47, v12, s69
	v_lshlrev_b64_e32 v[32:33], 2, v[32:33]
	s_delay_alu instid0(VALU_DEP_2) | instskip(NEXT) | instid1(VALU_DEP_2)
	v_add_nc_u32_e32 v47, v47, v44
	v_add_co_u32 v32, vcc_lo, s60, v32
	s_wait_alu 0xfffd
	s_delay_alu instid0(VALU_DEP_3)
	v_add_co_ci_u32_e64 v33, null, s61, v33, vcc_lo
	v_add_co_u32 v26, vcc_lo, v41, v12
	v_add_nc_u32_e32 v47, v47, v51
	global_load_b32 v49, v[32:33], off
	s_wait_alu 0xfffd
	v_add_co_ci_u32_e64 v32, null, 0, v42, vcc_lo
	v_sub_co_u32 v26, vcc_lo, v26, s76
	s_wait_alu 0xfffd
	s_delay_alu instid0(VALU_DEP_2) | instskip(NEXT) | instid1(VALU_DEP_2)
	v_subrev_co_ci_u32_e64 v32, null, s77, v32, vcc_lo
	v_mul_lo_u32 v50, s69, v26
	s_delay_alu instid0(VALU_DEP_2) | instskip(SKIP_2) | instid1(VALU_DEP_2)
	v_mul_lo_u32 v48, s68, v32
	v_mad_co_u64_u32 v[32:33], null, s68, v26, s[66:67]
	v_mul_lo_u32 v26, v12, s68
	v_add3_u32 v33, v50, v33, v48
	s_branch .LBB53_63
.LBB53_62:                              ;   in Loop: Header=BB53_63 Depth=2
	s_wait_alu 0xfffe
	s_or_b32 exec_lo, exec_lo, s6
	s_wait_loadcnt 0x0
	v_cmp_lt_i32_e64 s5, -1, v49
	s_and_b32 s6, exec_lo, vcc_lo
	s_wait_alu 0xfffe
	s_or_b32 s10, s6, s10
	v_cndmask_b32_e64 v50, -1, 0x80000000, s5
	v_cmp_o_f32_e64 s5, v49, v49
	s_delay_alu instid0(VALU_DEP_2) | instskip(SKIP_1) | instid1(VALU_DEP_1)
	v_xor_b32_e32 v50, v50, v49
	s_wait_alu 0xf1ff
	v_cndmask_b32_e64 v49, -1, v50, s5
	s_delay_alu instid0(VALU_DEP_1) | instskip(SKIP_1) | instid1(VALU_DEP_2)
	v_and_b32_e32 v50, v49, v46
	v_bfe_u32 v49, v49, s95, 2
	v_cmp_eq_u32_e32 vcc_lo, v50, v39
	s_delay_alu instid0(VALU_DEP_2)
	v_cmp_eq_u32_e64 s5, 0, v49
	v_cmp_eq_u32_e64 s6, 1, v49
	;; [unrolled: 1-line block ×4, first 2 shown]
	s_and_b32 s5, vcc_lo, s5
	s_wait_alu 0xfffe
	v_cndmask_b32_e64 v49, 0, 1, s5
	s_and_b32 s5, vcc_lo, s6
	s_wait_alu 0xfffe
	v_cndmask_b32_e64 v50, 0, 1, s5
	;; [unrolled: 3-line block ×3, first 2 shown]
	s_and_b32 s5, vcc_lo, s8
	v_cmp_ne_u32_e32 vcc_lo, 0, v49
	s_wait_alu 0xfffe
	v_cndmask_b32_e64 v52, 0, 1, s5
	v_cmp_ne_u32_e64 s5, 0, v50
	v_cmp_ne_u32_e64 s6, 0, v51
	v_mov_b32_e32 v49, v48
	s_bcnt1_i32_b32 s8, vcc_lo
	v_cmp_ne_u32_e64 s7, 0, v52
	s_bcnt1_i32_b32 s5, s5
	s_wait_alu 0xfffe
	v_add_co_u32 v2, vcc_lo, v2, s8
	s_bcnt1_i32_b32 s6, s6
	s_wait_alu 0xfffd
	v_add_co_ci_u32_e64 v3, null, 0, v3, vcc_lo
	v_add_co_u32 v4, vcc_lo, v4, s5
	s_wait_alu 0xfffd
	v_add_co_ci_u32_e64 v5, null, 0, v5, vcc_lo
	s_wait_alu 0xfffe
	v_add_co_u32 v6, vcc_lo, v6, s6
	s_bcnt1_i32_b32 s5, s7
	s_wait_alu 0xfffd
	v_add_co_ci_u32_e64 v7, null, 0, v7, vcc_lo
	s_wait_alu 0xfffe
	v_add_co_u32 v8, vcc_lo, v8, s5
	s_wait_alu 0xfffd
	v_add_co_ci_u32_e64 v9, null, 0, v9, vcc_lo
	v_add_co_u32 v32, vcc_lo, v32, v26
	s_wait_alu 0xfffd
	v_add_co_ci_u32_e64 v33, null, v33, v47, vcc_lo
	s_and_not1_b32 exec_lo, exec_lo, s10
	s_cbranch_execz .LBB53_65
.LBB53_63:                              ;   Parent Loop BB53_16 Depth=1
                                        ; =>  This Inner Loop Header: Depth=2
	v_add_co_u32 v30, vcc_lo, v30, v12
	s_wait_alu 0xfffd
	v_add_co_ci_u32_e64 v31, null, 0, v31, vcc_lo
	v_mov_b32_e32 v48, 0
	s_mov_b32 s6, exec_lo
	s_delay_alu instid0(VALU_DEP_2)
	v_cmp_le_i64_e32 vcc_lo, s[36:37], v[30:31]
	v_cmpx_gt_i64_e64 s[36:37], v[30:31]
	s_cbranch_execz .LBB53_62
; %bb.64:                               ;   in Loop: Header=BB53_63 Depth=2
	global_load_b32 v48, v[32:33], off
	s_branch .LBB53_62
.LBB53_65:                              ;   in Loop: Header=BB53_16 Depth=1
	s_or_b32 exec_lo, exec_lo, s10
.LBB53_66:                              ;   in Loop: Header=BB53_16 Depth=1
	s_wait_alu 0xfffe
	s_or_b32 exec_lo, exec_lo, s9
	s_branch .LBB53_45
.LBB53_67:                              ;   in Loop: Header=BB53_16 Depth=1
	global_load_u16 v2, v13, s[38:39]
	v_mov_b32_e32 v4, 0
	v_mov_b32_e32 v6, 0
	v_dual_mov_b32 v8, 0 :: v_dual_mov_b32 v7, 0
	v_mov_b32_e32 v9, 0
	s_mov_b32 s84, exec_lo
	v_mov_b32_e32 v5, 0
	s_wait_loadcnt 0x0
	v_readfirstlane_b32 s5, v2
	v_and_b32_e32 v12, 0xffff, v2
	s_and_b32 s82, 0xffff, s5
	s_wait_alu 0xfffe
	s_lshl_b32 s73, s82, 2
	s_wait_alu 0xfffe
	s_cvt_f32_u32 s5, s73
	s_sub_co_i32 s6, 0, s73
	s_wait_alu 0xfffe
	s_delay_alu instid0(SALU_CYCLE_1) | instskip(NEXT) | instid1(TRANS32_DEP_1)
	v_rcp_iflag_f32_e32 v3, s5
	v_readfirstlane_b32 s5, v3
	s_mul_f32 s5, s5, 0x4f7ffffe
	s_wait_alu 0xfffe
	s_delay_alu instid0(SALU_CYCLE_2) | instskip(SKIP_1) | instid1(SALU_CYCLE_2)
	s_cvt_u32_f32 s5, s5
	s_wait_alu 0xfffe
	s_mul_i32 s6, s6, s5
	s_wait_alu 0xfffe
	s_mul_hi_u32 s6, s5, s6
	s_wait_alu 0xfffe
	s_add_co_i32 s5, s5, s6
	s_wait_alu 0xfffe
	s_mul_hi_u32 s5, s72, s5
	s_wait_alu 0xfffe
	s_mul_i32 s6, s5, s73
	s_add_co_i32 s7, s5, 1
	s_wait_alu 0xfffe
	s_sub_co_i32 s6, s72, s6
	s_wait_alu 0xfffe
	s_sub_co_i32 s8, s6, s73
	s_cmp_ge_u32 s6, s73
	s_cselect_b32 s5, s7, s5
	s_wait_alu 0xfffe
	s_cselect_b32 s6, s8, s6
	s_add_co_i32 s7, s5, 1
	s_wait_alu 0xfffe
	s_cmp_ge_u32 s6, s73
	s_cselect_b32 s83, s7, s5
	s_wait_alu 0xfffe
	v_mul_hi_u32 v3, s83, v12
	v_mul_lo_u32 v2, s83, v12
	s_delay_alu instid0(VALU_DEP_1) | instskip(SKIP_2) | instid1(VALU_DEP_3)
	v_lshlrev_b64_e32 v[30:31], 2, v[2:3]
	v_mov_b32_e32 v2, 0
	v_mov_b32_e32 v3, 0
	v_cmpx_gt_u64_e64 v[30:31], v[14:15]
	s_cbranch_execz .LBB53_71
; %bb.68:                               ;   in Loop: Header=BB53_16 Depth=1
	v_dual_mov_b32 v26, v37 :: v_dual_mov_b32 v33, v15
	v_mov_b32_e32 v32, v14
	s_lshl_b32 s85, s82, 4
	s_mov_b64 s[74:75], 0
	s_mov_b32 s86, 0
	s_mov_b64 s[76:77], 0
	s_mov_b64 s[78:79], 0
	;; [unrolled: 1-line block ×3, first 2 shown]
.LBB53_69:                              ;   Parent Loop BB53_16 Depth=1
                                        ; =>  This Inner Loop Header: Depth=2
	ds_load_b128 v[2:5], v26
	v_add_co_u32 v32, vcc_lo, v32, s73
	s_wait_alu 0xfffd
	v_add_co_ci_u32_e64 v33, null, 0, v33, vcc_lo
	s_delay_alu instid0(VALU_DEP_1)
	v_cmp_ge_u64_e32 vcc_lo, v[32:33], v[30:31]
	s_wait_dscnt 0x0
	v_cmp_lt_i32_e64 s5, -1, v2
	v_cmp_o_f32_e64 s8, v2, v2
	v_cmp_o_f32_e64 s6, v4, v4
	;; [unrolled: 1-line block ×3, first 2 shown]
	s_wait_alu 0xf1ff
	v_cndmask_b32_e64 v6, -1, 0x80000000, s5
	v_cmp_lt_i32_e64 s5, -1, v3
	s_delay_alu instid0(VALU_DEP_2) | instskip(SKIP_1) | instid1(VALU_DEP_2)
	v_xor_b32_e32 v6, v6, v2
	s_wait_alu 0xf1ff
	v_cndmask_b32_e64 v7, -1, 0x80000000, s5
	v_cmp_lt_i32_e64 s5, -1, v4
	s_delay_alu instid0(VALU_DEP_3) | instskip(NEXT) | instid1(VALU_DEP_3)
	v_cndmask_b32_e64 v2, -1, v6, s8
	v_xor_b32_e32 v7, v7, v3
	s_wait_alu 0xf1ff
	s_delay_alu instid0(VALU_DEP_3) | instskip(SKIP_4) | instid1(VALU_DEP_3)
	v_cndmask_b32_e64 v8, -1, 0x80000000, s5
	v_cmp_lt_i32_e64 s5, -1, v5
	v_and_b32_e32 v6, v2, v46
	v_bfe_u32 v2, v2, s95, 2
	s_wait_alu 0xf1ff
	v_cndmask_b32_e64 v9, -1, 0x80000000, s5
	v_cmp_o_f32_e64 s5, v3, v3
	v_xor_b32_e32 v3, v8, v4
	v_cmp_eq_u32_e64 s9, 0, v2
	v_cmp_eq_u32_e64 s13, 1, v2
	v_xor_b32_e32 v4, v9, v5
	s_wait_alu 0xf1ff
	v_cndmask_b32_e64 v5, -1, v7, s5
	v_cndmask_b32_e64 v3, -1, v3, s6
	v_cmp_eq_u32_e64 s5, v6, v39
	v_cmp_eq_u32_e64 s17, 2, v2
	v_cndmask_b32_e64 v4, -1, v4, s7
	v_and_b32_e32 v7, v5, v46
	v_bfe_u32 v5, v5, s95, 2
	v_and_b32_e32 v8, v3, v46
	v_bfe_u32 v3, v3, s95, 2
	;; [unrolled: 2-line block ×3, first 2 shown]
	v_cmp_eq_u32_e64 s6, v7, v39
	v_cmp_eq_u32_e64 s10, 0, v5
	;; [unrolled: 1-line block ×4, first 2 shown]
	s_and_b32 s9, s5, s9
	v_cmp_eq_u32_e64 s8, v9, v39
	v_cmp_eq_u32_e64 s12, 0, v4
	;; [unrolled: 1-line block ×3, first 2 shown]
	s_wait_alu 0xfffe
	v_cndmask_b32_e64 v2, 0, 1, s9
	s_and_b32 s9, s6, s10
	v_cmp_eq_u32_e64 s15, 1, v3
	v_cmp_eq_u32_e64 s19, 2, v3
	;; [unrolled: 1-line block ×3, first 2 shown]
	s_wait_alu 0xfffe
	v_cndmask_b32_e64 v3, 0, 1, s9
	s_and_b32 s9, s7, s11
	v_cmp_eq_u32_e64 s14, 1, v5
	v_cmp_eq_u32_e64 s16, 1, v4
	;; [unrolled: 1-line block ×4, first 2 shown]
	s_wait_alu 0xfffe
	v_cndmask_b32_e64 v4, 0, 1, s9
	s_and_b32 s9, s8, s12
	v_cmp_eq_u32_e64 s18, 2, v5
	v_cmp_eq_u32_e64 s22, 3, v5
	s_wait_alu 0xfffe
	v_cndmask_b32_e64 v5, 0, 1, s9
	s_and_b32 s9, s5, s13
	s_wait_alu 0xfffe
	v_cndmask_b32_e64 v6, 0, 1, s9
	s_and_b32 s9, s6, s14
	;; [unrolled: 3-line block ×4, first 2 shown]
	v_cmp_ne_u32_e64 s10, 0, v7
	s_wait_alu 0xfffe
	v_cndmask_b32_e64 v9, 0, 1, s9
	s_and_b32 s9, s5, s17
	s_and_b32 s5, s5, s21
	s_wait_alu 0xfffe
	v_cndmask_b32_e64 v47, 0, 1, s9
	v_cndmask_b32_e64 v51, 0, 1, s5
	s_and_b32 s5, s6, s22
	s_and_b32 s9, s6, s18
	s_wait_alu 0xfffe
	v_cndmask_b32_e64 v52, 0, 1, s5
	s_and_b32 s5, s7, s23
	v_cndmask_b32_e64 v48, 0, 1, s9
	s_and_b32 s9, s7, s19
	s_wait_alu 0xfffe
	v_cndmask_b32_e64 v53, 0, 1, s5
	s_and_b32 s5, s8, s24
	v_cndmask_b32_e64 v49, 0, 1, s9
	s_and_b32 s9, s8, s20
	s_wait_alu 0xfffe
	v_cndmask_b32_e64 v54, 0, 1, s5
	v_cmp_ne_u32_e64 s5, 0, v2
	v_cmp_ne_u32_e64 s6, 0, v3
	v_cndmask_b32_e64 v50, 0, 1, s9
	v_cmp_ne_u32_e64 s7, 0, v4
	v_cmp_ne_u32_e64 s9, 0, v6
	;; [unrolled: 1-line block ×6, first 2 shown]
	s_bcnt1_i32_b32 s5, s5
	s_bcnt1_i32_b32 s6, s6
	v_cmp_ne_u32_e64 s12, 0, v9
	v_cmp_ne_u32_e64 s15, 0, v49
	;; [unrolled: 1-line block ×4, first 2 shown]
	s_bcnt1_i32_b32 s7, s7
	s_bcnt1_i32_b32 s9, s9
	;; [unrolled: 1-line block ×3, first 2 shown]
	s_wait_alu 0xfffe
	s_add_co_i32 s5, s6, s5
	v_cmp_ne_u32_e64 s16, 0, v50
	v_cmp_ne_u32_e64 s19, 0, v53
	s_bcnt1_i32_b32 s8, s8
	s_bcnt1_i32_b32 s11, s11
	;; [unrolled: 1-line block ×4, first 2 shown]
	s_add_co_i32 s6, s10, s9
	s_wait_alu 0xfffe
	s_add_co_i32 s5, s5, s7
	v_cmp_ne_u32_e64 s20, 0, v54
	s_bcnt1_i32_b32 s12, s12
	s_bcnt1_i32_b32 s15, s15
	;; [unrolled: 1-line block ×4, first 2 shown]
	s_add_co_i32 s9, s14, s13
	s_add_co_i32 s6, s6, s11
	s_wait_alu 0xfffe
	s_add_co_i32 s24, s5, s8
	s_bcnt1_i32_b32 s16, s16
	s_bcnt1_i32_b32 s19, s19
	s_add_co_i32 s10, s18, s17
	s_add_co_i32 s7, s9, s15
	s_wait_alu 0xfffe
	s_add_nc_u64 s[80:81], s[80:81], s[24:25]
	s_add_co_i32 s24, s6, s12
	s_bcnt1_i32_b32 s20, s20
	s_add_co_i32 s9, s10, s19
	s_wait_alu 0xfffe
	s_add_nc_u64 s[78:79], s[78:79], s[24:25]
	s_add_co_i32 s24, s7, s16
	v_mov_b32_e32 v2, s80
	s_wait_alu 0xfffe
	s_add_nc_u64 s[76:77], s[76:77], s[24:25]
	s_add_co_i32 s24, s9, s20
	v_mov_b32_e32 v4, s78
	s_wait_alu 0xfffe
	s_add_nc_u64 s[74:75], s[74:75], s[24:25]
	v_mov_b32_e32 v6, s76
	s_wait_alu 0xfffe
	v_mov_b32_e32 v8, s74
	v_dual_mov_b32 v3, s81 :: v_dual_add_nc_u32 v26, s85, v26
	v_mov_b32_e32 v5, s79
	v_mov_b32_e32 v7, s77
	;; [unrolled: 1-line block ×3, first 2 shown]
	s_or_b32 s86, vcc_lo, s86
	s_wait_alu 0xfffe
	s_and_not1_b32 exec_lo, exec_lo, s86
	s_cbranch_execnz .LBB53_69
; %bb.70:                               ;   in Loop: Header=BB53_16 Depth=1
	s_or_b32 exec_lo, exec_lo, s86
.LBB53_71:                              ;   in Loop: Header=BB53_16 Depth=1
	s_delay_alu instid0(SALU_CYCLE_1)
	s_or_b32 exec_lo, exec_lo, s84
	v_add_co_u32 v30, vcc_lo, v30, v0
	s_wait_alu 0xfffd
	v_add_co_ci_u32_e64 v31, null, 0, v31, vcc_lo
	s_and_b32 s24, s72, 0x7fffffff
	s_mov_b32 s10, exec_lo
	s_wait_alu 0xfffe
	v_cmpx_gt_u64_e64 s[24:25], v[30:31]
	s_cbranch_execz .LBB53_75
; %bb.72:                               ;   in Loop: Header=BB53_16 Depth=1
	s_mul_i32 s83, s83, s82
	s_mov_b32 s11, 0
	s_wait_alu 0xfffe
	v_lshl_add_u32 v26, s83, 4, v14
.LBB53_73:                              ;   Parent Loop BB53_16 Depth=1
                                        ; =>  This Inner Loop Header: Depth=2
	ds_load_b32 v32, v26
	v_add_co_u32 v30, vcc_lo, v30, v12
	s_wait_alu 0xfffd
	v_add_co_ci_u32_e64 v31, null, 0, v31, vcc_lo
	v_add_nc_u32_e32 v26, s73, v26
	s_delay_alu instid0(VALU_DEP_2) | instskip(SKIP_3) | instid1(VALU_DEP_1)
	v_cmp_le_u64_e32 vcc_lo, s[24:25], v[30:31]
	s_wait_dscnt 0x0
	v_cmp_lt_i32_e64 s5, -1, v32
	s_wait_alu 0xf1ff
	v_cndmask_b32_e64 v33, -1, 0x80000000, s5
	v_cmp_o_f32_e64 s5, v32, v32
	s_delay_alu instid0(VALU_DEP_2) | instskip(SKIP_1) | instid1(VALU_DEP_1)
	v_xor_b32_e32 v33, v33, v32
	s_wait_alu 0xf1ff
	v_cndmask_b32_e64 v32, -1, v33, s5
	s_delay_alu instid0(VALU_DEP_1) | instskip(SKIP_1) | instid1(VALU_DEP_2)
	v_and_b32_e32 v33, v32, v46
	v_bfe_u32 v32, v32, s95, 2
	v_cmp_eq_u32_e64 s5, v33, v39
	s_delay_alu instid0(VALU_DEP_2)
	v_cmp_eq_u32_e64 s6, 0, v32
	v_cmp_eq_u32_e64 s7, 1, v32
	;; [unrolled: 1-line block ×4, first 2 shown]
	s_and_b32 s6, s5, s6
	s_wait_alu 0xfffe
	v_cndmask_b32_e64 v32, 0, 1, s6
	s_and_b32 s6, s5, s7
	s_wait_alu 0xfffe
	v_cndmask_b32_e64 v33, 0, 1, s6
	s_and_b32 s6, s5, s8
	s_and_b32 s5, s5, s9
	s_wait_alu 0xfffe
	v_cndmask_b32_e64 v47, 0, 1, s6
	v_cndmask_b32_e64 v48, 0, 1, s5
	v_cmp_ne_u32_e64 s5, 0, v32
	v_cmp_ne_u32_e64 s6, 0, v33
	s_delay_alu instid0(VALU_DEP_4) | instskip(NEXT) | instid1(VALU_DEP_4)
	v_cmp_ne_u32_e64 s7, 0, v47
	v_cmp_ne_u32_e64 s8, 0, v48
	s_bcnt1_i32_b32 s5, s5
	s_bcnt1_i32_b32 s6, s6
	s_wait_alu 0xfffe
	v_add_co_u32 v2, s5, v2, s5
	s_bcnt1_i32_b32 s7, s7
	v_add_co_ci_u32_e64 v3, null, 0, v3, s5
	v_add_co_u32 v4, s5, v4, s6
	s_bcnt1_i32_b32 s8, s8
	v_add_co_ci_u32_e64 v5, null, 0, v5, s5
	s_wait_alu 0xfffe
	v_add_co_u32 v6, s5, v6, s7
	s_wait_alu 0xf1ff
	v_add_co_ci_u32_e64 v7, null, 0, v7, s5
	v_add_co_u32 v8, s5, v8, s8
	s_wait_alu 0xf1ff
	v_add_co_ci_u32_e64 v9, null, 0, v9, s5
	s_or_b32 s11, vcc_lo, s11
	s_wait_alu 0xfffe
	s_and_not1_b32 exec_lo, exec_lo, s11
	s_cbranch_execnz .LBB53_73
; %bb.74:                               ;   in Loop: Header=BB53_16 Depth=1
	s_or_b32 exec_lo, exec_lo, s11
.LBB53_75:                              ;   in Loop: Header=BB53_16 Depth=1
	s_wait_alu 0xfffe
	s_or_b32 exec_lo, exec_lo, s10
	s_lshl_b32 s5, s97, 7
	s_and_saveexec_b32 s6, s1
	s_cbranch_execnz .LBB53_46
	s_branch .LBB53_47
.LBB53_76:                              ;   in Loop: Header=BB53_16 Depth=1
                                        ; implicit-def: $sgpr76_sgpr77
	s_branch .LBB53_55
.LBB53_77:                              ;   in Loop: Header=BB53_16 Depth=1
	s_wait_alu 0xfffe
	s_or_b32 exec_lo, exec_lo, s8
	s_wait_loadcnt_dscnt 0x0
	s_barrier_signal -1
	s_barrier_wait -1
	global_inv scope:SCOPE_SE
	s_and_saveexec_b32 s5, s2
	s_cbranch_execz .LBB53_79
; %bb.78:                               ;   in Loop: Header=BB53_16 Depth=1
	ds_load_b32 v2, v13 offset:5136
	s_wait_dscnt 0x0
	v_ashrrev_i32_e32 v3, 31, v2
	ds_store_b64 v13, v[2:3] offset:5120
.LBB53_79:                              ;   in Loop: Header=BB53_16 Depth=1
	s_wait_alu 0xfffe
	s_or_b32 exec_lo, exec_lo, s5
	s_wait_loadcnt_dscnt 0x0
	s_barrier_signal -1
	s_mov_b32 s5, -1
	s_barrier_wait -1
	s_and_b32 vcc_lo, exec_lo, s7
	s_wait_alu 0xfffe
	s_cbranch_vccnz .LBB53_32
	s_branch .LBB53_41
.LBB53_80:                              ;   in Loop: Header=BB53_16 Depth=1
	s_mov_b32 s7, 0
	s_and_not1_b32 vcc_lo, exec_lo, s93
	s_wait_alu 0xfffe
	s_cbranch_vccnz .LBB53_83
.LBB53_81:                              ;   in Loop: Header=BB53_16 Depth=1
	s_lshl_b32 s8, s97, 10
	s_lshl_b32 s7, s7, 5
	s_wait_alu 0xfffe
	v_add3_u32 v4, s8, s7, v43
	s_mov_b32 s7, s90
.LBB53_82:                              ;   Parent Loop BB53_16 Depth=1
                                        ; =>  This Inner Loop Header: Depth=2
	ds_load_b64 v[5:6], v4
	v_add_nc_u32_e32 v4, 32, v4
	s_wait_alu 0xfffe
	s_add_co_i32 s7, s7, -1
	s_wait_alu 0xfffe
	s_cmp_lg_u32 s7, 0
	s_wait_dscnt 0x0
	v_add_co_u32 v2, vcc_lo, v5, v2
	s_wait_alu 0xfffd
	v_add_co_ci_u32_e64 v3, null, v6, v3, vcc_lo
	s_cbranch_scc1 .LBB53_82
.LBB53_83:                              ;   in Loop: Header=BB53_16 Depth=1
	v_add_lshl_u32 v4, s5, v34, 3
	ds_store_b64 v4, v[2:3] offset:3072
.LBB53_84:                              ;   in Loop: Header=BB53_16 Depth=1
	s_wait_alu 0xfffe
	s_or_b32 exec_lo, exec_lo, s6
	s_lshl_b32 s5, s5, 3
	s_wait_loadcnt_dscnt 0x0
	s_wait_alu 0xfffe
	v_mov_b32_e32 v6, s5
	s_barrier_signal -1
	s_barrier_wait -1
	global_inv scope:SCOPE_SE
	v_cmp_eq_u64_e32 vcc_lo, 1, v[28:29]
	ds_load_b128 v[2:5], v6 offset:3072
	ds_load_b128 v[6:9], v6 offset:3088
	s_lshl_b32 s16, 3, s95
	s_mov_b32 s18, -1
	s_wait_alu 0xfffe
	s_not_b32 s20, s16
                                        ; implicit-def: $sgpr15
                                        ; implicit-def: $sgpr14
	s_wait_dscnt 0x1
	v_cmp_eq_u64_e64 s5, 1, v[2:3]
	s_wait_dscnt 0x0
	v_readfirstlane_b32 s8, v6
	v_readfirstlane_b32 s9, v7
	;; [unrolled: 1-line block ×4, first 2 shown]
	s_and_b32 s19, s5, vcc_lo
	s_mov_b32 s5, -1
	s_and_saveexec_b32 s17, s19
	s_cbranch_execz .LBB53_118
; %bb.85:                               ;   in Loop: Header=BB53_16 Depth=1
	ds_load_b64 v[6:7], v13 offset:5120
	s_wait_loadcnt_dscnt 0x0
	s_barrier_signal -1
	s_barrier_wait -1
	global_inv scope:SCOPE_SE
	v_readfirstlane_b32 s10, v6
	v_readfirstlane_b32 s11, v7
	s_and_saveexec_b32 s5, s3
; %bb.86:                               ;   in Loop: Header=BB53_16 Depth=1
	ds_store_b32 v35, v13
; %bb.87:                               ;   in Loop: Header=BB53_16 Depth=1
	s_wait_alu 0xfffe
	s_or_b32 exec_lo, exec_lo, s5
	v_cmp_lt_i64_e64 s5, s[10:11], 1
	v_and_b32_e32 v39, s20, v39
	v_or_b32_e32 v46, s16, v46
	s_mov_b32 s14, -1
	s_mov_b32 s15, 0
	s_mov_b32 s21, -1
	s_and_b32 vcc_lo, exec_lo, s5
	s_mov_b32 s5, 0
	s_wait_loadcnt_dscnt 0x0
	s_barrier_signal -1
	s_barrier_wait -1
	global_inv scope:SCOPE_SE
                                        ; implicit-def: $vgpr27
	s_wait_alu 0xfffe
	s_cbranch_vccz .LBB53_102
; %bb.88:                               ;   in Loop: Header=BB53_16 Depth=1
	s_mov_b32 s12, s25
	s_mov_b32 s13, s65
	s_wait_alu 0xfffe
	s_cmp_lg_u64 s[12:13], 0
	s_cbranch_scc0 .LBB53_145
; %bb.89:                               ;   in Loop: Header=BB53_16 Depth=1
	s_add_nc_u64 s[12:13], s[56:57], 0
	s_wait_alu 0xfffe
	s_xor_b64 s[12:13], s[12:13], 0
	s_wait_alu 0xfffe
	s_cvt_f32_u32 s5, s12
	s_cvt_f32_u32 s21, s13
	s_sub_nc_u64 s[72:73], 0, s[12:13]
	s_wait_alu 0xfffe
	s_delay_alu instid0(SALU_CYCLE_1) | instskip(SKIP_1) | instid1(SALU_CYCLE_2)
	s_fmamk_f32 s5, s21, 0x4f800000, s5
	s_wait_alu 0xfffe
	v_s_rcp_f32 s5, s5
	s_delay_alu instid0(TRANS32_DEP_1) | instskip(SKIP_1) | instid1(SALU_CYCLE_2)
	s_mul_f32 s5, s5, 0x5f7ffffc
	s_wait_alu 0xfffe
	s_mul_f32 s21, s5, 0x2f800000
	s_wait_alu 0xfffe
	s_delay_alu instid0(SALU_CYCLE_2) | instskip(SKIP_1) | instid1(SALU_CYCLE_2)
	s_trunc_f32 s21, s21
	s_wait_alu 0xfffe
	s_fmamk_f32 s5, s21, 0xcf800000, s5
	s_cvt_u32_f32 s23, s21
	s_wait_alu 0xfffe
	s_delay_alu instid0(SALU_CYCLE_1) | instskip(NEXT) | instid1(SALU_CYCLE_3)
	s_cvt_u32_f32 s22, s5
	s_mul_u64 s[74:75], s[72:73], s[22:23]
	s_wait_alu 0xfffe
	s_mul_hi_u32 s77, s22, s75
	s_mul_i32 s76, s22, s75
	s_mul_hi_u32 s24, s22, s74
	s_mul_i32 s21, s23, s74
	s_wait_alu 0xfffe
	s_add_nc_u64 s[76:77], s[24:25], s[76:77]
	s_mul_hi_u32 s5, s23, s74
	s_mul_hi_u32 s78, s23, s75
	s_wait_alu 0xfffe
	s_add_co_u32 s21, s76, s21
	s_add_co_ci_u32 s24, s77, s5
	s_mul_i32 s74, s23, s75
	s_add_co_ci_u32 s75, s78, 0
	s_wait_alu 0xfffe
	s_add_nc_u64 s[74:75], s[24:25], s[74:75]
	s_wait_alu 0xfffe
	s_add_co_u32 s22, s22, s74
	s_cselect_b32 s5, -1, 0
	s_wait_alu 0xfffe
	s_cmp_lg_u32 s5, 0
	s_add_co_ci_u32 s23, s23, s75
	s_delay_alu instid0(SALU_CYCLE_1)
	s_mul_u64 s[72:73], s[72:73], s[22:23]
	s_wait_alu 0xfffe
	s_mul_hi_u32 s75, s22, s73
	s_mul_i32 s74, s22, s73
	s_mul_hi_u32 s24, s22, s72
	s_mul_i32 s21, s23, s72
	s_wait_alu 0xfffe
	s_add_nc_u64 s[74:75], s[24:25], s[74:75]
	s_mul_hi_u32 s5, s23, s72
	s_mul_hi_u32 s76, s23, s73
	s_wait_alu 0xfffe
	s_add_co_u32 s21, s74, s21
	s_add_co_ci_u32 s24, s75, s5
	s_mul_i32 s72, s23, s73
	s_add_co_ci_u32 s73, s76, 0
	s_wait_alu 0xfffe
	s_add_nc_u64 s[72:73], s[24:25], s[72:73]
	s_wait_alu 0xfffe
	s_add_co_u32 s5, s22, s72
	s_cselect_b32 s21, -1, 0
	s_wait_alu 0xfffe
	s_cmp_lg_u32 s21, 0
	s_add_co_ci_u32 s21, s23, s73
	s_ashr_i32 s22, s65, 31
	s_delay_alu instid0(SALU_CYCLE_1) | instskip(NEXT) | instid1(SALU_CYCLE_1)
	s_mov_b32 s23, s22
	s_add_nc_u64 s[72:73], s[64:65], s[22:23]
	s_wait_alu 0xfffe
	s_xor_b64 s[72:73], s[72:73], s[22:23]
	s_wait_alu 0xfffe
	s_mul_hi_u32 s75, s72, s21
	s_mul_i32 s74, s72, s21
	s_mul_hi_u32 s24, s72, s5
	s_mul_hi_u32 s78, s73, s5
	s_mul_i32 s5, s73, s5
	s_wait_alu 0xfffe
	s_add_nc_u64 s[74:75], s[24:25], s[74:75]
	s_mul_hi_u32 s77, s73, s21
	s_wait_alu 0xfffe
	s_add_co_u32 s5, s74, s5
	s_add_co_ci_u32 s24, s75, s78
	s_mul_i32 s76, s73, s21
	s_add_co_ci_u32 s77, s77, 0
	s_wait_alu 0xfffe
	s_add_nc_u64 s[74:75], s[24:25], s[76:77]
	s_wait_alu 0xfffe
	s_mul_u64 s[74:75], s[12:13], s[74:75]
	s_wait_alu 0xfffe
	s_sub_co_u32 s5, s72, s74
	s_cselect_b32 s21, -1, 0
	s_sub_co_i32 s24, s73, s75
	s_wait_alu 0xfffe
	s_cmp_lg_u32 s21, 0
	s_sub_co_ci_u32 s24, s24, s13
	s_sub_co_u32 s72, s5, s12
	s_cselect_b32 s74, -1, 0
	s_wait_alu 0xfffe
	s_cmp_lg_u32 s74, 0
	s_sub_co_ci_u32 s76, s24, 0
	s_wait_alu 0xfffe
	s_cmp_ge_u32 s76, s13
	s_cselect_b32 s77, -1, 0
	s_cmp_ge_u32 s72, s12
	s_cselect_b32 s78, -1, 0
	s_cmp_eq_u32 s76, s13
	s_wait_alu 0xfffe
	s_cselect_b32 s77, s78, s77
	s_cmp_lg_u32 s74, 0
	s_sub_co_ci_u32 s24, s24, s13
	s_sub_co_u32 s74, s72, s12
	s_cselect_b32 s78, -1, 0
	s_wait_alu 0xfffe
	s_cmp_lg_u32 s78, 0
	s_sub_co_ci_u32 s24, s24, 0
	s_cmp_lg_u32 s77, 0
	s_cselect_b32 s72, s74, s72
	s_wait_alu 0xfffe
	s_cselect_b32 s24, s24, s76
	s_cmp_lg_u32 s21, 0
	s_sub_co_ci_u32 s21, s73, s75
	s_wait_alu 0xfffe
	s_cmp_ge_u32 s21, s13
	s_cselect_b32 s73, -1, 0
	s_cmp_ge_u32 s5, s12
	s_cselect_b32 s12, -1, 0
	s_cmp_eq_u32 s21, s13
	s_wait_alu 0xfffe
	s_cselect_b32 s12, s12, s73
	s_wait_alu 0xfffe
	s_cmp_lg_u32 s12, 0
	s_cselect_b32 s13, s24, s21
	s_cselect_b32 s12, s72, s5
	s_wait_alu 0xfffe
	s_xor_b64 s[12:13], s[12:13], s[22:23]
	s_wait_alu 0xfffe
	s_sub_nc_u64 s[12:13], s[12:13], s[22:23]
	s_cbranch_execnz .LBB53_91
.LBB53_90:                              ;   in Loop: Header=BB53_16 Depth=1
	v_cvt_f32_u32_e32 v6, s56
	s_sub_co_i32 s12, 0, s56
	s_delay_alu instid0(VALU_DEP_1) | instskip(NEXT) | instid1(TRANS32_DEP_1)
	v_rcp_iflag_f32_e32 v6, v6
	v_mul_f32_e32 v6, 0x4f7ffffe, v6
	s_delay_alu instid0(VALU_DEP_1) | instskip(NEXT) | instid1(VALU_DEP_1)
	v_cvt_u32_f32_e32 v6, v6
	v_readfirstlane_b32 s5, v6
	s_wait_alu 0xfffe
	s_mul_i32 s12, s12, s5
	s_wait_alu 0xfffe
	s_mul_hi_u32 s12, s5, s12
	s_wait_alu 0xfffe
	s_add_co_i32 s5, s5, s12
	s_wait_alu 0xfffe
	s_mul_hi_u32 s5, s64, s5
	s_wait_alu 0xfffe
	s_mul_i32 s5, s5, s56
	s_wait_alu 0xfffe
	s_sub_co_i32 s5, s64, s5
	s_wait_alu 0xfffe
	s_sub_co_i32 s12, s5, s56
	s_cmp_ge_u32 s5, s56
	s_wait_alu 0xfffe
	s_cselect_b32 s5, s12, s5
	s_wait_alu 0xfffe
	s_sub_co_i32 s12, s5, s56
	s_cmp_ge_u32 s5, s56
	s_wait_alu 0xfffe
	s_cselect_b32 s24, s12, s5
	s_wait_alu 0xfffe
	s_mov_b64 s[12:13], s[24:25]
.LBB53_91:                              ;   in Loop: Header=BB53_16 Depth=1
	s_wait_alu 0xfffe
	s_sub_nc_u64 s[12:13], s[64:65], s[12:13]
	s_mov_b32 s21, 0
	s_mov_b32 s5, 0
	s_mov_b32 s22, exec_lo
                                        ; implicit-def: $vgpr27
	s_wait_alu 0xfffe
	v_cmpx_gt_i64_e64 s[12:13], v[0:1]
	s_cbranch_execz .LBB53_101
; %bb.92:                               ;   in Loop: Header=BB53_16 Depth=1
	v_dual_mov_b32 v6, v10 :: v_dual_mov_b32 v7, v11
	v_dual_mov_b32 v9, v1 :: v_dual_mov_b32 v8, v0
	s_mov_b32 s23, 0
                                        ; implicit-def: $sgpr24
	s_branch .LBB53_96
.LBB53_93:                              ;   in Loop: Header=BB53_96 Depth=2
	s_wait_alu 0xfffe
	s_or_b32 exec_lo, exec_lo, s5
	s_wait_loadcnt_dscnt 0x0
	s_barrier_signal -1
	s_barrier_wait -1
	global_inv scope:SCOPE_SE
	ds_load_b64 v[26:27], v13 offset:3072
	s_wait_loadcnt_dscnt 0x0
	s_barrier_signal -1
	s_barrier_wait -1
	global_inv scope:SCOPE_SE
	v_cmp_neq_f32_e32 vcc_lo, 0, v26
	s_cbranch_vccnz .LBB53_99
; %bb.94:                               ;   in Loop: Header=BB53_96 Depth=2
	v_add_co_u32 v8, vcc_lo, v8, s56
	s_wait_alu 0xfffd
	v_add_co_ci_u32_e64 v9, null, 0, v9, vcc_lo
	v_add_co_u32 v6, s5, v6, s58
	s_wait_alu 0xf1ff
	v_add_co_ci_u32_e64 v7, null, s59, v7, s5
	s_delay_alu instid0(VALU_DEP_3)
	v_cmp_le_i64_e32 vcc_lo, s[12:13], v[8:9]
	s_mov_b32 s5, 0
	s_or_not1_b32 s72, vcc_lo, exec_lo
.LBB53_95:                              ;   in Loop: Header=BB53_96 Depth=2
	s_wait_alu 0xfffe
	s_and_b32 s72, exec_lo, s72
	s_wait_alu 0xfffe
	s_or_b32 s23, s72, s23
	s_and_not1_b32 s24, s24, exec_lo
	s_and_b32 s5, s5, exec_lo
	s_wait_alu 0xfffe
	s_or_b32 s24, s24, s5
	s_and_not1_b32 exec_lo, exec_lo, s23
	s_cbranch_execz .LBB53_100
.LBB53_96:                              ;   Parent Loop BB53_16 Depth=1
                                        ; =>  This Inner Loop Header: Depth=2
	s_mov_b32 s5, exec_lo
	s_delay_alu instid0(VALU_DEP_1)
	v_cmpx_gt_i64_e64 s[36:37], v[8:9]
	s_cbranch_execz .LBB53_93
; %bb.97:                               ;   in Loop: Header=BB53_96 Depth=2
	global_load_b32 v26, v[6:7], off
	s_wait_loadcnt 0x0
	v_cmp_lt_i32_e32 vcc_lo, -1, v26
	s_wait_alu 0xfffd
	v_cndmask_b32_e64 v12, -1, 0x80000000, vcc_lo
	v_cmp_o_f32_e32 vcc_lo, v26, v26
	s_delay_alu instid0(VALU_DEP_2) | instskip(SKIP_1) | instid1(VALU_DEP_1)
	v_xor_b32_e32 v12, v12, v26
	s_wait_alu 0xfffd
	v_cndmask_b32_e32 v12, -1, v12, vcc_lo
	s_delay_alu instid0(VALU_DEP_1) | instskip(NEXT) | instid1(VALU_DEP_1)
	v_and_b32_e32 v12, v12, v46
	v_cmp_eq_u32_e32 vcc_lo, v12, v39
	s_and_b32 exec_lo, exec_lo, vcc_lo
	s_cbranch_execz .LBB53_93
; %bb.98:                               ;   in Loop: Header=BB53_96 Depth=2
	ds_store_b64 v13, v[25:26] offset:3072
	s_branch .LBB53_93
.LBB53_99:                              ;   in Loop: Header=BB53_96 Depth=2
	s_mov_b32 s72, -1
	s_mov_b32 s5, -1
                                        ; implicit-def: $vgpr8_vgpr9
                                        ; implicit-def: $vgpr6_vgpr7
	s_branch .LBB53_95
.LBB53_100:                             ;   in Loop: Header=BB53_16 Depth=1
	s_or_b32 exec_lo, exec_lo, s23
	s_wait_alu 0xfffe
	s_and_b32 s5, s24, exec_lo
.LBB53_101:                             ;   in Loop: Header=BB53_16 Depth=1
	s_or_b32 exec_lo, exec_lo, s22
.LBB53_102:                             ;   in Loop: Header=BB53_16 Depth=1
	s_delay_alu instid0(SALU_CYCLE_1)
	s_and_b32 vcc_lo, exec_lo, s21
	s_wait_alu 0xfffe
	s_cbranch_vccz .LBB53_117
; %bb.103:                              ;   in Loop: Header=BB53_16 Depth=1
	s_add_nc_u64 s[12:13], s[10:11], s[62:63]
	s_mov_b32 s14, s25
	s_wait_alu 0xfffe
	s_mov_b32 s15, s13
	s_delay_alu instid0(SALU_CYCLE_1)
	s_cmp_lg_u64 s[14:15], 0
	s_cbranch_scc0 .LBB53_146
; %bb.104:                              ;   in Loop: Header=BB53_16 Depth=1
	s_add_nc_u64 s[14:15], s[56:57], 0
	s_delay_alu instid0(SALU_CYCLE_1) | instskip(NEXT) | instid1(SALU_CYCLE_1)
	s_xor_b64 s[14:15], s[14:15], 0
	s_cvt_f32_u32 s21, s14
	s_cvt_f32_u32 s22, s15
	s_sub_nc_u64 s[72:73], 0, s[14:15]
	s_wait_alu 0xfffe
	s_delay_alu instid0(SALU_CYCLE_1) | instskip(SKIP_1) | instid1(SALU_CYCLE_2)
	s_fmamk_f32 s21, s22, 0x4f800000, s21
	s_wait_alu 0xfffe
	v_s_rcp_f32 s21, s21
	s_delay_alu instid0(TRANS32_DEP_1) | instskip(SKIP_1) | instid1(SALU_CYCLE_2)
	s_mul_f32 s21, s21, 0x5f7ffffc
	s_wait_alu 0xfffe
	s_mul_f32 s22, s21, 0x2f800000
	s_delay_alu instid0(SALU_CYCLE_3) | instskip(NEXT) | instid1(SALU_CYCLE_3)
	s_trunc_f32 s22, s22
	s_fmamk_f32 s21, s22, 0xcf800000, s21
	s_cvt_u32_f32 s23, s22
	s_wait_alu 0xfffe
	s_delay_alu instid0(SALU_CYCLE_1) | instskip(NEXT) | instid1(SALU_CYCLE_3)
	s_cvt_u32_f32 s22, s21
	s_mul_u64 s[74:75], s[72:73], s[22:23]
	s_wait_alu 0xfffe
	s_mul_hi_u32 s77, s22, s75
	s_mul_i32 s76, s22, s75
	s_mul_hi_u32 s24, s22, s74
	s_mul_i32 s78, s23, s74
	s_wait_alu 0xfffe
	s_add_nc_u64 s[76:77], s[24:25], s[76:77]
	s_mul_hi_u32 s21, s23, s74
	s_mul_hi_u32 s79, s23, s75
	s_wait_alu 0xfffe
	s_add_co_u32 s24, s76, s78
	s_add_co_ci_u32 s24, s77, s21
	s_mul_i32 s74, s23, s75
	s_add_co_ci_u32 s75, s79, 0
	s_wait_alu 0xfffe
	s_add_nc_u64 s[74:75], s[24:25], s[74:75]
	s_wait_alu 0xfffe
	s_add_co_u32 s22, s22, s74
	s_cselect_b32 s21, -1, 0
	s_wait_alu 0xfffe
	s_cmp_lg_u32 s21, 0
	s_add_co_ci_u32 s23, s23, s75
	s_delay_alu instid0(SALU_CYCLE_1)
	s_mul_u64 s[72:73], s[72:73], s[22:23]
	s_wait_alu 0xfffe
	s_mul_hi_u32 s75, s22, s73
	s_mul_i32 s74, s22, s73
	s_mul_hi_u32 s24, s22, s72
	s_mul_i32 s76, s23, s72
	s_wait_alu 0xfffe
	s_add_nc_u64 s[74:75], s[24:25], s[74:75]
	s_mul_hi_u32 s21, s23, s72
	s_mul_hi_u32 s77, s23, s73
	s_wait_alu 0xfffe
	s_add_co_u32 s24, s74, s76
	s_add_co_ci_u32 s24, s75, s21
	s_mul_i32 s72, s23, s73
	s_add_co_ci_u32 s73, s77, 0
	s_wait_alu 0xfffe
	s_add_nc_u64 s[72:73], s[24:25], s[72:73]
	s_wait_alu 0xfffe
	s_add_co_u32 s21, s22, s72
	s_cselect_b32 s22, -1, 0
	s_delay_alu instid0(SALU_CYCLE_1) | instskip(SKIP_2) | instid1(SALU_CYCLE_1)
	s_cmp_lg_u32 s22, 0
	s_add_co_ci_u32 s76, s23, s73
	s_ashr_i32 s22, s13, 31
	s_mov_b32 s23, s22
	s_delay_alu instid0(SALU_CYCLE_1)
	s_add_nc_u64 s[72:73], s[12:13], s[22:23]
	s_wait_alu 0xfffe
	s_xor_b64 s[72:73], s[72:73], s[22:23]
	s_wait_alu 0xfffe
	s_mul_hi_u32 s75, s72, s76
	s_mul_i32 s74, s72, s76
	s_mul_hi_u32 s24, s72, s21
	s_mul_hi_u32 s78, s73, s21
	s_mul_i32 s21, s73, s21
	s_wait_alu 0xfffe
	s_add_nc_u64 s[74:75], s[24:25], s[74:75]
	s_mul_hi_u32 s77, s73, s76
	s_wait_alu 0xfffe
	s_add_co_u32 s21, s74, s21
	s_add_co_ci_u32 s24, s75, s78
	s_mul_i32 s76, s73, s76
	s_add_co_ci_u32 s77, s77, 0
	s_wait_alu 0xfffe
	s_add_nc_u64 s[74:75], s[24:25], s[76:77]
	s_wait_alu 0xfffe
	s_mul_u64 s[74:75], s[14:15], s[74:75]
	s_wait_alu 0xfffe
	s_sub_co_u32 s21, s72, s74
	s_cselect_b32 s24, -1, 0
	s_sub_co_i32 s72, s73, s75
	s_wait_alu 0xfffe
	s_cmp_lg_u32 s24, 0
	s_sub_co_ci_u32 s72, s72, s15
	s_sub_co_u32 s74, s21, s14
	s_cselect_b32 s76, -1, 0
	s_wait_alu 0xfffe
	s_cmp_lg_u32 s76, 0
	s_sub_co_ci_u32 s77, s72, 0
	s_wait_alu 0xfffe
	s_cmp_ge_u32 s77, s15
	s_cselect_b32 s78, -1, 0
	s_cmp_ge_u32 s74, s14
	s_cselect_b32 s79, -1, 0
	s_cmp_eq_u32 s77, s15
	s_wait_alu 0xfffe
	s_cselect_b32 s78, s79, s78
	s_cmp_lg_u32 s76, 0
	s_sub_co_ci_u32 s72, s72, s15
	s_sub_co_u32 s76, s74, s14
	s_cselect_b32 s79, -1, 0
	s_wait_alu 0xfffe
	s_cmp_lg_u32 s79, 0
	s_sub_co_ci_u32 s72, s72, 0
	s_cmp_lg_u32 s78, 0
	s_cselect_b32 s74, s76, s74
	s_wait_alu 0xfffe
	s_cselect_b32 s72, s72, s77
	s_cmp_lg_u32 s24, 0
	s_sub_co_ci_u32 s24, s73, s75
	s_wait_alu 0xfffe
	s_cmp_ge_u32 s24, s15
	s_cselect_b32 s73, -1, 0
	s_cmp_ge_u32 s21, s14
	s_cselect_b32 s14, -1, 0
	s_cmp_eq_u32 s24, s15
	s_wait_alu 0xfffe
	s_cselect_b32 s14, s14, s73
	s_delay_alu instid0(SALU_CYCLE_1) | instskip(SKIP_2) | instid1(SALU_CYCLE_1)
	s_cmp_lg_u32 s14, 0
	s_cselect_b32 s15, s72, s24
	s_cselect_b32 s14, s74, s21
	s_xor_b64 s[14:15], s[14:15], s[22:23]
	s_delay_alu instid0(SALU_CYCLE_1)
	s_sub_nc_u64 s[14:15], s[14:15], s[22:23]
	s_cbranch_execnz .LBB53_106
.LBB53_105:                             ;   in Loop: Header=BB53_16 Depth=1
	v_cvt_f32_u32_e32 v6, s56
	s_sub_co_i32 s15, 0, s56
	s_delay_alu instid0(VALU_DEP_1) | instskip(NEXT) | instid1(TRANS32_DEP_1)
	v_rcp_iflag_f32_e32 v6, v6
	v_mul_f32_e32 v6, 0x4f7ffffe, v6
	s_delay_alu instid0(VALU_DEP_1) | instskip(NEXT) | instid1(VALU_DEP_1)
	v_cvt_u32_f32_e32 v6, v6
	v_readfirstlane_b32 s14, v6
	s_mul_i32 s15, s15, s14
	s_delay_alu instid0(SALU_CYCLE_1) | instskip(NEXT) | instid1(SALU_CYCLE_1)
	s_mul_hi_u32 s15, s14, s15
	s_add_co_i32 s14, s14, s15
	s_delay_alu instid0(SALU_CYCLE_1) | instskip(NEXT) | instid1(SALU_CYCLE_1)
	s_mul_hi_u32 s14, s12, s14
	s_mul_i32 s14, s14, s56
	s_delay_alu instid0(SALU_CYCLE_1) | instskip(NEXT) | instid1(SALU_CYCLE_1)
	s_sub_co_i32 s14, s12, s14
	s_sub_co_i32 s15, s14, s56
	s_cmp_ge_u32 s14, s56
	s_cselect_b32 s14, s15, s14
	s_delay_alu instid0(SALU_CYCLE_1)
	s_sub_co_i32 s15, s14, s56
	s_cmp_ge_u32 s14, s56
	s_cselect_b32 s24, s15, s14
	s_wait_alu 0xfffe
	s_mov_b64 s[14:15], s[24:25]
.LBB53_106:                             ;   in Loop: Header=BB53_16 Depth=1
	s_delay_alu instid0(SALU_CYCLE_1)
	s_sub_nc_u64 s[12:13], s[12:13], s[14:15]
	s_mov_b32 s14, exec_lo
                                        ; implicit-def: $vgpr27
	s_wait_alu 0xfffe
	v_cmpx_gt_i64_e64 s[12:13], v[0:1]
	s_cbranch_execz .LBB53_116
; %bb.107:                              ;   in Loop: Header=BB53_16 Depth=1
	v_dual_mov_b32 v8, v14 :: v_dual_mov_b32 v7, v1
	v_mov_b32_e32 v6, v0
	s_mov_b32 s15, 0
                                        ; implicit-def: $sgpr21
	s_branch .LBB53_111
.LBB53_108:                             ;   in Loop: Header=BB53_111 Depth=2
	s_or_b32 exec_lo, exec_lo, s22
	s_wait_loadcnt_dscnt 0x0
	s_barrier_signal -1
	s_barrier_wait -1
	global_inv scope:SCOPE_SE
	ds_load_b64 v[26:27], v13 offset:3072
	s_wait_loadcnt_dscnt 0x0
	s_barrier_signal -1
	s_barrier_wait -1
	global_inv scope:SCOPE_SE
	v_cmp_neq_f32_e32 vcc_lo, 0, v26
	s_cbranch_vccnz .LBB53_114
; %bb.109:                              ;   in Loop: Header=BB53_111 Depth=2
	v_add_co_u32 v6, vcc_lo, v6, s56
	s_wait_alu 0xfffd
	v_add_co_ci_u32_e64 v7, null, 0, v7, vcc_lo
	v_add_nc_u32_e32 v8, s94, v8
	s_mov_b32 s22, 0
	s_delay_alu instid0(VALU_DEP_2)
	v_cmp_le_i64_e32 vcc_lo, s[12:13], v[6:7]
	s_or_not1_b32 s23, vcc_lo, exec_lo
.LBB53_110:                             ;   in Loop: Header=BB53_111 Depth=2
	s_delay_alu instid0(SALU_CYCLE_1) | instskip(NEXT) | instid1(SALU_CYCLE_1)
	s_and_b32 s23, exec_lo, s23
	s_or_b32 s15, s23, s15
	s_wait_alu 0xfffe
	s_and_not1_b32 s21, s21, exec_lo
	s_and_b32 s22, s22, exec_lo
	s_wait_alu 0xfffe
	s_or_b32 s21, s21, s22
	s_and_not1_b32 exec_lo, exec_lo, s15
	s_cbranch_execz .LBB53_115
.LBB53_111:                             ;   Parent Loop BB53_16 Depth=1
                                        ; =>  This Inner Loop Header: Depth=2
	s_mov_b32 s22, exec_lo
	s_delay_alu instid0(VALU_DEP_1)
	v_cmpx_gt_u64_e64 s[10:11], v[6:7]
	s_cbranch_execz .LBB53_108
; %bb.112:                              ;   in Loop: Header=BB53_111 Depth=2
	ds_load_b32 v26, v8
	s_wait_dscnt 0x0
	v_cmp_lt_i32_e32 vcc_lo, -1, v26
	s_wait_alu 0xfffd
	v_cndmask_b32_e64 v9, -1, 0x80000000, vcc_lo
	v_cmp_o_f32_e32 vcc_lo, v26, v26
	s_delay_alu instid0(VALU_DEP_2) | instskip(SKIP_1) | instid1(VALU_DEP_1)
	v_xor_b32_e32 v9, v9, v26
	s_wait_alu 0xfffd
	v_cndmask_b32_e32 v9, -1, v9, vcc_lo
	s_delay_alu instid0(VALU_DEP_1) | instskip(NEXT) | instid1(VALU_DEP_1)
	v_and_b32_e32 v9, v9, v46
	v_cmp_eq_u32_e32 vcc_lo, v9, v39
	s_and_b32 exec_lo, exec_lo, vcc_lo
	s_cbranch_execz .LBB53_108
; %bb.113:                              ;   in Loop: Header=BB53_111 Depth=2
	ds_store_b64 v13, v[25:26] offset:3072
	s_branch .LBB53_108
.LBB53_114:                             ;   in Loop: Header=BB53_111 Depth=2
	s_mov_b32 s23, -1
	s_mov_b32 s22, -1
                                        ; implicit-def: $vgpr6_vgpr7
                                        ; implicit-def: $vgpr8
	s_branch .LBB53_110
.LBB53_115:                             ;   in Loop: Header=BB53_16 Depth=1
	s_or_b32 exec_lo, exec_lo, s15
	s_delay_alu instid0(SALU_CYCLE_1)
	s_and_not1_b32 s5, s5, exec_lo
	s_wait_alu 0xfffe
	s_and_b32 s10, s21, exec_lo
	s_wait_alu 0xfffe
	s_or_b32 s5, s5, s10
.LBB53_116:                             ;   in Loop: Header=BB53_16 Depth=1
	s_or_b32 exec_lo, exec_lo, s14
	s_mov_b32 s14, 0
	s_mov_b32 s15, -1
.LBB53_117:                             ;   in Loop: Header=BB53_16 Depth=1
	s_wait_alu 0xfffe
	s_or_not1_b32 s5, s5, exec_lo
.LBB53_118:                             ;   in Loop: Header=BB53_16 Depth=1
	s_wait_alu 0xfffe
	s_or_b32 exec_lo, exec_lo, s17
	s_delay_alu instid0(SALU_CYCLE_1)
	s_and_not1_b32 s10, s102, exec_lo
	s_and_b32 s11, s15, exec_lo
	s_and_not1_b32 s12, s100, exec_lo
	s_and_b32 s13, s14, exec_lo
	s_and_not1_b32 s99, s99, exec_lo
	s_wait_alu 0xfffe
	s_or_b32 s102, s10, s11
	s_or_b32 s100, s12, s13
                                        ; implicit-def: $vgpr6_vgpr7
	s_and_saveexec_b32 s17, s5
	s_cbranch_execz .LBB53_15
; %bb.119:                              ;   in Loop: Header=BB53_16 Depth=1
	v_mov_b32_e32 v6, 1
	v_dual_mov_b32 v7, 0 :: v_dual_mov_b32 v12, 1
	s_xor_b32 s11, s19, -1
	s_mov_b32 s10, 0
	s_wait_alu 0xfffe
	s_and_saveexec_b32 s5, s11
	s_cbranch_execz .LBB53_128
; %bb.120:                              ;   in Loop: Header=BB53_16 Depth=1
	s_mov_b32 s10, exec_lo
	v_cmpx_le_i64_e64 v[28:29], v[2:3]
	s_wait_alu 0xfffe
	s_xor_b32 s10, exec_lo, s10
	s_cbranch_execz .LBB53_125
; %bb.121:                              ;   in Loop: Header=BB53_16 Depth=1
	ds_load_b64 v[6:7], v13 offset:5120
	v_and_b32_e32 v39, s20, v39
	v_or_b32_e32 v46, s16, v46
	s_wait_dscnt 0x0
	v_cmp_ne_u64_e32 vcc_lo, 0, v[6:7]
	s_cbranch_vccnz .LBB53_125
; %bb.122:                              ;   in Loop: Header=BB53_16 Depth=1
	s_and_saveexec_b32 s11, s2
; %bb.123:                              ;   in Loop: Header=BB53_16 Depth=1
	ds_store_b64 v13, v[2:3] offset:5128
; %bb.124:                              ;   in Loop: Header=BB53_16 Depth=1
	s_wait_alu 0xfffe
	s_or_b32 exec_lo, exec_lo, s11
	s_wait_loadcnt_dscnt 0x0
	s_barrier_signal -1
	s_barrier_wait -1
	global_inv scope:SCOPE_SE
.LBB53_125:                             ;   in Loop: Header=BB53_16 Depth=1
	s_wait_alu 0xfffe
	s_or_saveexec_b32 s10, s10
	v_mov_b32_e32 v12, 8
	s_mov_b32 s11, 0
	s_wait_alu 0xfffe
	s_xor_b32 exec_lo, exec_lo, s10
; %bb.126:                              ;   in Loop: Header=BB53_16 Depth=1
	v_sub_co_u32 v28, vcc_lo, v28, v2
	s_wait_alu 0xfffd
	v_sub_co_ci_u32_e64 v29, null, v29, v3, vcc_lo
	v_mov_b32_e32 v12, 0
	s_mov_b32 s11, exec_lo
; %bb.127:                              ;   in Loop: Header=BB53_16 Depth=1
	s_or_b32 exec_lo, exec_lo, s10
	s_delay_alu instid0(VALU_DEP_2)
	v_dual_mov_b32 v6, v28 :: v_dual_mov_b32 v7, v29
	s_wait_alu 0xfffe
	s_and_b32 s10, s11, exec_lo
.LBB53_128:                             ;   in Loop: Header=BB53_16 Depth=1
	s_wait_alu 0xfffe
	s_or_b32 exec_lo, exec_lo, s5
	s_mov_b32 s18, -1
	s_mov_b32 s5, -1
                                        ; implicit-def: $sgpr21
                                        ; implicit-def: $sgpr22
	s_and_saveexec_b32 s11, s10
	s_wait_alu 0xfffe
	s_xor_b32 s19, exec_lo, s11
	s_cbranch_execz .LBB53_276
; %bb.129:                              ;   in Loop: Header=BB53_16 Depth=1
	v_cmp_eq_u64_e32 vcc_lo, 1, v[4:5]
	v_cmp_eq_u64_e64 s5, 1, v[6:7]
                                        ; implicit-def: $sgpr22
                                        ; implicit-def: $sgpr21
	s_and_b32 s72, vcc_lo, s5
	s_mov_b32 s5, -1
	s_wait_alu 0xfffe
	s_and_saveexec_b32 s23, s72
	s_cbranch_execz .LBB53_165
; %bb.130:                              ;   in Loop: Header=BB53_16 Depth=1
	ds_load_b64 v[2:3], v13 offset:5120
	s_wait_loadcnt_dscnt 0x0
	s_barrier_signal -1
	s_barrier_wait -1
	global_inv scope:SCOPE_SE
	v_readfirstlane_b32 s10, v2
	v_readfirstlane_b32 s11, v3
	s_and_saveexec_b32 s5, s3
; %bb.131:                              ;   in Loop: Header=BB53_16 Depth=1
	ds_store_b32 v35, v13
; %bb.132:                              ;   in Loop: Header=BB53_16 Depth=1
	s_wait_alu 0xfffe
	s_or_b32 exec_lo, exec_lo, s5
	s_lshl_b32 s5, 1, s95
	v_or_b32_e32 v46, s16, v46
	s_wait_alu 0xfffe
	v_and_or_b32 v39, v39, s20, s5
	v_cmp_gt_i64_e64 s5, s[10:11], 0
	s_mov_b32 s21, -1
	s_mov_b32 s22, 0
	s_mov_b32 s14, -1
	s_wait_loadcnt_dscnt 0x0
	s_barrier_signal -1
	s_and_b32 vcc_lo, exec_lo, s5
	s_mov_b32 s5, 0
	s_barrier_wait -1
	global_inv scope:SCOPE_SE
                                        ; implicit-def: $vgpr27
	s_wait_alu 0xfffe
	s_cbranch_vccnz .LBB53_149
; %bb.133:                              ;   in Loop: Header=BB53_16 Depth=1
	s_mov_b32 s12, s25
	s_mov_b32 s13, s65
	s_wait_alu 0xfffe
	s_cmp_lg_u64 s[12:13], 0
	s_cbranch_scc0 .LBB53_193
; %bb.134:                              ;   in Loop: Header=BB53_16 Depth=1
	s_add_nc_u64 s[12:13], s[56:57], 0
	s_wait_alu 0xfffe
	s_xor_b64 s[12:13], s[12:13], 0
	s_wait_alu 0xfffe
	s_cvt_f32_u32 s5, s12
	s_cvt_f32_u32 s14, s13
	s_sub_nc_u64 s[74:75], 0, s[12:13]
	s_wait_alu 0xfffe
	s_delay_alu instid0(SALU_CYCLE_1) | instskip(SKIP_1) | instid1(SALU_CYCLE_2)
	s_fmamk_f32 s5, s14, 0x4f800000, s5
	s_wait_alu 0xfffe
	v_s_rcp_f32 s5, s5
	s_delay_alu instid0(TRANS32_DEP_1) | instskip(SKIP_1) | instid1(SALU_CYCLE_2)
	s_mul_f32 s5, s5, 0x5f7ffffc
	s_wait_alu 0xfffe
	s_mul_f32 s14, s5, 0x2f800000
	s_delay_alu instid0(SALU_CYCLE_3) | instskip(NEXT) | instid1(SALU_CYCLE_3)
	s_trunc_f32 s14, s14
	s_fmamk_f32 s5, s14, 0xcf800000, s5
	s_cvt_u32_f32 s15, s14
	s_wait_alu 0xfffe
	s_delay_alu instid0(SALU_CYCLE_1) | instskip(NEXT) | instid1(SALU_CYCLE_3)
	s_cvt_u32_f32 s14, s5
	s_mul_u64 s[76:77], s[74:75], s[14:15]
	s_wait_alu 0xfffe
	s_mul_hi_u32 s79, s14, s77
	s_mul_i32 s78, s14, s77
	s_mul_hi_u32 s24, s14, s76
	s_mul_i32 s73, s15, s76
	s_wait_alu 0xfffe
	s_add_nc_u64 s[78:79], s[24:25], s[78:79]
	s_mul_hi_u32 s5, s15, s76
	s_mul_hi_u32 s80, s15, s77
	s_wait_alu 0xfffe
	s_add_co_u32 s24, s78, s73
	s_add_co_ci_u32 s24, s79, s5
	s_mul_i32 s76, s15, s77
	s_add_co_ci_u32 s77, s80, 0
	s_wait_alu 0xfffe
	s_add_nc_u64 s[76:77], s[24:25], s[76:77]
	s_wait_alu 0xfffe
	s_add_co_u32 s14, s14, s76
	s_cselect_b32 s5, -1, 0
	s_wait_alu 0xfffe
	s_cmp_lg_u32 s5, 0
	s_add_co_ci_u32 s15, s15, s77
	s_delay_alu instid0(SALU_CYCLE_1)
	s_mul_u64 s[74:75], s[74:75], s[14:15]
	s_wait_alu 0xfffe
	s_mul_hi_u32 s77, s14, s75
	s_mul_i32 s76, s14, s75
	s_mul_hi_u32 s24, s14, s74
	s_mul_i32 s73, s15, s74
	s_wait_alu 0xfffe
	s_add_nc_u64 s[76:77], s[24:25], s[76:77]
	s_mul_hi_u32 s5, s15, s74
	s_mul_hi_u32 s78, s15, s75
	s_wait_alu 0xfffe
	s_add_co_u32 s24, s76, s73
	s_add_co_ci_u32 s24, s77, s5
	s_mul_i32 s74, s15, s75
	s_add_co_ci_u32 s75, s78, 0
	s_wait_alu 0xfffe
	s_add_nc_u64 s[74:75], s[24:25], s[74:75]
	s_wait_alu 0xfffe
	s_add_co_u32 s5, s14, s74
	s_cselect_b32 s14, -1, 0
	s_delay_alu instid0(SALU_CYCLE_1) | instskip(SKIP_2) | instid1(SALU_CYCLE_1)
	s_cmp_lg_u32 s14, 0
	s_add_co_ci_u32 s73, s15, s75
	s_ashr_i32 s14, s65, 31
	s_mov_b32 s15, s14
	s_delay_alu instid0(SALU_CYCLE_1)
	s_add_nc_u64 s[74:75], s[64:65], s[14:15]
	s_wait_alu 0xfffe
	s_xor_b64 s[74:75], s[74:75], s[14:15]
	s_wait_alu 0xfffe
	s_mul_hi_u32 s77, s74, s73
	s_mul_i32 s76, s74, s73
	s_mul_hi_u32 s24, s74, s5
	s_mul_hi_u32 s80, s75, s5
	s_mul_i32 s5, s75, s5
	s_wait_alu 0xfffe
	s_add_nc_u64 s[76:77], s[24:25], s[76:77]
	s_mul_hi_u32 s79, s75, s73
	s_wait_alu 0xfffe
	s_add_co_u32 s5, s76, s5
	s_add_co_ci_u32 s24, s77, s80
	s_mul_i32 s78, s75, s73
	s_add_co_ci_u32 s79, s79, 0
	s_wait_alu 0xfffe
	s_add_nc_u64 s[76:77], s[24:25], s[78:79]
	s_wait_alu 0xfffe
	s_mul_u64 s[76:77], s[12:13], s[76:77]
	s_wait_alu 0xfffe
	s_sub_co_u32 s5, s74, s76
	s_cselect_b32 s24, -1, 0
	s_sub_co_i32 s73, s75, s77
	s_wait_alu 0xfffe
	s_cmp_lg_u32 s24, 0
	s_sub_co_ci_u32 s73, s73, s13
	s_sub_co_u32 s74, s5, s12
	s_cselect_b32 s76, -1, 0
	s_wait_alu 0xfffe
	s_cmp_lg_u32 s76, 0
	s_sub_co_ci_u32 s78, s73, 0
	s_wait_alu 0xfffe
	s_cmp_ge_u32 s78, s13
	s_cselect_b32 s79, -1, 0
	s_cmp_ge_u32 s74, s12
	s_cselect_b32 s80, -1, 0
	s_cmp_eq_u32 s78, s13
	s_wait_alu 0xfffe
	s_cselect_b32 s79, s80, s79
	s_cmp_lg_u32 s76, 0
	s_sub_co_ci_u32 s73, s73, s13
	s_sub_co_u32 s76, s74, s12
	s_cselect_b32 s80, -1, 0
	s_wait_alu 0xfffe
	s_cmp_lg_u32 s80, 0
	s_sub_co_ci_u32 s73, s73, 0
	s_cmp_lg_u32 s79, 0
	s_cselect_b32 s74, s76, s74
	s_wait_alu 0xfffe
	s_cselect_b32 s73, s73, s78
	s_cmp_lg_u32 s24, 0
	s_sub_co_ci_u32 s24, s75, s77
	s_wait_alu 0xfffe
	s_cmp_ge_u32 s24, s13
	s_cselect_b32 s75, -1, 0
	s_cmp_ge_u32 s5, s12
	s_cselect_b32 s12, -1, 0
	s_cmp_eq_u32 s24, s13
	s_wait_alu 0xfffe
	s_cselect_b32 s12, s12, s75
	s_wait_alu 0xfffe
	s_cmp_lg_u32 s12, 0
	s_cselect_b32 s13, s73, s24
	s_cselect_b32 s12, s74, s5
	s_wait_alu 0xfffe
	s_xor_b64 s[12:13], s[12:13], s[14:15]
	s_wait_alu 0xfffe
	s_sub_nc_u64 s[12:13], s[12:13], s[14:15]
	s_cbranch_execnz .LBB53_136
.LBB53_135:                             ;   in Loop: Header=BB53_16 Depth=1
	v_cvt_f32_u32_e32 v2, s56
	s_sub_co_i32 s12, 0, s56
	s_delay_alu instid0(VALU_DEP_1) | instskip(NEXT) | instid1(TRANS32_DEP_1)
	v_rcp_iflag_f32_e32 v2, v2
	v_mul_f32_e32 v2, 0x4f7ffffe, v2
	s_delay_alu instid0(VALU_DEP_1) | instskip(NEXT) | instid1(VALU_DEP_1)
	v_cvt_u32_f32_e32 v2, v2
	v_readfirstlane_b32 s5, v2
	s_wait_alu 0xfffe
	s_mul_i32 s12, s12, s5
	s_wait_alu 0xfffe
	s_mul_hi_u32 s12, s5, s12
	s_wait_alu 0xfffe
	s_add_co_i32 s5, s5, s12
	s_wait_alu 0xfffe
	s_mul_hi_u32 s5, s64, s5
	s_wait_alu 0xfffe
	s_mul_i32 s5, s5, s56
	s_wait_alu 0xfffe
	s_sub_co_i32 s5, s64, s5
	s_wait_alu 0xfffe
	s_sub_co_i32 s12, s5, s56
	s_cmp_ge_u32 s5, s56
	s_wait_alu 0xfffe
	s_cselect_b32 s5, s12, s5
	s_wait_alu 0xfffe
	s_sub_co_i32 s12, s5, s56
	s_cmp_ge_u32 s5, s56
	s_wait_alu 0xfffe
	s_cselect_b32 s24, s12, s5
	s_wait_alu 0xfffe
	s_mov_b64 s[12:13], s[24:25]
.LBB53_136:                             ;   in Loop: Header=BB53_16 Depth=1
	s_wait_alu 0xfffe
	s_sub_nc_u64 s[12:13], s[64:65], s[12:13]
	s_mov_b32 s14, 0
	s_mov_b32 s5, 0
	s_mov_b32 s15, exec_lo
                                        ; implicit-def: $vgpr27
	s_wait_alu 0xfffe
	v_cmpx_gt_i64_e64 s[12:13], v[0:1]
	s_cbranch_execz .LBB53_148
; %bb.137:                              ;   in Loop: Header=BB53_16 Depth=1
	v_dual_mov_b32 v2, v10 :: v_dual_mov_b32 v3, v11
	v_dual_mov_b32 v9, v1 :: v_dual_mov_b32 v8, v0
	s_mov_b32 s24, 0
                                        ; implicit-def: $sgpr73
	s_branch .LBB53_141
.LBB53_138:                             ;   in Loop: Header=BB53_141 Depth=2
	s_wait_alu 0xfffe
	s_or_b32 exec_lo, exec_lo, s5
	s_wait_loadcnt_dscnt 0x0
	s_barrier_signal -1
	s_barrier_wait -1
	global_inv scope:SCOPE_SE
	ds_load_b64 v[26:27], v13 offset:3072
	s_wait_loadcnt_dscnt 0x0
	s_barrier_signal -1
	s_barrier_wait -1
	global_inv scope:SCOPE_SE
	v_cmp_neq_f32_e32 vcc_lo, 0, v26
	s_cbranch_vccnz .LBB53_144
; %bb.139:                              ;   in Loop: Header=BB53_141 Depth=2
	v_add_co_u32 v8, vcc_lo, v8, s56
	s_wait_alu 0xfffd
	v_add_co_ci_u32_e64 v9, null, 0, v9, vcc_lo
	v_add_co_u32 v2, s5, v2, s58
	s_wait_alu 0xf1ff
	v_add_co_ci_u32_e64 v3, null, s59, v3, s5
	s_delay_alu instid0(VALU_DEP_3)
	v_cmp_le_i64_e32 vcc_lo, s[12:13], v[8:9]
	s_mov_b32 s5, 0
	s_or_not1_b32 s74, vcc_lo, exec_lo
.LBB53_140:                             ;   in Loop: Header=BB53_141 Depth=2
	s_wait_alu 0xfffe
	s_and_b32 s74, exec_lo, s74
	s_wait_alu 0xfffe
	s_or_b32 s24, s74, s24
	s_and_not1_b32 s73, s73, exec_lo
	s_and_b32 s5, s5, exec_lo
	s_wait_alu 0xfffe
	s_or_b32 s73, s73, s5
	s_and_not1_b32 exec_lo, exec_lo, s24
	s_cbranch_execz .LBB53_147
.LBB53_141:                             ;   Parent Loop BB53_16 Depth=1
                                        ; =>  This Inner Loop Header: Depth=2
	s_mov_b32 s5, exec_lo
	s_delay_alu instid0(VALU_DEP_1)
	v_cmpx_gt_i64_e64 s[36:37], v[8:9]
	s_cbranch_execz .LBB53_138
; %bb.142:                              ;   in Loop: Header=BB53_141 Depth=2
	global_load_b32 v26, v[2:3], off
	s_wait_loadcnt 0x0
	v_cmp_lt_i32_e32 vcc_lo, -1, v26
	s_wait_alu 0xfffd
	v_cndmask_b32_e64 v27, -1, 0x80000000, vcc_lo
	v_cmp_o_f32_e32 vcc_lo, v26, v26
	s_delay_alu instid0(VALU_DEP_2) | instskip(SKIP_1) | instid1(VALU_DEP_1)
	v_xor_b32_e32 v27, v27, v26
	s_wait_alu 0xfffd
	v_cndmask_b32_e32 v27, -1, v27, vcc_lo
	s_delay_alu instid0(VALU_DEP_1) | instskip(NEXT) | instid1(VALU_DEP_1)
	v_and_b32_e32 v27, v27, v46
	v_cmp_eq_u32_e32 vcc_lo, v27, v39
	s_and_b32 exec_lo, exec_lo, vcc_lo
	s_cbranch_execz .LBB53_138
; %bb.143:                              ;   in Loop: Header=BB53_141 Depth=2
	ds_store_b64 v13, v[25:26] offset:3072
	s_branch .LBB53_138
.LBB53_144:                             ;   in Loop: Header=BB53_141 Depth=2
	s_mov_b32 s74, -1
	s_mov_b32 s5, -1
                                        ; implicit-def: $vgpr8_vgpr9
                                        ; implicit-def: $vgpr2_vgpr3
	s_branch .LBB53_140
.LBB53_145:                             ;   in Loop: Header=BB53_16 Depth=1
                                        ; implicit-def: $sgpr12_sgpr13
	s_branch .LBB53_90
.LBB53_146:                             ;   in Loop: Header=BB53_16 Depth=1
                                        ; implicit-def: $sgpr14_sgpr15
	s_branch .LBB53_105
.LBB53_147:                             ;   in Loop: Header=BB53_16 Depth=1
	s_or_b32 exec_lo, exec_lo, s24
	s_wait_alu 0xfffe
	s_and_b32 s5, s73, exec_lo
.LBB53_148:                             ;   in Loop: Header=BB53_16 Depth=1
	s_or_b32 exec_lo, exec_lo, s15
.LBB53_149:                             ;   in Loop: Header=BB53_16 Depth=1
	s_delay_alu instid0(SALU_CYCLE_1)
	s_and_b32 vcc_lo, exec_lo, s14
	s_wait_alu 0xfffe
	s_cbranch_vccz .LBB53_164
; %bb.150:                              ;   in Loop: Header=BB53_16 Depth=1
	s_add_nc_u64 s[12:13], s[10:11], s[62:63]
	s_mov_b32 s14, s25
	s_wait_alu 0xfffe
	s_mov_b32 s15, s13
	s_delay_alu instid0(SALU_CYCLE_1)
	s_cmp_lg_u64 s[14:15], 0
	s_cbranch_scc0 .LBB53_194
; %bb.151:                              ;   in Loop: Header=BB53_16 Depth=1
	s_add_nc_u64 s[14:15], s[56:57], 0
	s_delay_alu instid0(SALU_CYCLE_1) | instskip(NEXT) | instid1(SALU_CYCLE_1)
	s_xor_b64 s[14:15], s[14:15], 0
	s_cvt_f32_u32 s21, s14
	s_cvt_f32_u32 s22, s15
	s_sub_nc_u64 s[76:77], 0, s[14:15]
	s_wait_alu 0xfffe
	s_delay_alu instid0(SALU_CYCLE_1) | instskip(SKIP_1) | instid1(SALU_CYCLE_2)
	s_fmamk_f32 s21, s22, 0x4f800000, s21
	s_wait_alu 0xfffe
	v_s_rcp_f32 s21, s21
	s_delay_alu instid0(TRANS32_DEP_1) | instskip(SKIP_1) | instid1(SALU_CYCLE_2)
	s_mul_f32 s21, s21, 0x5f7ffffc
	s_wait_alu 0xfffe
	s_mul_f32 s22, s21, 0x2f800000
	s_delay_alu instid0(SALU_CYCLE_3) | instskip(NEXT) | instid1(SALU_CYCLE_3)
	s_trunc_f32 s22, s22
	s_fmamk_f32 s21, s22, 0xcf800000, s21
	s_cvt_u32_f32 s75, s22
	s_wait_alu 0xfffe
	s_delay_alu instid0(SALU_CYCLE_1) | instskip(SKIP_1) | instid1(SALU_CYCLE_2)
	s_cvt_u32_f32 s74, s21
	s_wait_alu 0xfffe
	s_mul_u64 s[78:79], s[76:77], s[74:75]
	s_wait_alu 0xfffe
	s_mul_hi_u32 s81, s74, s79
	s_mul_i32 s80, s74, s79
	s_mul_hi_u32 s24, s74, s78
	s_mul_i32 s22, s75, s78
	s_wait_alu 0xfffe
	s_add_nc_u64 s[80:81], s[24:25], s[80:81]
	s_mul_hi_u32 s21, s75, s78
	s_mul_hi_u32 s73, s75, s79
	s_wait_alu 0xfffe
	s_add_co_u32 s22, s80, s22
	s_add_co_ci_u32 s24, s81, s21
	s_mul_i32 s78, s75, s79
	s_add_co_ci_u32 s79, s73, 0
	s_wait_alu 0xfffe
	s_add_nc_u64 s[78:79], s[24:25], s[78:79]
	s_wait_alu 0xfffe
	s_add_co_u32 s74, s74, s78
	s_cselect_b32 s21, -1, 0
	s_wait_alu 0xfffe
	s_cmp_lg_u32 s21, 0
	s_add_co_ci_u32 s75, s75, s79
	s_wait_alu 0xfffe
	s_mul_u64 s[76:77], s[76:77], s[74:75]
	s_wait_alu 0xfffe
	s_mul_hi_u32 s79, s74, s77
	s_mul_i32 s78, s74, s77
	s_mul_hi_u32 s24, s74, s76
	s_mul_i32 s22, s75, s76
	s_wait_alu 0xfffe
	s_add_nc_u64 s[78:79], s[24:25], s[78:79]
	s_mul_hi_u32 s21, s75, s76
	s_mul_hi_u32 s73, s75, s77
	s_wait_alu 0xfffe
	s_add_co_u32 s22, s78, s22
	s_add_co_ci_u32 s24, s79, s21
	s_mul_i32 s76, s75, s77
	s_add_co_ci_u32 s77, s73, 0
	s_wait_alu 0xfffe
	s_add_nc_u64 s[76:77], s[24:25], s[76:77]
	s_wait_alu 0xfffe
	s_add_co_u32 s21, s74, s76
	s_cselect_b32 s22, -1, 0
	s_delay_alu instid0(SALU_CYCLE_1)
	s_cmp_lg_u32 s22, 0
	s_add_co_ci_u32 s22, s75, s77
	s_ashr_i32 s74, s13, 31
	s_wait_alu 0xfffe
	s_mov_b32 s75, s74
	s_wait_alu 0xfffe
	s_add_nc_u64 s[76:77], s[12:13], s[74:75]
	s_wait_alu 0xfffe
	s_xor_b64 s[76:77], s[76:77], s[74:75]
	s_wait_alu 0xfffe
	s_mul_hi_u32 s79, s76, s22
	s_mul_i32 s78, s76, s22
	s_mul_hi_u32 s24, s76, s21
	s_mul_hi_u32 s81, s77, s21
	s_mul_i32 s21, s77, s21
	s_wait_alu 0xfffe
	s_add_nc_u64 s[78:79], s[24:25], s[78:79]
	s_mul_hi_u32 s73, s77, s22
	s_wait_alu 0xfffe
	s_add_co_u32 s21, s78, s21
	s_add_co_ci_u32 s24, s79, s81
	s_mul_i32 s80, s77, s22
	s_add_co_ci_u32 s81, s73, 0
	s_wait_alu 0xfffe
	s_add_nc_u64 s[78:79], s[24:25], s[80:81]
	s_wait_alu 0xfffe
	s_mul_u64 s[78:79], s[14:15], s[78:79]
	s_wait_alu 0xfffe
	s_sub_co_u32 s21, s76, s78
	s_cselect_b32 s22, -1, 0
	s_sub_co_i32 s24, s77, s79
	s_cmp_lg_u32 s22, 0
	s_wait_alu 0xfffe
	s_sub_co_ci_u32 s24, s24, s15
	s_sub_co_u32 s73, s21, s14
	s_cselect_b32 s76, -1, 0
	s_wait_alu 0xfffe
	s_cmp_lg_u32 s76, 0
	s_sub_co_ci_u32 s78, s24, 0
	s_wait_alu 0xfffe
	s_cmp_ge_u32 s78, s15
	s_cselect_b32 s80, -1, 0
	s_cmp_ge_u32 s73, s14
	s_cselect_b32 s81, -1, 0
	s_cmp_eq_u32 s78, s15
	s_wait_alu 0xfffe
	s_cselect_b32 s80, s81, s80
	s_cmp_lg_u32 s76, 0
	s_sub_co_ci_u32 s24, s24, s15
	s_sub_co_u32 s76, s73, s14
	s_cselect_b32 s81, -1, 0
	s_wait_alu 0xfffe
	s_cmp_lg_u32 s81, 0
	s_sub_co_ci_u32 s24, s24, 0
	s_cmp_lg_u32 s80, 0
	s_cselect_b32 s73, s76, s73
	s_wait_alu 0xfffe
	s_cselect_b32 s24, s24, s78
	s_cmp_lg_u32 s22, 0
	s_sub_co_ci_u32 s22, s77, s79
	s_delay_alu instid0(SALU_CYCLE_1)
	s_cmp_ge_u32 s22, s15
	s_cselect_b32 s76, -1, 0
	s_cmp_ge_u32 s21, s14
	s_cselect_b32 s14, -1, 0
	s_cmp_eq_u32 s22, s15
	s_wait_alu 0xfffe
	s_cselect_b32 s14, s14, s76
	s_delay_alu instid0(SALU_CYCLE_1) | instskip(SKIP_2) | instid1(SALU_CYCLE_1)
	s_cmp_lg_u32 s14, 0
	s_cselect_b32 s15, s24, s22
	s_cselect_b32 s14, s73, s21
	s_xor_b64 s[14:15], s[14:15], s[74:75]
	s_delay_alu instid0(SALU_CYCLE_1)
	s_sub_nc_u64 s[14:15], s[14:15], s[74:75]
	s_cbranch_execnz .LBB53_153
.LBB53_152:                             ;   in Loop: Header=BB53_16 Depth=1
	v_cvt_f32_u32_e32 v2, s56
	s_sub_co_i32 s15, 0, s56
	s_delay_alu instid0(VALU_DEP_1) | instskip(NEXT) | instid1(TRANS32_DEP_1)
	v_rcp_iflag_f32_e32 v2, v2
	v_mul_f32_e32 v2, 0x4f7ffffe, v2
	s_delay_alu instid0(VALU_DEP_1) | instskip(NEXT) | instid1(VALU_DEP_1)
	v_cvt_u32_f32_e32 v2, v2
	v_readfirstlane_b32 s14, v2
	s_mul_i32 s15, s15, s14
	s_delay_alu instid0(SALU_CYCLE_1) | instskip(NEXT) | instid1(SALU_CYCLE_1)
	s_mul_hi_u32 s15, s14, s15
	s_add_co_i32 s14, s14, s15
	s_delay_alu instid0(SALU_CYCLE_1) | instskip(NEXT) | instid1(SALU_CYCLE_1)
	s_mul_hi_u32 s14, s12, s14
	s_mul_i32 s14, s14, s56
	s_delay_alu instid0(SALU_CYCLE_1) | instskip(NEXT) | instid1(SALU_CYCLE_1)
	s_sub_co_i32 s14, s12, s14
	s_sub_co_i32 s15, s14, s56
	s_cmp_ge_u32 s14, s56
	s_cselect_b32 s14, s15, s14
	s_delay_alu instid0(SALU_CYCLE_1)
	s_sub_co_i32 s15, s14, s56
	s_cmp_ge_u32 s14, s56
	s_cselect_b32 s24, s15, s14
	s_wait_alu 0xfffe
	s_mov_b64 s[14:15], s[24:25]
.LBB53_153:                             ;   in Loop: Header=BB53_16 Depth=1
	s_delay_alu instid0(SALU_CYCLE_1)
	s_sub_nc_u64 s[12:13], s[12:13], s[14:15]
	s_mov_b32 s14, exec_lo
                                        ; implicit-def: $vgpr27
	s_wait_alu 0xfffe
	v_cmpx_gt_i64_e64 s[12:13], v[0:1]
	s_cbranch_execz .LBB53_163
; %bb.154:                              ;   in Loop: Header=BB53_16 Depth=1
	v_dual_mov_b32 v8, v14 :: v_dual_mov_b32 v3, v1
	v_mov_b32_e32 v2, v0
	s_mov_b32 s15, 0
                                        ; implicit-def: $sgpr21
	s_branch .LBB53_158
.LBB53_155:                             ;   in Loop: Header=BB53_158 Depth=2
	s_or_b32 exec_lo, exec_lo, s22
	s_wait_loadcnt_dscnt 0x0
	s_barrier_signal -1
	s_barrier_wait -1
	global_inv scope:SCOPE_SE
	ds_load_b64 v[26:27], v13 offset:3072
	s_wait_loadcnt_dscnt 0x0
	s_barrier_signal -1
	s_barrier_wait -1
	global_inv scope:SCOPE_SE
	v_cmp_eq_f32_e32 vcc_lo, 0, v26
	s_cbranch_vccz .LBB53_161
; %bb.156:                              ;   in Loop: Header=BB53_158 Depth=2
	v_add_co_u32 v2, vcc_lo, v2, s56
	s_wait_alu 0xfffd
	v_add_co_ci_u32_e64 v3, null, 0, v3, vcc_lo
	v_add_nc_u32_e32 v8, s94, v8
	s_mov_b32 s22, 0
	s_delay_alu instid0(VALU_DEP_2)
	v_cmp_le_i64_e32 vcc_lo, s[12:13], v[2:3]
	s_or_not1_b32 s24, vcc_lo, exec_lo
.LBB53_157:                             ;   in Loop: Header=BB53_158 Depth=2
	s_wait_alu 0xfffe
	s_and_b32 s24, exec_lo, s24
	s_wait_alu 0xfffe
	s_or_b32 s15, s24, s15
	s_and_not1_b32 s21, s21, exec_lo
	s_and_b32 s22, s22, exec_lo
	s_wait_alu 0xfffe
	s_or_b32 s21, s21, s22
	s_and_not1_b32 exec_lo, exec_lo, s15
	s_cbranch_execz .LBB53_162
.LBB53_158:                             ;   Parent Loop BB53_16 Depth=1
                                        ; =>  This Inner Loop Header: Depth=2
	s_mov_b32 s22, exec_lo
	s_delay_alu instid0(VALU_DEP_1)
	v_cmpx_gt_u64_e64 s[10:11], v[2:3]
	s_cbranch_execz .LBB53_155
; %bb.159:                              ;   in Loop: Header=BB53_158 Depth=2
	ds_load_b32 v26, v8
	s_wait_dscnt 0x0
	v_cmp_lt_i32_e32 vcc_lo, -1, v26
	s_wait_alu 0xfffd
	v_cndmask_b32_e64 v9, -1, 0x80000000, vcc_lo
	v_cmp_o_f32_e32 vcc_lo, v26, v26
	s_delay_alu instid0(VALU_DEP_2) | instskip(SKIP_1) | instid1(VALU_DEP_1)
	v_xor_b32_e32 v9, v9, v26
	s_wait_alu 0xfffd
	v_cndmask_b32_e32 v9, -1, v9, vcc_lo
	s_delay_alu instid0(VALU_DEP_1) | instskip(NEXT) | instid1(VALU_DEP_1)
	v_and_b32_e32 v9, v9, v46
	v_cmp_eq_u32_e32 vcc_lo, v9, v39
	s_and_b32 exec_lo, exec_lo, vcc_lo
	s_cbranch_execz .LBB53_155
; %bb.160:                              ;   in Loop: Header=BB53_158 Depth=2
	ds_store_b64 v13, v[25:26] offset:3072
	s_branch .LBB53_155
.LBB53_161:                             ;   in Loop: Header=BB53_158 Depth=2
	s_mov_b32 s24, -1
	s_mov_b32 s22, -1
                                        ; implicit-def: $vgpr2_vgpr3
                                        ; implicit-def: $vgpr8
	s_branch .LBB53_157
.LBB53_162:                             ;   in Loop: Header=BB53_16 Depth=1
	s_or_b32 exec_lo, exec_lo, s15
	s_delay_alu instid0(SALU_CYCLE_1)
	s_and_not1_b32 s5, s5, exec_lo
	s_wait_alu 0xfffe
	s_and_b32 s10, s21, exec_lo
	s_wait_alu 0xfffe
	s_or_b32 s5, s5, s10
.LBB53_163:                             ;   in Loop: Header=BB53_16 Depth=1
	s_or_b32 exec_lo, exec_lo, s14
	s_mov_b32 s21, 0
	s_mov_b32 s22, -1
.LBB53_164:                             ;   in Loop: Header=BB53_16 Depth=1
	s_wait_alu 0xfffe
	s_or_not1_b32 s5, s5, exec_lo
.LBB53_165:                             ;   in Loop: Header=BB53_16 Depth=1
	s_or_b32 exec_lo, exec_lo, s23
	s_mov_b32 s10, 0
	s_wait_alu 0xfffe
	s_and_saveexec_b32 s23, s5
	s_cbranch_execz .LBB53_275
; %bb.166:                              ;   in Loop: Header=BB53_16 Depth=1
	v_mov_b32_e32 v2, 1
	v_dual_mov_b32 v3, 0 :: v_dual_mov_b32 v12, 1
	s_xor_b32 s11, s72, -1
	s_wait_alu 0xfffe
	s_and_saveexec_b32 s5, s11
	s_cbranch_execz .LBB53_176
; %bb.167:                              ;   in Loop: Header=BB53_16 Depth=1
	s_mov_b32 s10, exec_lo
	v_cmpx_le_i64_e64 v[6:7], v[4:5]
	s_wait_alu 0xfffe
	s_xor_b32 s10, exec_lo, s10
	s_cbranch_execz .LBB53_173
; %bb.168:                              ;   in Loop: Header=BB53_16 Depth=1
	ds_load_b64 v[2:3], v13 offset:5120
	s_lshl_b32 s11, 1, s95
	v_or_b32_e32 v46, s16, v46
	s_wait_alu 0xfffe
	v_and_or_b32 v39, v39, s20, s11
	s_wait_dscnt 0x0
	v_cmp_ne_u64_e32 vcc_lo, 0, v[2:3]
	s_cbranch_vccnz .LBB53_172
; %bb.169:                              ;   in Loop: Header=BB53_16 Depth=1
	s_and_saveexec_b32 s11, s2
; %bb.170:                              ;   in Loop: Header=BB53_16 Depth=1
	ds_store_b64 v13, v[4:5] offset:5128
; %bb.171:                              ;   in Loop: Header=BB53_16 Depth=1
	s_wait_alu 0xfffe
	s_or_b32 exec_lo, exec_lo, s11
	s_wait_loadcnt_dscnt 0x0
	s_barrier_signal -1
	s_barrier_wait -1
	global_inv scope:SCOPE_SE
.LBB53_172:                             ;   in Loop: Header=BB53_16 Depth=1
                                        ; implicit-def: $vgpr2_vgpr3_vgpr4_vgpr5
.LBB53_173:                             ;   in Loop: Header=BB53_16 Depth=1
	s_wait_alu 0xfffe
	s_or_saveexec_b32 s10, s10
	v_mov_b32_e32 v12, 8
	s_mov_b32 s11, 0
	s_wait_alu 0xfffe
	s_xor_b32 exec_lo, exec_lo, s10
; %bb.174:                              ;   in Loop: Header=BB53_16 Depth=1
	v_sub_co_u32 v6, vcc_lo, v6, v4
	s_wait_alu 0xfffd
	v_sub_co_ci_u32_e64 v7, null, v7, v5, vcc_lo
	v_mov_b32_e32 v12, 0
	s_mov_b32 s11, exec_lo
; %bb.175:                              ;   in Loop: Header=BB53_16 Depth=1
	s_or_b32 exec_lo, exec_lo, s10
	s_delay_alu instid0(VALU_DEP_2)
	v_dual_mov_b32 v2, v6 :: v_dual_mov_b32 v3, v7
	s_wait_alu 0xfffe
	s_and_b32 s10, s11, exec_lo
.LBB53_176:                             ;   in Loop: Header=BB53_16 Depth=1
	s_wait_alu 0xfffe
	s_or_b32 exec_lo, exec_lo, s5
	s_mov_b32 s5, -1
                                        ; implicit-def: $sgpr14
                                        ; implicit-def: $sgpr15
	s_and_saveexec_b32 s72, s10
	s_cbranch_execz .LBB53_274
; %bb.177:                              ;   in Loop: Header=BB53_16 Depth=1
	v_cmp_eq_u64_e32 vcc_lo, 1, v[2:3]
	s_cmp_eq_u64 s[8:9], 1
                                        ; implicit-def: $sgpr15
                                        ; implicit-def: $sgpr14
	s_cselect_b32 s5, -1, 0
	s_wait_alu 0xfffe
	s_and_b32 s74, s5, vcc_lo
	s_mov_b32 s5, -1
	s_wait_alu 0xfffe
	s_and_saveexec_b32 s73, s74
	s_cbranch_execz .LBB53_213
; %bb.178:                              ;   in Loop: Header=BB53_16 Depth=1
	ds_load_b64 v[4:5], v13 offset:5120
	s_wait_loadcnt_dscnt 0x0
	s_barrier_signal -1
	s_barrier_wait -1
	global_inv scope:SCOPE_SE
	v_readfirstlane_b32 s10, v4
	v_readfirstlane_b32 s11, v5
	s_and_saveexec_b32 s5, s3
; %bb.179:                              ;   in Loop: Header=BB53_16 Depth=1
	ds_store_b32 v35, v13
; %bb.180:                              ;   in Loop: Header=BB53_16 Depth=1
	s_wait_alu 0xfffe
	s_or_b32 exec_lo, exec_lo, s5
	s_lshl_b32 s5, 2, s95
	v_or_b32_e32 v46, s16, v46
	s_wait_alu 0xfffe
	v_and_or_b32 v39, v39, s20, s5
	v_cmp_gt_i64_e64 s5, s[10:11], 0
	s_mov_b32 s14, -1
	s_mov_b32 s15, 0
	s_mov_b32 s24, -1
	s_wait_loadcnt_dscnt 0x0
	s_barrier_signal -1
	s_and_b32 vcc_lo, exec_lo, s5
	s_mov_b32 s5, 0
	s_barrier_wait -1
	global_inv scope:SCOPE_SE
                                        ; implicit-def: $vgpr27
	s_wait_alu 0xfffe
	s_cbranch_vccnz .LBB53_197
; %bb.181:                              ;   in Loop: Header=BB53_16 Depth=1
	s_mov_b32 s12, s25
	s_mov_b32 s13, s65
	s_wait_alu 0xfffe
	s_cmp_lg_u64 s[12:13], 0
	s_cbranch_scc0 .LBB53_240
; %bb.182:                              ;   in Loop: Header=BB53_16 Depth=1
	s_add_nc_u64 s[12:13], s[56:57], 0
	s_wait_alu 0xfffe
	s_xor_b64 s[12:13], s[12:13], 0
	s_wait_alu 0xfffe
	s_cvt_f32_u32 s5, s12
	s_cvt_f32_u32 s24, s13
	s_sub_nc_u64 s[78:79], 0, s[12:13]
	s_wait_alu 0xfffe
	s_delay_alu instid0(SALU_CYCLE_1) | instskip(SKIP_1) | instid1(SALU_CYCLE_2)
	s_fmamk_f32 s5, s24, 0x4f800000, s5
	s_wait_alu 0xfffe
	v_s_rcp_f32 s5, s5
	s_delay_alu instid0(TRANS32_DEP_1) | instskip(SKIP_1) | instid1(SALU_CYCLE_2)
	s_mul_f32 s5, s5, 0x5f7ffffc
	s_wait_alu 0xfffe
	s_mul_f32 s24, s5, 0x2f800000
	s_wait_alu 0xfffe
	s_delay_alu instid0(SALU_CYCLE_2) | instskip(SKIP_1) | instid1(SALU_CYCLE_2)
	s_trunc_f32 s24, s24
	s_wait_alu 0xfffe
	s_fmamk_f32 s5, s24, 0xcf800000, s5
	s_cvt_u32_f32 s77, s24
	s_wait_alu 0xfffe
	s_delay_alu instid0(SALU_CYCLE_1) | instskip(SKIP_1) | instid1(SALU_CYCLE_2)
	s_cvt_u32_f32 s76, s5
	s_wait_alu 0xfffe
	s_mul_u64 s[80:81], s[78:79], s[76:77]
	s_wait_alu 0xfffe
	s_mul_hi_u32 s83, s76, s81
	s_mul_i32 s82, s76, s81
	s_mul_hi_u32 s24, s76, s80
	s_mul_i32 s75, s77, s80
	s_wait_alu 0xfffe
	s_add_nc_u64 s[82:83], s[24:25], s[82:83]
	s_mul_hi_u32 s5, s77, s80
	s_mul_hi_u32 s84, s77, s81
	s_wait_alu 0xfffe
	s_add_co_u32 s24, s82, s75
	s_add_co_ci_u32 s24, s83, s5
	s_mul_i32 s80, s77, s81
	s_add_co_ci_u32 s81, s84, 0
	s_wait_alu 0xfffe
	s_add_nc_u64 s[80:81], s[24:25], s[80:81]
	s_wait_alu 0xfffe
	s_add_co_u32 s76, s76, s80
	s_cselect_b32 s5, -1, 0
	s_wait_alu 0xfffe
	s_cmp_lg_u32 s5, 0
	s_add_co_ci_u32 s77, s77, s81
	s_wait_alu 0xfffe
	s_mul_u64 s[78:79], s[78:79], s[76:77]
	s_wait_alu 0xfffe
	s_mul_hi_u32 s81, s76, s79
	s_mul_i32 s80, s76, s79
	s_mul_hi_u32 s24, s76, s78
	s_mul_i32 s75, s77, s78
	s_wait_alu 0xfffe
	s_add_nc_u64 s[80:81], s[24:25], s[80:81]
	s_mul_hi_u32 s5, s77, s78
	s_mul_hi_u32 s82, s77, s79
	s_wait_alu 0xfffe
	s_add_co_u32 s24, s80, s75
	s_add_co_ci_u32 s24, s81, s5
	s_mul_i32 s78, s77, s79
	s_add_co_ci_u32 s79, s82, 0
	s_wait_alu 0xfffe
	s_add_nc_u64 s[78:79], s[24:25], s[78:79]
	s_wait_alu 0xfffe
	s_add_co_u32 s5, s76, s78
	s_cselect_b32 s24, -1, 0
	s_wait_alu 0xfffe
	s_cmp_lg_u32 s24, 0
	s_add_co_ci_u32 s75, s77, s79
	s_ashr_i32 s76, s65, 31
	s_wait_alu 0xfffe
	s_mov_b32 s77, s76
	s_wait_alu 0xfffe
	s_add_nc_u64 s[78:79], s[64:65], s[76:77]
	s_wait_alu 0xfffe
	s_xor_b64 s[78:79], s[78:79], s[76:77]
	s_wait_alu 0xfffe
	s_mul_hi_u32 s81, s78, s75
	s_mul_i32 s80, s78, s75
	s_mul_hi_u32 s24, s78, s5
	s_mul_hi_u32 s84, s79, s5
	s_mul_i32 s5, s79, s5
	s_wait_alu 0xfffe
	s_add_nc_u64 s[80:81], s[24:25], s[80:81]
	s_mul_hi_u32 s83, s79, s75
	s_wait_alu 0xfffe
	s_add_co_u32 s5, s80, s5
	s_add_co_ci_u32 s24, s81, s84
	s_mul_i32 s82, s79, s75
	s_add_co_ci_u32 s83, s83, 0
	s_wait_alu 0xfffe
	s_add_nc_u64 s[80:81], s[24:25], s[82:83]
	s_wait_alu 0xfffe
	s_mul_u64 s[80:81], s[12:13], s[80:81]
	s_wait_alu 0xfffe
	s_sub_co_u32 s5, s78, s80
	s_cselect_b32 s24, -1, 0
	s_sub_co_i32 s75, s79, s81
	s_wait_alu 0xfffe
	s_cmp_lg_u32 s24, 0
	s_sub_co_ci_u32 s75, s75, s13
	s_sub_co_u32 s78, s5, s12
	s_cselect_b32 s80, -1, 0
	s_wait_alu 0xfffe
	s_cmp_lg_u32 s80, 0
	s_sub_co_ci_u32 s82, s75, 0
	s_wait_alu 0xfffe
	s_cmp_ge_u32 s82, s13
	s_cselect_b32 s83, -1, 0
	s_cmp_ge_u32 s78, s12
	s_cselect_b32 s84, -1, 0
	s_cmp_eq_u32 s82, s13
	s_wait_alu 0xfffe
	s_cselect_b32 s83, s84, s83
	s_cmp_lg_u32 s80, 0
	s_sub_co_ci_u32 s75, s75, s13
	s_sub_co_u32 s80, s78, s12
	s_cselect_b32 s84, -1, 0
	s_wait_alu 0xfffe
	s_cmp_lg_u32 s84, 0
	s_sub_co_ci_u32 s75, s75, 0
	s_cmp_lg_u32 s83, 0
	s_cselect_b32 s78, s80, s78
	s_wait_alu 0xfffe
	s_cselect_b32 s75, s75, s82
	s_cmp_lg_u32 s24, 0
	s_sub_co_ci_u32 s24, s79, s81
	s_wait_alu 0xfffe
	s_cmp_ge_u32 s24, s13
	s_cselect_b32 s79, -1, 0
	s_cmp_ge_u32 s5, s12
	s_cselect_b32 s12, -1, 0
	s_cmp_eq_u32 s24, s13
	s_wait_alu 0xfffe
	s_cselect_b32 s12, s12, s79
	s_wait_alu 0xfffe
	s_cmp_lg_u32 s12, 0
	s_cselect_b32 s13, s75, s24
	s_cselect_b32 s12, s78, s5
	s_wait_alu 0xfffe
	s_xor_b64 s[12:13], s[12:13], s[76:77]
	s_wait_alu 0xfffe
	s_sub_nc_u64 s[12:13], s[12:13], s[76:77]
	s_cbranch_execnz .LBB53_184
.LBB53_183:                             ;   in Loop: Header=BB53_16 Depth=1
	v_cvt_f32_u32_e32 v4, s56
	s_sub_co_i32 s12, 0, s56
	s_delay_alu instid0(VALU_DEP_1) | instskip(NEXT) | instid1(TRANS32_DEP_1)
	v_rcp_iflag_f32_e32 v4, v4
	v_mul_f32_e32 v4, 0x4f7ffffe, v4
	s_delay_alu instid0(VALU_DEP_1) | instskip(NEXT) | instid1(VALU_DEP_1)
	v_cvt_u32_f32_e32 v4, v4
	v_readfirstlane_b32 s5, v4
	s_wait_alu 0xfffe
	s_mul_i32 s12, s12, s5
	s_wait_alu 0xfffe
	s_mul_hi_u32 s12, s5, s12
	s_wait_alu 0xfffe
	s_add_co_i32 s5, s5, s12
	s_wait_alu 0xfffe
	s_mul_hi_u32 s5, s64, s5
	s_wait_alu 0xfffe
	s_mul_i32 s5, s5, s56
	s_wait_alu 0xfffe
	s_sub_co_i32 s5, s64, s5
	s_wait_alu 0xfffe
	s_sub_co_i32 s12, s5, s56
	s_cmp_ge_u32 s5, s56
	s_wait_alu 0xfffe
	s_cselect_b32 s5, s12, s5
	s_wait_alu 0xfffe
	s_sub_co_i32 s12, s5, s56
	s_cmp_ge_u32 s5, s56
	s_wait_alu 0xfffe
	s_cselect_b32 s24, s12, s5
	s_wait_alu 0xfffe
	s_mov_b64 s[12:13], s[24:25]
.LBB53_184:                             ;   in Loop: Header=BB53_16 Depth=1
	s_wait_alu 0xfffe
	s_sub_nc_u64 s[12:13], s[64:65], s[12:13]
	s_mov_b32 s24, 0
	s_mov_b32 s5, 0
	s_mov_b32 s75, exec_lo
                                        ; implicit-def: $vgpr27
	s_wait_alu 0xfffe
	v_cmpx_gt_i64_e64 s[12:13], v[0:1]
	s_cbranch_execz .LBB53_196
; %bb.185:                              ;   in Loop: Header=BB53_16 Depth=1
	v_dual_mov_b32 v4, v10 :: v_dual_mov_b32 v5, v11
	v_dual_mov_b32 v7, v1 :: v_dual_mov_b32 v6, v0
	s_mov_b32 s76, 0
                                        ; implicit-def: $sgpr77
	s_branch .LBB53_189
.LBB53_186:                             ;   in Loop: Header=BB53_189 Depth=2
	s_wait_alu 0xfffe
	s_or_b32 exec_lo, exec_lo, s5
	s_wait_loadcnt_dscnt 0x0
	s_barrier_signal -1
	s_barrier_wait -1
	global_inv scope:SCOPE_SE
	ds_load_b64 v[26:27], v13 offset:3072
	s_wait_loadcnt_dscnt 0x0
	s_barrier_signal -1
	s_barrier_wait -1
	global_inv scope:SCOPE_SE
	v_cmp_neq_f32_e32 vcc_lo, 0, v26
	s_cbranch_vccnz .LBB53_192
; %bb.187:                              ;   in Loop: Header=BB53_189 Depth=2
	v_add_co_u32 v6, vcc_lo, v6, s56
	s_wait_alu 0xfffd
	v_add_co_ci_u32_e64 v7, null, 0, v7, vcc_lo
	v_add_co_u32 v4, s5, v4, s58
	s_wait_alu 0xf1ff
	v_add_co_ci_u32_e64 v5, null, s59, v5, s5
	s_delay_alu instid0(VALU_DEP_3)
	v_cmp_le_i64_e32 vcc_lo, s[12:13], v[6:7]
	s_mov_b32 s5, 0
	s_or_not1_b32 s78, vcc_lo, exec_lo
.LBB53_188:                             ;   in Loop: Header=BB53_189 Depth=2
	s_wait_alu 0xfffe
	s_and_b32 s78, exec_lo, s78
	s_wait_alu 0xfffe
	s_or_b32 s76, s78, s76
	s_and_not1_b32 s77, s77, exec_lo
	s_and_b32 s5, s5, exec_lo
	s_wait_alu 0xfffe
	s_or_b32 s77, s77, s5
	s_and_not1_b32 exec_lo, exec_lo, s76
	s_cbranch_execz .LBB53_195
.LBB53_189:                             ;   Parent Loop BB53_16 Depth=1
                                        ; =>  This Inner Loop Header: Depth=2
	s_mov_b32 s5, exec_lo
	s_delay_alu instid0(VALU_DEP_1)
	v_cmpx_gt_i64_e64 s[36:37], v[6:7]
	s_cbranch_execz .LBB53_186
; %bb.190:                              ;   in Loop: Header=BB53_189 Depth=2
	global_load_b32 v26, v[4:5], off
	s_wait_loadcnt 0x0
	v_cmp_lt_i32_e32 vcc_lo, -1, v26
	s_wait_alu 0xfffd
	v_cndmask_b32_e64 v8, -1, 0x80000000, vcc_lo
	v_cmp_o_f32_e32 vcc_lo, v26, v26
	s_delay_alu instid0(VALU_DEP_2) | instskip(SKIP_1) | instid1(VALU_DEP_1)
	v_xor_b32_e32 v8, v8, v26
	s_wait_alu 0xfffd
	v_cndmask_b32_e32 v8, -1, v8, vcc_lo
	s_delay_alu instid0(VALU_DEP_1) | instskip(NEXT) | instid1(VALU_DEP_1)
	v_and_b32_e32 v8, v8, v46
	v_cmp_eq_u32_e32 vcc_lo, v8, v39
	s_and_b32 exec_lo, exec_lo, vcc_lo
	s_cbranch_execz .LBB53_186
; %bb.191:                              ;   in Loop: Header=BB53_189 Depth=2
	ds_store_b64 v13, v[25:26] offset:3072
	s_branch .LBB53_186
.LBB53_192:                             ;   in Loop: Header=BB53_189 Depth=2
	s_mov_b32 s78, -1
	s_mov_b32 s5, -1
                                        ; implicit-def: $vgpr6_vgpr7
                                        ; implicit-def: $vgpr4_vgpr5
	s_branch .LBB53_188
.LBB53_193:                             ;   in Loop: Header=BB53_16 Depth=1
                                        ; implicit-def: $sgpr12_sgpr13
	s_branch .LBB53_135
.LBB53_194:                             ;   in Loop: Header=BB53_16 Depth=1
                                        ; implicit-def: $sgpr14_sgpr15
	s_branch .LBB53_152
.LBB53_195:                             ;   in Loop: Header=BB53_16 Depth=1
	s_or_b32 exec_lo, exec_lo, s76
	s_wait_alu 0xfffe
	s_and_b32 s5, s77, exec_lo
.LBB53_196:                             ;   in Loop: Header=BB53_16 Depth=1
	s_or_b32 exec_lo, exec_lo, s75
.LBB53_197:                             ;   in Loop: Header=BB53_16 Depth=1
	s_delay_alu instid0(SALU_CYCLE_1)
	s_and_b32 vcc_lo, exec_lo, s24
	s_wait_alu 0xfffe
	s_cbranch_vccz .LBB53_212
; %bb.198:                              ;   in Loop: Header=BB53_16 Depth=1
	s_add_nc_u64 s[12:13], s[10:11], s[62:63]
	s_mov_b32 s14, s25
	s_wait_alu 0xfffe
	s_mov_b32 s15, s13
	s_delay_alu instid0(SALU_CYCLE_1)
	s_cmp_lg_u64 s[14:15], 0
	s_cbranch_scc0 .LBB53_241
; %bb.199:                              ;   in Loop: Header=BB53_16 Depth=1
	s_add_nc_u64 s[14:15], s[56:57], 0
	s_delay_alu instid0(SALU_CYCLE_1) | instskip(NEXT) | instid1(SALU_CYCLE_1)
	s_xor_b64 s[14:15], s[14:15], 0
	s_cvt_f32_u32 s24, s14
	s_cvt_f32_u32 s75, s15
	s_sub_nc_u64 s[78:79], 0, s[14:15]
	s_wait_alu 0xfffe
	s_delay_alu instid0(SALU_CYCLE_1) | instskip(SKIP_1) | instid1(SALU_CYCLE_2)
	s_fmamk_f32 s24, s75, 0x4f800000, s24
	s_wait_alu 0xfffe
	v_s_rcp_f32 s24, s24
	s_delay_alu instid0(TRANS32_DEP_1) | instskip(SKIP_1) | instid1(SALU_CYCLE_2)
	s_mul_f32 s24, s24, 0x5f7ffffc
	s_wait_alu 0xfffe
	s_mul_f32 s75, s24, 0x2f800000
	s_wait_alu 0xfffe
	s_delay_alu instid0(SALU_CYCLE_2) | instskip(SKIP_1) | instid1(SALU_CYCLE_2)
	s_trunc_f32 s75, s75
	s_wait_alu 0xfffe
	s_fmamk_f32 s24, s75, 0xcf800000, s24
	s_cvt_u32_f32 s77, s75
	s_wait_alu 0xfffe
	s_delay_alu instid0(SALU_CYCLE_1) | instskip(SKIP_1) | instid1(SALU_CYCLE_2)
	s_cvt_u32_f32 s76, s24
	s_wait_alu 0xfffe
	s_mul_u64 s[80:81], s[78:79], s[76:77]
	s_wait_alu 0xfffe
	s_mul_hi_u32 s83, s76, s81
	s_mul_i32 s82, s76, s81
	s_mul_hi_u32 s24, s76, s80
	s_mul_i32 s84, s77, s80
	s_wait_alu 0xfffe
	s_add_nc_u64 s[82:83], s[24:25], s[82:83]
	s_mul_hi_u32 s75, s77, s80
	s_mul_hi_u32 s85, s77, s81
	s_wait_alu 0xfffe
	s_add_co_u32 s24, s82, s84
	s_add_co_ci_u32 s24, s83, s75
	s_mul_i32 s80, s77, s81
	s_add_co_ci_u32 s81, s85, 0
	s_wait_alu 0xfffe
	s_add_nc_u64 s[80:81], s[24:25], s[80:81]
	s_wait_alu 0xfffe
	s_add_co_u32 s76, s76, s80
	s_cselect_b32 s24, -1, 0
	s_wait_alu 0xfffe
	s_cmp_lg_u32 s24, 0
	s_add_co_ci_u32 s77, s77, s81
	s_wait_alu 0xfffe
	s_mul_u64 s[78:79], s[78:79], s[76:77]
	s_wait_alu 0xfffe
	s_mul_hi_u32 s81, s76, s79
	s_mul_i32 s80, s76, s79
	s_mul_hi_u32 s24, s76, s78
	s_mul_i32 s82, s77, s78
	s_wait_alu 0xfffe
	s_add_nc_u64 s[80:81], s[24:25], s[80:81]
	s_mul_hi_u32 s75, s77, s78
	s_mul_hi_u32 s83, s77, s79
	s_wait_alu 0xfffe
	s_add_co_u32 s24, s80, s82
	s_add_co_ci_u32 s24, s81, s75
	s_mul_i32 s78, s77, s79
	s_add_co_ci_u32 s79, s83, 0
	s_wait_alu 0xfffe
	s_add_nc_u64 s[78:79], s[24:25], s[78:79]
	s_wait_alu 0xfffe
	s_add_co_u32 s75, s76, s78
	s_cselect_b32 s24, -1, 0
	s_wait_alu 0xfffe
	s_cmp_lg_u32 s24, 0
	s_add_co_ci_u32 s82, s77, s79
	s_ashr_i32 s76, s13, 31
	s_wait_alu 0xfffe
	s_mov_b32 s77, s76
	s_wait_alu 0xfffe
	s_add_nc_u64 s[78:79], s[12:13], s[76:77]
	s_wait_alu 0xfffe
	s_xor_b64 s[78:79], s[78:79], s[76:77]
	s_wait_alu 0xfffe
	s_mul_hi_u32 s81, s78, s82
	s_mul_i32 s80, s78, s82
	s_mul_hi_u32 s24, s78, s75
	s_mul_hi_u32 s84, s79, s75
	s_mul_i32 s75, s79, s75
	s_wait_alu 0xfffe
	s_add_nc_u64 s[80:81], s[24:25], s[80:81]
	s_mul_hi_u32 s83, s79, s82
	s_wait_alu 0xfffe
	s_add_co_u32 s24, s80, s75
	s_add_co_ci_u32 s24, s81, s84
	s_mul_i32 s82, s79, s82
	s_add_co_ci_u32 s83, s83, 0
	s_wait_alu 0xfffe
	s_add_nc_u64 s[80:81], s[24:25], s[82:83]
	s_wait_alu 0xfffe
	s_mul_u64 s[80:81], s[14:15], s[80:81]
	s_wait_alu 0xfffe
	s_sub_co_u32 s24, s78, s80
	s_cselect_b32 s75, -1, 0
	s_sub_co_i32 s78, s79, s81
	s_wait_alu 0xfffe
	s_cmp_lg_u32 s75, 0
	s_sub_co_ci_u32 s78, s78, s15
	s_sub_co_u32 s80, s24, s14
	s_cselect_b32 s82, -1, 0
	s_wait_alu 0xfffe
	s_cmp_lg_u32 s82, 0
	s_sub_co_ci_u32 s83, s78, 0
	s_wait_alu 0xfffe
	s_cmp_ge_u32 s83, s15
	s_cselect_b32 s84, -1, 0
	s_cmp_ge_u32 s80, s14
	s_cselect_b32 s85, -1, 0
	s_cmp_eq_u32 s83, s15
	s_wait_alu 0xfffe
	s_cselect_b32 s84, s85, s84
	s_cmp_lg_u32 s82, 0
	s_sub_co_ci_u32 s78, s78, s15
	s_sub_co_u32 s82, s80, s14
	s_cselect_b32 s85, -1, 0
	s_wait_alu 0xfffe
	s_cmp_lg_u32 s85, 0
	s_sub_co_ci_u32 s78, s78, 0
	s_cmp_lg_u32 s84, 0
	s_cselect_b32 s80, s82, s80
	s_wait_alu 0xfffe
	s_cselect_b32 s78, s78, s83
	s_cmp_lg_u32 s75, 0
	s_sub_co_ci_u32 s75, s79, s81
	s_wait_alu 0xfffe
	s_cmp_ge_u32 s75, s15
	s_cselect_b32 s79, -1, 0
	s_cmp_ge_u32 s24, s14
	s_cselect_b32 s14, -1, 0
	s_cmp_eq_u32 s75, s15
	s_wait_alu 0xfffe
	s_cselect_b32 s14, s14, s79
	s_delay_alu instid0(SALU_CYCLE_1) | instskip(SKIP_2) | instid1(SALU_CYCLE_1)
	s_cmp_lg_u32 s14, 0
	s_cselect_b32 s15, s78, s75
	s_cselect_b32 s14, s80, s24
	s_xor_b64 s[14:15], s[14:15], s[76:77]
	s_delay_alu instid0(SALU_CYCLE_1)
	s_sub_nc_u64 s[14:15], s[14:15], s[76:77]
	s_cbranch_execnz .LBB53_201
.LBB53_200:                             ;   in Loop: Header=BB53_16 Depth=1
	v_cvt_f32_u32_e32 v4, s56
	s_sub_co_i32 s15, 0, s56
	s_delay_alu instid0(VALU_DEP_1) | instskip(NEXT) | instid1(TRANS32_DEP_1)
	v_rcp_iflag_f32_e32 v4, v4
	v_mul_f32_e32 v4, 0x4f7ffffe, v4
	s_delay_alu instid0(VALU_DEP_1) | instskip(NEXT) | instid1(VALU_DEP_1)
	v_cvt_u32_f32_e32 v4, v4
	v_readfirstlane_b32 s14, v4
	s_mul_i32 s15, s15, s14
	s_delay_alu instid0(SALU_CYCLE_1) | instskip(NEXT) | instid1(SALU_CYCLE_1)
	s_mul_hi_u32 s15, s14, s15
	s_add_co_i32 s14, s14, s15
	s_delay_alu instid0(SALU_CYCLE_1) | instskip(NEXT) | instid1(SALU_CYCLE_1)
	s_mul_hi_u32 s14, s12, s14
	s_mul_i32 s14, s14, s56
	s_delay_alu instid0(SALU_CYCLE_1) | instskip(NEXT) | instid1(SALU_CYCLE_1)
	s_sub_co_i32 s14, s12, s14
	s_sub_co_i32 s15, s14, s56
	s_cmp_ge_u32 s14, s56
	s_cselect_b32 s14, s15, s14
	s_delay_alu instid0(SALU_CYCLE_1)
	s_sub_co_i32 s15, s14, s56
	s_cmp_ge_u32 s14, s56
	s_cselect_b32 s24, s15, s14
	s_wait_alu 0xfffe
	s_mov_b64 s[14:15], s[24:25]
.LBB53_201:                             ;   in Loop: Header=BB53_16 Depth=1
	s_delay_alu instid0(SALU_CYCLE_1)
	s_sub_nc_u64 s[12:13], s[12:13], s[14:15]
	s_mov_b32 s14, exec_lo
                                        ; implicit-def: $vgpr27
	s_wait_alu 0xfffe
	v_cmpx_gt_i64_e64 s[12:13], v[0:1]
	s_cbranch_execz .LBB53_211
; %bb.202:                              ;   in Loop: Header=BB53_16 Depth=1
	v_dual_mov_b32 v6, v14 :: v_dual_mov_b32 v5, v1
	v_mov_b32_e32 v4, v0
	s_mov_b32 s15, 0
                                        ; implicit-def: $sgpr24
	s_branch .LBB53_206
.LBB53_203:                             ;   in Loop: Header=BB53_206 Depth=2
	s_wait_alu 0xfffe
	s_or_b32 exec_lo, exec_lo, s75
	s_wait_loadcnt_dscnt 0x0
	s_barrier_signal -1
	s_barrier_wait -1
	global_inv scope:SCOPE_SE
	ds_load_b64 v[26:27], v13 offset:3072
	s_wait_loadcnt_dscnt 0x0
	s_barrier_signal -1
	s_barrier_wait -1
	global_inv scope:SCOPE_SE
	v_cmp_eq_f32_e32 vcc_lo, 0, v26
	s_cbranch_vccz .LBB53_209
; %bb.204:                              ;   in Loop: Header=BB53_206 Depth=2
	v_add_co_u32 v4, vcc_lo, v4, s56
	s_wait_alu 0xfffd
	v_add_co_ci_u32_e64 v5, null, 0, v5, vcc_lo
	v_add_nc_u32_e32 v6, s94, v6
	s_mov_b32 s75, 0
	s_delay_alu instid0(VALU_DEP_2)
	v_cmp_le_i64_e32 vcc_lo, s[12:13], v[4:5]
	s_or_not1_b32 s76, vcc_lo, exec_lo
.LBB53_205:                             ;   in Loop: Header=BB53_206 Depth=2
	s_wait_alu 0xfffe
	s_and_b32 s76, exec_lo, s76
	s_wait_alu 0xfffe
	s_or_b32 s15, s76, s15
	s_and_not1_b32 s24, s24, exec_lo
	s_and_b32 s75, s75, exec_lo
	s_wait_alu 0xfffe
	s_or_b32 s24, s24, s75
	s_and_not1_b32 exec_lo, exec_lo, s15
	s_cbranch_execz .LBB53_210
.LBB53_206:                             ;   Parent Loop BB53_16 Depth=1
                                        ; =>  This Inner Loop Header: Depth=2
	s_mov_b32 s75, exec_lo
	s_delay_alu instid0(VALU_DEP_1)
	v_cmpx_gt_u64_e64 s[10:11], v[4:5]
	s_cbranch_execz .LBB53_203
; %bb.207:                              ;   in Loop: Header=BB53_206 Depth=2
	ds_load_b32 v26, v6
	s_wait_dscnt 0x0
	v_cmp_lt_i32_e32 vcc_lo, -1, v26
	s_wait_alu 0xfffd
	v_cndmask_b32_e64 v7, -1, 0x80000000, vcc_lo
	v_cmp_o_f32_e32 vcc_lo, v26, v26
	s_delay_alu instid0(VALU_DEP_2) | instskip(SKIP_1) | instid1(VALU_DEP_1)
	v_xor_b32_e32 v7, v7, v26
	s_wait_alu 0xfffd
	v_cndmask_b32_e32 v7, -1, v7, vcc_lo
	s_delay_alu instid0(VALU_DEP_1) | instskip(NEXT) | instid1(VALU_DEP_1)
	v_and_b32_e32 v7, v7, v46
	v_cmp_eq_u32_e32 vcc_lo, v7, v39
	s_and_b32 exec_lo, exec_lo, vcc_lo
	s_cbranch_execz .LBB53_203
; %bb.208:                              ;   in Loop: Header=BB53_206 Depth=2
	ds_store_b64 v13, v[25:26] offset:3072
	s_branch .LBB53_203
.LBB53_209:                             ;   in Loop: Header=BB53_206 Depth=2
	s_mov_b32 s76, -1
	s_mov_b32 s75, -1
                                        ; implicit-def: $vgpr4_vgpr5
                                        ; implicit-def: $vgpr6
	s_branch .LBB53_205
.LBB53_210:                             ;   in Loop: Header=BB53_16 Depth=1
	s_or_b32 exec_lo, exec_lo, s15
	s_delay_alu instid0(SALU_CYCLE_1)
	s_and_not1_b32 s5, s5, exec_lo
	s_wait_alu 0xfffe
	s_and_b32 s10, s24, exec_lo
	s_wait_alu 0xfffe
	s_or_b32 s5, s5, s10
.LBB53_211:                             ;   in Loop: Header=BB53_16 Depth=1
	s_or_b32 exec_lo, exec_lo, s14
	s_mov_b32 s14, 0
	s_mov_b32 s15, -1
.LBB53_212:                             ;   in Loop: Header=BB53_16 Depth=1
	s_wait_alu 0xfffe
	s_or_not1_b32 s5, s5, exec_lo
.LBB53_213:                             ;   in Loop: Header=BB53_16 Depth=1
	s_wait_alu 0xfffe
	s_or_b32 exec_lo, exec_lo, s73
	s_mov_b32 s10, 0
	s_and_saveexec_b32 s73, s5
	s_cbranch_execz .LBB53_273
; %bb.214:                              ;   in Loop: Header=BB53_16 Depth=1
	v_mov_b32_e32 v4, 1
	v_dual_mov_b32 v5, 0 :: v_dual_mov_b32 v12, 1
	s_xor_b32 s11, s74, -1
	s_wait_alu 0xfffe
	s_and_saveexec_b32 s5, s11
	s_cbranch_execz .LBB53_223
; %bb.215:                              ;   in Loop: Header=BB53_16 Depth=1
	s_mov_b32 s10, exec_lo
	v_cmpx_ge_i64_e64 s[8:9], v[2:3]
	s_wait_alu 0xfffe
	s_xor_b32 s10, exec_lo, s10
	s_cbranch_execz .LBB53_220
; %bb.216:                              ;   in Loop: Header=BB53_16 Depth=1
	ds_load_b64 v[4:5], v13 offset:5120
	s_lshl_b32 s11, 2, s95
	v_or_b32_e32 v46, s16, v46
	s_wait_alu 0xfffe
	v_and_or_b32 v39, v39, s20, s11
	s_wait_dscnt 0x0
	v_cmp_ne_u64_e32 vcc_lo, 0, v[4:5]
	s_cbranch_vccnz .LBB53_220
; %bb.217:                              ;   in Loop: Header=BB53_16 Depth=1
	s_and_saveexec_b32 s11, s2
; %bb.218:                              ;   in Loop: Header=BB53_16 Depth=1
	v_dual_mov_b32 v4, s8 :: v_dual_mov_b32 v5, s9
	ds_store_b64 v13, v[4:5] offset:5128
; %bb.219:                              ;   in Loop: Header=BB53_16 Depth=1
	s_wait_alu 0xfffe
	s_or_b32 exec_lo, exec_lo, s11
	s_wait_loadcnt_dscnt 0x0
	s_barrier_signal -1
	s_barrier_wait -1
	global_inv scope:SCOPE_SE
.LBB53_220:                             ;   in Loop: Header=BB53_16 Depth=1
	s_wait_alu 0xfffe
	s_or_saveexec_b32 s10, s10
	v_mov_b32_e32 v12, 8
	s_mov_b32 s11, 0
	s_wait_alu 0xfffe
	s_xor_b32 exec_lo, exec_lo, s10
; %bb.221:                              ;   in Loop: Header=BB53_16 Depth=1
	v_sub_co_u32 v2, vcc_lo, v2, s8
	s_wait_alu 0xfffd
	v_subrev_co_ci_u32_e64 v3, null, s9, v3, vcc_lo
	v_mov_b32_e32 v12, 0
	s_mov_b32 s11, exec_lo
; %bb.222:                              ;   in Loop: Header=BB53_16 Depth=1
	s_or_b32 exec_lo, exec_lo, s10
	s_delay_alu instid0(VALU_DEP_2)
	v_dual_mov_b32 v5, v3 :: v_dual_mov_b32 v4, v2
	s_wait_alu 0xfffe
	s_and_b32 s10, s11, exec_lo
.LBB53_223:                             ;   in Loop: Header=BB53_16 Depth=1
	s_wait_alu 0xfffe
	s_or_b32 exec_lo, exec_lo, s5
	s_mov_b32 s5, -1
                                        ; implicit-def: $sgpr13
                                        ; implicit-def: $sgpr12
	s_and_saveexec_b32 s20, s10
	s_cbranch_execz .LBB53_272
; %bb.224:                              ;   in Loop: Header=BB53_16 Depth=1
	v_cmp_eq_u64_e32 vcc_lo, 1, v[4:5]
	s_cmp_eq_u64 s[6:7], 1
	s_mov_b32 s8, -1
	s_cselect_b32 s5, -1, 0
                                        ; implicit-def: $sgpr13
                                        ; implicit-def: $sgpr12
	s_wait_alu 0xfffe
	s_and_b32 s74, s5, vcc_lo
	s_wait_alu 0xfffe
	s_and_saveexec_b32 s75, s74
	s_cbranch_execz .LBB53_260
; %bb.225:                              ;   in Loop: Header=BB53_16 Depth=1
	ds_load_b64 v[2:3], v13 offset:5120
	s_wait_loadcnt_dscnt 0x0
	s_barrier_signal -1
	s_barrier_wait -1
	global_inv scope:SCOPE_SE
	v_readfirstlane_b32 s8, v2
	v_readfirstlane_b32 s9, v3
	s_and_saveexec_b32 s5, s3
; %bb.226:                              ;   in Loop: Header=BB53_16 Depth=1
	ds_store_b32 v35, v13
; %bb.227:                              ;   in Loop: Header=BB53_16 Depth=1
	s_wait_alu 0xfffe
	s_or_b32 exec_lo, exec_lo, s5
	v_cmp_gt_i64_e64 s5, s[8:9], 0
	v_or_b32_e32 v39, s16, v39
	v_or_b32_e32 v46, s16, v46
	s_mov_b32 s12, -1
	s_mov_b32 s13, 0
	s_mov_b32 s24, -1
	s_and_b32 vcc_lo, exec_lo, s5
	s_mov_b32 s5, 0
	s_wait_loadcnt_dscnt 0x0
	s_barrier_signal -1
	s_barrier_wait -1
	global_inv scope:SCOPE_SE
                                        ; implicit-def: $vgpr27
	s_wait_alu 0xfffe
	s_cbranch_vccnz .LBB53_244
; %bb.228:                              ;   in Loop: Header=BB53_16 Depth=1
	s_mov_b32 s10, s25
	s_mov_b32 s11, s65
	s_wait_alu 0xfffe
	s_cmp_lg_u64 s[10:11], 0
	s_cbranch_scc0 .LBB53_279
; %bb.229:                              ;   in Loop: Header=BB53_16 Depth=1
	s_add_nc_u64 s[10:11], s[56:57], 0
	s_wait_alu 0xfffe
	s_xor_b64 s[10:11], s[10:11], 0
	s_wait_alu 0xfffe
	s_cvt_f32_u32 s5, s10
	s_cvt_f32_u32 s24, s11
	s_sub_nc_u64 s[78:79], 0, s[10:11]
	s_wait_alu 0xfffe
	s_delay_alu instid0(SALU_CYCLE_1) | instskip(SKIP_1) | instid1(SALU_CYCLE_2)
	s_fmamk_f32 s5, s24, 0x4f800000, s5
	s_wait_alu 0xfffe
	v_s_rcp_f32 s5, s5
	s_delay_alu instid0(TRANS32_DEP_1) | instskip(SKIP_1) | instid1(SALU_CYCLE_2)
	s_mul_f32 s5, s5, 0x5f7ffffc
	s_wait_alu 0xfffe
	s_mul_f32 s24, s5, 0x2f800000
	s_wait_alu 0xfffe
	s_delay_alu instid0(SALU_CYCLE_2) | instskip(SKIP_1) | instid1(SALU_CYCLE_2)
	s_trunc_f32 s24, s24
	s_wait_alu 0xfffe
	s_fmamk_f32 s5, s24, 0xcf800000, s5
	s_cvt_u32_f32 s77, s24
	s_wait_alu 0xfffe
	s_delay_alu instid0(SALU_CYCLE_1) | instskip(SKIP_1) | instid1(SALU_CYCLE_2)
	s_cvt_u32_f32 s76, s5
	s_wait_alu 0xfffe
	s_mul_u64 s[80:81], s[78:79], s[76:77]
	s_wait_alu 0xfffe
	s_mul_hi_u32 s83, s76, s81
	s_mul_i32 s82, s76, s81
	s_mul_hi_u32 s24, s76, s80
	s_mul_i32 s84, s77, s80
	s_wait_alu 0xfffe
	s_add_nc_u64 s[82:83], s[24:25], s[82:83]
	s_mul_hi_u32 s5, s77, s80
	s_mul_hi_u32 s85, s77, s81
	s_wait_alu 0xfffe
	s_add_co_u32 s24, s82, s84
	s_add_co_ci_u32 s24, s83, s5
	s_mul_i32 s80, s77, s81
	s_add_co_ci_u32 s81, s85, 0
	s_wait_alu 0xfffe
	s_add_nc_u64 s[80:81], s[24:25], s[80:81]
	s_wait_alu 0xfffe
	s_add_co_u32 s76, s76, s80
	s_cselect_b32 s5, -1, 0
	s_wait_alu 0xfffe
	s_cmp_lg_u32 s5, 0
	s_add_co_ci_u32 s77, s77, s81
	s_wait_alu 0xfffe
	s_mul_u64 s[78:79], s[78:79], s[76:77]
	s_wait_alu 0xfffe
	s_mul_hi_u32 s81, s76, s79
	s_mul_i32 s80, s76, s79
	s_mul_hi_u32 s24, s76, s78
	s_mul_i32 s82, s77, s78
	s_wait_alu 0xfffe
	s_add_nc_u64 s[80:81], s[24:25], s[80:81]
	s_mul_hi_u32 s5, s77, s78
	s_mul_hi_u32 s83, s77, s79
	s_wait_alu 0xfffe
	s_add_co_u32 s24, s80, s82
	s_add_co_ci_u32 s24, s81, s5
	s_mul_i32 s78, s77, s79
	s_add_co_ci_u32 s79, s83, 0
	s_wait_alu 0xfffe
	s_add_nc_u64 s[78:79], s[24:25], s[78:79]
	s_wait_alu 0xfffe
	s_add_co_u32 s5, s76, s78
	s_cselect_b32 s24, -1, 0
	s_wait_alu 0xfffe
	s_cmp_lg_u32 s24, 0
	s_add_co_ci_u32 s82, s77, s79
	s_ashr_i32 s76, s65, 31
	s_wait_alu 0xfffe
	s_mov_b32 s77, s76
	s_wait_alu 0xfffe
	s_add_nc_u64 s[78:79], s[64:65], s[76:77]
	s_wait_alu 0xfffe
	s_xor_b64 s[78:79], s[78:79], s[76:77]
	s_wait_alu 0xfffe
	s_mul_hi_u32 s81, s78, s82
	s_mul_i32 s80, s78, s82
	s_mul_hi_u32 s24, s78, s5
	s_mul_hi_u32 s84, s79, s5
	s_mul_i32 s5, s79, s5
	s_wait_alu 0xfffe
	s_add_nc_u64 s[80:81], s[24:25], s[80:81]
	s_mul_hi_u32 s83, s79, s82
	s_wait_alu 0xfffe
	s_add_co_u32 s5, s80, s5
	s_add_co_ci_u32 s24, s81, s84
	s_mul_i32 s82, s79, s82
	s_add_co_ci_u32 s83, s83, 0
	s_wait_alu 0xfffe
	s_add_nc_u64 s[80:81], s[24:25], s[82:83]
	s_wait_alu 0xfffe
	s_mul_u64 s[80:81], s[10:11], s[80:81]
	s_wait_alu 0xfffe
	s_sub_co_u32 s5, s78, s80
	s_cselect_b32 s24, -1, 0
	s_sub_co_i32 s78, s79, s81
	s_wait_alu 0xfffe
	s_cmp_lg_u32 s24, 0
	s_sub_co_ci_u32 s78, s78, s11
	s_sub_co_u32 s80, s5, s10
	s_cselect_b32 s82, -1, 0
	s_wait_alu 0xfffe
	s_cmp_lg_u32 s82, 0
	s_sub_co_ci_u32 s83, s78, 0
	s_wait_alu 0xfffe
	s_cmp_ge_u32 s83, s11
	s_cselect_b32 s84, -1, 0
	s_cmp_ge_u32 s80, s10
	s_cselect_b32 s85, -1, 0
	s_cmp_eq_u32 s83, s11
	s_wait_alu 0xfffe
	s_cselect_b32 s84, s85, s84
	s_cmp_lg_u32 s82, 0
	s_sub_co_ci_u32 s78, s78, s11
	s_sub_co_u32 s82, s80, s10
	s_cselect_b32 s85, -1, 0
	s_wait_alu 0xfffe
	s_cmp_lg_u32 s85, 0
	s_sub_co_ci_u32 s78, s78, 0
	s_cmp_lg_u32 s84, 0
	s_cselect_b32 s80, s82, s80
	s_wait_alu 0xfffe
	s_cselect_b32 s78, s78, s83
	s_cmp_lg_u32 s24, 0
	s_sub_co_ci_u32 s24, s79, s81
	s_wait_alu 0xfffe
	s_cmp_ge_u32 s24, s11
	s_cselect_b32 s79, -1, 0
	s_cmp_ge_u32 s5, s10
	s_cselect_b32 s10, -1, 0
	s_cmp_eq_u32 s24, s11
	s_wait_alu 0xfffe
	s_cselect_b32 s10, s10, s79
	s_wait_alu 0xfffe
	s_cmp_lg_u32 s10, 0
	s_cselect_b32 s11, s78, s24
	s_cselect_b32 s10, s80, s5
	s_wait_alu 0xfffe
	s_xor_b64 s[10:11], s[10:11], s[76:77]
	s_wait_alu 0xfffe
	s_sub_nc_u64 s[10:11], s[10:11], s[76:77]
	s_cbranch_execnz .LBB53_231
.LBB53_230:                             ;   in Loop: Header=BB53_16 Depth=1
	v_cvt_f32_u32_e32 v2, s56
	s_sub_co_i32 s10, 0, s56
	s_delay_alu instid0(VALU_DEP_1) | instskip(NEXT) | instid1(TRANS32_DEP_1)
	v_rcp_iflag_f32_e32 v2, v2
	v_mul_f32_e32 v2, 0x4f7ffffe, v2
	s_delay_alu instid0(VALU_DEP_1) | instskip(NEXT) | instid1(VALU_DEP_1)
	v_cvt_u32_f32_e32 v2, v2
	v_readfirstlane_b32 s5, v2
	s_wait_alu 0xfffe
	s_mul_i32 s10, s10, s5
	s_wait_alu 0xfffe
	s_mul_hi_u32 s10, s5, s10
	s_wait_alu 0xfffe
	s_add_co_i32 s5, s5, s10
	s_wait_alu 0xfffe
	s_mul_hi_u32 s5, s64, s5
	s_wait_alu 0xfffe
	s_mul_i32 s5, s5, s56
	s_wait_alu 0xfffe
	s_sub_co_i32 s5, s64, s5
	s_wait_alu 0xfffe
	s_sub_co_i32 s10, s5, s56
	s_cmp_ge_u32 s5, s56
	s_wait_alu 0xfffe
	s_cselect_b32 s5, s10, s5
	s_wait_alu 0xfffe
	s_sub_co_i32 s10, s5, s56
	s_cmp_ge_u32 s5, s56
	s_wait_alu 0xfffe
	s_cselect_b32 s24, s10, s5
	s_wait_alu 0xfffe
	s_mov_b64 s[10:11], s[24:25]
.LBB53_231:                             ;   in Loop: Header=BB53_16 Depth=1
	s_wait_alu 0xfffe
	s_sub_nc_u64 s[10:11], s[64:65], s[10:11]
	s_mov_b32 s24, 0
	s_mov_b32 s5, 0
	s_mov_b32 s76, exec_lo
                                        ; implicit-def: $vgpr27
	s_wait_alu 0xfffe
	v_cmpx_gt_i64_e64 s[10:11], v[0:1]
	s_cbranch_execz .LBB53_243
; %bb.232:                              ;   in Loop: Header=BB53_16 Depth=1
	v_dual_mov_b32 v2, v10 :: v_dual_mov_b32 v3, v11
	v_dual_mov_b32 v7, v1 :: v_dual_mov_b32 v6, v0
	s_mov_b32 s77, 0
                                        ; implicit-def: $sgpr78
	s_branch .LBB53_236
.LBB53_233:                             ;   in Loop: Header=BB53_236 Depth=2
	s_wait_alu 0xfffe
	s_or_b32 exec_lo, exec_lo, s5
	s_wait_loadcnt_dscnt 0x0
	s_barrier_signal -1
	s_barrier_wait -1
	global_inv scope:SCOPE_SE
	ds_load_b64 v[26:27], v13 offset:3072
	s_wait_loadcnt_dscnt 0x0
	s_barrier_signal -1
	s_barrier_wait -1
	global_inv scope:SCOPE_SE
	v_cmp_neq_f32_e32 vcc_lo, 0, v26
	s_cbranch_vccnz .LBB53_239
; %bb.234:                              ;   in Loop: Header=BB53_236 Depth=2
	v_add_co_u32 v6, vcc_lo, v6, s56
	s_wait_alu 0xfffd
	v_add_co_ci_u32_e64 v7, null, 0, v7, vcc_lo
	v_add_co_u32 v2, s5, v2, s58
	s_wait_alu 0xf1ff
	v_add_co_ci_u32_e64 v3, null, s59, v3, s5
	s_delay_alu instid0(VALU_DEP_3)
	v_cmp_le_i64_e32 vcc_lo, s[10:11], v[6:7]
	s_mov_b32 s5, 0
	s_or_not1_b32 s79, vcc_lo, exec_lo
.LBB53_235:                             ;   in Loop: Header=BB53_236 Depth=2
	s_wait_alu 0xfffe
	s_and_b32 s79, exec_lo, s79
	s_wait_alu 0xfffe
	s_or_b32 s77, s79, s77
	s_and_not1_b32 s78, s78, exec_lo
	s_and_b32 s5, s5, exec_lo
	s_wait_alu 0xfffe
	s_or_b32 s78, s78, s5
	s_and_not1_b32 exec_lo, exec_lo, s77
	s_cbranch_execz .LBB53_242
.LBB53_236:                             ;   Parent Loop BB53_16 Depth=1
                                        ; =>  This Inner Loop Header: Depth=2
	s_mov_b32 s5, exec_lo
	s_delay_alu instid0(VALU_DEP_1)
	v_cmpx_gt_i64_e64 s[36:37], v[6:7]
	s_cbranch_execz .LBB53_233
; %bb.237:                              ;   in Loop: Header=BB53_236 Depth=2
	global_load_b32 v26, v[2:3], off
	s_wait_loadcnt 0x0
	v_cmp_lt_i32_e32 vcc_lo, -1, v26
	s_wait_alu 0xfffd
	v_cndmask_b32_e64 v8, -1, 0x80000000, vcc_lo
	v_cmp_o_f32_e32 vcc_lo, v26, v26
	s_delay_alu instid0(VALU_DEP_2) | instskip(SKIP_1) | instid1(VALU_DEP_1)
	v_xor_b32_e32 v8, v8, v26
	s_wait_alu 0xfffd
	v_cndmask_b32_e32 v8, -1, v8, vcc_lo
	s_delay_alu instid0(VALU_DEP_1) | instskip(NEXT) | instid1(VALU_DEP_1)
	v_and_b32_e32 v8, v8, v46
	v_cmp_eq_u32_e32 vcc_lo, v8, v39
	s_and_b32 exec_lo, exec_lo, vcc_lo
	s_cbranch_execz .LBB53_233
; %bb.238:                              ;   in Loop: Header=BB53_236 Depth=2
	ds_store_b64 v13, v[25:26] offset:3072
	s_branch .LBB53_233
.LBB53_239:                             ;   in Loop: Header=BB53_236 Depth=2
	s_mov_b32 s79, -1
	s_mov_b32 s5, -1
                                        ; implicit-def: $vgpr6_vgpr7
                                        ; implicit-def: $vgpr2_vgpr3
	s_branch .LBB53_235
.LBB53_240:                             ;   in Loop: Header=BB53_16 Depth=1
                                        ; implicit-def: $sgpr12_sgpr13
	s_branch .LBB53_183
.LBB53_241:                             ;   in Loop: Header=BB53_16 Depth=1
                                        ; implicit-def: $sgpr14_sgpr15
	s_branch .LBB53_200
.LBB53_242:                             ;   in Loop: Header=BB53_16 Depth=1
	s_or_b32 exec_lo, exec_lo, s77
	s_wait_alu 0xfffe
	s_and_b32 s5, s78, exec_lo
.LBB53_243:                             ;   in Loop: Header=BB53_16 Depth=1
	s_or_b32 exec_lo, exec_lo, s76
.LBB53_244:                             ;   in Loop: Header=BB53_16 Depth=1
	s_delay_alu instid0(SALU_CYCLE_1)
	s_and_b32 vcc_lo, exec_lo, s24
	s_wait_alu 0xfffe
	s_cbranch_vccz .LBB53_259
; %bb.245:                              ;   in Loop: Header=BB53_16 Depth=1
	s_add_nc_u64 s[10:11], s[8:9], s[62:63]
	s_mov_b32 s12, s25
	s_wait_alu 0xfffe
	s_mov_b32 s13, s11
	s_wait_alu 0xfffe
	s_cmp_lg_u64 s[12:13], 0
	s_cbranch_scc0 .LBB53_280
; %bb.246:                              ;   in Loop: Header=BB53_16 Depth=1
	s_add_nc_u64 s[12:13], s[56:57], 0
	s_wait_alu 0xfffe
	s_xor_b64 s[12:13], s[12:13], 0
	s_wait_alu 0xfffe
	s_cvt_f32_u32 s24, s12
	s_cvt_f32_u32 s76, s13
	s_sub_nc_u64 s[78:79], 0, s[12:13]
	s_wait_alu 0xfffe
	s_delay_alu instid0(SALU_CYCLE_1) | instskip(SKIP_1) | instid1(SALU_CYCLE_2)
	s_fmamk_f32 s24, s76, 0x4f800000, s24
	s_wait_alu 0xfffe
	v_s_rcp_f32 s24, s24
	s_delay_alu instid0(TRANS32_DEP_1) | instskip(SKIP_1) | instid1(SALU_CYCLE_2)
	s_mul_f32 s24, s24, 0x5f7ffffc
	s_wait_alu 0xfffe
	s_mul_f32 s76, s24, 0x2f800000
	s_wait_alu 0xfffe
	s_delay_alu instid0(SALU_CYCLE_2) | instskip(SKIP_1) | instid1(SALU_CYCLE_2)
	s_trunc_f32 s76, s76
	s_wait_alu 0xfffe
	s_fmamk_f32 s24, s76, 0xcf800000, s24
	s_cvt_u32_f32 s77, s76
	s_wait_alu 0xfffe
	s_delay_alu instid0(SALU_CYCLE_1) | instskip(SKIP_1) | instid1(SALU_CYCLE_2)
	s_cvt_u32_f32 s76, s24
	s_wait_alu 0xfffe
	s_mul_u64 s[80:81], s[78:79], s[76:77]
	s_wait_alu 0xfffe
	s_mul_hi_u32 s83, s76, s81
	s_mul_i32 s82, s76, s81
	s_mul_hi_u32 s24, s76, s80
	s_mul_i32 s85, s77, s80
	s_wait_alu 0xfffe
	s_add_nc_u64 s[82:83], s[24:25], s[82:83]
	s_mul_hi_u32 s84, s77, s80
	s_mul_hi_u32 s86, s77, s81
	s_wait_alu 0xfffe
	s_add_co_u32 s24, s82, s85
	s_add_co_ci_u32 s24, s83, s84
	s_mul_i32 s80, s77, s81
	s_add_co_ci_u32 s81, s86, 0
	s_wait_alu 0xfffe
	s_add_nc_u64 s[80:81], s[24:25], s[80:81]
	s_wait_alu 0xfffe
	s_add_co_u32 s76, s76, s80
	s_cselect_b32 s24, -1, 0
	s_wait_alu 0xfffe
	s_cmp_lg_u32 s24, 0
	s_add_co_ci_u32 s77, s77, s81
	s_wait_alu 0xfffe
	s_mul_u64 s[78:79], s[78:79], s[76:77]
	s_wait_alu 0xfffe
	s_mul_hi_u32 s81, s76, s79
	s_mul_i32 s80, s76, s79
	s_mul_hi_u32 s24, s76, s78
	s_mul_i32 s83, s77, s78
	s_wait_alu 0xfffe
	s_add_nc_u64 s[80:81], s[24:25], s[80:81]
	s_mul_hi_u32 s82, s77, s78
	s_mul_hi_u32 s84, s77, s79
	s_wait_alu 0xfffe
	s_add_co_u32 s24, s80, s83
	s_add_co_ci_u32 s24, s81, s82
	s_mul_i32 s78, s77, s79
	s_add_co_ci_u32 s79, s84, 0
	s_wait_alu 0xfffe
	s_add_nc_u64 s[78:79], s[24:25], s[78:79]
	s_wait_alu 0xfffe
	s_add_co_u32 s82, s76, s78
	s_cselect_b32 s24, -1, 0
	s_wait_alu 0xfffe
	s_cmp_lg_u32 s24, 0
	s_add_co_ci_u32 s83, s77, s79
	s_ashr_i32 s76, s11, 31
	s_wait_alu 0xfffe
	s_mov_b32 s77, s76
	s_wait_alu 0xfffe
	s_add_nc_u64 s[78:79], s[10:11], s[76:77]
	s_wait_alu 0xfffe
	s_xor_b64 s[78:79], s[78:79], s[76:77]
	s_wait_alu 0xfffe
	s_mul_hi_u32 s81, s78, s83
	s_mul_i32 s80, s78, s83
	s_mul_hi_u32 s24, s78, s82
	s_mul_i32 s86, s79, s82
	s_wait_alu 0xfffe
	s_add_nc_u64 s[80:81], s[24:25], s[80:81]
	s_mul_hi_u32 s85, s79, s82
	s_mul_hi_u32 s84, s79, s83
	s_wait_alu 0xfffe
	s_add_co_u32 s24, s80, s86
	s_add_co_ci_u32 s24, s81, s85
	s_mul_i32 s82, s79, s83
	s_add_co_ci_u32 s83, s84, 0
	s_wait_alu 0xfffe
	s_add_nc_u64 s[80:81], s[24:25], s[82:83]
	s_wait_alu 0xfffe
	s_mul_u64 s[80:81], s[12:13], s[80:81]
	s_wait_alu 0xfffe
	s_sub_co_u32 s24, s78, s80
	s_cselect_b32 s78, -1, 0
	s_sub_co_i32 s80, s79, s81
	s_wait_alu 0xfffe
	s_cmp_lg_u32 s78, 0
	s_sub_co_ci_u32 s80, s80, s13
	s_sub_co_u32 s82, s24, s12
	s_cselect_b32 s83, -1, 0
	s_wait_alu 0xfffe
	s_cmp_lg_u32 s83, 0
	s_sub_co_ci_u32 s84, s80, 0
	s_wait_alu 0xfffe
	s_cmp_ge_u32 s84, s13
	s_cselect_b32 s85, -1, 0
	s_cmp_ge_u32 s82, s12
	s_cselect_b32 s86, -1, 0
	s_cmp_eq_u32 s84, s13
	s_wait_alu 0xfffe
	s_cselect_b32 s85, s86, s85
	s_cmp_lg_u32 s83, 0
	s_sub_co_ci_u32 s80, s80, s13
	s_sub_co_u32 s83, s82, s12
	s_cselect_b32 s86, -1, 0
	s_wait_alu 0xfffe
	s_cmp_lg_u32 s86, 0
	s_sub_co_ci_u32 s80, s80, 0
	s_cmp_lg_u32 s85, 0
	s_cselect_b32 s82, s83, s82
	s_wait_alu 0xfffe
	s_cselect_b32 s80, s80, s84
	s_cmp_lg_u32 s78, 0
	s_sub_co_ci_u32 s78, s79, s81
	s_wait_alu 0xfffe
	s_cmp_ge_u32 s78, s13
	s_cselect_b32 s79, -1, 0
	s_cmp_ge_u32 s24, s12
	s_cselect_b32 s12, -1, 0
	s_cmp_eq_u32 s78, s13
	s_wait_alu 0xfffe
	s_cselect_b32 s12, s12, s79
	s_wait_alu 0xfffe
	s_cmp_lg_u32 s12, 0
	s_cselect_b32 s13, s80, s78
	s_cselect_b32 s12, s82, s24
	s_wait_alu 0xfffe
	s_xor_b64 s[12:13], s[12:13], s[76:77]
	s_wait_alu 0xfffe
	s_sub_nc_u64 s[12:13], s[12:13], s[76:77]
	s_cbranch_execnz .LBB53_248
.LBB53_247:                             ;   in Loop: Header=BB53_16 Depth=1
	v_cvt_f32_u32_e32 v2, s56
	s_sub_co_i32 s13, 0, s56
	s_delay_alu instid0(VALU_DEP_1) | instskip(NEXT) | instid1(TRANS32_DEP_1)
	v_rcp_iflag_f32_e32 v2, v2
	v_mul_f32_e32 v2, 0x4f7ffffe, v2
	s_delay_alu instid0(VALU_DEP_1) | instskip(NEXT) | instid1(VALU_DEP_1)
	v_cvt_u32_f32_e32 v2, v2
	v_readfirstlane_b32 s12, v2
	s_wait_alu 0xfffe
	s_mul_i32 s13, s13, s12
	s_wait_alu 0xfffe
	s_mul_hi_u32 s13, s12, s13
	s_wait_alu 0xfffe
	s_add_co_i32 s12, s12, s13
	s_wait_alu 0xfffe
	s_mul_hi_u32 s12, s10, s12
	s_wait_alu 0xfffe
	s_mul_i32 s12, s12, s56
	s_wait_alu 0xfffe
	s_sub_co_i32 s12, s10, s12
	s_wait_alu 0xfffe
	s_sub_co_i32 s13, s12, s56
	s_cmp_ge_u32 s12, s56
	s_wait_alu 0xfffe
	s_cselect_b32 s12, s13, s12
	s_wait_alu 0xfffe
	s_sub_co_i32 s13, s12, s56
	s_cmp_ge_u32 s12, s56
	s_wait_alu 0xfffe
	s_cselect_b32 s24, s13, s12
	s_wait_alu 0xfffe
	s_mov_b64 s[12:13], s[24:25]
.LBB53_248:                             ;   in Loop: Header=BB53_16 Depth=1
	s_wait_alu 0xfffe
	s_sub_nc_u64 s[10:11], s[10:11], s[12:13]
	s_mov_b32 s12, exec_lo
                                        ; implicit-def: $vgpr27
	s_wait_alu 0xfffe
	v_cmpx_gt_i64_e64 s[10:11], v[0:1]
	s_cbranch_execz .LBB53_258
; %bb.249:                              ;   in Loop: Header=BB53_16 Depth=1
	v_dual_mov_b32 v6, v14 :: v_dual_mov_b32 v3, v1
	v_mov_b32_e32 v2, v0
	s_mov_b32 s13, 0
                                        ; implicit-def: $sgpr24
	s_branch .LBB53_253
.LBB53_250:                             ;   in Loop: Header=BB53_253 Depth=2
	s_wait_alu 0xfffe
	s_or_b32 exec_lo, exec_lo, s76
	s_wait_loadcnt_dscnt 0x0
	s_barrier_signal -1
	s_barrier_wait -1
	global_inv scope:SCOPE_SE
	ds_load_b64 v[26:27], v13 offset:3072
	s_wait_loadcnt_dscnt 0x0
	s_barrier_signal -1
	s_barrier_wait -1
	global_inv scope:SCOPE_SE
	v_cmp_eq_f32_e32 vcc_lo, 0, v26
	s_cbranch_vccz .LBB53_256
; %bb.251:                              ;   in Loop: Header=BB53_253 Depth=2
	v_add_co_u32 v2, vcc_lo, v2, s56
	s_wait_alu 0xfffd
	v_add_co_ci_u32_e64 v3, null, 0, v3, vcc_lo
	v_add_nc_u32_e32 v6, s94, v6
	s_mov_b32 s76, 0
	s_delay_alu instid0(VALU_DEP_2)
	v_cmp_le_i64_e32 vcc_lo, s[10:11], v[2:3]
	s_or_not1_b32 s77, vcc_lo, exec_lo
.LBB53_252:                             ;   in Loop: Header=BB53_253 Depth=2
	s_wait_alu 0xfffe
	s_and_b32 s77, exec_lo, s77
	s_wait_alu 0xfffe
	s_or_b32 s13, s77, s13
	s_and_not1_b32 s24, s24, exec_lo
	s_and_b32 s76, s76, exec_lo
	s_wait_alu 0xfffe
	s_or_b32 s24, s24, s76
	s_and_not1_b32 exec_lo, exec_lo, s13
	s_cbranch_execz .LBB53_257
.LBB53_253:                             ;   Parent Loop BB53_16 Depth=1
                                        ; =>  This Inner Loop Header: Depth=2
	s_mov_b32 s76, exec_lo
	s_delay_alu instid0(VALU_DEP_1)
	v_cmpx_gt_u64_e64 s[8:9], v[2:3]
	s_cbranch_execz .LBB53_250
; %bb.254:                              ;   in Loop: Header=BB53_253 Depth=2
	ds_load_b32 v26, v6
	s_wait_dscnt 0x0
	v_cmp_lt_i32_e32 vcc_lo, -1, v26
	s_wait_alu 0xfffd
	v_cndmask_b32_e64 v7, -1, 0x80000000, vcc_lo
	v_cmp_o_f32_e32 vcc_lo, v26, v26
	s_delay_alu instid0(VALU_DEP_2) | instskip(SKIP_1) | instid1(VALU_DEP_1)
	v_xor_b32_e32 v7, v7, v26
	s_wait_alu 0xfffd
	v_cndmask_b32_e32 v7, -1, v7, vcc_lo
	s_delay_alu instid0(VALU_DEP_1) | instskip(NEXT) | instid1(VALU_DEP_1)
	v_and_b32_e32 v7, v7, v46
	v_cmp_eq_u32_e32 vcc_lo, v7, v39
	s_and_b32 exec_lo, exec_lo, vcc_lo
	s_cbranch_execz .LBB53_250
; %bb.255:                              ;   in Loop: Header=BB53_253 Depth=2
	ds_store_b64 v13, v[25:26] offset:3072
	s_branch .LBB53_250
.LBB53_256:                             ;   in Loop: Header=BB53_253 Depth=2
	s_mov_b32 s77, -1
	s_mov_b32 s76, -1
                                        ; implicit-def: $vgpr2_vgpr3
                                        ; implicit-def: $vgpr6
	s_branch .LBB53_252
.LBB53_257:                             ;   in Loop: Header=BB53_16 Depth=1
	s_or_b32 exec_lo, exec_lo, s13
	s_delay_alu instid0(SALU_CYCLE_1)
	s_and_not1_b32 s5, s5, exec_lo
	s_wait_alu 0xfffe
	s_and_b32 s8, s24, exec_lo
	s_wait_alu 0xfffe
	s_or_b32 s5, s5, s8
.LBB53_258:                             ;   in Loop: Header=BB53_16 Depth=1
	s_or_b32 exec_lo, exec_lo, s12
	s_mov_b32 s12, 0
	s_mov_b32 s13, -1
.LBB53_259:                             ;   in Loop: Header=BB53_16 Depth=1
	s_wait_alu 0xfffe
	s_or_not1_b32 s8, s5, exec_lo
.LBB53_260:                             ;   in Loop: Header=BB53_16 Depth=1
	s_wait_alu 0xfffe
	s_or_b32 exec_lo, exec_lo, s75
	s_mov_b32 s9, 0
	s_and_saveexec_b32 s5, s8
	s_cbranch_execz .LBB53_271
; %bb.261:                              ;   in Loop: Header=BB53_16 Depth=1
	v_mov_b32_e32 v2, 1
	v_dual_mov_b32 v3, 0 :: v_dual_mov_b32 v12, 1
	s_xor_b32 s9, s74, -1
	s_wait_alu 0xfffe
	s_and_saveexec_b32 s8, s9
	s_cbranch_execz .LBB53_270
; %bb.262:                              ;   in Loop: Header=BB53_16 Depth=1
	s_mov_b32 s9, exec_lo
	v_cmpx_ge_i64_e64 s[6:7], v[4:5]
	s_wait_alu 0xfffe
	s_xor_b32 s9, exec_lo, s9
	s_cbranch_execz .LBB53_267
; %bb.263:                              ;   in Loop: Header=BB53_16 Depth=1
	ds_load_b64 v[2:3], v13 offset:5120
	v_or_b32_e32 v39, s16, v39
	v_or_b32_e32 v46, s16, v46
	s_wait_dscnt 0x0
	v_cmp_ne_u64_e32 vcc_lo, 0, v[2:3]
	s_cbranch_vccnz .LBB53_267
; %bb.264:                              ;   in Loop: Header=BB53_16 Depth=1
	s_and_saveexec_b32 s10, s2
; %bb.265:                              ;   in Loop: Header=BB53_16 Depth=1
	v_dual_mov_b32 v2, s6 :: v_dual_mov_b32 v3, s7
	ds_store_b64 v13, v[2:3] offset:5128
; %bb.266:                              ;   in Loop: Header=BB53_16 Depth=1
	s_wait_alu 0xfffe
	s_or_b32 exec_lo, exec_lo, s10
	s_wait_loadcnt_dscnt 0x0
	s_barrier_signal -1
	s_barrier_wait -1
	global_inv scope:SCOPE_SE
.LBB53_267:                             ;   in Loop: Header=BB53_16 Depth=1
	s_wait_alu 0xfffe
	s_and_not1_saveexec_b32 s9, s9
; %bb.268:                              ;   in Loop: Header=BB53_16 Depth=1
	v_sub_co_u32 v4, vcc_lo, v4, s6
	s_wait_alu 0xfffd
	v_subrev_co_ci_u32_e64 v5, null, s7, v5, vcc_lo
; %bb.269:                              ;   in Loop: Header=BB53_16 Depth=1
	s_wait_alu 0xfffe
	s_or_b32 exec_lo, exec_lo, s9
	v_mov_b32_e32 v2, v4
	s_delay_alu instid0(VALU_DEP_2)
	v_dual_mov_b32 v12, 8 :: v_dual_mov_b32 v3, v5
.LBB53_270:                             ;   in Loop: Header=BB53_16 Depth=1
	s_wait_alu 0xfffe
	s_or_b32 exec_lo, exec_lo, s8
	s_delay_alu instid0(VALU_DEP_1)
	v_dual_mov_b32 v5, v3 :: v_dual_mov_b32 v4, v2
	s_mov_b32 s9, exec_lo
.LBB53_271:                             ;   in Loop: Header=BB53_16 Depth=1
	s_wait_alu 0xfffe
	s_or_b32 exec_lo, exec_lo, s5
	s_delay_alu instid0(SALU_CYCLE_1)
	s_or_not1_b32 s5, s9, exec_lo
.LBB53_272:                             ;   in Loop: Header=BB53_16 Depth=1
	s_wait_alu 0xfffe
	s_or_b32 exec_lo, exec_lo, s20
	v_dual_mov_b32 v2, v4 :: v_dual_mov_b32 v3, v5
	s_and_not1_b32 s6, s15, exec_lo
	s_and_b32 s7, s13, exec_lo
	s_and_not1_b32 s8, s14, exec_lo
	s_and_b32 s9, s12, exec_lo
	s_wait_alu 0xfffe
	s_or_b32 s15, s6, s7
	s_or_b32 s14, s8, s9
	s_and_b32 s10, s5, exec_lo
.LBB53_273:                             ;   in Loop: Header=BB53_16 Depth=1
	s_wait_alu 0xfffe
	s_or_b32 exec_lo, exec_lo, s73
	s_delay_alu instid0(SALU_CYCLE_1)
	s_or_not1_b32 s5, s10, exec_lo
.LBB53_274:                             ;   in Loop: Header=BB53_16 Depth=1
	s_wait_alu 0xfffe
	s_or_b32 exec_lo, exec_lo, s72
	v_dual_mov_b32 v7, v3 :: v_dual_mov_b32 v6, v2
	s_and_not1_b32 s6, s22, exec_lo
	s_and_b32 s7, s15, exec_lo
	s_and_not1_b32 s8, s21, exec_lo
	s_and_b32 s9, s14, exec_lo
	s_wait_alu 0xfffe
	s_or_b32 s22, s6, s7
	s_or_b32 s21, s8, s9
	s_and_b32 s10, s5, exec_lo
.LBB53_275:                             ;   in Loop: Header=BB53_16 Depth=1
	s_or_b32 exec_lo, exec_lo, s23
	s_wait_alu 0xfffe
	s_or_not1_b32 s5, s10, exec_lo
.LBB53_276:                             ;   in Loop: Header=BB53_16 Depth=1
	s_or_b32 exec_lo, exec_lo, s19
	s_mov_b32 s6, 0
	s_wait_alu 0xfffe
	s_and_saveexec_b32 s7, s5
	s_wait_alu 0xfffe
	s_xor_b32 s5, exec_lo, s7
	s_cbranch_execz .LBB53_14
; %bb.277:                              ;   in Loop: Header=BB53_16 Depth=1
	v_and_b32_e32 v2, 7, v12
	s_mov_b32 s7, -1
	s_mov_b32 s6, -1
	s_mov_b32 s8, exec_lo
	s_delay_alu instid0(VALU_DEP_1)
	v_cmpx_eq_u32_e32 0, v2
	s_cbranch_execz .LBB53_13
; %bb.278:                              ;   in Loop: Header=BB53_16 Depth=1
	s_xor_b32 s97, s97, 1
	s_add_co_i32 s9, s95, -2
	s_cmp_eq_u32 s95, 0
	s_wait_alu 0xfffe
	s_mov_b32 s95, s9
	s_cselect_b32 s7, -1, 0
	s_xor_b32 s6, exec_lo, -1
	s_wait_alu 0xfffe
	s_or_not1_b32 s7, s7, exec_lo
	s_branch .LBB53_13
.LBB53_279:                             ;   in Loop: Header=BB53_16 Depth=1
                                        ; implicit-def: $sgpr10_sgpr11
	s_branch .LBB53_230
.LBB53_280:                             ;   in Loop: Header=BB53_16 Depth=1
                                        ; implicit-def: $sgpr12_sgpr13
	s_branch .LBB53_247
.LBB53_281:
	s_or_b32 exec_lo, exec_lo, s96
	s_xor_b32 s5, s103, -1
	s_xor_b32 s1, s101, -1
	;; [unrolled: 1-line block ×3, first 2 shown]
	s_mov_b32 s3, 0
	s_and_saveexec_b32 s6, s1
	s_wait_alu 0xfffe
	s_xor_b32 s1, exec_lo, s6
	s_cbranch_execnz .LBB53_286
; %bb.282:
	s_and_not1_saveexec_b32 s0, s1
	s_cbranch_execnz .LBB53_311
.LBB53_283:
	s_wait_alu 0xfffe
	s_or_b32 exec_lo, exec_lo, s0
	s_and_saveexec_b32 s0, s3
.LBB53_284:
	; divergent unreachable
.LBB53_285:
	s_endpgm
.LBB53_286:
	s_and_saveexec_b32 s3, s5
	s_delay_alu instid0(SALU_CYCLE_1)
	s_xor_b32 s3, exec_lo, s3
	s_cbranch_execz .LBB53_309
; %bb.287:
	s_and_saveexec_b32 s5, s4
	s_wait_alu 0xfffe
	s_xor_b32 s4, exec_lo, s5
; %bb.288:
	v_cmp_lt_i32_e32 vcc_lo, -1, v39
	s_wait_alu 0xfffd
	v_cndmask_b32_e64 v2, 0x80000000, -1, vcc_lo
	s_delay_alu instid0(VALU_DEP_1)
	v_xor_b32_e32 v27, v2, v39
; %bb.289:
	s_wait_alu 0xfffe
	s_or_b32 exec_lo, exec_lo, s4
	s_and_saveexec_b32 s4, s2
; %bb.290:
	v_dual_mov_b32 v2, 0 :: v_dual_mov_b32 v3, s36
	ds_store_b32 v2, v3 offset:5140
; %bb.291:
	s_wait_alu 0xfffe
	s_or_b32 exec_lo, exec_lo, s4
	s_wait_loadcnt_dscnt 0x0
	s_barrier_signal -1
	s_barrier_wait -1
	global_inv scope:SCOPE_SE
	s_and_saveexec_b32 s4, s0
	s_cbranch_execz .LBB53_306
; %bb.292:
	v_mov_b32_e32 v2, 0
	v_cmp_u_f32_e32 vcc_lo, v27, v27
	s_mov_b32 s5, 0
                                        ; implicit-def: $sgpr7
                                        ; implicit-def: $sgpr8
                                        ; implicit-def: $sgpr9
	ds_load_b32 v4, v2 offset:5140
	s_xor_b32 s6, vcc_lo, -1
	s_wait_dscnt 0x0
	v_ashrrev_i32_e32 v5, 31, v4
	s_branch .LBB53_295
.LBB53_293:                             ;   in Loop: Header=BB53_295 Depth=1
	s_wait_alu 0xfffe
	s_or_b32 exec_lo, exec_lo, s13
	s_delay_alu instid0(SALU_CYCLE_1)
	s_and_not1_b32 s0, s9, exec_lo
	s_and_b32 s9, s11, exec_lo
	s_and_not1_b32 s8, s8, exec_lo
	s_and_b32 s11, s12, exec_lo
	s_wait_alu 0xfffe
	s_or_b32 s9, s0, s9
	s_or_b32 s8, s8, s11
.LBB53_294:                             ;   in Loop: Header=BB53_295 Depth=1
	s_wait_alu 0xfffe
	s_or_b32 exec_lo, exec_lo, s10
	s_delay_alu instid0(SALU_CYCLE_1)
	s_and_b32 s0, exec_lo, s8
	s_wait_alu 0xfffe
	s_or_b32 s5, s0, s5
	s_and_not1_b32 s0, s7, exec_lo
	s_and_b32 s7, s9, exec_lo
	s_wait_alu 0xfffe
	s_or_b32 s7, s0, s7
	s_and_not1_b32 exec_lo, exec_lo, s5
	s_cbranch_execz .LBB53_301
.LBB53_295:                             ; =>This Inner Loop Header: Depth=1
	v_dual_mov_b32 v3, v1 :: v_dual_mov_b32 v2, v0
	s_or_b32 s9, s9, exec_lo
	s_or_b32 s8, s8, exec_lo
	s_mov_b32 s10, exec_lo
                                        ; implicit-def: $vgpr0_vgpr1
	s_delay_alu instid0(VALU_DEP_1)
	v_cmpx_lt_i64_e64 v[2:3], v[4:5]
	s_cbranch_execz .LBB53_294
; %bb.296:                              ;   in Loop: Header=BB53_295 Depth=1
	global_load_b32 v0, v[10:11], off
	s_mov_b32 s12, -1
	s_wait_loadcnt 0x0
	v_cmp_o_f32_e32 vcc_lo, v0, v0
	v_cmp_neq_f32_e64 s0, v0, v27
                                        ; implicit-def: $vgpr0_vgpr1
	s_wait_alu 0xfffe
	s_or_b32 s11, vcc_lo, s6
	s_wait_alu 0xfffe
	s_and_b32 s0, s0, s11
	s_mov_b32 s11, 0
	s_wait_alu 0xfffe
	s_and_saveexec_b32 s13, s0
	s_cbranch_execz .LBB53_293
; %bb.297:                              ;   in Loop: Header=BB53_295 Depth=1
	v_add_co_u32 v0, vcc_lo, v2, s56
	s_wait_alu 0xfffd
	v_add_co_ci_u32_e64 v1, null, 0, v3, vcc_lo
	v_add_co_u32 v10, s0, v10, s58
	s_wait_alu 0xf1ff
	v_add_co_ci_u32_e64 v11, null, s59, v11, s0
	s_delay_alu instid0(VALU_DEP_3)
	v_cmp_le_i64_e32 vcc_lo, s[36:37], v[0:1]
	s_mov_b32 s11, exec_lo
	s_or_not1_b32 s12, vcc_lo, exec_lo
	s_branch .LBB53_293
.LBB53_298:
                                        ; implicit-def: $sgpr12_sgpr13
	s_branch .LBB53_3
.LBB53_299:
                                        ; implicit-def: $sgpr48_sgpr49
	s_branch .LBB53_6
.LBB53_300:
                                        ; implicit-def: $sgpr50_sgpr51
	s_branch .LBB53_9
.LBB53_301:
	s_or_b32 exec_lo, exec_lo, s5
	s_wait_alu 0xfffe
	s_xor_b32 s0, s7, -1
	s_wait_alu 0xfffe
	s_and_saveexec_b32 s5, s0
	s_wait_alu 0xfffe
	s_xor_b32 s5, exec_lo, s5
	s_cbranch_execz .LBB53_306
; %bb.302:
	s_mov_b32 s5, exec_lo
	s_brev_b32 s0, -2
.LBB53_303:                             ; =>This Inner Loop Header: Depth=1
	s_wait_alu 0xfffe
	s_ctz_i32_b32 s6, s5
	s_wait_alu 0xfffe
	v_readlane_b32 s7, v2, s6
	s_lshl_b32 s6, 1, s6
	s_wait_alu 0xfffe
	s_and_not1_b32 s5, s5, s6
	s_min_i32 s0, s0, s7
	s_wait_alu 0xfffe
	s_cmp_lg_u32 s5, 0
	s_cbranch_scc1 .LBB53_303
; %bb.304:
	v_mbcnt_lo_u32_b32 v0, exec_lo, 0
	s_mov_b32 s5, exec_lo
	s_delay_alu instid0(VALU_DEP_1)
	v_cmpx_eq_u32_e32 0, v0
	s_wait_alu 0xfffe
	s_xor_b32 s5, exec_lo, s5
; %bb.305:
	v_dual_mov_b32 v0, 0 :: v_dual_mov_b32 v1, s0
	ds_min_i32 v0, v1 offset:5140
.LBB53_306:
	s_wait_alu 0xfffe
	s_or_b32 exec_lo, exec_lo, s4
	s_wait_loadcnt_dscnt 0x0
	s_barrier_signal -1
	s_barrier_wait -1
	global_inv scope:SCOPE_SE
	s_and_saveexec_b32 s0, s2
	s_cbranch_execz .LBB53_308
; %bb.307:
	v_mov_b32_e32 v2, 0
	s_mul_u64 s[8:9], s[50:51], s[40:41]
	s_mul_u64 s[4:5], s[48:49], s[34:35]
	;; [unrolled: 1-line block ×3, first 2 shown]
	s_wait_alu 0xfffe
	s_sub_nc_u64 s[8:9], s[26:27], s[8:9]
	ds_load_b32 v0, v2 offset:5140
	s_mul_u64 s[6:7], s[48:49], s[44:45]
	s_sub_nc_u64 s[4:5], s[26:27], s[4:5]
	s_lshl_b64 s[10:11], s[10:11], 3
	s_wait_alu 0xfffe
	s_mul_u64 s[8:9], s[8:9], s[30:31]
	s_lshl_b64 s[6:7], s[6:7], 2
	s_mul_u64 s[4:5], s[4:5], s[46:47]
	s_add_nc_u64 s[10:11], s[52:53], s[10:11]
	s_wait_alu 0xfffe
	s_lshl_b64 s[8:9], s[8:9], 3
	s_add_nc_u64 s[6:7], s[54:55], s[6:7]
	s_lshl_b64 s[4:5], s[4:5], 2
	s_wait_alu 0xfffe
	s_add_nc_u64 s[8:9], s[10:11], s[8:9]
	s_add_nc_u64 s[4:5], s[6:7], s[4:5]
	s_wait_dscnt 0x0
	v_ashrrev_i32_e32 v1, 31, v0
	s_clause 0x1
	global_store_b64 v2, v[0:1], s[8:9]
	global_store_b32 v2, v27, s[4:5]
.LBB53_308:
	s_wait_alu 0xfffe
	s_or_b32 exec_lo, exec_lo, s0
.LBB53_309:
	s_or_saveexec_b32 s0, s3
	s_mov_b32 s2, 0
	s_wait_alu 0xfffe
	s_xor_b32 exec_lo, exec_lo, s0
	s_cbranch_execnz .LBB53_312
.LBB53_310:
	s_or_b32 exec_lo, exec_lo, s0
	s_delay_alu instid0(SALU_CYCLE_1)
	s_and_b32 s3, s2, exec_lo
	s_and_not1_saveexec_b32 s0, s1
	s_cbranch_execz .LBB53_283
.LBB53_311:
	s_or_b32 s3, s3, exec_lo
	s_trap 2
	s_wait_alu 0xfffe
	s_or_b32 exec_lo, exec_lo, s0
	s_and_saveexec_b32 s0, s3
	s_cbranch_execnz .LBB53_284
	s_branch .LBB53_285
.LBB53_312:
	s_mov_b32 s2, exec_lo
	s_trap 2
	s_branch .LBB53_310
	.section	.rodata,"a",@progbits
	.p2align	6, 0x0
	.amdhsa_kernel _ZN2at6native12_GLOBAL__N_114gatherKthValueIflLi2EEEvNS_4cuda6detail10TensorInfoIKT_T0_EES8_S8_S8_S8_NS5_IS6_S8_EENS5_IlS8_EE
		.amdhsa_group_segment_fixed_size 5144
		.amdhsa_private_segment_fixed_size 0
		.amdhsa_kernarg_size 1536
		.amdhsa_user_sgpr_count 2
		.amdhsa_user_sgpr_dispatch_ptr 0
		.amdhsa_user_sgpr_queue_ptr 0
		.amdhsa_user_sgpr_kernarg_segment_ptr 1
		.amdhsa_user_sgpr_dispatch_id 0
		.amdhsa_user_sgpr_private_segment_size 0
		.amdhsa_wavefront_size32 1
		.amdhsa_uses_dynamic_stack 0
		.amdhsa_enable_private_segment 0
		.amdhsa_system_sgpr_workgroup_id_x 1
		.amdhsa_system_sgpr_workgroup_id_y 1
		.amdhsa_system_sgpr_workgroup_id_z 1
		.amdhsa_system_sgpr_workgroup_info 0
		.amdhsa_system_vgpr_workitem_id 0
		.amdhsa_next_free_vgpr 56
		.amdhsa_next_free_sgpr 104
		.amdhsa_reserve_vcc 1
		.amdhsa_float_round_mode_32 0
		.amdhsa_float_round_mode_16_64 0
		.amdhsa_float_denorm_mode_32 3
		.amdhsa_float_denorm_mode_16_64 3
		.amdhsa_fp16_overflow 0
		.amdhsa_workgroup_processor_mode 1
		.amdhsa_memory_ordered 1
		.amdhsa_forward_progress 1
		.amdhsa_inst_pref_size 167
		.amdhsa_round_robin_scheduling 0
		.amdhsa_exception_fp_ieee_invalid_op 0
		.amdhsa_exception_fp_denorm_src 0
		.amdhsa_exception_fp_ieee_div_zero 0
		.amdhsa_exception_fp_ieee_overflow 0
		.amdhsa_exception_fp_ieee_underflow 0
		.amdhsa_exception_fp_ieee_inexact 0
		.amdhsa_exception_int_div_zero 0
	.end_amdhsa_kernel
	.section	.text._ZN2at6native12_GLOBAL__N_114gatherKthValueIflLi2EEEvNS_4cuda6detail10TensorInfoIKT_T0_EES8_S8_S8_S8_NS5_IS6_S8_EENS5_IlS8_EE,"axG",@progbits,_ZN2at6native12_GLOBAL__N_114gatherKthValueIflLi2EEEvNS_4cuda6detail10TensorInfoIKT_T0_EES8_S8_S8_S8_NS5_IS6_S8_EENS5_IlS8_EE,comdat
.Lfunc_end53:
	.size	_ZN2at6native12_GLOBAL__N_114gatherKthValueIflLi2EEEvNS_4cuda6detail10TensorInfoIKT_T0_EES8_S8_S8_S8_NS5_IS6_S8_EENS5_IlS8_EE, .Lfunc_end53-_ZN2at6native12_GLOBAL__N_114gatherKthValueIflLi2EEEvNS_4cuda6detail10TensorInfoIKT_T0_EES8_S8_S8_S8_NS5_IS6_S8_EENS5_IlS8_EE
                                        ; -- End function
	.set _ZN2at6native12_GLOBAL__N_114gatherKthValueIflLi2EEEvNS_4cuda6detail10TensorInfoIKT_T0_EES8_S8_S8_S8_NS5_IS6_S8_EENS5_IlS8_EE.num_vgpr, 56
	.set _ZN2at6native12_GLOBAL__N_114gatherKthValueIflLi2EEEvNS_4cuda6detail10TensorInfoIKT_T0_EES8_S8_S8_S8_NS5_IS6_S8_EENS5_IlS8_EE.num_agpr, 0
	.set _ZN2at6native12_GLOBAL__N_114gatherKthValueIflLi2EEEvNS_4cuda6detail10TensorInfoIKT_T0_EES8_S8_S8_S8_NS5_IS6_S8_EENS5_IlS8_EE.numbered_sgpr, 104
	.set _ZN2at6native12_GLOBAL__N_114gatherKthValueIflLi2EEEvNS_4cuda6detail10TensorInfoIKT_T0_EES8_S8_S8_S8_NS5_IS6_S8_EENS5_IlS8_EE.num_named_barrier, 0
	.set _ZN2at6native12_GLOBAL__N_114gatherKthValueIflLi2EEEvNS_4cuda6detail10TensorInfoIKT_T0_EES8_S8_S8_S8_NS5_IS6_S8_EENS5_IlS8_EE.private_seg_size, 0
	.set _ZN2at6native12_GLOBAL__N_114gatherKthValueIflLi2EEEvNS_4cuda6detail10TensorInfoIKT_T0_EES8_S8_S8_S8_NS5_IS6_S8_EENS5_IlS8_EE.uses_vcc, 1
	.set _ZN2at6native12_GLOBAL__N_114gatherKthValueIflLi2EEEvNS_4cuda6detail10TensorInfoIKT_T0_EES8_S8_S8_S8_NS5_IS6_S8_EENS5_IlS8_EE.uses_flat_scratch, 0
	.set _ZN2at6native12_GLOBAL__N_114gatherKthValueIflLi2EEEvNS_4cuda6detail10TensorInfoIKT_T0_EES8_S8_S8_S8_NS5_IS6_S8_EENS5_IlS8_EE.has_dyn_sized_stack, 0
	.set _ZN2at6native12_GLOBAL__N_114gatherKthValueIflLi2EEEvNS_4cuda6detail10TensorInfoIKT_T0_EES8_S8_S8_S8_NS5_IS6_S8_EENS5_IlS8_EE.has_recursion, 0
	.set _ZN2at6native12_GLOBAL__N_114gatherKthValueIflLi2EEEvNS_4cuda6detail10TensorInfoIKT_T0_EES8_S8_S8_S8_NS5_IS6_S8_EENS5_IlS8_EE.has_indirect_call, 0
	.section	.AMDGPU.csdata,"",@progbits
; Kernel info:
; codeLenInByte = 21272
; TotalNumSgprs: 106
; NumVgprs: 56
; ScratchSize: 0
; MemoryBound: 0
; FloatMode: 240
; IeeeMode: 1
; LDSByteSize: 5144 bytes/workgroup (compile time only)
; SGPRBlocks: 0
; VGPRBlocks: 6
; NumSGPRsForWavesPerEU: 106
; NumVGPRsForWavesPerEU: 56
; Occupancy: 16
; WaveLimiterHint : 1
; COMPUTE_PGM_RSRC2:SCRATCH_EN: 0
; COMPUTE_PGM_RSRC2:USER_SGPR: 2
; COMPUTE_PGM_RSRC2:TRAP_HANDLER: 0
; COMPUTE_PGM_RSRC2:TGID_X_EN: 1
; COMPUTE_PGM_RSRC2:TGID_Y_EN: 1
; COMPUTE_PGM_RSRC2:TGID_Z_EN: 1
; COMPUTE_PGM_RSRC2:TIDIG_COMP_CNT: 0
	.section	.text._ZN2at6native12_GLOBAL__N_114gatherKthValueIflLi3EEEvNS_4cuda6detail10TensorInfoIKT_T0_EES8_S8_S8_S8_NS5_IS6_S8_EENS5_IlS8_EE,"axG",@progbits,_ZN2at6native12_GLOBAL__N_114gatherKthValueIflLi3EEEvNS_4cuda6detail10TensorInfoIKT_T0_EES8_S8_S8_S8_NS5_IS6_S8_EENS5_IlS8_EE,comdat
	.globl	_ZN2at6native12_GLOBAL__N_114gatherKthValueIflLi3EEEvNS_4cuda6detail10TensorInfoIKT_T0_EES8_S8_S8_S8_NS5_IS6_S8_EENS5_IlS8_EE ; -- Begin function _ZN2at6native12_GLOBAL__N_114gatherKthValueIflLi3EEEvNS_4cuda6detail10TensorInfoIKT_T0_EES8_S8_S8_S8_NS5_IS6_S8_EENS5_IlS8_EE
	.p2align	8
	.type	_ZN2at6native12_GLOBAL__N_114gatherKthValueIflLi3EEEvNS_4cuda6detail10TensorInfoIKT_T0_EES8_S8_S8_S8_NS5_IS6_S8_EENS5_IlS8_EE,@function
_ZN2at6native12_GLOBAL__N_114gatherKthValueIflLi3EEEvNS_4cuda6detail10TensorInfoIKT_T0_EES8_S8_S8_S8_NS5_IS6_S8_EENS5_IlS8_EE: ; @_ZN2at6native12_GLOBAL__N_114gatherKthValueIflLi3EEEvNS_4cuda6detail10TensorInfoIKT_T0_EES8_S8_S8_S8_NS5_IS6_S8_EENS5_IlS8_EE
; %bb.0:
	s_clause 0x1
	s_load_b64 s[12:13], s[0:1], 0x500
	s_load_b256 s[36:43], s[0:1], 0x1a0
	s_lshr_b32 s2, ttmp7, 16
	s_and_b32 s3, ttmp7, 0xffff
	s_mov_b32 s27, 0
	s_wait_kmcnt 0x0
	s_mul_i32 s2, s13, s2
	s_delay_alu instid0(SALU_CYCLE_1) | instskip(NEXT) | instid1(SALU_CYCLE_1)
	s_add_co_i32 s2, s2, s3
	s_mul_i32 s2, s2, s12
	s_delay_alu instid0(SALU_CYCLE_1) | instskip(NEXT) | instid1(SALU_CYCLE_1)
	s_add_co_i32 s26, s2, ttmp9
	v_cmp_le_i64_e64 s2, s[40:41], s[26:27]
	s_and_b32 vcc_lo, exec_lo, s2
	s_cbranch_vccnz .LBB54_301
; %bb.1:
	s_load_b128 s[4:7], s[0:1], 0x10
	s_mov_b32 s2, s27
	s_wait_kmcnt 0x0
	s_mov_b32 s3, s7
	s_delay_alu instid0(SALU_CYCLE_1)
	s_cmp_lg_u64 s[2:3], 0
	s_add_nc_u64 s[2:3], s[26:27], 0
	s_cbranch_scc0 .LBB54_18
; %bb.2:
	s_ashr_i32 s8, s7, 31
	s_mov_b32 s17, 0
	s_mov_b32 s9, s8
	s_delay_alu instid0(SALU_CYCLE_1) | instskip(NEXT) | instid1(SALU_CYCLE_1)
	s_add_nc_u64 s[10:11], s[6:7], s[8:9]
	s_xor_b64 s[10:11], s[10:11], s[8:9]
	s_delay_alu instid0(SALU_CYCLE_1) | instskip(SKIP_2) | instid1(SALU_CYCLE_2)
	s_cvt_f32_u32 s13, s10
	s_cvt_f32_u32 s14, s11
	s_sub_nc_u64 s[18:19], 0, s[10:11]
	s_fmamk_f32 s13, s14, 0x4f800000, s13
	s_delay_alu instid0(SALU_CYCLE_3) | instskip(NEXT) | instid1(TRANS32_DEP_1)
	v_s_rcp_f32 s13, s13
	s_mul_f32 s13, s13, 0x5f7ffffc
	s_wait_alu 0xfffe
	s_delay_alu instid0(SALU_CYCLE_2) | instskip(NEXT) | instid1(SALU_CYCLE_3)
	s_mul_f32 s14, s13, 0x2f800000
	s_trunc_f32 s14, s14
	s_delay_alu instid0(SALU_CYCLE_3) | instskip(SKIP_2) | instid1(SALU_CYCLE_1)
	s_fmamk_f32 s13, s14, 0xcf800000, s13
	s_cvt_u32_f32 s15, s14
	s_wait_alu 0xfffe
	s_cvt_u32_f32 s14, s13
	s_delay_alu instid0(SALU_CYCLE_3) | instskip(NEXT) | instid1(SALU_CYCLE_1)
	s_mul_u64 s[20:21], s[18:19], s[14:15]
	s_mul_hi_u32 s23, s14, s21
	s_mul_i32 s22, s14, s21
	s_mul_hi_u32 s16, s14, s20
	s_mul_i32 s24, s15, s20
	s_add_nc_u64 s[22:23], s[16:17], s[22:23]
	s_mul_hi_u32 s13, s15, s20
	s_mul_hi_u32 s25, s15, s21
	s_add_co_u32 s16, s22, s24
	s_wait_alu 0xfffe
	s_add_co_ci_u32 s16, s23, s13
	s_mul_i32 s20, s15, s21
	s_add_co_ci_u32 s21, s25, 0
	s_delay_alu instid0(SALU_CYCLE_1) | instskip(NEXT) | instid1(SALU_CYCLE_1)
	s_add_nc_u64 s[20:21], s[16:17], s[20:21]
	s_add_co_u32 s14, s14, s20
	s_cselect_b32 s13, -1, 0
	s_wait_alu 0xfffe
	s_cmp_lg_u32 s13, 0
	s_add_co_ci_u32 s15, s15, s21
	s_delay_alu instid0(SALU_CYCLE_1) | instskip(NEXT) | instid1(SALU_CYCLE_1)
	s_mul_u64 s[18:19], s[18:19], s[14:15]
	s_mul_hi_u32 s21, s14, s19
	s_mul_i32 s20, s14, s19
	s_mul_hi_u32 s16, s14, s18
	s_mul_i32 s22, s15, s18
	s_add_nc_u64 s[20:21], s[16:17], s[20:21]
	s_mul_hi_u32 s13, s15, s18
	s_mul_hi_u32 s23, s15, s19
	s_add_co_u32 s16, s20, s22
	s_wait_alu 0xfffe
	s_add_co_ci_u32 s16, s21, s13
	s_mul_i32 s18, s15, s19
	s_add_co_ci_u32 s19, s23, 0
	s_delay_alu instid0(SALU_CYCLE_1) | instskip(NEXT) | instid1(SALU_CYCLE_1)
	s_add_nc_u64 s[18:19], s[16:17], s[18:19]
	s_add_co_u32 s13, s14, s18
	s_cselect_b32 s14, -1, 0
	s_delay_alu instid0(SALU_CYCLE_1) | instskip(SKIP_2) | instid1(SALU_CYCLE_1)
	s_cmp_lg_u32 s14, 0
	s_add_co_ci_u32 s20, s15, s19
	s_xor_b64 s[14:15], s[2:3], 0
	s_mul_hi_u32 s19, s14, s20
	s_mul_i32 s18, s14, s20
	s_wait_alu 0xfffe
	s_mul_hi_u32 s16, s14, s13
	s_mul_hi_u32 s22, s15, s13
	s_mul_i32 s13, s15, s13
	s_add_nc_u64 s[18:19], s[16:17], s[18:19]
	s_mul_hi_u32 s21, s15, s20
	s_wait_alu 0xfffe
	s_add_co_u32 s13, s18, s13
	s_add_co_ci_u32 s16, s19, s22
	s_mul_i32 s20, s15, s20
	s_add_co_ci_u32 s21, s21, 0
	s_delay_alu instid0(SALU_CYCLE_1) | instskip(NEXT) | instid1(SALU_CYCLE_1)
	s_add_nc_u64 s[18:19], s[16:17], s[20:21]
	s_mul_u64 s[20:21], s[10:11], s[18:19]
	s_delay_alu instid0(SALU_CYCLE_1)
	s_sub_co_u32 s13, s14, s20
	s_cselect_b32 s14, -1, 0
	s_sub_co_i32 s16, s15, s21
	s_cmp_lg_u32 s14, 0
	s_sub_co_ci_u32 s16, s16, s11
	s_wait_alu 0xfffe
	s_sub_co_u32 s20, s13, s10
	s_cselect_b32 s22, -1, 0
	s_delay_alu instid0(SALU_CYCLE_1) | instskip(SKIP_2) | instid1(SALU_CYCLE_1)
	s_cmp_lg_u32 s22, 0
	s_add_nc_u64 s[22:23], s[18:19], 1
	s_sub_co_ci_u32 s16, s16, 0
	s_cmp_ge_u32 s16, s11
	s_cselect_b32 s24, -1, 0
	s_cmp_ge_u32 s20, s10
	s_cselect_b32 s20, -1, 0
	s_cmp_eq_u32 s16, s11
	s_cselect_b32 s16, s20, s24
	s_add_nc_u64 s[24:25], s[18:19], 2
	s_cmp_lg_u32 s16, 0
	s_cselect_b32 s16, s24, s22
	s_cselect_b32 s20, s25, s23
	s_cmp_lg_u32 s14, 0
	s_sub_co_ci_u32 s14, s15, s21
	s_delay_alu instid0(SALU_CYCLE_1)
	s_cmp_ge_u32 s14, s11
	s_cselect_b32 s15, -1, 0
	s_cmp_ge_u32 s13, s10
	s_cselect_b32 s10, -1, 0
	s_cmp_eq_u32 s14, s11
	s_cselect_b32 s10, s10, s15
	s_delay_alu instid0(SALU_CYCLE_1) | instskip(SKIP_3) | instid1(SALU_CYCLE_1)
	s_cmp_lg_u32 s10, 0
	s_cselect_b32 s11, s20, s19
	s_cselect_b32 s10, s16, s18
	s_xor_b64 s[8:9], 0, s[8:9]
	s_xor_b64 s[10:11], s[10:11], s[8:9]
	s_delay_alu instid0(SALU_CYCLE_1)
	s_sub_nc_u64 s[14:15], s[10:11], s[8:9]
	s_cbranch_execnz .LBB54_4
.LBB54_3:
	v_cvt_f32_u32_e32 v1, s6
	s_sub_co_i32 s9, 0, s6
	s_mov_b32 s15, 0
	s_delay_alu instid0(VALU_DEP_1) | instskip(NEXT) | instid1(TRANS32_DEP_1)
	v_rcp_iflag_f32_e32 v1, v1
	v_mul_f32_e32 v1, 0x4f7ffffe, v1
	s_delay_alu instid0(VALU_DEP_1) | instskip(NEXT) | instid1(VALU_DEP_1)
	v_cvt_u32_f32_e32 v1, v1
	v_readfirstlane_b32 s8, v1
	s_mul_i32 s9, s9, s8
	s_delay_alu instid0(SALU_CYCLE_1) | instskip(NEXT) | instid1(SALU_CYCLE_1)
	s_mul_hi_u32 s9, s8, s9
	s_add_co_i32 s8, s8, s9
	s_delay_alu instid0(SALU_CYCLE_1) | instskip(NEXT) | instid1(SALU_CYCLE_1)
	s_mul_hi_u32 s8, s26, s8
	s_mul_i32 s9, s8, s6
	s_add_co_i32 s10, s8, 1
	s_sub_co_i32 s9, s26, s9
	s_delay_alu instid0(SALU_CYCLE_1)
	s_sub_co_i32 s11, s9, s6
	s_cmp_ge_u32 s9, s6
	s_cselect_b32 s8, s10, s8
	s_cselect_b32 s9, s11, s9
	s_add_co_i32 s10, s8, 1
	s_cmp_ge_u32 s9, s6
	s_cselect_b32 s14, s10, s8
.LBB54_4:
	s_delay_alu instid0(SALU_CYCLE_1) | instskip(SKIP_1) | instid1(SALU_CYCLE_1)
	s_or_b64 s[8:9], s[14:15], s[4:5]
	s_mov_b32 s8, 0
	s_cmp_lg_u64 s[8:9], 0
	s_cbranch_scc0 .LBB54_19
; %bb.5:
	s_ashr_i32 s10, s5, 31
	s_mov_b32 s23, s8
	s_mov_b32 s11, s10
	;; [unrolled: 1-line block ×3, first 2 shown]
	s_add_nc_u64 s[16:17], s[4:5], s[10:11]
	s_delay_alu instid0(SALU_CYCLE_1) | instskip(NEXT) | instid1(SALU_CYCLE_1)
	s_xor_b64 s[16:17], s[16:17], s[10:11]
	s_cvt_f32_u32 s9, s16
	s_cvt_f32_u32 s13, s17
	s_sub_nc_u64 s[20:21], 0, s[16:17]
	s_wait_alu 0xfffe
	s_delay_alu instid0(SALU_CYCLE_1) | instskip(NEXT) | instid1(SALU_CYCLE_3)
	s_fmamk_f32 s9, s13, 0x4f800000, s9
	v_s_rcp_f32 s9, s9
	s_delay_alu instid0(TRANS32_DEP_1) | instskip(SKIP_1) | instid1(SALU_CYCLE_2)
	s_mul_f32 s9, s9, 0x5f7ffffc
	s_wait_alu 0xfffe
	s_mul_f32 s13, s9, 0x2f800000
	s_wait_alu 0xfffe
	s_delay_alu instid0(SALU_CYCLE_2) | instskip(SKIP_1) | instid1(SALU_CYCLE_2)
	s_trunc_f32 s13, s13
	s_wait_alu 0xfffe
	s_fmamk_f32 s9, s13, 0xcf800000, s9
	s_cvt_u32_f32 s19, s13
	s_wait_alu 0xfffe
	s_delay_alu instid0(SALU_CYCLE_1) | instskip(NEXT) | instid1(SALU_CYCLE_3)
	s_cvt_u32_f32 s18, s9
	s_mul_u64 s[24:25], s[20:21], s[18:19]
	s_delay_alu instid0(SALU_CYCLE_1)
	s_mul_hi_u32 s31, s18, s25
	s_mul_i32 s30, s18, s25
	s_mul_hi_u32 s22, s18, s24
	s_mul_i32 s13, s19, s24
	s_add_nc_u64 s[22:23], s[22:23], s[30:31]
	s_mul_hi_u32 s9, s19, s24
	s_mul_hi_u32 s33, s19, s25
	s_wait_alu 0xfffe
	s_add_co_u32 s13, s22, s13
	s_add_co_ci_u32 s28, s23, s9
	s_mul_i32 s24, s19, s25
	s_add_co_ci_u32 s25, s33, 0
	s_delay_alu instid0(SALU_CYCLE_1)
	s_add_nc_u64 s[22:23], s[28:29], s[24:25]
	s_mov_b32 s25, s8
	s_add_co_u32 s18, s18, s22
	s_cselect_b32 s9, -1, 0
	s_wait_alu 0xfffe
	s_cmp_lg_u32 s9, 0
	s_add_co_ci_u32 s19, s19, s23
	s_mov_b32 s23, s8
	s_mul_u64 s[20:21], s[20:21], s[18:19]
	s_delay_alu instid0(SALU_CYCLE_1)
	s_mul_hi_u32 s29, s18, s21
	s_mul_i32 s28, s18, s21
	s_mul_hi_u32 s22, s18, s20
	s_mul_i32 s13, s19, s20
	s_add_nc_u64 s[22:23], s[22:23], s[28:29]
	s_mul_hi_u32 s9, s19, s20
	s_mul_hi_u32 s30, s19, s21
	s_wait_alu 0xfffe
	s_add_co_u32 s13, s22, s13
	s_add_co_ci_u32 s24, s23, s9
	s_mul_i32 s20, s19, s21
	s_add_co_ci_u32 s21, s30, 0
	s_mov_b32 s23, s8
	s_add_nc_u64 s[20:21], s[24:25], s[20:21]
	s_delay_alu instid0(SALU_CYCLE_1)
	s_add_co_u32 s9, s18, s20
	s_cselect_b32 s13, -1, 0
	s_wait_alu 0xfffe
	s_cmp_lg_u32 s13, 0
	s_add_co_ci_u32 s13, s19, s21
	s_ashr_i32 s18, s15, 31
	s_delay_alu instid0(SALU_CYCLE_1) | instskip(NEXT) | instid1(SALU_CYCLE_1)
	s_mov_b32 s19, s18
	s_add_nc_u64 s[20:21], s[14:15], s[18:19]
	s_delay_alu instid0(SALU_CYCLE_1)
	s_xor_b64 s[20:21], s[20:21], s[18:19]
	s_wait_alu 0xfffe
	s_mul_hi_u32 s29, s20, s13
	s_mul_i32 s28, s20, s13
	s_mul_hi_u32 s22, s20, s9
	s_mul_hi_u32 s24, s21, s9
	s_mul_i32 s9, s21, s9
	s_add_nc_u64 s[22:23], s[22:23], s[28:29]
	s_mul_hi_u32 s30, s21, s13
	s_wait_alu 0xfffe
	s_add_co_u32 s9, s22, s9
	s_add_co_ci_u32 s24, s23, s24
	s_mul_i32 s28, s21, s13
	s_add_co_ci_u32 s29, s30, 0
	s_delay_alu instid0(SALU_CYCLE_1) | instskip(NEXT) | instid1(SALU_CYCLE_1)
	s_add_nc_u64 s[22:23], s[24:25], s[28:29]
	s_mul_u64 s[24:25], s[16:17], s[22:23]
	s_delay_alu instid0(SALU_CYCLE_1)
	s_sub_co_u32 s9, s20, s24
	s_cselect_b32 s13, -1, 0
	s_sub_co_i32 s20, s21, s25
	s_wait_alu 0xfffe
	s_cmp_lg_u32 s13, 0
	s_sub_co_ci_u32 s20, s20, s17
	s_sub_co_u32 s24, s9, s16
	s_cselect_b32 s28, -1, 0
	s_delay_alu instid0(SALU_CYCLE_1) | instskip(SKIP_2) | instid1(SALU_CYCLE_1)
	s_cmp_lg_u32 s28, 0
	s_add_nc_u64 s[28:29], s[22:23], 1
	s_sub_co_ci_u32 s20, s20, 0
	s_cmp_ge_u32 s20, s17
	s_cselect_b32 s30, -1, 0
	s_cmp_ge_u32 s24, s16
	s_cselect_b32 s24, -1, 0
	s_cmp_eq_u32 s20, s17
	s_cselect_b32 s20, s24, s30
	s_add_nc_u64 s[30:31], s[22:23], 2
	s_cmp_lg_u32 s20, 0
	s_cselect_b32 s20, s30, s28
	s_cselect_b32 s24, s31, s29
	s_cmp_lg_u32 s13, 0
	s_sub_co_ci_u32 s13, s21, s25
	s_wait_alu 0xfffe
	s_cmp_ge_u32 s13, s17
	s_cselect_b32 s21, -1, 0
	s_cmp_ge_u32 s9, s16
	s_cselect_b32 s9, -1, 0
	s_cmp_eq_u32 s13, s17
	s_wait_alu 0xfffe
	s_cselect_b32 s9, s9, s21
	s_wait_alu 0xfffe
	s_cmp_lg_u32 s9, 0
	s_cselect_b32 s17, s24, s23
	s_cselect_b32 s16, s20, s22
	s_xor_b64 s[10:11], s[18:19], s[10:11]
	s_delay_alu instid0(SALU_CYCLE_1) | instskip(NEXT) | instid1(SALU_CYCLE_1)
	s_xor_b64 s[16:17], s[16:17], s[10:11]
	s_sub_nc_u64 s[16:17], s[16:17], s[10:11]
	s_load_b128 s[28:31], s[0:1], 0x1d0
	s_and_not1_b32 vcc_lo, exec_lo, s8
	s_cbranch_vccnz .LBB54_7
.LBB54_6:
	v_cvt_f32_u32_e32 v1, s4
	s_sub_co_i32 s9, 0, s4
	s_mov_b32 s17, 0
	s_delay_alu instid0(VALU_DEP_1) | instskip(NEXT) | instid1(TRANS32_DEP_1)
	v_rcp_iflag_f32_e32 v1, v1
	v_mul_f32_e32 v1, 0x4f7ffffe, v1
	s_delay_alu instid0(VALU_DEP_1) | instskip(NEXT) | instid1(VALU_DEP_1)
	v_cvt_u32_f32_e32 v1, v1
	v_readfirstlane_b32 s8, v1
	s_wait_alu 0xfffe
	s_mul_i32 s9, s9, s8
	s_wait_alu 0xfffe
	s_mul_hi_u32 s9, s8, s9
	s_wait_alu 0xfffe
	s_add_co_i32 s8, s8, s9
	s_wait_alu 0xfffe
	s_mul_hi_u32 s8, s14, s8
	s_wait_alu 0xfffe
	s_mul_i32 s9, s8, s4
	s_add_co_i32 s10, s8, 1
	s_wait_alu 0xfffe
	s_sub_co_i32 s9, s14, s9
	s_wait_alu 0xfffe
	s_sub_co_i32 s11, s9, s4
	s_cmp_ge_u32 s9, s4
	s_cselect_b32 s8, s10, s8
	s_cselect_b32 s9, s11, s9
	s_wait_alu 0xfffe
	s_add_co_i32 s10, s8, 1
	s_cmp_ge_u32 s9, s4
	s_cselect_b32 s16, s10, s8
.LBB54_7:
	s_mov_b32 s8, 0
	s_wait_kmcnt 0x0
	s_mov_b32 s9, s31
	s_wait_alu 0xfffe
	s_cmp_lg_u64 s[8:9], 0
	s_cbranch_scc0 .LBB54_20
; %bb.8:
	s_ashr_i32 s10, s31, 31
	s_mov_b32 s25, s8
	s_mov_b32 s11, s10
	;; [unrolled: 1-line block ×3, first 2 shown]
	s_add_nc_u64 s[18:19], s[30:31], s[10:11]
	s_delay_alu instid0(SALU_CYCLE_1) | instskip(NEXT) | instid1(SALU_CYCLE_1)
	s_xor_b64 s[18:19], s[18:19], s[10:11]
	s_cvt_f32_u32 s9, s18
	s_cvt_f32_u32 s13, s19
	s_sub_nc_u64 s[22:23], 0, s[18:19]
	s_wait_alu 0xfffe
	s_delay_alu instid0(SALU_CYCLE_1) | instskip(SKIP_1) | instid1(SALU_CYCLE_2)
	s_fmamk_f32 s9, s13, 0x4f800000, s9
	s_wait_alu 0xfffe
	v_s_rcp_f32 s9, s9
	s_delay_alu instid0(TRANS32_DEP_1) | instskip(SKIP_1) | instid1(SALU_CYCLE_2)
	s_mul_f32 s9, s9, 0x5f7ffffc
	s_wait_alu 0xfffe
	s_mul_f32 s13, s9, 0x2f800000
	s_wait_alu 0xfffe
	s_delay_alu instid0(SALU_CYCLE_2) | instskip(SKIP_1) | instid1(SALU_CYCLE_2)
	s_trunc_f32 s13, s13
	s_wait_alu 0xfffe
	s_fmamk_f32 s9, s13, 0xcf800000, s9
	s_cvt_u32_f32 s21, s13
	s_wait_alu 0xfffe
	s_delay_alu instid0(SALU_CYCLE_1) | instskip(NEXT) | instid1(SALU_CYCLE_3)
	s_cvt_u32_f32 s20, s9
	s_mul_u64 s[34:35], s[22:23], s[20:21]
	s_delay_alu instid0(SALU_CYCLE_1)
	s_mul_hi_u32 s45, s20, s35
	s_mul_i32 s44, s20, s35
	s_mul_hi_u32 s24, s20, s34
	s_mul_i32 s13, s21, s34
	s_add_nc_u64 s[24:25], s[24:25], s[44:45]
	s_mul_hi_u32 s9, s21, s34
	s_mul_hi_u32 s33, s21, s35
	s_wait_alu 0xfffe
	s_add_co_u32 s13, s24, s13
	s_add_co_ci_u32 s40, s25, s9
	s_mul_i32 s34, s21, s35
	s_add_co_ci_u32 s35, s33, 0
	s_wait_alu 0xfffe
	s_add_nc_u64 s[24:25], s[40:41], s[34:35]
	s_mov_b32 s35, s8
	s_add_co_u32 s20, s20, s24
	s_cselect_b32 s9, -1, 0
	s_wait_alu 0xfffe
	s_cmp_lg_u32 s9, 0
	s_add_co_ci_u32 s21, s21, s25
	s_mov_b32 s25, s8
	s_mul_u64 s[22:23], s[22:23], s[20:21]
	s_delay_alu instid0(SALU_CYCLE_1)
	s_mul_hi_u32 s41, s20, s23
	s_mul_i32 s40, s20, s23
	s_mul_hi_u32 s24, s20, s22
	s_mul_i32 s13, s21, s22
	s_wait_alu 0xfffe
	s_add_nc_u64 s[24:25], s[24:25], s[40:41]
	s_mul_hi_u32 s9, s21, s22
	s_mul_hi_u32 s33, s21, s23
	s_add_co_u32 s13, s24, s13
	s_wait_alu 0xfffe
	s_add_co_ci_u32 s34, s25, s9
	s_mul_i32 s22, s21, s23
	s_add_co_ci_u32 s23, s33, 0
	s_mov_b32 s25, s8
	s_add_nc_u64 s[22:23], s[34:35], s[22:23]
	s_delay_alu instid0(SALU_CYCLE_1)
	s_add_co_u32 s9, s20, s22
	s_cselect_b32 s13, -1, 0
	s_wait_alu 0xfffe
	s_cmp_lg_u32 s13, 0
	s_add_co_ci_u32 s13, s21, s23
	s_xor_b64 s[20:21], s[2:3], 0
	s_mov_b32 s23, s8
	s_wait_alu 0xfffe
	s_mul_hi_u32 s35, s20, s13
	s_mul_i32 s34, s20, s13
	s_mul_hi_u32 s24, s20, s9
	s_mul_hi_u32 s22, s21, s9
	s_mul_i32 s9, s21, s9
	s_add_nc_u64 s[24:25], s[24:25], s[34:35]
	s_mul_hi_u32 s33, s21, s13
	s_wait_alu 0xfffe
	s_add_co_u32 s9, s24, s9
	s_add_co_ci_u32 s22, s25, s22
	s_mul_i32 s34, s21, s13
	s_add_co_ci_u32 s35, s33, 0
	s_delay_alu instid0(SALU_CYCLE_1) | instskip(NEXT) | instid1(SALU_CYCLE_1)
	s_add_nc_u64 s[22:23], s[22:23], s[34:35]
	s_mul_u64 s[24:25], s[18:19], s[22:23]
	s_add_nc_u64 s[34:35], s[22:23], 1
	s_sub_co_u32 s9, s20, s24
	s_cselect_b32 s13, -1, 0
	s_sub_co_i32 s20, s21, s25
	s_wait_alu 0xfffe
	s_cmp_lg_u32 s13, 0
	s_add_nc_u64 s[40:41], s[22:23], 2
	s_sub_co_ci_u32 s20, s20, s19
	s_sub_co_u32 s24, s9, s18
	s_cselect_b32 s33, -1, 0
	s_delay_alu instid0(SALU_CYCLE_1) | instskip(SKIP_1) | instid1(SALU_CYCLE_1)
	s_cmp_lg_u32 s33, 0
	s_sub_co_ci_u32 s20, s20, 0
	s_cmp_ge_u32 s20, s19
	s_cselect_b32 s33, -1, 0
	s_cmp_ge_u32 s24, s18
	s_cselect_b32 s24, -1, 0
	s_cmp_eq_u32 s20, s19
	s_cselect_b32 s20, s24, s33
	s_delay_alu instid0(SALU_CYCLE_1)
	s_cmp_lg_u32 s20, 0
	s_wait_alu 0xfffe
	s_cselect_b32 s20, s40, s34
	s_cselect_b32 s24, s41, s35
	s_cmp_lg_u32 s13, 0
	s_sub_co_ci_u32 s13, s21, s25
	s_wait_alu 0xfffe
	s_cmp_ge_u32 s13, s19
	s_cselect_b32 s21, -1, 0
	s_cmp_ge_u32 s9, s18
	s_cselect_b32 s9, -1, 0
	s_cmp_eq_u32 s13, s19
	s_wait_alu 0xfffe
	s_cselect_b32 s9, s9, s21
	s_wait_alu 0xfffe
	s_cmp_lg_u32 s9, 0
	s_cselect_b32 s19, s24, s23
	s_cselect_b32 s18, s20, s22
	s_xor_b64 s[10:11], 0, s[10:11]
	s_delay_alu instid0(SALU_CYCLE_1) | instskip(NEXT) | instid1(SALU_CYCLE_1)
	s_xor_b64 s[18:19], s[18:19], s[10:11]
	s_sub_nc_u64 s[34:35], s[18:19], s[10:11]
	s_and_not1_b32 vcc_lo, exec_lo, s8
	s_cbranch_vccnz .LBB54_10
.LBB54_9:
	v_cvt_f32_u32_e32 v1, s30
	s_sub_co_i32 s9, 0, s30
	s_mov_b32 s35, 0
	s_delay_alu instid0(VALU_DEP_1) | instskip(NEXT) | instid1(TRANS32_DEP_1)
	v_rcp_iflag_f32_e32 v1, v1
	v_mul_f32_e32 v1, 0x4f7ffffe, v1
	s_delay_alu instid0(VALU_DEP_1) | instskip(NEXT) | instid1(VALU_DEP_1)
	v_cvt_u32_f32_e32 v1, v1
	v_readfirstlane_b32 s8, v1
	s_wait_alu 0xfffe
	s_mul_i32 s9, s9, s8
	s_wait_alu 0xfffe
	s_mul_hi_u32 s9, s8, s9
	s_wait_alu 0xfffe
	s_add_co_i32 s8, s8, s9
	s_wait_alu 0xfffe
	s_mul_hi_u32 s8, s26, s8
	s_wait_alu 0xfffe
	s_mul_i32 s9, s8, s30
	s_add_co_i32 s10, s8, 1
	s_wait_alu 0xfffe
	s_sub_co_i32 s9, s26, s9
	s_wait_alu 0xfffe
	s_sub_co_i32 s11, s9, s30
	s_cmp_ge_u32 s9, s30
	s_cselect_b32 s8, s10, s8
	s_cselect_b32 s9, s11, s9
	s_wait_alu 0xfffe
	s_add_co_i32 s10, s8, 1
	s_cmp_ge_u32 s9, s30
	s_cselect_b32 s34, s10, s8
.LBB54_10:
	s_delay_alu instid0(SALU_CYCLE_1)
	s_or_b64 s[8:9], s[34:35], s[28:29]
	s_mov_b32 s8, 0
	s_wait_alu 0xfffe
	s_cmp_lg_u64 s[8:9], 0
	s_cbranch_scc0 .LBB54_21
; %bb.11:
	s_ashr_i32 s10, s29, 31
	s_mov_b32 s25, s8
	s_mov_b32 s11, s10
	;; [unrolled: 1-line block ×3, first 2 shown]
	s_add_nc_u64 s[18:19], s[28:29], s[10:11]
	s_delay_alu instid0(SALU_CYCLE_1) | instskip(NEXT) | instid1(SALU_CYCLE_1)
	s_xor_b64 s[18:19], s[18:19], s[10:11]
	s_cvt_f32_u32 s9, s18
	s_cvt_f32_u32 s13, s19
	s_sub_nc_u64 s[22:23], 0, s[18:19]
	s_wait_alu 0xfffe
	s_delay_alu instid0(SALU_CYCLE_1) | instskip(SKIP_1) | instid1(SALU_CYCLE_2)
	s_fmamk_f32 s9, s13, 0x4f800000, s9
	s_wait_alu 0xfffe
	v_s_rcp_f32 s9, s9
	s_delay_alu instid0(TRANS32_DEP_1) | instskip(SKIP_1) | instid1(SALU_CYCLE_2)
	s_mul_f32 s9, s9, 0x5f7ffffc
	s_wait_alu 0xfffe
	s_mul_f32 s13, s9, 0x2f800000
	s_wait_alu 0xfffe
	s_delay_alu instid0(SALU_CYCLE_2) | instskip(SKIP_1) | instid1(SALU_CYCLE_2)
	s_trunc_f32 s13, s13
	s_wait_alu 0xfffe
	s_fmamk_f32 s9, s13, 0xcf800000, s9
	s_cvt_u32_f32 s21, s13
	s_wait_alu 0xfffe
	s_delay_alu instid0(SALU_CYCLE_1) | instskip(NEXT) | instid1(SALU_CYCLE_3)
	s_cvt_u32_f32 s20, s9
	s_mul_u64 s[40:41], s[22:23], s[20:21]
	s_wait_alu 0xfffe
	s_mul_hi_u32 s47, s20, s41
	s_mul_i32 s46, s20, s41
	s_mul_hi_u32 s24, s20, s40
	s_mul_i32 s13, s21, s40
	s_add_nc_u64 s[24:25], s[24:25], s[46:47]
	s_mul_hi_u32 s9, s21, s40
	s_mul_hi_u32 s33, s21, s41
	s_wait_alu 0xfffe
	s_add_co_u32 s13, s24, s13
	s_add_co_ci_u32 s44, s25, s9
	s_mul_i32 s40, s21, s41
	s_add_co_ci_u32 s41, s33, 0
	s_wait_alu 0xfffe
	s_add_nc_u64 s[24:25], s[44:45], s[40:41]
	s_mov_b32 s41, s8
	s_add_co_u32 s20, s20, s24
	s_cselect_b32 s9, -1, 0
	s_wait_alu 0xfffe
	s_cmp_lg_u32 s9, 0
	s_add_co_ci_u32 s21, s21, s25
	s_mov_b32 s25, s8
	s_mul_u64 s[22:23], s[22:23], s[20:21]
	s_delay_alu instid0(SALU_CYCLE_1)
	s_mul_hi_u32 s45, s20, s23
	s_mul_i32 s44, s20, s23
	s_mul_hi_u32 s24, s20, s22
	s_mul_i32 s13, s21, s22
	s_add_nc_u64 s[24:25], s[24:25], s[44:45]
	s_mul_hi_u32 s9, s21, s22
	s_mul_hi_u32 s33, s21, s23
	s_wait_alu 0xfffe
	s_add_co_u32 s13, s24, s13
	s_add_co_ci_u32 s40, s25, s9
	s_mul_i32 s22, s21, s23
	s_add_co_ci_u32 s23, s33, 0
	s_mov_b32 s25, s8
	s_wait_alu 0xfffe
	s_add_nc_u64 s[22:23], s[40:41], s[22:23]
	s_delay_alu instid0(SALU_CYCLE_1)
	s_add_co_u32 s9, s20, s22
	s_cselect_b32 s13, -1, 0
	s_wait_alu 0xfffe
	s_cmp_lg_u32 s13, 0
	s_add_co_ci_u32 s13, s21, s23
	s_ashr_i32 s20, s35, 31
	s_delay_alu instid0(SALU_CYCLE_1) | instskip(NEXT) | instid1(SALU_CYCLE_1)
	s_mov_b32 s21, s20
	s_add_nc_u64 s[22:23], s[34:35], s[20:21]
	s_delay_alu instid0(SALU_CYCLE_1)
	s_xor_b64 s[22:23], s[22:23], s[20:21]
	s_wait_alu 0xfffe
	s_mul_hi_u32 s45, s22, s13
	s_mul_i32 s44, s22, s13
	s_mul_hi_u32 s24, s22, s9
	s_mul_hi_u32 s40, s23, s9
	s_mul_i32 s9, s23, s9
	s_add_nc_u64 s[24:25], s[24:25], s[44:45]
	s_mul_hi_u32 s33, s23, s13
	s_wait_alu 0xfffe
	s_add_co_u32 s9, s24, s9
	s_add_co_ci_u32 s40, s25, s40
	s_mul_i32 s44, s23, s13
	s_add_co_ci_u32 s45, s33, 0
	s_wait_alu 0xfffe
	s_add_nc_u64 s[24:25], s[40:41], s[44:45]
	s_delay_alu instid0(SALU_CYCLE_1)
	s_mul_u64 s[40:41], s[18:19], s[24:25]
	s_add_nc_u64 s[44:45], s[24:25], 1
	s_wait_alu 0xfffe
	s_sub_co_u32 s9, s22, s40
	s_cselect_b32 s13, -1, 0
	s_sub_co_i32 s22, s23, s41
	s_wait_alu 0xfffe
	s_cmp_lg_u32 s13, 0
	s_add_nc_u64 s[46:47], s[24:25], 2
	s_sub_co_ci_u32 s22, s22, s19
	s_sub_co_u32 s33, s9, s18
	s_cselect_b32 s40, -1, 0
	s_wait_alu 0xfffe
	s_cmp_lg_u32 s40, 0
	s_sub_co_ci_u32 s22, s22, 0
	s_delay_alu instid0(SALU_CYCLE_1)
	s_cmp_ge_u32 s22, s19
	s_cselect_b32 s40, -1, 0
	s_cmp_ge_u32 s33, s18
	s_cselect_b32 s33, -1, 0
	s_cmp_eq_u32 s22, s19
	s_wait_alu 0xfffe
	s_cselect_b32 s22, s33, s40
	s_delay_alu instid0(SALU_CYCLE_1)
	s_cmp_lg_u32 s22, 0
	s_cselect_b32 s22, s46, s44
	s_cselect_b32 s33, s47, s45
	s_cmp_lg_u32 s13, 0
	s_sub_co_ci_u32 s13, s23, s41
	s_wait_alu 0xfffe
	s_cmp_ge_u32 s13, s19
	s_cselect_b32 s23, -1, 0
	s_cmp_ge_u32 s9, s18
	s_cselect_b32 s9, -1, 0
	s_cmp_eq_u32 s13, s19
	s_wait_alu 0xfffe
	s_cselect_b32 s9, s9, s23
	s_wait_alu 0xfffe
	s_cmp_lg_u32 s9, 0
	s_cselect_b32 s19, s33, s25
	s_cselect_b32 s18, s22, s24
	s_xor_b64 s[10:11], s[20:21], s[10:11]
	s_delay_alu instid0(SALU_CYCLE_1) | instskip(NEXT) | instid1(SALU_CYCLE_1)
	s_xor_b64 s[18:19], s[18:19], s[10:11]
	s_sub_nc_u64 s[40:41], s[18:19], s[10:11]
	s_load_b128 s[44:47], s[0:1], 0x370
	s_and_not1_b32 vcc_lo, exec_lo, s8
	s_cbranch_vccnz .LBB54_13
.LBB54_12:
	v_cvt_f32_u32_e32 v1, s28
	s_sub_co_i32 s9, 0, s28
	s_mov_b32 s41, 0
	s_delay_alu instid0(VALU_DEP_1) | instskip(NEXT) | instid1(TRANS32_DEP_1)
	v_rcp_iflag_f32_e32 v1, v1
	v_mul_f32_e32 v1, 0x4f7ffffe, v1
	s_delay_alu instid0(VALU_DEP_1) | instskip(NEXT) | instid1(VALU_DEP_1)
	v_cvt_u32_f32_e32 v1, v1
	v_readfirstlane_b32 s8, v1
	s_wait_alu 0xfffe
	s_mul_i32 s9, s9, s8
	s_wait_alu 0xfffe
	s_mul_hi_u32 s9, s8, s9
	s_wait_alu 0xfffe
	s_add_co_i32 s8, s8, s9
	s_wait_alu 0xfffe
	s_mul_hi_u32 s8, s34, s8
	s_wait_alu 0xfffe
	s_mul_i32 s9, s8, s28
	s_add_co_i32 s10, s8, 1
	s_wait_alu 0xfffe
	s_sub_co_i32 s9, s34, s9
	s_wait_alu 0xfffe
	s_sub_co_i32 s11, s9, s28
	s_cmp_ge_u32 s9, s28
	s_cselect_b32 s8, s10, s8
	s_cselect_b32 s9, s11, s9
	s_wait_alu 0xfffe
	s_add_co_i32 s10, s8, 1
	s_cmp_ge_u32 s9, s28
	s_cselect_b32 s40, s10, s8
.LBB54_13:
	s_mov_b32 s8, 0
	s_wait_kmcnt 0x0
	s_mov_b32 s9, s47
	s_wait_alu 0xfffe
	s_cmp_lg_u64 s[8:9], 0
	s_cbranch_scc0 .LBB54_22
; %bb.14:
	s_ashr_i32 s10, s47, 31
	s_mov_b32 s25, s8
	s_mov_b32 s11, s10
	;; [unrolled: 1-line block ×3, first 2 shown]
	s_add_nc_u64 s[18:19], s[46:47], s[10:11]
	s_delay_alu instid0(SALU_CYCLE_1) | instskip(NEXT) | instid1(SALU_CYCLE_1)
	s_xor_b64 s[18:19], s[18:19], s[10:11]
	s_cvt_f32_u32 s9, s18
	s_cvt_f32_u32 s13, s19
	s_sub_nc_u64 s[22:23], 0, s[18:19]
	s_wait_alu 0xfffe
	s_delay_alu instid0(SALU_CYCLE_1) | instskip(SKIP_1) | instid1(SALU_CYCLE_2)
	s_fmamk_f32 s9, s13, 0x4f800000, s9
	s_wait_alu 0xfffe
	v_s_rcp_f32 s9, s9
	s_delay_alu instid0(TRANS32_DEP_1) | instskip(SKIP_1) | instid1(SALU_CYCLE_2)
	s_mul_f32 s9, s9, 0x5f7ffffc
	s_wait_alu 0xfffe
	s_mul_f32 s13, s9, 0x2f800000
	s_wait_alu 0xfffe
	s_delay_alu instid0(SALU_CYCLE_2) | instskip(SKIP_1) | instid1(SALU_CYCLE_2)
	s_trunc_f32 s13, s13
	s_wait_alu 0xfffe
	s_fmamk_f32 s9, s13, 0xcf800000, s9
	s_cvt_u32_f32 s21, s13
	s_wait_alu 0xfffe
	s_delay_alu instid0(SALU_CYCLE_1) | instskip(NEXT) | instid1(SALU_CYCLE_3)
	s_cvt_u32_f32 s20, s9
	s_mul_u64 s[48:49], s[22:23], s[20:21]
	s_delay_alu instid0(SALU_CYCLE_1)
	s_mul_hi_u32 s53, s20, s49
	s_mul_i32 s52, s20, s49
	s_mul_hi_u32 s24, s20, s48
	s_mul_i32 s13, s21, s48
	s_add_nc_u64 s[24:25], s[24:25], s[52:53]
	s_mul_hi_u32 s9, s21, s48
	s_mul_hi_u32 s33, s21, s49
	s_wait_alu 0xfffe
	s_add_co_u32 s13, s24, s13
	s_add_co_ci_u32 s50, s25, s9
	s_mul_i32 s48, s21, s49
	s_add_co_ci_u32 s49, s33, 0
	s_delay_alu instid0(SALU_CYCLE_1)
	s_add_nc_u64 s[24:25], s[50:51], s[48:49]
	s_mov_b32 s49, s8
	s_add_co_u32 s20, s20, s24
	s_cselect_b32 s9, -1, 0
	s_wait_alu 0xfffe
	s_cmp_lg_u32 s9, 0
	s_add_co_ci_u32 s21, s21, s25
	s_mov_b32 s25, s8
	s_mul_u64 s[22:23], s[22:23], s[20:21]
	s_delay_alu instid0(SALU_CYCLE_1)
	s_mul_hi_u32 s51, s20, s23
	s_mul_i32 s50, s20, s23
	s_mul_hi_u32 s24, s20, s22
	s_mul_i32 s13, s21, s22
	s_add_nc_u64 s[24:25], s[24:25], s[50:51]
	s_mul_hi_u32 s9, s21, s22
	s_mul_hi_u32 s33, s21, s23
	s_wait_alu 0xfffe
	s_add_co_u32 s13, s24, s13
	s_add_co_ci_u32 s48, s25, s9
	s_mul_i32 s22, s21, s23
	s_add_co_ci_u32 s23, s33, 0
	s_mov_b32 s25, s8
	s_add_nc_u64 s[22:23], s[48:49], s[22:23]
	s_delay_alu instid0(SALU_CYCLE_1)
	s_add_co_u32 s9, s20, s22
	s_cselect_b32 s13, -1, 0
	s_wait_alu 0xfffe
	s_cmp_lg_u32 s13, 0
	s_add_co_ci_u32 s13, s21, s23
	s_xor_b64 s[2:3], s[2:3], 0
	s_mov_b32 s21, s8
	s_wait_alu 0xfffe
	s_mul_hi_u32 s23, s2, s13
	s_mul_i32 s22, s2, s13
	s_mul_hi_u32 s24, s2, s9
	s_mul_hi_u32 s20, s3, s9
	s_mul_i32 s9, s3, s9
	s_add_nc_u64 s[22:23], s[24:25], s[22:23]
	s_mul_hi_u32 s33, s3, s13
	s_wait_alu 0xfffe
	s_add_co_u32 s9, s22, s9
	s_add_co_ci_u32 s20, s23, s20
	s_mul_i32 s24, s3, s13
	s_add_co_ci_u32 s25, s33, 0
	s_delay_alu instid0(SALU_CYCLE_1) | instskip(NEXT) | instid1(SALU_CYCLE_1)
	s_add_nc_u64 s[20:21], s[20:21], s[24:25]
	s_mul_u64 s[22:23], s[18:19], s[20:21]
	s_add_nc_u64 s[48:49], s[20:21], 2
	s_sub_co_u32 s2, s2, s22
	s_cselect_b32 s9, -1, 0
	s_sub_co_i32 s13, s3, s23
	s_wait_alu 0xfffe
	s_cmp_lg_u32 s9, 0
	s_sub_co_ci_u32 s13, s13, s19
	s_sub_co_u32 s22, s2, s18
	s_cselect_b32 s24, -1, 0
	s_delay_alu instid0(SALU_CYCLE_1)
	s_cmp_lg_u32 s24, 0
	s_add_nc_u64 s[24:25], s[20:21], 1
	s_wait_alu 0xfffe
	s_sub_co_ci_u32 s13, s13, 0
	s_wait_alu 0xfffe
	s_cmp_ge_u32 s13, s19
	s_cselect_b32 s33, -1, 0
	s_cmp_ge_u32 s22, s18
	s_cselect_b32 s22, -1, 0
	s_cmp_eq_u32 s13, s19
	s_cselect_b32 s13, s22, s33
	s_wait_alu 0xfffe
	s_cmp_lg_u32 s13, 0
	s_cselect_b32 s13, s48, s24
	s_cselect_b32 s22, s49, s25
	s_cmp_lg_u32 s9, 0
	s_sub_co_ci_u32 s3, s3, s23
	s_delay_alu instid0(SALU_CYCLE_1)
	s_cmp_ge_u32 s3, s19
	s_cselect_b32 s9, -1, 0
	s_cmp_ge_u32 s2, s18
	s_cselect_b32 s2, -1, 0
	s_cmp_eq_u32 s3, s19
	s_wait_alu 0xfffe
	s_cselect_b32 s2, s2, s9
	s_delay_alu instid0(SALU_CYCLE_1) | instskip(SKIP_3) | instid1(SALU_CYCLE_1)
	s_cmp_lg_u32 s2, 0
	s_cselect_b32 s3, s22, s21
	s_cselect_b32 s2, s13, s20
	s_xor_b64 s[10:11], 0, s[10:11]
	s_xor_b64 s[2:3], s[2:3], s[10:11]
	s_delay_alu instid0(SALU_CYCLE_1)
	s_sub_nc_u64 s[56:57], s[2:3], s[10:11]
	s_and_not1_b32 vcc_lo, exec_lo, s8
	s_cbranch_vccnz .LBB54_16
.LBB54_15:
	v_cvt_f32_u32_e32 v1, s46
	s_sub_co_i32 s3, 0, s46
	s_mov_b32 s57, 0
	s_delay_alu instid0(VALU_DEP_1) | instskip(NEXT) | instid1(TRANS32_DEP_1)
	v_rcp_iflag_f32_e32 v1, v1
	v_mul_f32_e32 v1, 0x4f7ffffe, v1
	s_delay_alu instid0(VALU_DEP_1) | instskip(NEXT) | instid1(VALU_DEP_1)
	v_cvt_u32_f32_e32 v1, v1
	v_readfirstlane_b32 s2, v1
	s_mul_i32 s3, s3, s2
	s_delay_alu instid0(SALU_CYCLE_1) | instskip(NEXT) | instid1(SALU_CYCLE_1)
	s_mul_hi_u32 s3, s2, s3
	s_add_co_i32 s2, s2, s3
	s_delay_alu instid0(SALU_CYCLE_1) | instskip(NEXT) | instid1(SALU_CYCLE_1)
	s_mul_hi_u32 s2, s26, s2
	s_mul_i32 s3, s2, s46
	s_add_co_i32 s8, s2, 1
	s_sub_co_i32 s3, s26, s3
	s_delay_alu instid0(SALU_CYCLE_1)
	s_sub_co_i32 s9, s3, s46
	s_cmp_ge_u32 s3, s46
	s_wait_alu 0xfffe
	s_cselect_b32 s2, s8, s2
	s_cselect_b32 s3, s9, s3
	s_add_co_i32 s8, s2, 1
	s_cmp_ge_u32 s3, s46
	s_wait_alu 0xfffe
	s_cselect_b32 s56, s8, s2
.LBB54_16:
	s_clause 0x1
	s_load_b64 s[18:19], s[0:1], 0xe0
	s_load_b128 s[8:11], s[0:1], 0xd0
	s_or_b64 s[2:3], s[56:57], s[44:45]
	s_mov_b32 s2, 0
	s_delay_alu instid0(SALU_CYCLE_1)
	s_cmp_lg_u64 s[2:3], 0
	s_cbranch_scc0 .LBB54_23
; %bb.17:
	s_ashr_i32 s20, s45, 31
	s_mov_b32 s51, s2
	s_mov_b32 s21, s20
	;; [unrolled: 1-line block ×3, first 2 shown]
	s_add_nc_u64 s[22:23], s[44:45], s[20:21]
	s_delay_alu instid0(SALU_CYCLE_1) | instskip(NEXT) | instid1(SALU_CYCLE_1)
	s_xor_b64 s[22:23], s[22:23], s[20:21]
	s_cvt_f32_u32 s3, s22
	s_cvt_f32_u32 s13, s23
	s_sub_nc_u64 s[48:49], 0, s[22:23]
	s_wait_alu 0xfffe
	s_delay_alu instid0(SALU_CYCLE_1) | instskip(NEXT) | instid1(SALU_CYCLE_3)
	s_fmamk_f32 s3, s13, 0x4f800000, s3
	v_s_rcp_f32 s3, s3
	s_delay_alu instid0(TRANS32_DEP_1) | instskip(SKIP_1) | instid1(SALU_CYCLE_2)
	s_mul_f32 s3, s3, 0x5f7ffffc
	s_wait_alu 0xfffe
	s_mul_f32 s13, s3, 0x2f800000
	s_wait_alu 0xfffe
	s_delay_alu instid0(SALU_CYCLE_2) | instskip(SKIP_1) | instid1(SALU_CYCLE_2)
	s_trunc_f32 s13, s13
	s_wait_alu 0xfffe
	s_fmamk_f32 s3, s13, 0xcf800000, s3
	s_cvt_u32_f32 s25, s13
	s_wait_alu 0xfffe
	s_delay_alu instid0(SALU_CYCLE_1) | instskip(NEXT) | instid1(SALU_CYCLE_3)
	s_cvt_u32_f32 s24, s3
	s_mul_u64 s[52:53], s[48:49], s[24:25]
	s_delay_alu instid0(SALU_CYCLE_1)
	s_mul_hi_u32 s59, s24, s53
	s_mul_i32 s58, s24, s53
	s_mul_hi_u32 s50, s24, s52
	s_mul_i32 s13, s25, s52
	s_add_nc_u64 s[50:51], s[50:51], s[58:59]
	s_mul_hi_u32 s3, s25, s52
	s_mul_hi_u32 s33, s25, s53
	s_wait_alu 0xfffe
	s_add_co_u32 s13, s50, s13
	s_add_co_ci_u32 s54, s51, s3
	s_mul_i32 s52, s25, s53
	s_add_co_ci_u32 s53, s33, 0
	s_delay_alu instid0(SALU_CYCLE_1)
	s_add_nc_u64 s[50:51], s[54:55], s[52:53]
	s_mov_b32 s53, s2
	s_add_co_u32 s24, s24, s50
	s_cselect_b32 s3, -1, 0
	s_wait_alu 0xfffe
	s_cmp_lg_u32 s3, 0
	s_add_co_ci_u32 s25, s25, s51
	s_mov_b32 s51, s2
	s_mul_u64 s[48:49], s[48:49], s[24:25]
	s_delay_alu instid0(SALU_CYCLE_1)
	s_mul_hi_u32 s55, s24, s49
	s_mul_i32 s54, s24, s49
	s_mul_hi_u32 s50, s24, s48
	s_mul_i32 s13, s25, s48
	s_add_nc_u64 s[50:51], s[50:51], s[54:55]
	s_mul_hi_u32 s3, s25, s48
	s_mul_hi_u32 s33, s25, s49
	s_wait_alu 0xfffe
	s_add_co_u32 s13, s50, s13
	s_add_co_ci_u32 s52, s51, s3
	s_mul_i32 s48, s25, s49
	s_add_co_ci_u32 s49, s33, 0
	s_mov_b32 s51, s2
	s_add_nc_u64 s[48:49], s[52:53], s[48:49]
	s_delay_alu instid0(SALU_CYCLE_1)
	s_add_co_u32 s3, s24, s48
	s_cselect_b32 s13, -1, 0
	s_wait_alu 0xfffe
	s_cmp_lg_u32 s13, 0
	s_add_co_ci_u32 s13, s25, s49
	s_ashr_i32 s24, s57, 31
	s_delay_alu instid0(SALU_CYCLE_1) | instskip(NEXT) | instid1(SALU_CYCLE_1)
	s_mov_b32 s25, s24
	s_add_nc_u64 s[48:49], s[56:57], s[24:25]
	s_delay_alu instid0(SALU_CYCLE_1)
	s_xor_b64 s[48:49], s[48:49], s[24:25]
	s_wait_alu 0xfffe
	s_mul_hi_u32 s55, s48, s13
	s_mul_i32 s54, s48, s13
	s_mul_hi_u32 s50, s48, s3
	s_mul_hi_u32 s52, s49, s3
	s_mul_i32 s3, s49, s3
	s_add_nc_u64 s[50:51], s[50:51], s[54:55]
	s_mul_hi_u32 s33, s49, s13
	s_wait_alu 0xfffe
	s_add_co_u32 s3, s50, s3
	s_add_co_ci_u32 s52, s51, s52
	s_mul_i32 s54, s49, s13
	s_add_co_ci_u32 s55, s33, 0
	s_delay_alu instid0(SALU_CYCLE_1) | instskip(NEXT) | instid1(SALU_CYCLE_1)
	s_add_nc_u64 s[50:51], s[52:53], s[54:55]
	s_mul_u64 s[52:53], s[22:23], s[50:51]
	s_add_nc_u64 s[54:55], s[50:51], 1
	s_sub_co_u32 s3, s48, s52
	s_cselect_b32 s13, -1, 0
	s_sub_co_i32 s33, s49, s53
	s_wait_alu 0xfffe
	s_cmp_lg_u32 s13, 0
	s_add_nc_u64 s[58:59], s[50:51], 2
	s_sub_co_ci_u32 s33, s33, s23
	s_sub_co_u32 s48, s3, s22
	s_cselect_b32 s52, -1, 0
	s_delay_alu instid0(SALU_CYCLE_1) | instskip(SKIP_1) | instid1(SALU_CYCLE_1)
	s_cmp_lg_u32 s52, 0
	s_sub_co_ci_u32 s33, s33, 0
	s_cmp_ge_u32 s33, s23
	s_cselect_b32 s52, -1, 0
	s_cmp_ge_u32 s48, s22
	s_cselect_b32 s48, -1, 0
	s_cmp_eq_u32 s33, s23
	s_cselect_b32 s33, s48, s52
	s_delay_alu instid0(SALU_CYCLE_1)
	s_cmp_lg_u32 s33, 0
	s_cselect_b32 s33, s58, s54
	s_cselect_b32 s48, s59, s55
	s_cmp_lg_u32 s13, 0
	s_sub_co_ci_u32 s13, s49, s53
	s_wait_alu 0xfffe
	s_cmp_ge_u32 s13, s23
	s_cselect_b32 s49, -1, 0
	s_cmp_ge_u32 s3, s22
	s_cselect_b32 s3, -1, 0
	s_cmp_eq_u32 s13, s23
	s_wait_alu 0xfffe
	s_cselect_b32 s3, s3, s49
	s_wait_alu 0xfffe
	s_cmp_lg_u32 s3, 0
	s_cselect_b32 s23, s48, s51
	s_cselect_b32 s22, s33, s50
	s_xor_b64 s[20:21], s[24:25], s[20:21]
	s_delay_alu instid0(SALU_CYCLE_1) | instskip(NEXT) | instid1(SALU_CYCLE_1)
	s_xor_b64 s[22:23], s[22:23], s[20:21]
	s_sub_nc_u64 s[62:63], s[22:23], s[20:21]
	s_branch .LBB54_24
.LBB54_18:
                                        ; implicit-def: $sgpr14_sgpr15
	s_branch .LBB54_3
.LBB54_19:
                                        ; implicit-def: $sgpr16_sgpr17
	s_load_b128 s[28:31], s[0:1], 0x1d0
	s_branch .LBB54_6
.LBB54_20:
                                        ; implicit-def: $sgpr34_sgpr35
	s_branch .LBB54_9
.LBB54_21:
                                        ; implicit-def: $sgpr40_sgpr41
	s_load_b128 s[44:47], s[0:1], 0x370
	s_branch .LBB54_12
.LBB54_22:
                                        ; implicit-def: $sgpr56_sgpr57
	s_branch .LBB54_15
.LBB54_23:
	s_mov_b32 s2, -1
                                        ; implicit-def: $sgpr62_sgpr63
.LBB54_24:
	s_load_b64 s[20:21], s[0:1], 0x440
                                        ; implicit-def: $vgpr53 : SGPR spill to VGPR lane
	s_and_not1_b32 vcc_lo, exec_lo, s2
	s_load_b128 s[52:55], s[0:1], 0x290
	s_wait_kmcnt 0x0
	v_writelane_b32 v53, s20, 0
	v_writelane_b32 v53, s21, 1
	s_load_b128 s[20:23], s[0:1], 0x430
	s_wait_kmcnt 0x0
	v_writelane_b32 v53, s20, 2
	v_writelane_b32 v53, s21, 3
	;; [unrolled: 1-line block ×4, first 2 shown]
	s_load_b64 s[20:21], s[0:1], 0x2a0
	s_wait_kmcnt 0x0
	v_writelane_b32 v53, s20, 6
	v_writelane_b32 v53, s21, 7
	s_cbranch_vccnz .LBB54_26
; %bb.25:
	v_cvt_f32_u32_e32 v1, s44
	s_sub_co_i32 s3, 0, s44
	s_mov_b32 s63, 0
	s_delay_alu instid0(VALU_DEP_1) | instskip(NEXT) | instid1(TRANS32_DEP_1)
	v_rcp_iflag_f32_e32 v1, v1
	v_mul_f32_e32 v1, 0x4f7ffffe, v1
	s_delay_alu instid0(VALU_DEP_1) | instskip(NEXT) | instid1(VALU_DEP_1)
	v_cvt_u32_f32_e32 v1, v1
	v_readfirstlane_b32 s2, v1
	s_wait_alu 0xfffe
	s_mul_i32 s3, s3, s2
	s_wait_alu 0xfffe
	s_mul_hi_u32 s3, s2, s3
	s_wait_alu 0xfffe
	s_add_co_i32 s2, s2, s3
	s_wait_alu 0xfffe
	s_mul_hi_u32 s2, s56, s2
	s_wait_alu 0xfffe
	s_mul_i32 s3, s2, s44
	s_add_co_i32 s13, s2, 1
	s_wait_alu 0xfffe
	s_sub_co_i32 s3, s56, s3
	s_wait_alu 0xfffe
	s_sub_co_i32 s20, s3, s44
	s_cmp_ge_u32 s3, s44
	s_cselect_b32 s2, s13, s2
	s_wait_alu 0xfffe
	s_cselect_b32 s3, s20, s3
	s_add_co_i32 s13, s2, 1
	s_wait_alu 0xfffe
	s_cmp_ge_u32 s3, s44
	s_cselect_b32 s62, s13, s2
.LBB54_26:
	s_load_b64 s[22:23], s[0:1], 0x0
	v_cmp_eq_u32_e64 s2, 0, v0
	s_add_nc_u64 s[20:21], s[0:1], 0x500
	s_mov_b32 s25, 0
	s_and_saveexec_b32 s3, s2
	s_cbranch_execz .LBB54_28
; %bb.27:
	v_dual_mov_b32 v1, 0 :: v_dual_mov_b32 v4, s37
	s_delay_alu instid0(VALU_DEP_1)
	v_dual_mov_b32 v3, s36 :: v_dual_mov_b32 v2, v1
	ds_store_b32 v1, v1 offset:5136
	ds_store_b128 v1, v[1:4] offset:5120
.LBB54_28:
	s_wait_alu 0xfffe
	s_or_b32 exec_lo, exec_lo, s3
	s_mul_u64 s[4:5], s[16:17], s[4:5]
	s_mul_u64 s[8:9], s[16:17], s[8:9]
	s_wait_alu 0xfffe
	s_sub_nc_u64 s[4:5], s[14:15], s[4:5]
	s_mul_u64 s[14:15], s[14:15], s[6:7]
	s_wait_alu 0xfffe
	s_mul_u64 s[4:5], s[4:5], s[10:11]
	s_lshl_b64 s[6:7], s[8:9], 2
	s_sub_nc_u64 s[10:11], s[26:27], s[14:15]
	s_wait_kmcnt 0x0
	s_wait_alu 0xfffe
	s_add_nc_u64 s[14:15], s[22:23], s[6:7]
	s_lshl_b64 s[8:9], s[4:5], 2
	s_mul_u64 s[4:5], s[10:11], s[18:19]
	s_wait_alu 0xfffe
	s_add_nc_u64 s[10:11], s[14:15], s[8:9]
	s_lshl_b64 s[14:15], s[4:5], 2
	s_clause 0x1
	s_load_b64 s[4:5], s[0:1], 0x360
	s_load_b64 s[0:1], s[0:1], 0x1c0
	s_wait_dscnt 0x0
	s_barrier_signal -1
	s_barrier_wait -1
	global_inv scope:SCOPE_SE
	v_dual_mov_b32 v46, 0 :: v_dual_lshlrev_b32 v37, 4, v0
	v_mbcnt_lo_u32_b32 v34, -1, 0
	v_mad_co_u64_u32 v[2:3], null, s42, v0, 0
	s_delay_alu instid0(VALU_DEP_3) | instskip(SKIP_1) | instid1(VALU_DEP_4)
	v_or_b32_e32 v9, 12, v37
	v_or_b32_e32 v11, 8, v37
	v_lshlrev_b64_e64 v[6:7], v34, -1
	v_or_b32_e32 v12, 4, v37
	v_cmp_gt_u32_e32 vcc_lo, 32, v0
	v_mad_co_u64_u32 v[18:19], null, s42, v9, 0
	v_mad_co_u64_u32 v[20:21], null, s42, v11, 0
	s_wait_kmcnt 0x0
	v_writelane_b32 v53, s4, 8
	v_dual_mov_b32 v1, v3 :: v_dual_lshlrev_b32 v14, 2, v0
	v_mad_co_u64_u32 v[22:23], null, s42, v12, 0
	v_writelane_b32 v53, s5, 9
	s_load_b32 s5, s[20:21], 0xc
	v_mov_b32_e32 v13, 0
	v_not_b32_e32 v36, v6
	v_mov_b32_e32 v6, v19
	v_writelane_b32 v53, s0, 10
	v_mov_b32_e32 v7, v21
	v_mad_co_u64_u32 v[3:4], null, s43, v0, v[1:2]
	s_add_nc_u64 s[72:73], s[10:11], s[14:15]
	v_writelane_b32 v53, s1, 11
	v_cmp_gt_i32_e64 s0, 4, v34
	v_mad_co_u64_u32 v[9:10], null, s43, v9, v[6:7]
	v_dual_mov_b32 v1, v13 :: v_dual_mov_b32 v8, v23
	s_delay_alu instid0(VALU_DEP_3)
	s_and_b32 s33, vcc_lo, s0
	v_lshlrev_b64_e32 v[4:5], 2, v[2:3]
	s_add_nc_u64 s[6:7], s[6:7], s[14:15]
	s_movk_i32 s10, 0x3e0
	v_mad_co_u64_u32 v[6:7], null, s43, v11, v[7:8]
	s_wait_kmcnt 0x0
	s_and_b32 s68, s5, 0xffff
	s_bfe_u32 s5, s5, 0xb0005
	s_cmp_gt_u32 s68, 31
	v_mad_co_u64_u32 v[7:8], null, s43, v12, v[8:9]
	s_cselect_b32 s101, -1, 0
	s_cmp_lt_u32 ttmp9, s12
	s_wait_alu 0xfffe
	s_add_nc_u64 s[6:7], s[6:7], s[8:9]
	s_cselect_b32 s24, 12, 18
	s_add_co_i32 s11, s5, -1
	s_bfe_u32 s102, s68, 0x30005
	s_and_b32 s11, s11, 0xffff
	v_add_co_u32 v16, vcc_lo, s72, v4
	s_cmp_gt_u32 s11, 6
	s_wait_alu 0xfffe
	s_add_nc_u64 s[78:79], s[22:23], s[6:7]
	s_cselect_b32 s103, -1, 0
	s_and_b32 s104, s5, 0x7f8
	s_cmp_lg_u32 s102, 0
	v_add_co_ci_u32_e64 v17, null, s73, v5, vcc_lo
	s_cselect_b32 vcc_hi, -1, 0
	s_lshl_b64 s[80:81], s[42:43], 2
	s_lshl_b64 s[82:83], s[42:43], 4
	v_mul_lo_u32 v44, 0, s80
	v_mul_lo_u32 v45, 0, s82
	v_add_co_u32 v41, s5, s36, v0
	v_add_co_u32 v10, vcc_lo, s78, v4
	v_cmp_lt_i64_e64 s100, 0x300, s[36:37]
	v_cmp_gt_u64_e64 s4, s[36:37], v[0:1]
	v_cmp_gt_i64_e64 s0, s[36:37], v[0:1]
	v_dual_mov_b32 v15, v13 :: v_dual_mov_b32 v28, s38
	s_mov_b32 s69, s25
	v_lshlrev_b64_e32 v[23:24], 4, v[2:3]
	v_cmp_eq_u32_e64 s1, 0, v34
	v_cmp_gt_u32_e64 s3, 2, v0
	v_dual_mov_b32 v40, v7 :: v_dual_add_nc_u32 v35, 0xc00, v14
	v_and_or_b32 v38, v0, s10, 0xc00
	v_mov_b32_e32 v19, v9
	v_mov_b32_e32 v21, v6
	s_wait_alu 0xf1ff
	v_add_co_ci_u32_e64 v42, null, s37, 0, s5
	v_lshl_or_b32 v43, v34, 3, 0xc00
	s_wait_alu 0xfffd
	v_add_co_ci_u32_e64 v11, null, s79, v5, vcc_lo
	v_mov_b32_e32 v29, s39
	v_mov_b32_e32 v25, 1.0
	v_mov_b32_e32 v27, 0
	v_mov_b32_e32 v39, 0
	s_add_nc_u64 s[74:75], s[68:69], -1
	s_mul_u64 s[6:7], s[42:43], s[68:69]
	s_add_nc_u64 s[76:77], s[74:75], s[36:37]
	s_wait_alu 0xfffe
	s_lshl_b64 s[70:71], s[6:7], 2
	s_lshl_b32 s58, s68, 2
	s_mov_b32 s59, 30
	s_add_nc_u64 s[38:39], s[20:21], s[24:25]
	s_mov_b32 s60, 0
	s_mov_b32 s61, 0
                                        ; implicit-def: $sgpr67
                                        ; implicit-def: $sgpr49
                                        ; implicit-def: $sgpr64
                                        ; implicit-def: $sgpr66
                                        ; implicit-def: $sgpr48
                                        ; implicit-def: $sgpr65
	s_branch .LBB54_32
.LBB54_29:                              ;   in Loop: Header=BB54_32 Depth=1
	s_wait_alu 0xfffe
	s_or_b32 exec_lo, exec_lo, s8
	s_delay_alu instid0(SALU_CYCLE_1)
	s_and_b32 s6, s6, exec_lo
	s_and_not1_b32 s22, s22, exec_lo
	s_and_not1_b32 s21, s21, exec_lo
	s_or_not1_b32 s18, s7, exec_lo
.LBB54_30:                              ;   in Loop: Header=BB54_32 Depth=1
	s_wait_alu 0xfffe
	s_or_b32 exec_lo, exec_lo, s5
	s_delay_alu instid0(SALU_CYCLE_1)
	s_and_not1_b32 s5, s65, exec_lo
	s_and_b32 s6, s6, exec_lo
	s_and_not1_b32 s7, s66, exec_lo
	s_wait_alu 0xfffe
	s_or_b32 s65, s5, s6
	s_and_not1_b32 s5, s48, exec_lo
	s_and_b32 s6, s22, exec_lo
	s_and_b32 s8, s21, exec_lo
	s_wait_alu 0xfffe
	s_or_b32 s48, s5, s6
	s_or_b32 s66, s7, s8
	s_or_not1_b32 s18, s18, exec_lo
.LBB54_31:                              ;   in Loop: Header=BB54_32 Depth=1
	s_wait_alu 0xfffe
	s_or_b32 exec_lo, exec_lo, s17
	s_delay_alu instid0(SALU_CYCLE_1)
	s_and_b32 s5, exec_lo, s18
	v_dual_mov_b32 v29, v7 :: v_dual_mov_b32 v28, v6
	s_wait_alu 0xfffe
	s_or_b32 s60, s5, s60
	s_and_not1_b32 s5, s64, exec_lo
	s_and_b32 s6, s65, exec_lo
	s_and_not1_b32 s7, s49, exec_lo
	s_wait_alu 0xfffe
	s_or_b32 s64, s5, s6
	s_and_b32 s5, s48, exec_lo
	s_and_not1_b32 s6, s67, exec_lo
	s_and_b32 s8, s66, exec_lo
	s_wait_alu 0xfffe
	s_or_b32 s49, s7, s5
	s_or_b32 s67, s6, s8
	s_and_not1_b32 exec_lo, exec_lo, s60
	s_cbranch_execz .LBB54_297
.LBB54_32:                              ; =>This Loop Header: Depth=1
                                        ;     Child Loop BB54_38 Depth 2
                                        ;     Child Loop BB54_51 Depth 2
	;; [unrolled: 1-line block ×16, first 2 shown]
	ds_load_b128 v[2:5], v13 offset:5120
	s_wait_dscnt 0x0
	v_readfirstlane_b32 s85, v3
	v_readfirstlane_b32 s84, v2
	s_wait_alu 0xf1ff
	s_delay_alu instid0(VALU_DEP_1)
	v_cmp_gt_i64_e64 s5, s[84:85], 0
	s_and_b32 vcc_lo, exec_lo, s5
	s_wait_alu 0xfffe
	s_cbranch_vccnz .LBB54_59
; %bb.33:                               ;   in Loop: Header=BB54_32 Depth=1
	s_and_b32 vcc_lo, exec_lo, s100
	s_wait_alu 0xfffe
	s_cbranch_vccz .LBB54_46
; %bb.34:                               ;   in Loop: Header=BB54_32 Depth=1
	v_cmp_gt_i64_e32 vcc_lo, 0x301, v[4:5]
	s_mov_b32 s7, 0
	s_mov_b32 s5, 0
	s_cbranch_vccz .LBB54_47
; %bb.35:                               ;   in Loop: Header=BB54_32 Depth=1
	s_and_saveexec_b32 s8, s4
	s_cbranch_execz .LBB54_93
; %bb.36:                               ;   in Loop: Header=BB54_32 Depth=1
	global_load_u16 v2, v13, s[38:39]
	global_load_b32 v7, v[16:17], off
	s_mov_b32 s9, 0
	s_wait_loadcnt 0x1
	v_and_b32_e32 v6, 0xffff, v2
	s_delay_alu instid0(VALU_DEP_1) | instskip(SKIP_2) | instid1(VALU_DEP_3)
	v_add_nc_u32_e32 v4, v0, v6
	v_mul_lo_u32 v5, v6, s81
	v_mul_hi_u32 v9, v6, s80
	v_mad_co_u64_u32 v[2:3], null, s80, v4, s[78:79]
	s_delay_alu instid0(VALU_DEP_1) | instskip(NEXT) | instid1(VALU_DEP_4)
	v_mad_co_u64_u32 v[3:4], null, s81, v4, v[3:4]
	v_add_nc_u32_e32 v4, v5, v44
	s_delay_alu instid0(VALU_DEP_1)
	v_add_nc_u32_e32 v9, v4, v9
	v_mov_b32_e32 v5, v1
	v_mul_lo_u32 v8, v6, s80
	v_mov_b32_e32 v4, v0
	s_branch .LBB54_38
.LBB54_37:                              ;   in Loop: Header=BB54_38 Depth=2
	s_wait_alu 0xfffe
	s_or_b32 exec_lo, exec_lo, s6
	v_add_co_u32 v2, vcc_lo, v2, v8
	s_wait_alu 0xfffd
	v_add_co_ci_u32_e64 v3, null, v3, v9, vcc_lo
	v_mov_b32_e32 v7, v12
	s_and_not1_b32 exec_lo, exec_lo, s9
	s_cbranch_execz .LBB54_93
.LBB54_38:                              ;   Parent Loop BB54_32 Depth=1
                                        ; =>  This Inner Loop Header: Depth=2
	s_delay_alu instid0(VALU_DEP_1)
	v_add_co_u32 v4, vcc_lo, v4, v6
	s_wait_alu 0xfffd
	v_add_co_ci_u32_e64 v5, null, 0, v5, vcc_lo
	s_wait_dscnt 0x0
	v_mov_b32_e32 v26, 0
	v_mov_b32_e32 v12, 0
	s_mov_b32 s6, exec_lo
	v_cmp_le_i64_e32 vcc_lo, s[36:37], v[4:5]
	v_cmpx_gt_i64_e64 s[36:37], v[4:5]
	s_cbranch_execz .LBB54_40
; %bb.39:                               ;   in Loop: Header=BB54_38 Depth=2
	global_load_b32 v12, v[2:3], off
.LBB54_40:                              ;   in Loop: Header=BB54_38 Depth=2
	s_wait_alu 0xfffe
	s_or_b32 exec_lo, exec_lo, s6
	s_wait_loadcnt 0x0
	v_cmp_lt_i32_e64 s5, -1, v7
	s_wait_alu 0xf1ff
	s_delay_alu instid0(VALU_DEP_1) | instskip(SKIP_1) | instid1(VALU_DEP_2)
	v_cndmask_b32_e64 v30, -1, 0x80000000, s5
	v_cmp_o_f32_e64 s5, v7, v7
	v_xor_b32_e32 v30, v30, v7
	s_wait_alu 0xf1ff
	s_delay_alu instid0(VALU_DEP_1) | instskip(NEXT) | instid1(VALU_DEP_1)
	v_cndmask_b32_e64 v30, -1, v30, s5
	v_and_b32_e32 v30, v30, v46
	s_delay_alu instid0(VALU_DEP_1)
	v_cmp_eq_u32_e64 s5, v30, v39
	s_cmp_lg_u32 s5, 0
	s_cselect_b32 s6, -1, 0
	s_wait_alu 0xfffe
	s_and_b32 s6, s1, s6
	s_wait_alu 0xfffe
	s_and_saveexec_b32 s10, s6
	s_cbranch_execz .LBB54_44
; %bb.41:                               ;   in Loop: Header=BB54_38 Depth=2
	s_mov_b32 s13, exec_lo
	s_bcnt1_i32_b32 s11, s5
	s_wait_alu 0xfffe
	v_mbcnt_lo_u32_b32 v26, s13, 0
	s_mov_b32 s12, exec_lo
                                        ; implicit-def: $vgpr30
	s_delay_alu instid0(VALU_DEP_1)
	v_cmpx_eq_u32_e32 0, v26
; %bb.42:                               ;   in Loop: Header=BB54_38 Depth=2
	s_bcnt1_i32_b32 s6, s13
	s_wait_alu 0xfffe
	s_mul_i32 s6, s11, s6
	s_wait_alu 0xfffe
	v_mov_b32_e32 v30, s6
	ds_add_rtn_u32 v30, v13, v30 offset:5136
; %bb.43:                               ;   in Loop: Header=BB54_38 Depth=2
	s_or_b32 exec_lo, exec_lo, s12
	s_wait_dscnt 0x0
	v_readfirstlane_b32 s6, v30
	s_wait_alu 0xf1ff
	s_delay_alu instid0(VALU_DEP_1)
	v_mad_u32_u24 v26, s11, v26, s6
.LBB54_44:                              ;   in Loop: Header=BB54_38 Depth=2
	s_wait_alu 0xfffe
	s_or_b32 exec_lo, exec_lo, s10
	ds_bpermute_b32 v26, v13, v26
	s_and_b32 s6, exec_lo, vcc_lo
	s_wait_alu 0xfffe
	s_or_b32 s9, s6, s9
	s_and_saveexec_b32 s6, s5
	s_cbranch_execz .LBB54_37
; %bb.45:                               ;   in Loop: Header=BB54_38 Depth=2
	v_and_b32_e32 v30, s5, v36
	s_delay_alu instid0(VALU_DEP_1) | instskip(NEXT) | instid1(VALU_DEP_1)
	v_bcnt_u32_b32 v30, v30, 0
	v_lshlrev_b32_e32 v30, 2, v30
	s_wait_dscnt 0x0
	s_delay_alu instid0(VALU_DEP_1)
	v_lshl_add_u32 v26, v26, 2, v30
	ds_store_b32 v26, v7
	s_branch .LBB54_37
.LBB54_46:                              ;   in Loop: Header=BB54_32 Depth=1
	s_mov_b32 s7, -1
	s_mov_b32 s5, 0
.LBB54_47:                              ;   in Loop: Header=BB54_32 Depth=1
	s_wait_alu 0xfffe
	s_and_b32 vcc_lo, exec_lo, s7
	s_wait_alu 0xfffe
	s_cbranch_vccz .LBB54_57
.LBB54_48:                              ;   in Loop: Header=BB54_32 Depth=1
	s_and_saveexec_b32 s6, s0
	s_cbranch_execz .LBB54_54
; %bb.49:                               ;   in Loop: Header=BB54_32 Depth=1
	global_load_u16 v2, v13, s[38:39]
	global_load_b32 v8, v[16:17], off
	s_mov_b32 s7, exec_lo
	s_wait_loadcnt 0x1
	v_dual_mov_b32 v2, v0 :: v_dual_and_b32 v9, 0xffff, v2
	s_delay_alu instid0(VALU_DEP_1) | instskip(NEXT) | instid1(VALU_DEP_1)
	v_add_nc_u32_e32 v12, v9, v0
	v_cmpx_gt_i64_e64 s[36:37], v[12:13]
	s_cbranch_execz .LBB54_53
; %bb.50:                               ;   in Loop: Header=BB54_32 Depth=1
	v_mul_lo_u32 v5, v9, s81
	v_mad_co_u64_u32 v[2:3], null, s80, v12, s[78:79]
	v_mul_hi_u32 v6, v9, s80
	v_mul_lo_u32 v26, v9, s80
	s_mov_b32 s8, 0
	s_delay_alu instid0(VALU_DEP_4) | instskip(NEXT) | instid1(VALU_DEP_4)
	v_add_nc_u32_e32 v7, v5, v44
	v_mad_co_u64_u32 v[3:4], null, s81, v12, v[3:4]
	v_dual_mov_b32 v4, v12 :: v_dual_mov_b32 v5, v13
	s_delay_alu instid0(VALU_DEP_3)
	v_dual_mov_b32 v7, v1 :: v_dual_add_nc_u32 v12, v7, v6
	v_mov_b32_e32 v6, v0
.LBB54_51:                              ;   Parent Loop BB54_32 Depth=1
                                        ; =>  This Inner Loop Header: Depth=2
	global_load_b32 v30, v[2:3], off
	v_dual_mov_b32 v32, v5 :: v_dual_mov_b32 v31, v4
	v_lshlrev_b32_e32 v6, 2, v6
	s_delay_alu instid0(VALU_DEP_2) | instskip(SKIP_1) | instid1(VALU_DEP_3)
	v_add_co_u32 v4, vcc_lo, v31, v9
	s_wait_alu 0xfffd
	v_add_co_ci_u32_e64 v5, null, 0, v32, vcc_lo
	v_add_co_u32 v2, vcc_lo, v2, v26
	s_wait_alu 0xfffd
	v_add_co_ci_u32_e64 v3, null, v3, v12, vcc_lo
	s_delay_alu instid0(VALU_DEP_3)
	v_cmp_le_i64_e64 s5, s[36:37], v[4:5]
	s_wait_loadcnt 0x1
	ds_store_b32 v6, v8
	v_dual_mov_b32 v6, v31 :: v_dual_mov_b32 v7, v32
	s_wait_alu 0xfffe
	s_or_b32 s8, s5, s8
	s_wait_loadcnt 0x0
	v_mov_b32_e32 v8, v30
	s_wait_alu 0xfffe
	s_and_not1_b32 exec_lo, exec_lo, s8
	s_cbranch_execnz .LBB54_51
; %bb.52:                               ;   in Loop: Header=BB54_32 Depth=1
	s_or_b32 exec_lo, exec_lo, s8
	v_sub_nc_u32_e32 v2, v4, v9
	v_mov_b32_e32 v8, v30
.LBB54_53:                              ;   in Loop: Header=BB54_32 Depth=1
	s_wait_alu 0xfffe
	s_or_b32 exec_lo, exec_lo, s7
	s_delay_alu instid0(VALU_DEP_2)
	v_lshlrev_b32_e32 v2, 2, v2
	s_wait_loadcnt 0x0
	ds_store_b32 v2, v8
.LBB54_54:                              ;   in Loop: Header=BB54_32 Depth=1
	s_wait_alu 0xfffe
	s_or_b32 exec_lo, exec_lo, s6
	s_wait_loadcnt_dscnt 0x0
	s_barrier_signal -1
	s_barrier_wait -1
	global_inv scope:SCOPE_SE
	s_and_saveexec_b32 s5, s2
; %bb.55:                               ;   in Loop: Header=BB54_32 Depth=1
	v_dual_mov_b32 v2, s36 :: v_dual_mov_b32 v3, s37
	ds_store_b64 v13, v[2:3] offset:5120
; %bb.56:                               ;   in Loop: Header=BB54_32 Depth=1
	s_wait_alu 0xfffe
	s_or_b32 exec_lo, exec_lo, s5
	s_mov_b32 s5, -1
	s_wait_loadcnt_dscnt 0x0
	s_barrier_signal -1
	s_barrier_wait -1
.LBB54_57:                              ;   in Loop: Header=BB54_32 Depth=1
	s_wait_alu 0xfffe
	s_and_b32 vcc_lo, exec_lo, s5
	s_wait_alu 0xfffe
	s_cbranch_vccz .LBB54_59
; %bb.58:                               ;   in Loop: Header=BB54_32 Depth=1
	s_wait_loadcnt 0x0
	global_inv scope:SCOPE_SE
	ds_load_b64 v[2:3], v13 offset:5120
	s_wait_dscnt 0x0
	v_readfirstlane_b32 s84, v2
.LBB54_59:                              ;   in Loop: Header=BB54_32 Depth=1
	s_delay_alu instid0(VALU_DEP_1)
	s_cmp_lt_i32 s84, 1
	s_mov_b32 s5, -1
                                        ; implicit-def: $vgpr2_vgpr3
                                        ; implicit-def: $vgpr6_vgpr7
	s_cbranch_scc1 .LBB54_69
; %bb.60:                               ;   in Loop: Header=BB54_32 Depth=1
	s_wait_alu 0xfffe
	s_and_b32 vcc_lo, exec_lo, s5
	s_wait_alu 0xfffe
	s_cbranch_vccnz .LBB54_83
.LBB54_61:                              ;   in Loop: Header=BB54_32 Depth=1
	s_lshl_b32 s5, s61, 7
	s_and_saveexec_b32 s6, s1
	s_cbranch_execz .LBB54_63
.LBB54_62:                              ;   in Loop: Header=BB54_32 Depth=1
	s_wait_alu 0xfffe
	v_lshl_add_u32 v12, s5, 3, v38
	ds_store_b128 v12, v[2:5]
	ds_store_b128 v12, v[6:9] offset:16
.LBB54_63:                              ;   in Loop: Header=BB54_32 Depth=1
	s_wait_alu 0xfffe
	s_or_b32 exec_lo, exec_lo, s6
	s_wait_loadcnt_dscnt 0x0
	s_barrier_signal -1
	s_barrier_wait -1
	global_inv scope:SCOPE_SE
	s_and_saveexec_b32 s6, s33
	s_cbranch_execz .LBB54_100
; %bb.64:                               ;   in Loop: Header=BB54_32 Depth=1
	v_mov_b32_e32 v2, 0
	v_mov_b32_e32 v3, 0
	s_and_not1_b32 vcc_lo, exec_lo, s101
	s_wait_alu 0xfffe
	s_cbranch_vccnz .LBB54_99
; %bb.65:                               ;   in Loop: Header=BB54_32 Depth=1
	v_mov_b32_e32 v2, 0
	v_mov_b32_e32 v3, 0
	s_and_not1_b32 vcc_lo, exec_lo, s103
	s_wait_alu 0xfffe
	s_cbranch_vccnz .LBB54_96
; %bb.66:                               ;   in Loop: Header=BB54_32 Depth=1
	v_lshl_add_u32 v4, s61, 10, v43
	s_mov_b32 s7, 0
.LBB54_67:                              ;   Parent Loop BB54_32 Depth=1
                                        ; =>  This Inner Loop Header: Depth=2
	ds_load_2addr_b64 v[5:8], v4 offset1:4
	ds_load_2addr_b64 v[30:33], v4 offset0:8 offset1:12
	ds_load_2addr_b64 v[47:50], v4 offset0:16 offset1:20
	s_wait_alu 0xfffe
	s_add_co_i32 s7, s7, 8
	s_wait_alu 0xfffe
	s_cmp_eq_u32 s104, s7
	s_wait_dscnt 0x2
	v_add_co_u32 v2, vcc_lo, v5, v2
	s_wait_alu 0xfffd
	v_add_co_ci_u32_e64 v3, null, v6, v3, vcc_lo
	s_delay_alu instid0(VALU_DEP_2) | instskip(SKIP_1) | instid1(VALU_DEP_2)
	v_add_co_u32 v2, vcc_lo, v7, v2
	s_wait_alu 0xfffd
	v_add_co_ci_u32_e64 v3, null, v8, v3, vcc_lo
	ds_load_2addr_b64 v[5:8], v4 offset0:24 offset1:28
	s_wait_dscnt 0x2
	v_add_co_u32 v2, vcc_lo, v30, v2
	s_wait_alu 0xfffd
	v_add_co_ci_u32_e64 v3, null, v31, v3, vcc_lo
	v_add_nc_u32_e32 v4, 0x100, v4
	s_delay_alu instid0(VALU_DEP_3) | instskip(SKIP_1) | instid1(VALU_DEP_3)
	v_add_co_u32 v2, vcc_lo, v32, v2
	s_wait_alu 0xfffd
	v_add_co_ci_u32_e64 v3, null, v33, v3, vcc_lo
	s_wait_dscnt 0x1
	s_delay_alu instid0(VALU_DEP_2) | instskip(SKIP_1) | instid1(VALU_DEP_2)
	v_add_co_u32 v2, vcc_lo, v47, v2
	s_wait_alu 0xfffd
	v_add_co_ci_u32_e64 v3, null, v48, v3, vcc_lo
	s_delay_alu instid0(VALU_DEP_2) | instskip(SKIP_1) | instid1(VALU_DEP_2)
	v_add_co_u32 v2, vcc_lo, v49, v2
	s_wait_alu 0xfffd
	v_add_co_ci_u32_e64 v3, null, v50, v3, vcc_lo
	s_wait_dscnt 0x0
	s_delay_alu instid0(VALU_DEP_2) | instskip(SKIP_1) | instid1(VALU_DEP_2)
	v_add_co_u32 v2, vcc_lo, v5, v2
	s_wait_alu 0xfffd
	v_add_co_ci_u32_e64 v3, null, v6, v3, vcc_lo
	s_delay_alu instid0(VALU_DEP_2) | instskip(SKIP_1) | instid1(VALU_DEP_2)
	v_add_co_u32 v2, vcc_lo, v7, v2
	s_wait_alu 0xfffd
	v_add_co_ci_u32_e64 v3, null, v8, v3, vcc_lo
	s_cbranch_scc0 .LBB54_67
; %bb.68:                               ;   in Loop: Header=BB54_32 Depth=1
	s_mov_b32 s7, s104
	s_and_not1_b32 vcc_lo, exec_lo, vcc_hi
	s_wait_alu 0xfffe
	s_cbranch_vccz .LBB54_97
	s_branch .LBB54_99
.LBB54_69:                              ;   in Loop: Header=BB54_32 Depth=1
	global_load_u16 v12, v13, s[38:39]
	s_mov_b32 s6, s25
	s_mov_b32 s7, s37
	s_wait_loadcnt 0x0
	v_readfirstlane_b32 s5, v12
	s_wait_alu 0xfffe
	s_and_b32 s5, 0xffff, s5
	s_wait_alu 0xfffe
	s_lshl_b32 s86, s5, 2
	s_cmp_lg_u64 s[6:7], 0
	s_cbranch_scc0 .LBB54_92
; %bb.70:                               ;   in Loop: Header=BB54_32 Depth=1
	s_mov_b32 s87, s25
	s_wait_alu 0xfffe
	s_add_nc_u64 s[6:7], s[86:87], 0
	s_wait_alu 0xfffe
	s_xor_b64 s[6:7], s[6:7], 0
	s_wait_alu 0xfffe
	s_cvt_f32_u32 s5, s6
	s_cvt_f32_u32 s8, s7
	s_sub_nc_u64 s[10:11], 0, s[6:7]
	s_wait_alu 0xfffe
	s_delay_alu instid0(SALU_CYCLE_1) | instskip(SKIP_1) | instid1(SALU_CYCLE_2)
	s_fmamk_f32 s5, s8, 0x4f800000, s5
	s_wait_alu 0xfffe
	v_s_rcp_f32 s5, s5
	s_delay_alu instid0(TRANS32_DEP_1) | instskip(SKIP_1) | instid1(SALU_CYCLE_2)
	s_mul_f32 s5, s5, 0x5f7ffffc
	s_wait_alu 0xfffe
	s_mul_f32 s8, s5, 0x2f800000
	s_wait_alu 0xfffe
	s_delay_alu instid0(SALU_CYCLE_2) | instskip(SKIP_1) | instid1(SALU_CYCLE_2)
	s_trunc_f32 s8, s8
	s_wait_alu 0xfffe
	s_fmamk_f32 s5, s8, 0xcf800000, s5
	s_cvt_u32_f32 s9, s8
	s_wait_alu 0xfffe
	s_delay_alu instid0(SALU_CYCLE_1) | instskip(SKIP_1) | instid1(SALU_CYCLE_2)
	s_cvt_u32_f32 s8, s5
	s_wait_alu 0xfffe
	s_mul_u64 s[12:13], s[10:11], s[8:9]
	s_wait_alu 0xfffe
	s_mul_hi_u32 s15, s8, s13
	s_mul_i32 s14, s8, s13
	s_mul_hi_u32 s24, s8, s12
	s_mul_i32 s16, s9, s12
	s_wait_alu 0xfffe
	s_add_nc_u64 s[14:15], s[24:25], s[14:15]
	s_mul_hi_u32 s5, s9, s12
	s_mul_hi_u32 s17, s9, s13
	s_mul_i32 s12, s9, s13
	s_wait_alu 0xfffe
	s_add_co_u32 s13, s14, s16
	s_add_co_ci_u32 s24, s15, s5
	s_add_co_ci_u32 s13, s17, 0
	s_wait_alu 0xfffe
	s_add_nc_u64 s[12:13], s[24:25], s[12:13]
	s_wait_alu 0xfffe
	s_add_co_u32 s8, s8, s12
	s_cselect_b32 s5, -1, 0
	s_wait_alu 0xfffe
	s_cmp_lg_u32 s5, 0
	s_add_co_ci_u32 s9, s9, s13
	s_wait_alu 0xfffe
	s_mul_u64 s[10:11], s[10:11], s[8:9]
	s_wait_alu 0xfffe
	s_mul_hi_u32 s13, s8, s11
	s_mul_i32 s12, s8, s11
	s_mul_hi_u32 s24, s8, s10
	s_mul_i32 s14, s9, s10
	s_wait_alu 0xfffe
	s_add_nc_u64 s[12:13], s[24:25], s[12:13]
	s_mul_hi_u32 s5, s9, s10
	s_mul_hi_u32 s15, s9, s11
	s_mul_i32 s10, s9, s11
	s_wait_alu 0xfffe
	s_add_co_u32 s11, s12, s14
	s_add_co_ci_u32 s24, s13, s5
	s_add_co_ci_u32 s11, s15, 0
	s_wait_alu 0xfffe
	s_add_nc_u64 s[10:11], s[24:25], s[10:11]
	s_wait_alu 0xfffe
	s_add_co_u32 s5, s8, s10
	s_cselect_b32 s8, -1, 0
	s_wait_alu 0xfffe
	s_cmp_lg_u32 s8, 0
	s_add_co_ci_u32 s14, s9, s11
	s_ashr_i32 s8, s37, 31
	s_wait_alu 0xfffe
	s_mov_b32 s9, s8
	s_wait_alu 0xfffe
	s_add_nc_u64 s[10:11], s[36:37], s[8:9]
	s_wait_alu 0xfffe
	s_xor_b64 s[10:11], s[10:11], s[8:9]
	s_wait_alu 0xfffe
	s_mul_hi_u32 s13, s10, s14
	s_mul_i32 s12, s10, s14
	s_mul_hi_u32 s24, s10, s5
	s_mul_hi_u32 s16, s11, s5
	s_mul_i32 s5, s11, s5
	s_wait_alu 0xfffe
	s_add_nc_u64 s[12:13], s[24:25], s[12:13]
	s_mul_hi_u32 s15, s11, s14
	s_wait_alu 0xfffe
	s_add_co_u32 s5, s12, s5
	s_add_co_ci_u32 s24, s13, s16
	s_mul_i32 s14, s11, s14
	s_add_co_ci_u32 s15, s15, 0
	s_wait_alu 0xfffe
	s_add_nc_u64 s[12:13], s[24:25], s[14:15]
	s_wait_alu 0xfffe
	s_mul_u64 s[12:13], s[6:7], s[12:13]
	s_wait_alu 0xfffe
	s_sub_co_u32 s5, s10, s12
	s_cselect_b32 s10, -1, 0
	s_sub_co_i32 s12, s11, s13
	s_wait_alu 0xfffe
	s_cmp_lg_u32 s10, 0
	s_sub_co_ci_u32 s12, s12, s7
	s_sub_co_u32 s14, s5, s6
	s_cselect_b32 s15, -1, 0
	s_wait_alu 0xfffe
	s_cmp_lg_u32 s15, 0
	s_sub_co_ci_u32 s16, s12, 0
	s_wait_alu 0xfffe
	s_cmp_ge_u32 s16, s7
	s_cselect_b32 s17, -1, 0
	s_cmp_ge_u32 s14, s6
	s_cselect_b32 s18, -1, 0
	s_cmp_eq_u32 s16, s7
	s_wait_alu 0xfffe
	s_cselect_b32 s17, s18, s17
	s_cmp_lg_u32 s15, 0
	s_sub_co_ci_u32 s12, s12, s7
	s_sub_co_u32 s15, s14, s6
	s_cselect_b32 s18, -1, 0
	s_wait_alu 0xfffe
	s_cmp_lg_u32 s18, 0
	s_sub_co_ci_u32 s12, s12, 0
	s_cmp_lg_u32 s17, 0
	s_cselect_b32 s14, s15, s14
	s_wait_alu 0xfffe
	s_cselect_b32 s12, s12, s16
	s_cmp_lg_u32 s10, 0
	s_sub_co_ci_u32 s10, s11, s13
	s_wait_alu 0xfffe
	s_cmp_ge_u32 s10, s7
	s_cselect_b32 s11, -1, 0
	s_cmp_ge_u32 s5, s6
	s_cselect_b32 s6, -1, 0
	s_cmp_eq_u32 s10, s7
	s_wait_alu 0xfffe
	s_cselect_b32 s6, s6, s11
	s_wait_alu 0xfffe
	s_cmp_lg_u32 s6, 0
	s_cselect_b32 s7, s12, s10
	s_cselect_b32 s6, s14, s5
	s_wait_alu 0xfffe
	s_xor_b64 s[6:7], s[6:7], s[8:9]
	s_wait_alu 0xfffe
	s_sub_nc_u64 s[88:89], s[6:7], s[8:9]
	s_cbranch_execnz .LBB54_72
.LBB54_71:                              ;   in Loop: Header=BB54_32 Depth=1
	s_wait_alu 0xfffe
	v_cvt_f32_u32_e32 v2, s86
	s_sub_co_i32 s6, 0, s86
	s_delay_alu instid0(VALU_DEP_1) | instskip(NEXT) | instid1(TRANS32_DEP_1)
	v_rcp_iflag_f32_e32 v2, v2
	v_mul_f32_e32 v2, 0x4f7ffffe, v2
	s_delay_alu instid0(VALU_DEP_1) | instskip(NEXT) | instid1(VALU_DEP_1)
	v_cvt_u32_f32_e32 v2, v2
	v_readfirstlane_b32 s5, v2
	s_wait_alu 0xfffe
	s_mul_i32 s6, s6, s5
	s_wait_alu 0xfffe
	s_mul_hi_u32 s6, s5, s6
	s_wait_alu 0xfffe
	s_add_co_i32 s5, s5, s6
	s_wait_alu 0xfffe
	s_mul_hi_u32 s5, s36, s5
	s_wait_alu 0xfffe
	s_mul_i32 s5, s5, s86
	s_wait_alu 0xfffe
	s_sub_co_i32 s5, s36, s5
	s_wait_alu 0xfffe
	s_sub_co_i32 s6, s5, s86
	s_cmp_ge_u32 s5, s86
	s_wait_alu 0xfffe
	s_cselect_b32 s5, s6, s5
	s_wait_alu 0xfffe
	s_sub_co_i32 s6, s5, s86
	s_cmp_ge_u32 s5, s86
	s_wait_alu 0xfffe
	s_cselect_b32 s24, s6, s5
	s_wait_alu 0xfffe
	s_mov_b64 s[88:89], s[24:25]
.LBB54_72:                              ;   in Loop: Header=BB54_32 Depth=1
	v_mov_b32_e32 v2, 0
	v_dual_mov_b32 v6, 0 :: v_dual_mov_b32 v3, 0
	v_dual_mov_b32 v4, 0 :: v_dual_mov_b32 v7, 0
	;; [unrolled: 1-line block ×3, first 2 shown]
	v_dual_mov_b32 v9, 0 :: v_dual_and_b32 v12, 0xffff, v12
	s_wait_alu 0xfffe
	s_sub_nc_u64 s[90:91], s[36:37], s[88:89]
	s_mov_b32 s50, exec_lo
	s_wait_alu 0xfffe
	v_cmpx_gt_i64_e64 s[90:91], v[14:15]
	s_cbranch_execz .LBB54_76
; %bb.73:                               ;   in Loop: Header=BB54_32 Depth=1
	v_mul_lo_u32 v2, v12, s83
	v_mul_hi_u32 v3, v12, s82
	v_mul_lo_u32 v26, v12, s82
	v_dual_mov_b32 v33, v15 :: v_dual_mov_b32 v32, v14
	s_mov_b64 s[92:93], 0
	s_mov_b32 s51, 0
	s_mov_b64 s[94:95], 0
	s_delay_alu instid0(VALU_DEP_4) | instskip(SKIP_3) | instid1(VALU_DEP_2)
	v_add_nc_u32_e32 v2, v2, v45
	v_dual_mov_b32 v30, s72 :: v_dual_mov_b32 v31, s73
	s_mov_b64 s[96:97], 0
	s_mov_b64 s[98:99], 0
	v_add_nc_u32_e32 v47, v2, v3
.LBB54_74:                              ;   Parent Loop BB54_32 Depth=1
                                        ; =>  This Inner Loop Header: Depth=2
	s_delay_alu instid0(VALU_DEP_2)
	v_add_co_u32 v2, vcc_lo, v30, v23
	s_wait_alu 0xfffd
	v_add_co_ci_u32_e64 v3, null, v31, v24, vcc_lo
	global_load_b32 v4, v[2:3], off
	v_add_co_u32 v2, vcc_lo, v30, v22
	s_wait_alu 0xfffd
	v_add_co_ci_u32_e64 v3, null, v31, v40, vcc_lo
	global_load_b32 v5, v[2:3], off
	;; [unrolled: 4-line block ×4, first 2 shown]
	s_wait_loadcnt 0x3
	v_cmp_lt_i32_e32 vcc_lo, -1, v4
	v_cmp_o_f32_e64 s5, v4, v4
	s_wait_alu 0xfffd
	v_cndmask_b32_e64 v3, -1, 0x80000000, vcc_lo
	s_wait_loadcnt 0x2
	v_cmp_lt_i32_e32 vcc_lo, -1, v5
	v_cmp_o_f32_e64 s6, v5, v5
	s_delay_alu instid0(VALU_DEP_3) | instskip(SKIP_3) | instid1(VALU_DEP_2)
	v_xor_b32_e32 v3, v3, v4
	s_wait_alu 0xfffd
	v_cndmask_b32_e64 v4, -1, 0x80000000, vcc_lo
	s_wait_alu 0xf1ff
	v_cndmask_b32_e64 v3, -1, v3, s5
	s_wait_loadcnt 0x1
	v_cmp_lt_i32_e32 vcc_lo, -1, v6
	v_cmp_o_f32_e64 s7, v6, v6
	v_xor_b32_e32 v4, v4, v5
	s_wait_alu 0xfffd
	v_cndmask_b32_e64 v5, -1, 0x80000000, vcc_lo
	s_delay_alu instid0(VALU_DEP_2)
	v_cndmask_b32_e64 v4, -1, v4, s6
	s_wait_loadcnt 0x0
	v_cmp_lt_i32_e32 vcc_lo, -1, v2
	v_cmp_o_f32_e64 s8, v2, v2
	v_xor_b32_e32 v5, v5, v6
	s_wait_alu 0xfffd
	v_cndmask_b32_e64 v6, -1, 0x80000000, vcc_lo
	s_wait_alu 0xf1ff
	s_delay_alu instid0(VALU_DEP_2) | instskip(NEXT) | instid1(VALU_DEP_2)
	v_cndmask_b32_e64 v5, -1, v5, s7
	v_xor_b32_e32 v2, v6, v2
	v_and_b32_e32 v6, v3, v46
	v_bfe_u32 v3, v3, s59, 2
	s_delay_alu instid0(VALU_DEP_3) | instskip(NEXT) | instid1(VALU_DEP_3)
	v_cndmask_b32_e64 v2, -1, v2, s8
	v_cmp_eq_u32_e32 vcc_lo, v6, v39
	v_and_b32_e32 v6, v4, v46
	s_delay_alu instid0(VALU_DEP_4)
	v_cmp_eq_u32_e64 s8, 0, v3
	v_cmp_eq_u32_e64 s9, 1, v3
	;; [unrolled: 1-line block ×5, first 2 shown]
	v_and_b32_e32 v6, v5, v46
	v_bfe_u32 v3, v4, s59, 2
	s_and_b32 s8, vcc_lo, s8
	s_and_b32 s9, vcc_lo, s9
	;; [unrolled: 1-line block ×3, first 2 shown]
	v_cmp_eq_u32_e64 s6, v6, v39
	v_and_b32_e32 v6, v2, v46
	v_bfe_u32 v2, v2, s59, 2
	v_cmp_eq_u32_e64 s12, 0, v3
	v_cmp_eq_u32_e64 s13, 1, v3
	;; [unrolled: 1-line block ×4, first 2 shown]
	v_bfe_u32 v3, v5, s59, 2
	v_cmp_eq_u32_e64 s20, 0, v2
	v_cmp_eq_u32_e64 s21, 1, v2
	;; [unrolled: 1-line block ×4, first 2 shown]
	s_wait_alu 0xfffe
	v_cndmask_b32_e64 v2, 0, 1, s8
	v_cmp_eq_u32_e64 s16, 0, v3
	s_and_b32 s12, s5, s12
	v_cmp_eq_u32_e64 s7, v6, v39
	v_cmp_eq_u32_e64 s17, 1, v3
	v_cmp_ne_u32_e64 s8, 0, v2
	s_wait_alu 0xfffe
	v_cndmask_b32_e64 v2, 0, 1, s12
	s_and_b32 s16, s6, s16
	s_and_b32 s20, s7, s20
	;; [unrolled: 1-line block ×4, first 2 shown]
	v_cmp_ne_u32_e64 s12, 0, v2
	s_wait_alu 0xfffe
	v_cndmask_b32_e64 v2, 0, 1, s16
	s_and_b32 s21, s7, s21
	v_cmp_eq_u32_e64 s18, 2, v3
	s_and_b32 s14, s5, s14
	s_and_b32 s22, s7, s22
	v_cmp_ne_u32_e64 s16, 0, v2
	v_cndmask_b32_e64 v2, 0, 1, s20
	s_and_b32 s18, s6, s18
	s_and_b32 s11, vcc_lo, s11
	v_cmp_eq_u32_e64 s19, 3, v3
	s_and_b32 s5, s5, s15
	v_cmp_ne_u32_e64 s20, 0, v2
	v_cndmask_b32_e64 v2, 0, 1, s9
	s_and_b32 s7, s7, s23
	s_and_b32 s6, s6, s19
	v_add_co_u32 v30, s15, v30, v26
	s_delay_alu instid0(VALU_DEP_2) | instskip(SKIP_4) | instid1(VALU_DEP_2)
	v_cmp_ne_u32_e64 s9, 0, v2
	v_cndmask_b32_e64 v2, 0, 1, s13
	s_bcnt1_i32_b32 s8, s8
	s_bcnt1_i32_b32 s12, s12
	v_add_co_ci_u32_e64 v31, null, v31, v47, s15
	v_cmp_ne_u32_e64 s13, 0, v2
	v_cndmask_b32_e64 v2, 0, 1, s17
	s_bcnt1_i32_b32 s15, s16
	s_bcnt1_i32_b32 s9, s9
	s_wait_alu 0xfffe
	s_add_co_i32 s8, s12, s8
	s_bcnt1_i32_b32 s13, s13
	v_cmp_ne_u32_e64 s17, 0, v2
	v_cndmask_b32_e64 v2, 0, 1, s21
	s_bcnt1_i32_b32 s16, s20
	s_wait_alu 0xfffe
	s_add_co_i32 s9, s13, s9
	s_add_co_i32 s8, s8, s15
	s_bcnt1_i32_b32 s17, s17
	v_cmp_ne_u32_e64 s21, 0, v2
	v_cndmask_b32_e64 v2, 0, 1, s10
	s_wait_alu 0xfffe
	s_add_co_i32 s9, s9, s17
	s_add_co_i32 s24, s8, s16
	s_bcnt1_i32_b32 s19, s21
	v_cmp_ne_u32_e64 s10, 0, v2
	v_cndmask_b32_e64 v2, 0, 1, s14
	s_wait_alu 0xfffe
	s_add_nc_u64 s[98:99], s[98:99], s[24:25]
	s_add_co_i32 s24, s9, s19
	s_bcnt1_i32_b32 s10, s10
	v_cmp_ne_u32_e64 s14, 0, v2
	v_cndmask_b32_e64 v2, 0, 1, s18
	s_wait_alu 0xfffe
	s_add_nc_u64 s[96:97], s[96:97], s[24:25]
	s_wait_alu 0xfffe
	v_mov_b32_e32 v4, s96
	s_bcnt1_i32_b32 s14, s14
	v_cmp_ne_u32_e64 s18, 0, v2
	v_cndmask_b32_e64 v2, 0, 1, s22
	s_wait_alu 0xfffe
	s_add_co_i32 s10, s14, s10
	v_mov_b32_e32 v5, s97
	s_bcnt1_i32_b32 s18, s18
	v_cmp_ne_u32_e64 s22, 0, v2
	v_cndmask_b32_e64 v2, 0, 1, s11
	v_add_co_u32 v32, s11, v32, s86
	s_wait_alu 0xfffe
	s_add_co_i32 s10, s10, s18
	s_bcnt1_i32_b32 s20, s22
	v_cmp_ne_u32_e32 vcc_lo, 0, v2
	v_cndmask_b32_e64 v2, 0, 1, s5
	v_add_co_ci_u32_e64 v33, null, 0, v33, s11
	s_wait_alu 0xfffe
	s_add_co_i32 s24, s10, s20
	s_bcnt1_i32_b32 s21, vcc_lo
	v_cmp_ne_u32_e64 s5, 0, v2
	v_cndmask_b32_e64 v2, 0, 1, s6
	s_wait_alu 0xfffe
	s_add_nc_u64 s[94:95], s[94:95], s[24:25]
	v_cmp_le_i64_e64 s11, s[90:91], v[32:33]
	s_wait_alu 0xfffe
	v_mov_b32_e32 v6, s94
	s_bcnt1_i32_b32 s5, s5
	v_cmp_ne_u32_e64 s6, 0, v2
	v_cndmask_b32_e64 v2, 0, 1, s7
	s_wait_alu 0xfffe
	s_add_co_i32 s5, s5, s21
	v_mov_b32_e32 v7, s95
	s_bcnt1_i32_b32 s6, s6
	v_cmp_ne_u32_e64 s7, 0, v2
	s_wait_alu 0xfffe
	s_add_co_i32 s5, s5, s6
	v_dual_mov_b32 v2, s98 :: v_dual_mov_b32 v3, s99
	s_bcnt1_i32_b32 s7, s7
	s_wait_alu 0xfffe
	s_add_co_i32 s24, s5, s7
	s_or_b32 s51, s11, s51
	s_wait_alu 0xfffe
	s_add_nc_u64 s[92:93], s[92:93], s[24:25]
	s_wait_alu 0xfffe
	v_dual_mov_b32 v8, s92 :: v_dual_mov_b32 v9, s93
	s_and_not1_b32 exec_lo, exec_lo, s51
	s_cbranch_execnz .LBB54_74
; %bb.75:                               ;   in Loop: Header=BB54_32 Depth=1
	s_or_b32 exec_lo, exec_lo, s51
.LBB54_76:                              ;   in Loop: Header=BB54_32 Depth=1
	s_delay_alu instid0(SALU_CYCLE_1)
	s_or_b32 exec_lo, exec_lo, s50
	v_add_co_u32 v30, s5, s90, v0
	s_wait_alu 0xf1ff
	v_add_co_ci_u32_e64 v31, null, s91, 0, s5
	s_mov_b32 s9, exec_lo
	v_cmpx_gt_i64_e64 s[36:37], v[30:31]
	s_cbranch_execz .LBB54_82
; %bb.77:                               ;   in Loop: Header=BB54_32 Depth=1
	v_mul_lo_u32 v26, v31, s42
	v_mul_lo_u32 v47, v30, s43
	v_mad_co_u64_u32 v[32:33], null, v30, s42, 0
	v_mul_hi_u32 v51, v12, s80
	s_mov_b32 s10, 0
	s_delay_alu instid0(VALU_DEP_2) | instskip(SKIP_1) | instid1(VALU_DEP_2)
	v_add3_u32 v33, v33, v47, v26
	v_mul_lo_u32 v47, v12, s81
	v_lshlrev_b64_e32 v[32:33], 2, v[32:33]
	s_delay_alu instid0(VALU_DEP_2) | instskip(NEXT) | instid1(VALU_DEP_2)
	v_add_nc_u32_e32 v47, v47, v44
	v_add_co_u32 v32, vcc_lo, s72, v32
	s_wait_alu 0xfffd
	s_delay_alu instid0(VALU_DEP_3)
	v_add_co_ci_u32_e64 v33, null, s73, v33, vcc_lo
	v_add_co_u32 v26, vcc_lo, v41, v12
	v_add_nc_u32_e32 v47, v47, v51
	global_load_b32 v49, v[32:33], off
	s_wait_alu 0xfffd
	v_add_co_ci_u32_e64 v32, null, 0, v42, vcc_lo
	v_sub_co_u32 v26, vcc_lo, v26, s88
	s_wait_alu 0xfffd
	s_delay_alu instid0(VALU_DEP_2) | instskip(NEXT) | instid1(VALU_DEP_2)
	v_subrev_co_ci_u32_e64 v32, null, s89, v32, vcc_lo
	v_mul_lo_u32 v50, s81, v26
	s_delay_alu instid0(VALU_DEP_2) | instskip(SKIP_2) | instid1(VALU_DEP_2)
	v_mul_lo_u32 v48, s80, v32
	v_mad_co_u64_u32 v[32:33], null, s80, v26, s[78:79]
	v_mul_lo_u32 v26, v12, s80
	v_add3_u32 v33, v50, v33, v48
	s_branch .LBB54_79
.LBB54_78:                              ;   in Loop: Header=BB54_79 Depth=2
	s_wait_alu 0xfffe
	s_or_b32 exec_lo, exec_lo, s6
	s_wait_loadcnt 0x0
	v_cmp_lt_i32_e64 s5, -1, v49
	s_and_b32 s6, exec_lo, vcc_lo
	s_wait_alu 0xfffe
	s_or_b32 s10, s6, s10
	v_cndmask_b32_e64 v50, -1, 0x80000000, s5
	v_cmp_o_f32_e64 s5, v49, v49
	s_delay_alu instid0(VALU_DEP_2) | instskip(SKIP_1) | instid1(VALU_DEP_1)
	v_xor_b32_e32 v50, v50, v49
	s_wait_alu 0xf1ff
	v_cndmask_b32_e64 v49, -1, v50, s5
	s_delay_alu instid0(VALU_DEP_1) | instskip(SKIP_1) | instid1(VALU_DEP_2)
	v_and_b32_e32 v50, v49, v46
	v_bfe_u32 v49, v49, s59, 2
	v_cmp_eq_u32_e32 vcc_lo, v50, v39
	s_delay_alu instid0(VALU_DEP_2)
	v_cmp_eq_u32_e64 s5, 0, v49
	v_cmp_eq_u32_e64 s6, 1, v49
	;; [unrolled: 1-line block ×4, first 2 shown]
	s_and_b32 s5, vcc_lo, s5
	s_wait_alu 0xfffe
	v_cndmask_b32_e64 v49, 0, 1, s5
	s_and_b32 s5, vcc_lo, s6
	s_wait_alu 0xfffe
	v_cndmask_b32_e64 v50, 0, 1, s5
	;; [unrolled: 3-line block ×3, first 2 shown]
	s_and_b32 s5, vcc_lo, s8
	v_cmp_ne_u32_e32 vcc_lo, 0, v49
	s_wait_alu 0xfffe
	v_cndmask_b32_e64 v52, 0, 1, s5
	v_cmp_ne_u32_e64 s5, 0, v50
	v_cmp_ne_u32_e64 s6, 0, v51
	v_mov_b32_e32 v49, v48
	s_bcnt1_i32_b32 s8, vcc_lo
	v_cmp_ne_u32_e64 s7, 0, v52
	s_bcnt1_i32_b32 s5, s5
	s_wait_alu 0xfffe
	v_add_co_u32 v2, vcc_lo, v2, s8
	s_bcnt1_i32_b32 s6, s6
	s_wait_alu 0xfffd
	v_add_co_ci_u32_e64 v3, null, 0, v3, vcc_lo
	v_add_co_u32 v4, vcc_lo, v4, s5
	s_wait_alu 0xfffd
	v_add_co_ci_u32_e64 v5, null, 0, v5, vcc_lo
	s_wait_alu 0xfffe
	v_add_co_u32 v6, vcc_lo, v6, s6
	s_bcnt1_i32_b32 s5, s7
	s_wait_alu 0xfffd
	v_add_co_ci_u32_e64 v7, null, 0, v7, vcc_lo
	s_wait_alu 0xfffe
	v_add_co_u32 v8, vcc_lo, v8, s5
	s_wait_alu 0xfffd
	v_add_co_ci_u32_e64 v9, null, 0, v9, vcc_lo
	v_add_co_u32 v32, vcc_lo, v32, v26
	s_wait_alu 0xfffd
	v_add_co_ci_u32_e64 v33, null, v33, v47, vcc_lo
	s_and_not1_b32 exec_lo, exec_lo, s10
	s_cbranch_execz .LBB54_81
.LBB54_79:                              ;   Parent Loop BB54_32 Depth=1
                                        ; =>  This Inner Loop Header: Depth=2
	v_add_co_u32 v30, vcc_lo, v30, v12
	s_wait_alu 0xfffd
	v_add_co_ci_u32_e64 v31, null, 0, v31, vcc_lo
	v_mov_b32_e32 v48, 0
	s_mov_b32 s6, exec_lo
	s_delay_alu instid0(VALU_DEP_2)
	v_cmp_le_i64_e32 vcc_lo, s[36:37], v[30:31]
	v_cmpx_gt_i64_e64 s[36:37], v[30:31]
	s_cbranch_execz .LBB54_78
; %bb.80:                               ;   in Loop: Header=BB54_79 Depth=2
	global_load_b32 v48, v[32:33], off
	s_branch .LBB54_78
.LBB54_81:                              ;   in Loop: Header=BB54_32 Depth=1
	s_or_b32 exec_lo, exec_lo, s10
.LBB54_82:                              ;   in Loop: Header=BB54_32 Depth=1
	s_wait_alu 0xfffe
	s_or_b32 exec_lo, exec_lo, s9
	s_branch .LBB54_61
.LBB54_83:                              ;   in Loop: Header=BB54_32 Depth=1
	global_load_u16 v2, v13, s[38:39]
	v_mov_b32_e32 v4, 0
	v_mov_b32_e32 v6, 0
	v_dual_mov_b32 v8, 0 :: v_dual_mov_b32 v7, 0
	v_mov_b32_e32 v9, 0
	s_mov_b32 s94, exec_lo
	v_mov_b32_e32 v5, 0
	s_wait_loadcnt 0x0
	v_readfirstlane_b32 s5, v2
	v_and_b32_e32 v12, 0xffff, v2
	s_and_b32 s51, 0xffff, s5
	s_wait_alu 0xfffe
	s_lshl_b32 s50, s51, 2
	s_wait_alu 0xfffe
	s_cvt_f32_u32 s5, s50
	s_sub_co_i32 s6, 0, s50
	s_wait_alu 0xfffe
	s_delay_alu instid0(SALU_CYCLE_1) | instskip(NEXT) | instid1(TRANS32_DEP_1)
	v_rcp_iflag_f32_e32 v3, s5
	v_readfirstlane_b32 s5, v3
	s_mul_f32 s5, s5, 0x4f7ffffe
	s_wait_alu 0xfffe
	s_delay_alu instid0(SALU_CYCLE_2) | instskip(SKIP_1) | instid1(SALU_CYCLE_2)
	s_cvt_u32_f32 s5, s5
	s_wait_alu 0xfffe
	s_mul_i32 s6, s6, s5
	s_wait_alu 0xfffe
	s_mul_hi_u32 s6, s5, s6
	s_wait_alu 0xfffe
	s_add_co_i32 s5, s5, s6
	s_wait_alu 0xfffe
	s_mul_hi_u32 s5, s84, s5
	s_wait_alu 0xfffe
	s_mul_i32 s6, s5, s50
	s_add_co_i32 s7, s5, 1
	s_wait_alu 0xfffe
	s_sub_co_i32 s6, s84, s6
	s_wait_alu 0xfffe
	s_sub_co_i32 s8, s6, s50
	s_cmp_ge_u32 s6, s50
	s_cselect_b32 s5, s7, s5
	s_wait_alu 0xfffe
	s_cselect_b32 s6, s8, s6
	s_add_co_i32 s7, s5, 1
	s_wait_alu 0xfffe
	s_cmp_ge_u32 s6, s50
	s_cselect_b32 s85, s7, s5
	s_wait_alu 0xfffe
	v_mul_hi_u32 v3, s85, v12
	v_mul_lo_u32 v2, s85, v12
	s_delay_alu instid0(VALU_DEP_1) | instskip(SKIP_2) | instid1(VALU_DEP_3)
	v_lshlrev_b64_e32 v[30:31], 2, v[2:3]
	v_mov_b32_e32 v2, 0
	v_mov_b32_e32 v3, 0
	v_cmpx_gt_u64_e64 v[30:31], v[14:15]
	s_cbranch_execz .LBB54_87
; %bb.84:                               ;   in Loop: Header=BB54_32 Depth=1
	v_dual_mov_b32 v26, v37 :: v_dual_mov_b32 v33, v15
	v_mov_b32_e32 v32, v14
	s_lshl_b32 s95, s51, 4
	s_mov_b64 s[86:87], 0
	s_mov_b32 s96, 0
	s_mov_b64 s[88:89], 0
	s_mov_b64 s[90:91], 0
	;; [unrolled: 1-line block ×3, first 2 shown]
.LBB54_85:                              ;   Parent Loop BB54_32 Depth=1
                                        ; =>  This Inner Loop Header: Depth=2
	ds_load_b128 v[2:5], v26
	s_wait_dscnt 0x0
	v_cmp_lt_i32_e32 vcc_lo, -1, v2
	v_cmp_lt_i32_e64 s5, -1, v3
	v_cmp_lt_i32_e64 s6, -1, v4
	;; [unrolled: 1-line block ×3, first 2 shown]
	v_cmp_o_f32_e64 s11, v2, v2
	s_wait_alu 0xfffd
	v_cndmask_b32_e64 v6, -1, 0x80000000, vcc_lo
	s_wait_alu 0xf1ff
	v_cndmask_b32_e64 v7, -1, 0x80000000, s5
	v_cmp_o_f32_e64 s8, v3, v3
	v_cmp_o_f32_e64 s9, v4, v4
	;; [unrolled: 1-line block ×3, first 2 shown]
	v_xor_b32_e32 v2, v6, v2
	v_cndmask_b32_e64 v6, -1, 0x80000000, s6
	v_xor_b32_e32 v3, v7, v3
	v_add_co_u32 v32, vcc_lo, v32, s50
	s_delay_alu instid0(VALU_DEP_4) | instskip(NEXT) | instid1(VALU_DEP_4)
	v_cndmask_b32_e64 v2, -1, v2, s11
	v_xor_b32_e32 v4, v6, v4
	v_cndmask_b32_e64 v6, -1, 0x80000000, s7
	s_wait_alu 0xf1ff
	v_cndmask_b32_e64 v3, -1, v3, s8
	s_wait_alu 0xfffd
	v_add_co_ci_u32_e64 v33, null, 0, v33, vcc_lo
	v_cndmask_b32_e64 v4, -1, v4, s9
	v_xor_b32_e32 v5, v6, v5
	v_and_b32_e32 v6, v2, v46
	v_and_b32_e32 v7, v3, v46
	v_bfe_u32 v2, v2, s59, 2
	v_bfe_u32 v3, v3, s59, 2
	v_cndmask_b32_e64 v5, -1, v5, s10
	v_cmp_eq_u32_e64 s5, v6, v39
	v_and_b32_e32 v6, v4, v46
	v_bfe_u32 v4, v4, s59, 2
	v_cmp_eq_u32_e64 s6, v7, v39
	v_and_b32_e32 v7, v5, v46
	v_bfe_u32 v5, v5, s59, 2
	v_cmp_eq_u32_e64 s9, 0, v2
	v_cmp_eq_u32_e64 s10, 0, v3
	;; [unrolled: 1-line block ×9, first 2 shown]
	s_and_b32 s9, s5, s9
	s_and_b32 s10, s6, s10
	v_cmp_eq_u32_e64 s14, 1, v3
	v_cmp_eq_u32_e64 s17, 2, v2
	;; [unrolled: 1-line block ×5, first 2 shown]
	s_and_b32 s11, s7, s11
	s_wait_alu 0xfffe
	v_cndmask_b32_e64 v2, 0, 1, s9
	v_cndmask_b32_e64 v3, 0, 1, s10
	s_and_b32 s12, s8, s12
	v_cmp_eq_u32_e64 s19, 2, v4
	v_cmp_eq_u32_e64 s23, 3, v4
	v_cndmask_b32_e64 v4, 0, 1, s11
	v_cmp_eq_u32_e64 s20, 2, v5
	v_cmp_eq_u32_e64 s24, 3, v5
	s_and_b32 s13, s5, s13
	s_and_b32 s15, s7, s15
	;; [unrolled: 1-line block ×3, first 2 shown]
	s_wait_alu 0xfffe
	v_cndmask_b32_e64 v5, 0, 1, s12
	s_and_b32 s14, s6, s14
	s_and_b32 s17, s5, s17
	;; [unrolled: 1-line block ×5, first 2 shown]
	v_cndmask_b32_e64 v6, 0, 1, s13
	v_cmp_ne_u32_e64 s5, 0, v2
	v_cndmask_b32_e64 v2, 0, 1, s15
	v_cmp_ne_u32_e64 s6, 0, v3
	v_cndmask_b32_e64 v3, 0, 1, s16
	s_wait_alu 0xfffe
	v_cndmask_b32_e64 v7, 0, 1, s14
	s_and_b32 s19, s7, s19
	s_and_b32 s23, s7, s23
	v_cmp_ne_u32_e64 s7, 0, v4
	v_cndmask_b32_e64 v4, 0, 1, s17
	s_and_b32 s20, s8, s20
	s_and_b32 s24, s8, s24
	v_cmp_ne_u32_e64 s8, 0, v5
	v_cndmask_b32_e64 v5, 0, 1, s18
	v_cmp_ne_u32_e64 s9, 0, v6
	s_wait_alu 0xfffe
	v_cndmask_b32_e64 v6, 0, 1, s19
	v_cmp_ne_u32_e64 s11, 0, v2
	v_cndmask_b32_e64 v2, 0, 1, s21
	v_cmp_ne_u32_e64 s12, 0, v3
	;; [unrolled: 2-line block ×5, first 2 shown]
	v_cndmask_b32_e64 v5, 0, 1, s24
	s_bcnt1_i32_b32 s5, s5
	s_bcnt1_i32_b32 s6, s6
	v_cmp_ne_u32_e64 s15, 0, v6
	v_cmp_ne_u32_e64 s17, 0, v2
	;; [unrolled: 1-line block ×3, first 2 shown]
	s_bcnt1_i32_b32 s7, s7
	s_bcnt1_i32_b32 s9, s9
	;; [unrolled: 1-line block ×3, first 2 shown]
	s_wait_alu 0xfffe
	s_add_co_i32 s5, s6, s5
	v_cmp_ne_u32_e64 s16, 0, v7
	v_cmp_ne_u32_e64 s19, 0, v4
	s_bcnt1_i32_b32 s8, s8
	s_bcnt1_i32_b32 s11, s11
	;; [unrolled: 1-line block ×4, first 2 shown]
	s_add_co_i32 s6, s10, s9
	s_wait_alu 0xfffe
	s_add_co_i32 s5, s5, s7
	v_cmp_ne_u32_e64 s20, 0, v5
	s_bcnt1_i32_b32 s12, s12
	s_bcnt1_i32_b32 s15, s15
	;; [unrolled: 1-line block ×4, first 2 shown]
	s_add_co_i32 s9, s14, s13
	s_add_co_i32 s6, s6, s11
	s_wait_alu 0xfffe
	s_add_co_i32 s24, s5, s8
	s_bcnt1_i32_b32 s16, s16
	s_bcnt1_i32_b32 s19, s19
	s_add_co_i32 s10, s18, s17
	s_add_co_i32 s7, s9, s15
	s_wait_alu 0xfffe
	s_add_nc_u64 s[92:93], s[92:93], s[24:25]
	s_add_co_i32 s24, s6, s12
	s_bcnt1_i32_b32 s20, s20
	s_add_co_i32 s9, s10, s19
	s_wait_alu 0xfffe
	s_add_nc_u64 s[90:91], s[90:91], s[24:25]
	s_add_co_i32 s24, s7, s16
	v_cmp_ge_u64_e32 vcc_lo, v[32:33], v[30:31]
	s_wait_alu 0xfffe
	s_add_nc_u64 s[88:89], s[88:89], s[24:25]
	s_add_co_i32 s24, s9, s20
	v_mov_b32_e32 v2, s92
	s_wait_alu 0xfffe
	s_add_nc_u64 s[86:87], s[86:87], s[24:25]
	v_mov_b32_e32 v4, s90
	v_mov_b32_e32 v6, s88
	s_wait_alu 0xfffe
	v_mov_b32_e32 v8, s86
	v_dual_mov_b32 v3, s93 :: v_dual_add_nc_u32 v26, s95, v26
	v_mov_b32_e32 v5, s91
	v_mov_b32_e32 v7, s89
	;; [unrolled: 1-line block ×3, first 2 shown]
	s_or_b32 s96, vcc_lo, s96
	s_wait_alu 0xfffe
	s_and_not1_b32 exec_lo, exec_lo, s96
	s_cbranch_execnz .LBB54_85
; %bb.86:                               ;   in Loop: Header=BB54_32 Depth=1
	s_or_b32 exec_lo, exec_lo, s96
.LBB54_87:                              ;   in Loop: Header=BB54_32 Depth=1
	s_delay_alu instid0(SALU_CYCLE_1)
	s_or_b32 exec_lo, exec_lo, s94
	v_add_co_u32 v30, vcc_lo, v30, v0
	s_wait_alu 0xfffd
	v_add_co_ci_u32_e64 v31, null, 0, v31, vcc_lo
	s_and_b32 s24, s84, 0x7fffffff
	s_mov_b32 s10, exec_lo
	s_wait_alu 0xfffe
	v_cmpx_gt_u64_e64 s[24:25], v[30:31]
	s_cbranch_execz .LBB54_91
; %bb.88:                               ;   in Loop: Header=BB54_32 Depth=1
	s_mul_i32 s85, s85, s51
	s_mov_b32 s11, 0
	s_wait_alu 0xfffe
	v_lshl_add_u32 v26, s85, 4, v14
.LBB54_89:                              ;   Parent Loop BB54_32 Depth=1
                                        ; =>  This Inner Loop Header: Depth=2
	ds_load_b32 v32, v26
	v_add_co_u32 v30, vcc_lo, v30, v12
	s_wait_alu 0xfffd
	v_add_co_ci_u32_e64 v31, null, 0, v31, vcc_lo
	v_add_nc_u32_e32 v26, s50, v26
	s_delay_alu instid0(VALU_DEP_2) | instskip(SKIP_3) | instid1(VALU_DEP_1)
	v_cmp_le_u64_e32 vcc_lo, s[24:25], v[30:31]
	s_wait_dscnt 0x0
	v_cmp_lt_i32_e64 s5, -1, v32
	s_wait_alu 0xf1ff
	v_cndmask_b32_e64 v33, -1, 0x80000000, s5
	v_cmp_o_f32_e64 s5, v32, v32
	s_delay_alu instid0(VALU_DEP_2) | instskip(SKIP_1) | instid1(VALU_DEP_1)
	v_xor_b32_e32 v33, v33, v32
	s_wait_alu 0xf1ff
	v_cndmask_b32_e64 v32, -1, v33, s5
	s_delay_alu instid0(VALU_DEP_1) | instskip(SKIP_1) | instid1(VALU_DEP_2)
	v_and_b32_e32 v33, v32, v46
	v_bfe_u32 v32, v32, s59, 2
	v_cmp_eq_u32_e64 s5, v33, v39
	s_delay_alu instid0(VALU_DEP_2)
	v_cmp_eq_u32_e64 s6, 0, v32
	v_cmp_eq_u32_e64 s7, 1, v32
	;; [unrolled: 1-line block ×4, first 2 shown]
	s_and_b32 s6, s5, s6
	s_wait_alu 0xfffe
	v_cndmask_b32_e64 v32, 0, 1, s6
	s_and_b32 s6, s5, s7
	s_wait_alu 0xfffe
	v_cndmask_b32_e64 v33, 0, 1, s6
	s_and_b32 s6, s5, s8
	s_and_b32 s5, s5, s9
	s_wait_alu 0xfffe
	v_cndmask_b32_e64 v47, 0, 1, s6
	v_cndmask_b32_e64 v48, 0, 1, s5
	v_cmp_ne_u32_e64 s5, 0, v32
	v_cmp_ne_u32_e64 s6, 0, v33
	s_delay_alu instid0(VALU_DEP_4) | instskip(NEXT) | instid1(VALU_DEP_4)
	v_cmp_ne_u32_e64 s7, 0, v47
	v_cmp_ne_u32_e64 s8, 0, v48
	s_bcnt1_i32_b32 s5, s5
	s_bcnt1_i32_b32 s6, s6
	s_wait_alu 0xfffe
	v_add_co_u32 v2, s5, v2, s5
	s_bcnt1_i32_b32 s7, s7
	v_add_co_ci_u32_e64 v3, null, 0, v3, s5
	v_add_co_u32 v4, s5, v4, s6
	s_bcnt1_i32_b32 s8, s8
	v_add_co_ci_u32_e64 v5, null, 0, v5, s5
	s_wait_alu 0xfffe
	v_add_co_u32 v6, s5, v6, s7
	s_wait_alu 0xf1ff
	v_add_co_ci_u32_e64 v7, null, 0, v7, s5
	v_add_co_u32 v8, s5, v8, s8
	s_wait_alu 0xf1ff
	v_add_co_ci_u32_e64 v9, null, 0, v9, s5
	s_or_b32 s11, vcc_lo, s11
	s_wait_alu 0xfffe
	s_and_not1_b32 exec_lo, exec_lo, s11
	s_cbranch_execnz .LBB54_89
; %bb.90:                               ;   in Loop: Header=BB54_32 Depth=1
	s_or_b32 exec_lo, exec_lo, s11
.LBB54_91:                              ;   in Loop: Header=BB54_32 Depth=1
	s_delay_alu instid0(SALU_CYCLE_1)
	s_or_b32 exec_lo, exec_lo, s10
	s_lshl_b32 s5, s61, 7
	s_and_saveexec_b32 s6, s1
	s_cbranch_execnz .LBB54_62
	s_branch .LBB54_63
.LBB54_92:                              ;   in Loop: Header=BB54_32 Depth=1
                                        ; implicit-def: $sgpr88_sgpr89
	s_branch .LBB54_71
.LBB54_93:                              ;   in Loop: Header=BB54_32 Depth=1
	s_wait_alu 0xfffe
	s_or_b32 exec_lo, exec_lo, s8
	s_wait_loadcnt_dscnt 0x0
	s_barrier_signal -1
	s_barrier_wait -1
	global_inv scope:SCOPE_SE
	s_and_saveexec_b32 s5, s2
	s_cbranch_execz .LBB54_95
; %bb.94:                               ;   in Loop: Header=BB54_32 Depth=1
	ds_load_b32 v2, v13 offset:5136
	s_wait_dscnt 0x0
	v_ashrrev_i32_e32 v3, 31, v2
	ds_store_b64 v13, v[2:3] offset:5120
.LBB54_95:                              ;   in Loop: Header=BB54_32 Depth=1
	s_wait_alu 0xfffe
	s_or_b32 exec_lo, exec_lo, s5
	s_wait_loadcnt_dscnt 0x0
	s_barrier_signal -1
	s_mov_b32 s5, -1
	s_barrier_wait -1
	s_and_b32 vcc_lo, exec_lo, s7
	s_wait_alu 0xfffe
	s_cbranch_vccnz .LBB54_48
	s_branch .LBB54_57
.LBB54_96:                              ;   in Loop: Header=BB54_32 Depth=1
	s_mov_b32 s7, 0
	s_and_not1_b32 vcc_lo, exec_lo, vcc_hi
	s_wait_alu 0xfffe
	s_cbranch_vccnz .LBB54_99
.LBB54_97:                              ;   in Loop: Header=BB54_32 Depth=1
	s_lshl_b32 s8, s61, 10
	s_lshl_b32 s7, s7, 5
	s_wait_alu 0xfffe
	v_add3_u32 v4, s8, s7, v43
	s_mov_b32 s7, s102
.LBB54_98:                              ;   Parent Loop BB54_32 Depth=1
                                        ; =>  This Inner Loop Header: Depth=2
	ds_load_b64 v[5:6], v4
	v_add_nc_u32_e32 v4, 32, v4
	s_wait_alu 0xfffe
	s_add_co_i32 s7, s7, -1
	s_wait_alu 0xfffe
	s_cmp_lg_u32 s7, 0
	s_wait_dscnt 0x0
	v_add_co_u32 v2, vcc_lo, v5, v2
	s_wait_alu 0xfffd
	v_add_co_ci_u32_e64 v3, null, v6, v3, vcc_lo
	s_cbranch_scc1 .LBB54_98
.LBB54_99:                              ;   in Loop: Header=BB54_32 Depth=1
	v_add_lshl_u32 v4, s5, v34, 3
	ds_store_b64 v4, v[2:3] offset:3072
.LBB54_100:                             ;   in Loop: Header=BB54_32 Depth=1
	s_wait_alu 0xfffe
	s_or_b32 exec_lo, exec_lo, s6
	s_lshl_b32 s5, s5, 3
	s_wait_loadcnt_dscnt 0x0
	s_wait_alu 0xfffe
	v_mov_b32_e32 v6, s5
	s_barrier_signal -1
	s_barrier_wait -1
	global_inv scope:SCOPE_SE
	v_cmp_eq_u64_e32 vcc_lo, 1, v[28:29]
	ds_load_b128 v[2:5], v6 offset:3072
	ds_load_b128 v[6:9], v6 offset:3088
	s_lshl_b32 s16, 3, s59
	s_mov_b32 s18, -1
	s_wait_alu 0xfffe
	s_not_b32 s20, s16
                                        ; implicit-def: $sgpr15
                                        ; implicit-def: $sgpr14
	s_wait_dscnt 0x1
	v_cmp_eq_u64_e64 s5, 1, v[2:3]
	s_wait_dscnt 0x0
	v_readfirstlane_b32 s8, v6
	v_readfirstlane_b32 s9, v7
	;; [unrolled: 1-line block ×4, first 2 shown]
	s_and_b32 s19, s5, vcc_lo
	s_mov_b32 s5, -1
	s_wait_alu 0xfffe
	s_and_saveexec_b32 s17, s19
	s_cbranch_execz .LBB54_134
; %bb.101:                              ;   in Loop: Header=BB54_32 Depth=1
	ds_load_b64 v[6:7], v13 offset:5120
	s_wait_loadcnt_dscnt 0x0
	s_barrier_signal -1
	s_barrier_wait -1
	global_inv scope:SCOPE_SE
	v_readfirstlane_b32 s10, v6
	v_readfirstlane_b32 s11, v7
	s_and_saveexec_b32 s5, s3
; %bb.102:                              ;   in Loop: Header=BB54_32 Depth=1
	ds_store_b32 v35, v13
; %bb.103:                              ;   in Loop: Header=BB54_32 Depth=1
	s_wait_alu 0xfffe
	s_or_b32 exec_lo, exec_lo, s5
	v_cmp_lt_i64_e64 s5, s[10:11], 1
	v_and_b32_e32 v39, s20, v39
	v_or_b32_e32 v46, s16, v46
	s_mov_b32 s14, -1
	s_mov_b32 s15, 0
	s_mov_b32 s21, -1
	s_and_b32 vcc_lo, exec_lo, s5
	s_mov_b32 s5, 0
	s_wait_loadcnt_dscnt 0x0
	s_barrier_signal -1
	s_barrier_wait -1
	global_inv scope:SCOPE_SE
                                        ; implicit-def: $vgpr27
	s_wait_alu 0xfffe
	s_cbranch_vccz .LBB54_118
; %bb.104:                              ;   in Loop: Header=BB54_32 Depth=1
	s_mov_b32 s12, s25
	s_mov_b32 s13, s77
	s_wait_alu 0xfffe
	s_cmp_lg_u64 s[12:13], 0
	s_cbranch_scc0 .LBB54_161
; %bb.105:                              ;   in Loop: Header=BB54_32 Depth=1
	s_add_nc_u64 s[12:13], s[68:69], 0
	s_wait_alu 0xfffe
	s_xor_b64 s[12:13], s[12:13], 0
	s_wait_alu 0xfffe
	s_cvt_f32_u32 s5, s12
	s_cvt_f32_u32 s21, s13
	s_sub_nc_u64 s[50:51], 0, s[12:13]
	s_wait_alu 0xfffe
	s_delay_alu instid0(SALU_CYCLE_1) | instskip(SKIP_1) | instid1(SALU_CYCLE_2)
	s_fmamk_f32 s5, s21, 0x4f800000, s5
	s_wait_alu 0xfffe
	v_s_rcp_f32 s5, s5
	s_delay_alu instid0(TRANS32_DEP_1) | instskip(SKIP_1) | instid1(SALU_CYCLE_2)
	s_mul_f32 s5, s5, 0x5f7ffffc
	s_wait_alu 0xfffe
	s_mul_f32 s21, s5, 0x2f800000
	s_wait_alu 0xfffe
	s_delay_alu instid0(SALU_CYCLE_2) | instskip(SKIP_1) | instid1(SALU_CYCLE_2)
	s_trunc_f32 s21, s21
	s_wait_alu 0xfffe
	s_fmamk_f32 s5, s21, 0xcf800000, s5
	s_cvt_u32_f32 s23, s21
	s_wait_alu 0xfffe
	s_delay_alu instid0(SALU_CYCLE_1) | instskip(SKIP_1) | instid1(SALU_CYCLE_2)
	s_cvt_u32_f32 s22, s5
	s_wait_alu 0xfffe
	s_mul_u64 s[84:85], s[50:51], s[22:23]
	s_wait_alu 0xfffe
	s_mul_hi_u32 s87, s22, s85
	s_mul_i32 s86, s22, s85
	s_mul_hi_u32 s24, s22, s84
	s_mul_i32 s21, s23, s84
	s_wait_alu 0xfffe
	s_add_nc_u64 s[86:87], s[24:25], s[86:87]
	s_mul_hi_u32 s5, s23, s84
	s_mul_hi_u32 s88, s23, s85
	s_wait_alu 0xfffe
	s_add_co_u32 s21, s86, s21
	s_add_co_ci_u32 s24, s87, s5
	s_mul_i32 s84, s23, s85
	s_add_co_ci_u32 s85, s88, 0
	s_wait_alu 0xfffe
	s_add_nc_u64 s[84:85], s[24:25], s[84:85]
	s_wait_alu 0xfffe
	s_add_co_u32 s22, s22, s84
	s_cselect_b32 s5, -1, 0
	s_wait_alu 0xfffe
	s_cmp_lg_u32 s5, 0
	s_add_co_ci_u32 s23, s23, s85
	s_wait_alu 0xfffe
	s_mul_u64 s[50:51], s[50:51], s[22:23]
	s_wait_alu 0xfffe
	s_mul_hi_u32 s85, s22, s51
	s_mul_i32 s84, s22, s51
	s_mul_hi_u32 s24, s22, s50
	s_mul_i32 s21, s23, s50
	s_wait_alu 0xfffe
	s_add_nc_u64 s[84:85], s[24:25], s[84:85]
	s_mul_hi_u32 s5, s23, s50
	s_mul_hi_u32 s86, s23, s51
	s_wait_alu 0xfffe
	s_add_co_u32 s21, s84, s21
	s_add_co_ci_u32 s24, s85, s5
	s_mul_i32 s50, s23, s51
	s_add_co_ci_u32 s51, s86, 0
	s_wait_alu 0xfffe
	s_add_nc_u64 s[50:51], s[24:25], s[50:51]
	s_wait_alu 0xfffe
	s_add_co_u32 s5, s22, s50
	s_cselect_b32 s21, -1, 0
	s_wait_alu 0xfffe
	s_cmp_lg_u32 s21, 0
	s_add_co_ci_u32 s21, s23, s51
	s_ashr_i32 s22, s77, 31
	s_wait_alu 0xfffe
	s_mov_b32 s23, s22
	s_wait_alu 0xfffe
	s_add_nc_u64 s[50:51], s[76:77], s[22:23]
	s_wait_alu 0xfffe
	s_xor_b64 s[50:51], s[50:51], s[22:23]
	s_wait_alu 0xfffe
	s_mul_hi_u32 s85, s50, s21
	s_mul_i32 s84, s50, s21
	s_mul_hi_u32 s24, s50, s5
	s_mul_hi_u32 s88, s51, s5
	s_mul_i32 s5, s51, s5
	s_wait_alu 0xfffe
	s_add_nc_u64 s[84:85], s[24:25], s[84:85]
	s_mul_hi_u32 s87, s51, s21
	s_wait_alu 0xfffe
	s_add_co_u32 s5, s84, s5
	s_add_co_ci_u32 s24, s85, s88
	s_mul_i32 s86, s51, s21
	s_add_co_ci_u32 s87, s87, 0
	s_wait_alu 0xfffe
	s_add_nc_u64 s[84:85], s[24:25], s[86:87]
	s_wait_alu 0xfffe
	s_mul_u64 s[84:85], s[12:13], s[84:85]
	s_wait_alu 0xfffe
	s_sub_co_u32 s5, s50, s84
	s_cselect_b32 s21, -1, 0
	s_sub_co_i32 s24, s51, s85
	s_wait_alu 0xfffe
	s_cmp_lg_u32 s21, 0
	s_sub_co_ci_u32 s24, s24, s13
	s_sub_co_u32 s50, s5, s12
	s_cselect_b32 s84, -1, 0
	s_wait_alu 0xfffe
	s_cmp_lg_u32 s84, 0
	s_sub_co_ci_u32 s86, s24, 0
	s_wait_alu 0xfffe
	s_cmp_ge_u32 s86, s13
	s_cselect_b32 s87, -1, 0
	s_cmp_ge_u32 s50, s12
	s_cselect_b32 s88, -1, 0
	s_cmp_eq_u32 s86, s13
	s_wait_alu 0xfffe
	s_cselect_b32 s87, s88, s87
	s_cmp_lg_u32 s84, 0
	s_sub_co_ci_u32 s24, s24, s13
	s_sub_co_u32 s84, s50, s12
	s_cselect_b32 s88, -1, 0
	s_wait_alu 0xfffe
	s_cmp_lg_u32 s88, 0
	s_sub_co_ci_u32 s24, s24, 0
	s_cmp_lg_u32 s87, 0
	s_cselect_b32 s50, s84, s50
	s_wait_alu 0xfffe
	s_cselect_b32 s24, s24, s86
	s_cmp_lg_u32 s21, 0
	s_sub_co_ci_u32 s21, s51, s85
	s_wait_alu 0xfffe
	s_cmp_ge_u32 s21, s13
	s_cselect_b32 s51, -1, 0
	s_cmp_ge_u32 s5, s12
	s_cselect_b32 s12, -1, 0
	s_cmp_eq_u32 s21, s13
	s_wait_alu 0xfffe
	s_cselect_b32 s12, s12, s51
	s_wait_alu 0xfffe
	s_cmp_lg_u32 s12, 0
	s_cselect_b32 s13, s24, s21
	s_cselect_b32 s12, s50, s5
	s_wait_alu 0xfffe
	s_xor_b64 s[12:13], s[12:13], s[22:23]
	s_wait_alu 0xfffe
	s_sub_nc_u64 s[12:13], s[12:13], s[22:23]
	s_cbranch_execnz .LBB54_107
.LBB54_106:                             ;   in Loop: Header=BB54_32 Depth=1
	v_cvt_f32_u32_e32 v6, s68
	s_sub_co_i32 s12, 0, s68
	s_delay_alu instid0(VALU_DEP_1) | instskip(NEXT) | instid1(TRANS32_DEP_1)
	v_rcp_iflag_f32_e32 v6, v6
	v_mul_f32_e32 v6, 0x4f7ffffe, v6
	s_delay_alu instid0(VALU_DEP_1) | instskip(NEXT) | instid1(VALU_DEP_1)
	v_cvt_u32_f32_e32 v6, v6
	v_readfirstlane_b32 s5, v6
	s_wait_alu 0xfffe
	s_mul_i32 s12, s12, s5
	s_wait_alu 0xfffe
	s_mul_hi_u32 s12, s5, s12
	s_wait_alu 0xfffe
	s_add_co_i32 s5, s5, s12
	s_wait_alu 0xfffe
	s_mul_hi_u32 s5, s76, s5
	s_wait_alu 0xfffe
	s_mul_i32 s5, s5, s68
	s_wait_alu 0xfffe
	s_sub_co_i32 s5, s76, s5
	s_wait_alu 0xfffe
	s_sub_co_i32 s12, s5, s68
	s_cmp_ge_u32 s5, s68
	s_wait_alu 0xfffe
	s_cselect_b32 s5, s12, s5
	s_wait_alu 0xfffe
	s_sub_co_i32 s12, s5, s68
	s_cmp_ge_u32 s5, s68
	s_wait_alu 0xfffe
	s_cselect_b32 s24, s12, s5
	s_wait_alu 0xfffe
	s_mov_b64 s[12:13], s[24:25]
.LBB54_107:                             ;   in Loop: Header=BB54_32 Depth=1
	s_wait_alu 0xfffe
	s_sub_nc_u64 s[12:13], s[76:77], s[12:13]
	s_mov_b32 s21, 0
	s_mov_b32 s5, 0
	s_mov_b32 s22, exec_lo
                                        ; implicit-def: $vgpr27
	s_wait_alu 0xfffe
	v_cmpx_gt_i64_e64 s[12:13], v[0:1]
	s_cbranch_execz .LBB54_117
; %bb.108:                              ;   in Loop: Header=BB54_32 Depth=1
	v_dual_mov_b32 v6, v10 :: v_dual_mov_b32 v7, v11
	v_dual_mov_b32 v9, v1 :: v_dual_mov_b32 v8, v0
	s_mov_b32 s23, 0
                                        ; implicit-def: $sgpr24
	s_branch .LBB54_112
.LBB54_109:                             ;   in Loop: Header=BB54_112 Depth=2
	s_wait_alu 0xfffe
	s_or_b32 exec_lo, exec_lo, s5
	s_wait_loadcnt_dscnt 0x0
	s_barrier_signal -1
	s_barrier_wait -1
	global_inv scope:SCOPE_SE
	ds_load_b64 v[26:27], v13 offset:3072
	s_wait_loadcnt_dscnt 0x0
	s_barrier_signal -1
	s_barrier_wait -1
	global_inv scope:SCOPE_SE
	v_cmp_neq_f32_e32 vcc_lo, 0, v26
	s_cbranch_vccnz .LBB54_115
; %bb.110:                              ;   in Loop: Header=BB54_112 Depth=2
	v_add_co_u32 v8, vcc_lo, v8, s68
	s_wait_alu 0xfffd
	v_add_co_ci_u32_e64 v9, null, 0, v9, vcc_lo
	v_add_co_u32 v6, s5, v6, s70
	s_wait_alu 0xf1ff
	v_add_co_ci_u32_e64 v7, null, s71, v7, s5
	s_delay_alu instid0(VALU_DEP_3)
	v_cmp_le_i64_e32 vcc_lo, s[12:13], v[8:9]
	s_mov_b32 s5, 0
	s_or_not1_b32 s50, vcc_lo, exec_lo
.LBB54_111:                             ;   in Loop: Header=BB54_112 Depth=2
	s_wait_alu 0xfffe
	s_and_b32 s50, exec_lo, s50
	s_wait_alu 0xfffe
	s_or_b32 s23, s50, s23
	s_and_not1_b32 s24, s24, exec_lo
	s_and_b32 s5, s5, exec_lo
	s_wait_alu 0xfffe
	s_or_b32 s24, s24, s5
	s_and_not1_b32 exec_lo, exec_lo, s23
	s_cbranch_execz .LBB54_116
.LBB54_112:                             ;   Parent Loop BB54_32 Depth=1
                                        ; =>  This Inner Loop Header: Depth=2
	s_mov_b32 s5, exec_lo
	s_delay_alu instid0(VALU_DEP_1)
	v_cmpx_gt_i64_e64 s[36:37], v[8:9]
	s_cbranch_execz .LBB54_109
; %bb.113:                              ;   in Loop: Header=BB54_112 Depth=2
	global_load_b32 v26, v[6:7], off
	s_wait_loadcnt 0x0
	v_cmp_lt_i32_e32 vcc_lo, -1, v26
	s_wait_alu 0xfffd
	v_cndmask_b32_e64 v12, -1, 0x80000000, vcc_lo
	v_cmp_o_f32_e32 vcc_lo, v26, v26
	s_delay_alu instid0(VALU_DEP_2) | instskip(SKIP_1) | instid1(VALU_DEP_1)
	v_xor_b32_e32 v12, v12, v26
	s_wait_alu 0xfffd
	v_cndmask_b32_e32 v12, -1, v12, vcc_lo
	s_delay_alu instid0(VALU_DEP_1) | instskip(NEXT) | instid1(VALU_DEP_1)
	v_and_b32_e32 v12, v12, v46
	v_cmp_eq_u32_e32 vcc_lo, v12, v39
	s_and_b32 exec_lo, exec_lo, vcc_lo
	s_cbranch_execz .LBB54_109
; %bb.114:                              ;   in Loop: Header=BB54_112 Depth=2
	ds_store_b64 v13, v[25:26] offset:3072
	s_branch .LBB54_109
.LBB54_115:                             ;   in Loop: Header=BB54_112 Depth=2
	s_mov_b32 s50, -1
	s_mov_b32 s5, -1
                                        ; implicit-def: $vgpr8_vgpr9
                                        ; implicit-def: $vgpr6_vgpr7
	s_branch .LBB54_111
.LBB54_116:                             ;   in Loop: Header=BB54_32 Depth=1
	s_or_b32 exec_lo, exec_lo, s23
	s_wait_alu 0xfffe
	s_and_b32 s5, s24, exec_lo
.LBB54_117:                             ;   in Loop: Header=BB54_32 Depth=1
	s_or_b32 exec_lo, exec_lo, s22
.LBB54_118:                             ;   in Loop: Header=BB54_32 Depth=1
	s_delay_alu instid0(SALU_CYCLE_1)
	s_and_b32 vcc_lo, exec_lo, s21
	s_wait_alu 0xfffe
	s_cbranch_vccz .LBB54_133
; %bb.119:                              ;   in Loop: Header=BB54_32 Depth=1
	s_add_nc_u64 s[12:13], s[10:11], s[74:75]
	s_mov_b32 s14, s25
	s_wait_alu 0xfffe
	s_mov_b32 s15, s13
	s_wait_alu 0xfffe
	s_cmp_lg_u64 s[14:15], 0
	s_cbranch_scc0 .LBB54_162
; %bb.120:                              ;   in Loop: Header=BB54_32 Depth=1
	s_add_nc_u64 s[14:15], s[68:69], 0
	s_wait_alu 0xfffe
	s_xor_b64 s[14:15], s[14:15], 0
	s_wait_alu 0xfffe
	s_cvt_f32_u32 s21, s14
	s_cvt_f32_u32 s22, s15
	s_sub_nc_u64 s[50:51], 0, s[14:15]
	s_wait_alu 0xfffe
	s_delay_alu instid0(SALU_CYCLE_1) | instskip(SKIP_1) | instid1(SALU_CYCLE_2)
	s_fmamk_f32 s21, s22, 0x4f800000, s21
	s_wait_alu 0xfffe
	v_s_rcp_f32 s21, s21
	s_delay_alu instid0(TRANS32_DEP_1) | instskip(SKIP_1) | instid1(SALU_CYCLE_2)
	s_mul_f32 s21, s21, 0x5f7ffffc
	s_wait_alu 0xfffe
	s_mul_f32 s22, s21, 0x2f800000
	s_wait_alu 0xfffe
	s_delay_alu instid0(SALU_CYCLE_2) | instskip(SKIP_1) | instid1(SALU_CYCLE_2)
	s_trunc_f32 s22, s22
	s_wait_alu 0xfffe
	s_fmamk_f32 s21, s22, 0xcf800000, s21
	s_cvt_u32_f32 s23, s22
	s_wait_alu 0xfffe
	s_delay_alu instid0(SALU_CYCLE_1) | instskip(SKIP_1) | instid1(SALU_CYCLE_2)
	s_cvt_u32_f32 s22, s21
	s_wait_alu 0xfffe
	s_mul_u64 s[84:85], s[50:51], s[22:23]
	s_wait_alu 0xfffe
	s_mul_hi_u32 s87, s22, s85
	s_mul_i32 s86, s22, s85
	s_mul_hi_u32 s24, s22, s84
	s_mul_i32 s88, s23, s84
	s_wait_alu 0xfffe
	s_add_nc_u64 s[86:87], s[24:25], s[86:87]
	s_mul_hi_u32 s21, s23, s84
	s_mul_hi_u32 s89, s23, s85
	s_wait_alu 0xfffe
	s_add_co_u32 s24, s86, s88
	s_add_co_ci_u32 s24, s87, s21
	s_mul_i32 s84, s23, s85
	s_add_co_ci_u32 s85, s89, 0
	s_wait_alu 0xfffe
	s_add_nc_u64 s[84:85], s[24:25], s[84:85]
	s_wait_alu 0xfffe
	s_add_co_u32 s22, s22, s84
	s_cselect_b32 s21, -1, 0
	s_wait_alu 0xfffe
	s_cmp_lg_u32 s21, 0
	s_add_co_ci_u32 s23, s23, s85
	s_wait_alu 0xfffe
	s_mul_u64 s[50:51], s[50:51], s[22:23]
	s_wait_alu 0xfffe
	s_mul_hi_u32 s85, s22, s51
	s_mul_i32 s84, s22, s51
	s_mul_hi_u32 s24, s22, s50
	s_mul_i32 s86, s23, s50
	s_wait_alu 0xfffe
	s_add_nc_u64 s[84:85], s[24:25], s[84:85]
	s_mul_hi_u32 s21, s23, s50
	s_mul_hi_u32 s87, s23, s51
	s_wait_alu 0xfffe
	s_add_co_u32 s24, s84, s86
	s_add_co_ci_u32 s24, s85, s21
	s_mul_i32 s50, s23, s51
	s_add_co_ci_u32 s51, s87, 0
	s_wait_alu 0xfffe
	s_add_nc_u64 s[50:51], s[24:25], s[50:51]
	s_wait_alu 0xfffe
	s_add_co_u32 s21, s22, s50
	s_cselect_b32 s22, -1, 0
	s_wait_alu 0xfffe
	s_cmp_lg_u32 s22, 0
	s_add_co_ci_u32 s86, s23, s51
	s_ashr_i32 s22, s13, 31
	s_wait_alu 0xfffe
	s_mov_b32 s23, s22
	s_wait_alu 0xfffe
	s_add_nc_u64 s[50:51], s[12:13], s[22:23]
	s_wait_alu 0xfffe
	s_xor_b64 s[50:51], s[50:51], s[22:23]
	s_wait_alu 0xfffe
	s_mul_hi_u32 s85, s50, s86
	s_mul_i32 s84, s50, s86
	s_mul_hi_u32 s24, s50, s21
	s_mul_hi_u32 s88, s51, s21
	s_mul_i32 s21, s51, s21
	s_wait_alu 0xfffe
	s_add_nc_u64 s[84:85], s[24:25], s[84:85]
	s_mul_hi_u32 s87, s51, s86
	s_wait_alu 0xfffe
	s_add_co_u32 s21, s84, s21
	s_add_co_ci_u32 s24, s85, s88
	s_mul_i32 s86, s51, s86
	s_add_co_ci_u32 s87, s87, 0
	s_wait_alu 0xfffe
	s_add_nc_u64 s[84:85], s[24:25], s[86:87]
	s_wait_alu 0xfffe
	s_mul_u64 s[84:85], s[14:15], s[84:85]
	s_wait_alu 0xfffe
	s_sub_co_u32 s21, s50, s84
	s_cselect_b32 s24, -1, 0
	s_sub_co_i32 s50, s51, s85
	s_wait_alu 0xfffe
	s_cmp_lg_u32 s24, 0
	s_sub_co_ci_u32 s50, s50, s15
	s_sub_co_u32 s84, s21, s14
	s_cselect_b32 s86, -1, 0
	s_wait_alu 0xfffe
	s_cmp_lg_u32 s86, 0
	s_sub_co_ci_u32 s87, s50, 0
	s_wait_alu 0xfffe
	s_cmp_ge_u32 s87, s15
	s_cselect_b32 s88, -1, 0
	s_cmp_ge_u32 s84, s14
	s_cselect_b32 s89, -1, 0
	s_cmp_eq_u32 s87, s15
	s_wait_alu 0xfffe
	s_cselect_b32 s88, s89, s88
	s_cmp_lg_u32 s86, 0
	s_sub_co_ci_u32 s50, s50, s15
	s_sub_co_u32 s86, s84, s14
	s_cselect_b32 s89, -1, 0
	s_wait_alu 0xfffe
	s_cmp_lg_u32 s89, 0
	s_sub_co_ci_u32 s50, s50, 0
	s_cmp_lg_u32 s88, 0
	s_cselect_b32 s84, s86, s84
	s_wait_alu 0xfffe
	s_cselect_b32 s50, s50, s87
	s_cmp_lg_u32 s24, 0
	s_sub_co_ci_u32 s24, s51, s85
	s_wait_alu 0xfffe
	s_cmp_ge_u32 s24, s15
	s_cselect_b32 s51, -1, 0
	s_cmp_ge_u32 s21, s14
	s_cselect_b32 s14, -1, 0
	s_cmp_eq_u32 s24, s15
	s_wait_alu 0xfffe
	s_cselect_b32 s14, s14, s51
	s_wait_alu 0xfffe
	s_cmp_lg_u32 s14, 0
	s_cselect_b32 s15, s50, s24
	s_cselect_b32 s14, s84, s21
	s_wait_alu 0xfffe
	s_xor_b64 s[14:15], s[14:15], s[22:23]
	s_wait_alu 0xfffe
	s_sub_nc_u64 s[14:15], s[14:15], s[22:23]
	s_cbranch_execnz .LBB54_122
.LBB54_121:                             ;   in Loop: Header=BB54_32 Depth=1
	v_cvt_f32_u32_e32 v6, s68
	s_sub_co_i32 s15, 0, s68
	s_delay_alu instid0(VALU_DEP_1) | instskip(NEXT) | instid1(TRANS32_DEP_1)
	v_rcp_iflag_f32_e32 v6, v6
	v_mul_f32_e32 v6, 0x4f7ffffe, v6
	s_delay_alu instid0(VALU_DEP_1) | instskip(NEXT) | instid1(VALU_DEP_1)
	v_cvt_u32_f32_e32 v6, v6
	v_readfirstlane_b32 s14, v6
	s_wait_alu 0xfffe
	s_mul_i32 s15, s15, s14
	s_wait_alu 0xfffe
	s_mul_hi_u32 s15, s14, s15
	s_wait_alu 0xfffe
	s_add_co_i32 s14, s14, s15
	s_wait_alu 0xfffe
	s_mul_hi_u32 s14, s12, s14
	s_wait_alu 0xfffe
	s_mul_i32 s14, s14, s68
	s_wait_alu 0xfffe
	s_sub_co_i32 s14, s12, s14
	s_wait_alu 0xfffe
	s_sub_co_i32 s15, s14, s68
	s_cmp_ge_u32 s14, s68
	s_wait_alu 0xfffe
	s_cselect_b32 s14, s15, s14
	s_wait_alu 0xfffe
	s_sub_co_i32 s15, s14, s68
	s_cmp_ge_u32 s14, s68
	s_wait_alu 0xfffe
	s_cselect_b32 s24, s15, s14
	s_wait_alu 0xfffe
	s_mov_b64 s[14:15], s[24:25]
.LBB54_122:                             ;   in Loop: Header=BB54_32 Depth=1
	s_wait_alu 0xfffe
	s_sub_nc_u64 s[12:13], s[12:13], s[14:15]
	s_mov_b32 s14, exec_lo
                                        ; implicit-def: $vgpr27
	s_wait_alu 0xfffe
	v_cmpx_gt_i64_e64 s[12:13], v[0:1]
	s_cbranch_execz .LBB54_132
; %bb.123:                              ;   in Loop: Header=BB54_32 Depth=1
	v_dual_mov_b32 v8, v14 :: v_dual_mov_b32 v7, v1
	v_mov_b32_e32 v6, v0
	s_mov_b32 s15, 0
                                        ; implicit-def: $sgpr21
	s_branch .LBB54_127
.LBB54_124:                             ;   in Loop: Header=BB54_127 Depth=2
	s_wait_alu 0xfffe
	s_or_b32 exec_lo, exec_lo, s22
	s_wait_loadcnt_dscnt 0x0
	s_barrier_signal -1
	s_barrier_wait -1
	global_inv scope:SCOPE_SE
	ds_load_b64 v[26:27], v13 offset:3072
	s_wait_loadcnt_dscnt 0x0
	s_barrier_signal -1
	s_barrier_wait -1
	global_inv scope:SCOPE_SE
	v_cmp_neq_f32_e32 vcc_lo, 0, v26
	s_cbranch_vccnz .LBB54_130
; %bb.125:                              ;   in Loop: Header=BB54_127 Depth=2
	v_add_co_u32 v6, vcc_lo, v6, s68
	s_wait_alu 0xfffd
	v_add_co_ci_u32_e64 v7, null, 0, v7, vcc_lo
	v_add_nc_u32_e32 v8, s58, v8
	s_mov_b32 s22, 0
	s_delay_alu instid0(VALU_DEP_2)
	v_cmp_le_i64_e32 vcc_lo, s[12:13], v[6:7]
	s_or_not1_b32 s23, vcc_lo, exec_lo
.LBB54_126:                             ;   in Loop: Header=BB54_127 Depth=2
	s_wait_alu 0xfffe
	s_and_b32 s23, exec_lo, s23
	s_wait_alu 0xfffe
	s_or_b32 s15, s23, s15
	s_and_not1_b32 s21, s21, exec_lo
	s_and_b32 s22, s22, exec_lo
	s_wait_alu 0xfffe
	s_or_b32 s21, s21, s22
	s_and_not1_b32 exec_lo, exec_lo, s15
	s_cbranch_execz .LBB54_131
.LBB54_127:                             ;   Parent Loop BB54_32 Depth=1
                                        ; =>  This Inner Loop Header: Depth=2
	s_mov_b32 s22, exec_lo
	s_delay_alu instid0(VALU_DEP_1)
	v_cmpx_gt_u64_e64 s[10:11], v[6:7]
	s_cbranch_execz .LBB54_124
; %bb.128:                              ;   in Loop: Header=BB54_127 Depth=2
	ds_load_b32 v26, v8
	s_wait_dscnt 0x0
	v_cmp_lt_i32_e32 vcc_lo, -1, v26
	s_wait_alu 0xfffd
	v_cndmask_b32_e64 v9, -1, 0x80000000, vcc_lo
	v_cmp_o_f32_e32 vcc_lo, v26, v26
	s_delay_alu instid0(VALU_DEP_2) | instskip(SKIP_1) | instid1(VALU_DEP_1)
	v_xor_b32_e32 v9, v9, v26
	s_wait_alu 0xfffd
	v_cndmask_b32_e32 v9, -1, v9, vcc_lo
	s_delay_alu instid0(VALU_DEP_1) | instskip(NEXT) | instid1(VALU_DEP_1)
	v_and_b32_e32 v9, v9, v46
	v_cmp_eq_u32_e32 vcc_lo, v9, v39
	s_and_b32 exec_lo, exec_lo, vcc_lo
	s_cbranch_execz .LBB54_124
; %bb.129:                              ;   in Loop: Header=BB54_127 Depth=2
	ds_store_b64 v13, v[25:26] offset:3072
	s_branch .LBB54_124
.LBB54_130:                             ;   in Loop: Header=BB54_127 Depth=2
	s_mov_b32 s23, -1
	s_mov_b32 s22, -1
                                        ; implicit-def: $vgpr6_vgpr7
                                        ; implicit-def: $vgpr8
	s_branch .LBB54_126
.LBB54_131:                             ;   in Loop: Header=BB54_32 Depth=1
	s_or_b32 exec_lo, exec_lo, s15
	s_delay_alu instid0(SALU_CYCLE_1)
	s_and_not1_b32 s5, s5, exec_lo
	s_wait_alu 0xfffe
	s_and_b32 s10, s21, exec_lo
	s_wait_alu 0xfffe
	s_or_b32 s5, s5, s10
.LBB54_132:                             ;   in Loop: Header=BB54_32 Depth=1
	s_or_b32 exec_lo, exec_lo, s14
	s_mov_b32 s14, 0
	s_mov_b32 s15, -1
.LBB54_133:                             ;   in Loop: Header=BB54_32 Depth=1
	s_wait_alu 0xfffe
	s_or_not1_b32 s5, s5, exec_lo
.LBB54_134:                             ;   in Loop: Header=BB54_32 Depth=1
	s_wait_alu 0xfffe
	s_or_b32 exec_lo, exec_lo, s17
	s_delay_alu instid0(SALU_CYCLE_1)
	s_and_not1_b32 s10, s48, exec_lo
	s_and_b32 s11, s15, exec_lo
	s_and_not1_b32 s12, s66, exec_lo
	s_and_b32 s13, s14, exec_lo
	s_and_not1_b32 s65, s65, exec_lo
	s_wait_alu 0xfffe
	s_or_b32 s48, s10, s11
	s_or_b32 s66, s12, s13
                                        ; implicit-def: $vgpr6_vgpr7
	s_and_saveexec_b32 s17, s5
	s_cbranch_execz .LBB54_31
; %bb.135:                              ;   in Loop: Header=BB54_32 Depth=1
	v_mov_b32_e32 v6, 1
	v_dual_mov_b32 v7, 0 :: v_dual_mov_b32 v12, 1
	s_xor_b32 s11, s19, -1
	s_mov_b32 s10, 0
	s_wait_alu 0xfffe
	s_and_saveexec_b32 s5, s11
	s_cbranch_execz .LBB54_144
; %bb.136:                              ;   in Loop: Header=BB54_32 Depth=1
	s_mov_b32 s10, exec_lo
	v_cmpx_le_i64_e64 v[28:29], v[2:3]
	s_wait_alu 0xfffe
	s_xor_b32 s10, exec_lo, s10
	s_cbranch_execz .LBB54_141
; %bb.137:                              ;   in Loop: Header=BB54_32 Depth=1
	ds_load_b64 v[6:7], v13 offset:5120
	v_and_b32_e32 v39, s20, v39
	v_or_b32_e32 v46, s16, v46
	s_wait_dscnt 0x0
	v_cmp_ne_u64_e32 vcc_lo, 0, v[6:7]
	s_cbranch_vccnz .LBB54_141
; %bb.138:                              ;   in Loop: Header=BB54_32 Depth=1
	s_and_saveexec_b32 s11, s2
; %bb.139:                              ;   in Loop: Header=BB54_32 Depth=1
	ds_store_b64 v13, v[2:3] offset:5128
; %bb.140:                              ;   in Loop: Header=BB54_32 Depth=1
	s_wait_alu 0xfffe
	s_or_b32 exec_lo, exec_lo, s11
	s_wait_loadcnt_dscnt 0x0
	s_barrier_signal -1
	s_barrier_wait -1
	global_inv scope:SCOPE_SE
.LBB54_141:                             ;   in Loop: Header=BB54_32 Depth=1
	s_wait_alu 0xfffe
	s_or_saveexec_b32 s10, s10
	v_mov_b32_e32 v12, 8
	s_mov_b32 s11, 0
	s_wait_alu 0xfffe
	s_xor_b32 exec_lo, exec_lo, s10
; %bb.142:                              ;   in Loop: Header=BB54_32 Depth=1
	v_sub_co_u32 v28, vcc_lo, v28, v2
	s_wait_alu 0xfffd
	v_sub_co_ci_u32_e64 v29, null, v29, v3, vcc_lo
	v_mov_b32_e32 v12, 0
	s_mov_b32 s11, exec_lo
; %bb.143:                              ;   in Loop: Header=BB54_32 Depth=1
	s_or_b32 exec_lo, exec_lo, s10
	s_delay_alu instid0(VALU_DEP_2)
	v_dual_mov_b32 v6, v28 :: v_dual_mov_b32 v7, v29
	s_wait_alu 0xfffe
	s_and_b32 s10, s11, exec_lo
.LBB54_144:                             ;   in Loop: Header=BB54_32 Depth=1
	s_wait_alu 0xfffe
	s_or_b32 exec_lo, exec_lo, s5
	s_mov_b32 s18, -1
	s_mov_b32 s5, -1
                                        ; implicit-def: $sgpr21
                                        ; implicit-def: $sgpr22
	s_and_saveexec_b32 s11, s10
	s_wait_alu 0xfffe
	s_xor_b32 s19, exec_lo, s11
	s_cbranch_execz .LBB54_292
; %bb.145:                              ;   in Loop: Header=BB54_32 Depth=1
	v_cmp_eq_u64_e32 vcc_lo, 1, v[4:5]
	v_cmp_eq_u64_e64 s5, 1, v[6:7]
                                        ; implicit-def: $sgpr22
                                        ; implicit-def: $sgpr21
	s_and_b32 s50, vcc_lo, s5
	s_mov_b32 s5, -1
	s_wait_alu 0xfffe
	s_and_saveexec_b32 s23, s50
	s_cbranch_execz .LBB54_181
; %bb.146:                              ;   in Loop: Header=BB54_32 Depth=1
	ds_load_b64 v[2:3], v13 offset:5120
	s_wait_loadcnt_dscnt 0x0
	s_barrier_signal -1
	s_barrier_wait -1
	global_inv scope:SCOPE_SE
	v_readfirstlane_b32 s10, v2
	v_readfirstlane_b32 s11, v3
	s_and_saveexec_b32 s5, s3
; %bb.147:                              ;   in Loop: Header=BB54_32 Depth=1
	ds_store_b32 v35, v13
; %bb.148:                              ;   in Loop: Header=BB54_32 Depth=1
	s_wait_alu 0xfffe
	s_or_b32 exec_lo, exec_lo, s5
	s_lshl_b32 s5, 1, s59
	v_or_b32_e32 v46, s16, v46
	s_wait_alu 0xfffe
	v_and_or_b32 v39, v39, s20, s5
	v_cmp_gt_i64_e64 s5, s[10:11], 0
	s_mov_b32 s21, -1
	s_mov_b32 s22, 0
	s_mov_b32 s14, -1
	s_wait_loadcnt_dscnt 0x0
	s_barrier_signal -1
	s_and_b32 vcc_lo, exec_lo, s5
	s_mov_b32 s5, 0
	s_barrier_wait -1
	global_inv scope:SCOPE_SE
                                        ; implicit-def: $vgpr27
	s_wait_alu 0xfffe
	s_cbranch_vccnz .LBB54_165
; %bb.149:                              ;   in Loop: Header=BB54_32 Depth=1
	s_mov_b32 s12, s25
	s_mov_b32 s13, s77
	s_wait_alu 0xfffe
	s_cmp_lg_u64 s[12:13], 0
	s_cbranch_scc0 .LBB54_209
; %bb.150:                              ;   in Loop: Header=BB54_32 Depth=1
	s_add_nc_u64 s[12:13], s[68:69], 0
	s_wait_alu 0xfffe
	s_xor_b64 s[12:13], s[12:13], 0
	s_wait_alu 0xfffe
	s_cvt_f32_u32 s5, s12
	s_cvt_f32_u32 s14, s13
	s_sub_nc_u64 s[84:85], 0, s[12:13]
	s_wait_alu 0xfffe
	s_delay_alu instid0(SALU_CYCLE_1) | instskip(SKIP_1) | instid1(SALU_CYCLE_2)
	s_fmamk_f32 s5, s14, 0x4f800000, s5
	s_wait_alu 0xfffe
	v_s_rcp_f32 s5, s5
	s_delay_alu instid0(TRANS32_DEP_1) | instskip(SKIP_1) | instid1(SALU_CYCLE_2)
	s_mul_f32 s5, s5, 0x5f7ffffc
	s_wait_alu 0xfffe
	s_mul_f32 s14, s5, 0x2f800000
	s_wait_alu 0xfffe
	s_delay_alu instid0(SALU_CYCLE_2) | instskip(SKIP_1) | instid1(SALU_CYCLE_2)
	s_trunc_f32 s14, s14
	s_wait_alu 0xfffe
	s_fmamk_f32 s5, s14, 0xcf800000, s5
	s_cvt_u32_f32 s15, s14
	s_wait_alu 0xfffe
	s_delay_alu instid0(SALU_CYCLE_1) | instskip(SKIP_1) | instid1(SALU_CYCLE_2)
	s_cvt_u32_f32 s14, s5
	s_wait_alu 0xfffe
	s_mul_u64 s[86:87], s[84:85], s[14:15]
	s_wait_alu 0xfffe
	s_mul_hi_u32 s89, s14, s87
	s_mul_i32 s88, s14, s87
	s_mul_hi_u32 s24, s14, s86
	s_mul_i32 s51, s15, s86
	s_wait_alu 0xfffe
	s_add_nc_u64 s[88:89], s[24:25], s[88:89]
	s_mul_hi_u32 s5, s15, s86
	s_mul_hi_u32 s90, s15, s87
	s_wait_alu 0xfffe
	s_add_co_u32 s24, s88, s51
	s_add_co_ci_u32 s24, s89, s5
	s_mul_i32 s86, s15, s87
	s_add_co_ci_u32 s87, s90, 0
	s_wait_alu 0xfffe
	s_add_nc_u64 s[86:87], s[24:25], s[86:87]
	s_wait_alu 0xfffe
	s_add_co_u32 s14, s14, s86
	s_cselect_b32 s5, -1, 0
	s_wait_alu 0xfffe
	s_cmp_lg_u32 s5, 0
	s_add_co_ci_u32 s15, s15, s87
	s_wait_alu 0xfffe
	s_mul_u64 s[84:85], s[84:85], s[14:15]
	s_wait_alu 0xfffe
	s_mul_hi_u32 s87, s14, s85
	s_mul_i32 s86, s14, s85
	s_mul_hi_u32 s24, s14, s84
	s_mul_i32 s51, s15, s84
	s_wait_alu 0xfffe
	s_add_nc_u64 s[86:87], s[24:25], s[86:87]
	s_mul_hi_u32 s5, s15, s84
	s_mul_hi_u32 s88, s15, s85
	s_wait_alu 0xfffe
	s_add_co_u32 s24, s86, s51
	s_add_co_ci_u32 s24, s87, s5
	s_mul_i32 s84, s15, s85
	s_add_co_ci_u32 s85, s88, 0
	s_wait_alu 0xfffe
	s_add_nc_u64 s[84:85], s[24:25], s[84:85]
	s_wait_alu 0xfffe
	s_add_co_u32 s5, s14, s84
	s_cselect_b32 s14, -1, 0
	s_wait_alu 0xfffe
	s_cmp_lg_u32 s14, 0
	s_add_co_ci_u32 s51, s15, s85
	s_ashr_i32 s14, s77, 31
	s_wait_alu 0xfffe
	s_mov_b32 s15, s14
	s_wait_alu 0xfffe
	s_add_nc_u64 s[84:85], s[76:77], s[14:15]
	s_wait_alu 0xfffe
	s_xor_b64 s[84:85], s[84:85], s[14:15]
	s_wait_alu 0xfffe
	s_mul_hi_u32 s87, s84, s51
	s_mul_i32 s86, s84, s51
	s_mul_hi_u32 s24, s84, s5
	s_mul_hi_u32 s90, s85, s5
	s_mul_i32 s5, s85, s5
	s_wait_alu 0xfffe
	s_add_nc_u64 s[86:87], s[24:25], s[86:87]
	s_mul_hi_u32 s89, s85, s51
	s_wait_alu 0xfffe
	s_add_co_u32 s5, s86, s5
	s_add_co_ci_u32 s24, s87, s90
	s_mul_i32 s88, s85, s51
	s_add_co_ci_u32 s89, s89, 0
	s_wait_alu 0xfffe
	s_add_nc_u64 s[86:87], s[24:25], s[88:89]
	s_wait_alu 0xfffe
	s_mul_u64 s[86:87], s[12:13], s[86:87]
	s_wait_alu 0xfffe
	s_sub_co_u32 s5, s84, s86
	s_cselect_b32 s24, -1, 0
	s_sub_co_i32 s51, s85, s87
	s_wait_alu 0xfffe
	s_cmp_lg_u32 s24, 0
	s_sub_co_ci_u32 s51, s51, s13
	s_sub_co_u32 s84, s5, s12
	s_cselect_b32 s86, -1, 0
	s_wait_alu 0xfffe
	s_cmp_lg_u32 s86, 0
	s_sub_co_ci_u32 s88, s51, 0
	s_wait_alu 0xfffe
	s_cmp_ge_u32 s88, s13
	s_cselect_b32 s89, -1, 0
	s_cmp_ge_u32 s84, s12
	s_cselect_b32 s90, -1, 0
	s_cmp_eq_u32 s88, s13
	s_wait_alu 0xfffe
	s_cselect_b32 s89, s90, s89
	s_cmp_lg_u32 s86, 0
	s_sub_co_ci_u32 s51, s51, s13
	s_sub_co_u32 s86, s84, s12
	s_cselect_b32 s90, -1, 0
	s_wait_alu 0xfffe
	s_cmp_lg_u32 s90, 0
	s_sub_co_ci_u32 s51, s51, 0
	s_cmp_lg_u32 s89, 0
	s_cselect_b32 s84, s86, s84
	s_wait_alu 0xfffe
	s_cselect_b32 s51, s51, s88
	s_cmp_lg_u32 s24, 0
	s_sub_co_ci_u32 s24, s85, s87
	s_wait_alu 0xfffe
	s_cmp_ge_u32 s24, s13
	s_cselect_b32 s85, -1, 0
	s_cmp_ge_u32 s5, s12
	s_cselect_b32 s12, -1, 0
	s_cmp_eq_u32 s24, s13
	s_wait_alu 0xfffe
	s_cselect_b32 s12, s12, s85
	s_wait_alu 0xfffe
	s_cmp_lg_u32 s12, 0
	s_cselect_b32 s13, s51, s24
	s_cselect_b32 s12, s84, s5
	s_wait_alu 0xfffe
	s_xor_b64 s[12:13], s[12:13], s[14:15]
	s_wait_alu 0xfffe
	s_sub_nc_u64 s[12:13], s[12:13], s[14:15]
	s_cbranch_execnz .LBB54_152
.LBB54_151:                             ;   in Loop: Header=BB54_32 Depth=1
	v_cvt_f32_u32_e32 v2, s68
	s_sub_co_i32 s12, 0, s68
	s_delay_alu instid0(VALU_DEP_1) | instskip(NEXT) | instid1(TRANS32_DEP_1)
	v_rcp_iflag_f32_e32 v2, v2
	v_mul_f32_e32 v2, 0x4f7ffffe, v2
	s_delay_alu instid0(VALU_DEP_1) | instskip(NEXT) | instid1(VALU_DEP_1)
	v_cvt_u32_f32_e32 v2, v2
	v_readfirstlane_b32 s5, v2
	s_wait_alu 0xfffe
	s_mul_i32 s12, s12, s5
	s_wait_alu 0xfffe
	s_mul_hi_u32 s12, s5, s12
	s_wait_alu 0xfffe
	s_add_co_i32 s5, s5, s12
	s_wait_alu 0xfffe
	s_mul_hi_u32 s5, s76, s5
	s_wait_alu 0xfffe
	s_mul_i32 s5, s5, s68
	s_wait_alu 0xfffe
	s_sub_co_i32 s5, s76, s5
	s_wait_alu 0xfffe
	s_sub_co_i32 s12, s5, s68
	s_cmp_ge_u32 s5, s68
	s_wait_alu 0xfffe
	s_cselect_b32 s5, s12, s5
	s_wait_alu 0xfffe
	s_sub_co_i32 s12, s5, s68
	s_cmp_ge_u32 s5, s68
	s_wait_alu 0xfffe
	s_cselect_b32 s24, s12, s5
	s_wait_alu 0xfffe
	s_mov_b64 s[12:13], s[24:25]
.LBB54_152:                             ;   in Loop: Header=BB54_32 Depth=1
	s_wait_alu 0xfffe
	s_sub_nc_u64 s[12:13], s[76:77], s[12:13]
	s_mov_b32 s14, 0
	s_mov_b32 s5, 0
	s_mov_b32 s15, exec_lo
                                        ; implicit-def: $vgpr27
	s_wait_alu 0xfffe
	v_cmpx_gt_i64_e64 s[12:13], v[0:1]
	s_cbranch_execz .LBB54_164
; %bb.153:                              ;   in Loop: Header=BB54_32 Depth=1
	v_dual_mov_b32 v2, v10 :: v_dual_mov_b32 v3, v11
	v_dual_mov_b32 v9, v1 :: v_dual_mov_b32 v8, v0
	s_mov_b32 s24, 0
                                        ; implicit-def: $sgpr51
	s_branch .LBB54_157
.LBB54_154:                             ;   in Loop: Header=BB54_157 Depth=2
	s_wait_alu 0xfffe
	s_or_b32 exec_lo, exec_lo, s5
	s_wait_loadcnt_dscnt 0x0
	s_barrier_signal -1
	s_barrier_wait -1
	global_inv scope:SCOPE_SE
	ds_load_b64 v[26:27], v13 offset:3072
	s_wait_loadcnt_dscnt 0x0
	s_barrier_signal -1
	s_barrier_wait -1
	global_inv scope:SCOPE_SE
	v_cmp_neq_f32_e32 vcc_lo, 0, v26
	s_cbranch_vccnz .LBB54_160
; %bb.155:                              ;   in Loop: Header=BB54_157 Depth=2
	v_add_co_u32 v8, vcc_lo, v8, s68
	s_wait_alu 0xfffd
	v_add_co_ci_u32_e64 v9, null, 0, v9, vcc_lo
	v_add_co_u32 v2, s5, v2, s70
	s_wait_alu 0xf1ff
	v_add_co_ci_u32_e64 v3, null, s71, v3, s5
	s_delay_alu instid0(VALU_DEP_3)
	v_cmp_le_i64_e32 vcc_lo, s[12:13], v[8:9]
	s_mov_b32 s5, 0
	s_or_not1_b32 s84, vcc_lo, exec_lo
.LBB54_156:                             ;   in Loop: Header=BB54_157 Depth=2
	s_wait_alu 0xfffe
	s_and_b32 s84, exec_lo, s84
	s_wait_alu 0xfffe
	s_or_b32 s24, s84, s24
	s_and_not1_b32 s51, s51, exec_lo
	s_and_b32 s5, s5, exec_lo
	s_wait_alu 0xfffe
	s_or_b32 s51, s51, s5
	s_and_not1_b32 exec_lo, exec_lo, s24
	s_cbranch_execz .LBB54_163
.LBB54_157:                             ;   Parent Loop BB54_32 Depth=1
                                        ; =>  This Inner Loop Header: Depth=2
	s_mov_b32 s5, exec_lo
	s_delay_alu instid0(VALU_DEP_1)
	v_cmpx_gt_i64_e64 s[36:37], v[8:9]
	s_cbranch_execz .LBB54_154
; %bb.158:                              ;   in Loop: Header=BB54_157 Depth=2
	global_load_b32 v26, v[2:3], off
	s_wait_loadcnt 0x0
	v_cmp_lt_i32_e32 vcc_lo, -1, v26
	s_wait_alu 0xfffd
	v_cndmask_b32_e64 v27, -1, 0x80000000, vcc_lo
	v_cmp_o_f32_e32 vcc_lo, v26, v26
	s_delay_alu instid0(VALU_DEP_2) | instskip(SKIP_1) | instid1(VALU_DEP_1)
	v_xor_b32_e32 v27, v27, v26
	s_wait_alu 0xfffd
	v_cndmask_b32_e32 v27, -1, v27, vcc_lo
	s_delay_alu instid0(VALU_DEP_1) | instskip(NEXT) | instid1(VALU_DEP_1)
	v_and_b32_e32 v27, v27, v46
	v_cmp_eq_u32_e32 vcc_lo, v27, v39
	s_and_b32 exec_lo, exec_lo, vcc_lo
	s_cbranch_execz .LBB54_154
; %bb.159:                              ;   in Loop: Header=BB54_157 Depth=2
	ds_store_b64 v13, v[25:26] offset:3072
	s_branch .LBB54_154
.LBB54_160:                             ;   in Loop: Header=BB54_157 Depth=2
	s_mov_b32 s84, -1
	s_mov_b32 s5, -1
                                        ; implicit-def: $vgpr8_vgpr9
                                        ; implicit-def: $vgpr2_vgpr3
	s_branch .LBB54_156
.LBB54_161:                             ;   in Loop: Header=BB54_32 Depth=1
                                        ; implicit-def: $sgpr12_sgpr13
	s_branch .LBB54_106
.LBB54_162:                             ;   in Loop: Header=BB54_32 Depth=1
                                        ; implicit-def: $sgpr14_sgpr15
	s_branch .LBB54_121
.LBB54_163:                             ;   in Loop: Header=BB54_32 Depth=1
	s_or_b32 exec_lo, exec_lo, s24
	s_wait_alu 0xfffe
	s_and_b32 s5, s51, exec_lo
.LBB54_164:                             ;   in Loop: Header=BB54_32 Depth=1
	s_or_b32 exec_lo, exec_lo, s15
.LBB54_165:                             ;   in Loop: Header=BB54_32 Depth=1
	s_delay_alu instid0(SALU_CYCLE_1)
	s_and_b32 vcc_lo, exec_lo, s14
	s_wait_alu 0xfffe
	s_cbranch_vccz .LBB54_180
; %bb.166:                              ;   in Loop: Header=BB54_32 Depth=1
	s_add_nc_u64 s[12:13], s[10:11], s[74:75]
	s_mov_b32 s14, s25
	s_wait_alu 0xfffe
	s_mov_b32 s15, s13
	s_wait_alu 0xfffe
	s_cmp_lg_u64 s[14:15], 0
	s_cbranch_scc0 .LBB54_210
; %bb.167:                              ;   in Loop: Header=BB54_32 Depth=1
	s_add_nc_u64 s[14:15], s[68:69], 0
	s_wait_alu 0xfffe
	s_xor_b64 s[14:15], s[14:15], 0
	s_wait_alu 0xfffe
	s_cvt_f32_u32 s21, s14
	s_cvt_f32_u32 s22, s15
	s_sub_nc_u64 s[86:87], 0, s[14:15]
	s_wait_alu 0xfffe
	s_delay_alu instid0(SALU_CYCLE_1) | instskip(SKIP_1) | instid1(SALU_CYCLE_2)
	s_fmamk_f32 s21, s22, 0x4f800000, s21
	s_wait_alu 0xfffe
	v_s_rcp_f32 s21, s21
	s_delay_alu instid0(TRANS32_DEP_1) | instskip(SKIP_1) | instid1(SALU_CYCLE_2)
	s_mul_f32 s21, s21, 0x5f7ffffc
	s_wait_alu 0xfffe
	s_mul_f32 s22, s21, 0x2f800000
	s_wait_alu 0xfffe
	s_delay_alu instid0(SALU_CYCLE_2) | instskip(SKIP_1) | instid1(SALU_CYCLE_2)
	s_trunc_f32 s22, s22
	s_wait_alu 0xfffe
	s_fmamk_f32 s21, s22, 0xcf800000, s21
	s_cvt_u32_f32 s85, s22
	s_wait_alu 0xfffe
	s_delay_alu instid0(SALU_CYCLE_1) | instskip(SKIP_1) | instid1(SALU_CYCLE_2)
	s_cvt_u32_f32 s84, s21
	s_wait_alu 0xfffe
	s_mul_u64 s[88:89], s[86:87], s[84:85]
	s_wait_alu 0xfffe
	s_mul_hi_u32 s91, s84, s89
	s_mul_i32 s90, s84, s89
	s_mul_hi_u32 s24, s84, s88
	s_mul_i32 s22, s85, s88
	s_wait_alu 0xfffe
	s_add_nc_u64 s[90:91], s[24:25], s[90:91]
	s_mul_hi_u32 s21, s85, s88
	s_mul_hi_u32 s51, s85, s89
	s_wait_alu 0xfffe
	s_add_co_u32 s22, s90, s22
	s_add_co_ci_u32 s24, s91, s21
	s_mul_i32 s88, s85, s89
	s_add_co_ci_u32 s89, s51, 0
	s_wait_alu 0xfffe
	s_add_nc_u64 s[88:89], s[24:25], s[88:89]
	s_wait_alu 0xfffe
	s_add_co_u32 s84, s84, s88
	s_cselect_b32 s21, -1, 0
	s_wait_alu 0xfffe
	s_cmp_lg_u32 s21, 0
	s_add_co_ci_u32 s85, s85, s89
	s_wait_alu 0xfffe
	s_mul_u64 s[86:87], s[86:87], s[84:85]
	s_wait_alu 0xfffe
	s_mul_hi_u32 s89, s84, s87
	s_mul_i32 s88, s84, s87
	s_mul_hi_u32 s24, s84, s86
	s_mul_i32 s22, s85, s86
	s_wait_alu 0xfffe
	s_add_nc_u64 s[88:89], s[24:25], s[88:89]
	s_mul_hi_u32 s21, s85, s86
	s_mul_hi_u32 s51, s85, s87
	s_wait_alu 0xfffe
	s_add_co_u32 s22, s88, s22
	s_add_co_ci_u32 s24, s89, s21
	s_mul_i32 s86, s85, s87
	s_add_co_ci_u32 s87, s51, 0
	s_wait_alu 0xfffe
	s_add_nc_u64 s[86:87], s[24:25], s[86:87]
	s_wait_alu 0xfffe
	s_add_co_u32 s21, s84, s86
	s_cselect_b32 s22, -1, 0
	s_wait_alu 0xfffe
	s_cmp_lg_u32 s22, 0
	s_add_co_ci_u32 s22, s85, s87
	s_ashr_i32 s84, s13, 31
	s_wait_alu 0xfffe
	s_mov_b32 s85, s84
	s_wait_alu 0xfffe
	s_add_nc_u64 s[86:87], s[12:13], s[84:85]
	s_wait_alu 0xfffe
	s_xor_b64 s[86:87], s[86:87], s[84:85]
	s_wait_alu 0xfffe
	s_mul_hi_u32 s89, s86, s22
	s_mul_i32 s88, s86, s22
	s_mul_hi_u32 s24, s86, s21
	s_mul_hi_u32 s91, s87, s21
	s_mul_i32 s21, s87, s21
	s_wait_alu 0xfffe
	s_add_nc_u64 s[88:89], s[24:25], s[88:89]
	s_mul_hi_u32 s51, s87, s22
	s_wait_alu 0xfffe
	s_add_co_u32 s21, s88, s21
	s_add_co_ci_u32 s24, s89, s91
	s_mul_i32 s90, s87, s22
	s_add_co_ci_u32 s91, s51, 0
	s_wait_alu 0xfffe
	s_add_nc_u64 s[88:89], s[24:25], s[90:91]
	s_wait_alu 0xfffe
	s_mul_u64 s[88:89], s[14:15], s[88:89]
	s_wait_alu 0xfffe
	s_sub_co_u32 s21, s86, s88
	s_cselect_b32 s22, -1, 0
	s_sub_co_i32 s24, s87, s89
	s_wait_alu 0xfffe
	s_cmp_lg_u32 s22, 0
	s_sub_co_ci_u32 s24, s24, s15
	s_sub_co_u32 s51, s21, s14
	s_cselect_b32 s86, -1, 0
	s_wait_alu 0xfffe
	s_cmp_lg_u32 s86, 0
	s_sub_co_ci_u32 s88, s24, 0
	s_wait_alu 0xfffe
	s_cmp_ge_u32 s88, s15
	s_cselect_b32 s90, -1, 0
	s_cmp_ge_u32 s51, s14
	s_cselect_b32 s91, -1, 0
	s_cmp_eq_u32 s88, s15
	s_wait_alu 0xfffe
	s_cselect_b32 s90, s91, s90
	s_cmp_lg_u32 s86, 0
	s_sub_co_ci_u32 s24, s24, s15
	s_sub_co_u32 s86, s51, s14
	s_cselect_b32 s91, -1, 0
	s_wait_alu 0xfffe
	s_cmp_lg_u32 s91, 0
	s_sub_co_ci_u32 s24, s24, 0
	s_cmp_lg_u32 s90, 0
	s_cselect_b32 s51, s86, s51
	s_wait_alu 0xfffe
	s_cselect_b32 s24, s24, s88
	s_cmp_lg_u32 s22, 0
	s_sub_co_ci_u32 s22, s87, s89
	s_wait_alu 0xfffe
	s_cmp_ge_u32 s22, s15
	s_cselect_b32 s86, -1, 0
	s_cmp_ge_u32 s21, s14
	s_cselect_b32 s14, -1, 0
	s_cmp_eq_u32 s22, s15
	s_wait_alu 0xfffe
	s_cselect_b32 s14, s14, s86
	s_wait_alu 0xfffe
	s_cmp_lg_u32 s14, 0
	s_cselect_b32 s15, s24, s22
	s_cselect_b32 s14, s51, s21
	s_wait_alu 0xfffe
	s_xor_b64 s[14:15], s[14:15], s[84:85]
	s_wait_alu 0xfffe
	s_sub_nc_u64 s[14:15], s[14:15], s[84:85]
	s_cbranch_execnz .LBB54_169
.LBB54_168:                             ;   in Loop: Header=BB54_32 Depth=1
	v_cvt_f32_u32_e32 v2, s68
	s_sub_co_i32 s15, 0, s68
	s_delay_alu instid0(VALU_DEP_1) | instskip(NEXT) | instid1(TRANS32_DEP_1)
	v_rcp_iflag_f32_e32 v2, v2
	v_mul_f32_e32 v2, 0x4f7ffffe, v2
	s_delay_alu instid0(VALU_DEP_1) | instskip(NEXT) | instid1(VALU_DEP_1)
	v_cvt_u32_f32_e32 v2, v2
	v_readfirstlane_b32 s14, v2
	s_wait_alu 0xfffe
	s_mul_i32 s15, s15, s14
	s_wait_alu 0xfffe
	s_mul_hi_u32 s15, s14, s15
	s_wait_alu 0xfffe
	s_add_co_i32 s14, s14, s15
	s_wait_alu 0xfffe
	s_mul_hi_u32 s14, s12, s14
	s_wait_alu 0xfffe
	s_mul_i32 s14, s14, s68
	s_wait_alu 0xfffe
	s_sub_co_i32 s14, s12, s14
	s_wait_alu 0xfffe
	s_sub_co_i32 s15, s14, s68
	s_cmp_ge_u32 s14, s68
	s_wait_alu 0xfffe
	s_cselect_b32 s14, s15, s14
	s_wait_alu 0xfffe
	s_sub_co_i32 s15, s14, s68
	s_cmp_ge_u32 s14, s68
	s_wait_alu 0xfffe
	s_cselect_b32 s24, s15, s14
	s_wait_alu 0xfffe
	s_mov_b64 s[14:15], s[24:25]
.LBB54_169:                             ;   in Loop: Header=BB54_32 Depth=1
	s_wait_alu 0xfffe
	s_sub_nc_u64 s[12:13], s[12:13], s[14:15]
	s_mov_b32 s14, exec_lo
                                        ; implicit-def: $vgpr27
	s_wait_alu 0xfffe
	v_cmpx_gt_i64_e64 s[12:13], v[0:1]
	s_cbranch_execz .LBB54_179
; %bb.170:                              ;   in Loop: Header=BB54_32 Depth=1
	v_dual_mov_b32 v8, v14 :: v_dual_mov_b32 v3, v1
	v_mov_b32_e32 v2, v0
	s_mov_b32 s15, 0
                                        ; implicit-def: $sgpr21
	s_branch .LBB54_174
.LBB54_171:                             ;   in Loop: Header=BB54_174 Depth=2
	s_wait_alu 0xfffe
	s_or_b32 exec_lo, exec_lo, s22
	s_wait_loadcnt_dscnt 0x0
	s_barrier_signal -1
	s_barrier_wait -1
	global_inv scope:SCOPE_SE
	ds_load_b64 v[26:27], v13 offset:3072
	s_wait_loadcnt_dscnt 0x0
	s_barrier_signal -1
	s_barrier_wait -1
	global_inv scope:SCOPE_SE
	v_cmp_eq_f32_e32 vcc_lo, 0, v26
	s_cbranch_vccz .LBB54_177
; %bb.172:                              ;   in Loop: Header=BB54_174 Depth=2
	v_add_co_u32 v2, vcc_lo, v2, s68
	s_wait_alu 0xfffd
	v_add_co_ci_u32_e64 v3, null, 0, v3, vcc_lo
	v_add_nc_u32_e32 v8, s58, v8
	s_mov_b32 s22, 0
	s_delay_alu instid0(VALU_DEP_2)
	v_cmp_le_i64_e32 vcc_lo, s[12:13], v[2:3]
	s_or_not1_b32 s24, vcc_lo, exec_lo
.LBB54_173:                             ;   in Loop: Header=BB54_174 Depth=2
	s_wait_alu 0xfffe
	s_and_b32 s24, exec_lo, s24
	s_wait_alu 0xfffe
	s_or_b32 s15, s24, s15
	s_and_not1_b32 s21, s21, exec_lo
	s_and_b32 s22, s22, exec_lo
	s_wait_alu 0xfffe
	s_or_b32 s21, s21, s22
	s_and_not1_b32 exec_lo, exec_lo, s15
	s_cbranch_execz .LBB54_178
.LBB54_174:                             ;   Parent Loop BB54_32 Depth=1
                                        ; =>  This Inner Loop Header: Depth=2
	s_mov_b32 s22, exec_lo
	s_delay_alu instid0(VALU_DEP_1)
	v_cmpx_gt_u64_e64 s[10:11], v[2:3]
	s_cbranch_execz .LBB54_171
; %bb.175:                              ;   in Loop: Header=BB54_174 Depth=2
	ds_load_b32 v26, v8
	s_wait_dscnt 0x0
	v_cmp_lt_i32_e32 vcc_lo, -1, v26
	s_wait_alu 0xfffd
	v_cndmask_b32_e64 v9, -1, 0x80000000, vcc_lo
	v_cmp_o_f32_e32 vcc_lo, v26, v26
	s_delay_alu instid0(VALU_DEP_2) | instskip(SKIP_1) | instid1(VALU_DEP_1)
	v_xor_b32_e32 v9, v9, v26
	s_wait_alu 0xfffd
	v_cndmask_b32_e32 v9, -1, v9, vcc_lo
	s_delay_alu instid0(VALU_DEP_1) | instskip(NEXT) | instid1(VALU_DEP_1)
	v_and_b32_e32 v9, v9, v46
	v_cmp_eq_u32_e32 vcc_lo, v9, v39
	s_and_b32 exec_lo, exec_lo, vcc_lo
	s_cbranch_execz .LBB54_171
; %bb.176:                              ;   in Loop: Header=BB54_174 Depth=2
	ds_store_b64 v13, v[25:26] offset:3072
	s_branch .LBB54_171
.LBB54_177:                             ;   in Loop: Header=BB54_174 Depth=2
	s_mov_b32 s24, -1
	s_mov_b32 s22, -1
                                        ; implicit-def: $vgpr2_vgpr3
                                        ; implicit-def: $vgpr8
	s_branch .LBB54_173
.LBB54_178:                             ;   in Loop: Header=BB54_32 Depth=1
	s_or_b32 exec_lo, exec_lo, s15
	s_delay_alu instid0(SALU_CYCLE_1)
	s_and_not1_b32 s5, s5, exec_lo
	s_wait_alu 0xfffe
	s_and_b32 s10, s21, exec_lo
	s_wait_alu 0xfffe
	s_or_b32 s5, s5, s10
.LBB54_179:                             ;   in Loop: Header=BB54_32 Depth=1
	s_or_b32 exec_lo, exec_lo, s14
	s_mov_b32 s21, 0
	s_mov_b32 s22, -1
.LBB54_180:                             ;   in Loop: Header=BB54_32 Depth=1
	s_wait_alu 0xfffe
	s_or_not1_b32 s5, s5, exec_lo
.LBB54_181:                             ;   in Loop: Header=BB54_32 Depth=1
	s_wait_alu 0xfffe
	s_or_b32 exec_lo, exec_lo, s23
	s_mov_b32 s10, 0
	s_and_saveexec_b32 s23, s5
	s_cbranch_execz .LBB54_291
; %bb.182:                              ;   in Loop: Header=BB54_32 Depth=1
	v_mov_b32_e32 v2, 1
	v_dual_mov_b32 v3, 0 :: v_dual_mov_b32 v12, 1
	s_xor_b32 s11, s50, -1
	s_wait_alu 0xfffe
	s_and_saveexec_b32 s5, s11
	s_cbranch_execz .LBB54_192
; %bb.183:                              ;   in Loop: Header=BB54_32 Depth=1
	s_mov_b32 s10, exec_lo
	v_cmpx_le_i64_e64 v[6:7], v[4:5]
	s_wait_alu 0xfffe
	s_xor_b32 s10, exec_lo, s10
	s_cbranch_execz .LBB54_189
; %bb.184:                              ;   in Loop: Header=BB54_32 Depth=1
	ds_load_b64 v[2:3], v13 offset:5120
	s_lshl_b32 s11, 1, s59
	v_or_b32_e32 v46, s16, v46
	s_wait_alu 0xfffe
	v_and_or_b32 v39, v39, s20, s11
	s_wait_dscnt 0x0
	v_cmp_ne_u64_e32 vcc_lo, 0, v[2:3]
	s_cbranch_vccnz .LBB54_188
; %bb.185:                              ;   in Loop: Header=BB54_32 Depth=1
	s_and_saveexec_b32 s11, s2
; %bb.186:                              ;   in Loop: Header=BB54_32 Depth=1
	ds_store_b64 v13, v[4:5] offset:5128
; %bb.187:                              ;   in Loop: Header=BB54_32 Depth=1
	s_wait_alu 0xfffe
	s_or_b32 exec_lo, exec_lo, s11
	s_wait_loadcnt_dscnt 0x0
	s_barrier_signal -1
	s_barrier_wait -1
	global_inv scope:SCOPE_SE
.LBB54_188:                             ;   in Loop: Header=BB54_32 Depth=1
                                        ; implicit-def: $vgpr2_vgpr3_vgpr4_vgpr5
.LBB54_189:                             ;   in Loop: Header=BB54_32 Depth=1
	s_wait_alu 0xfffe
	s_or_saveexec_b32 s10, s10
	v_mov_b32_e32 v12, 8
	s_mov_b32 s11, 0
	s_wait_alu 0xfffe
	s_xor_b32 exec_lo, exec_lo, s10
; %bb.190:                              ;   in Loop: Header=BB54_32 Depth=1
	v_sub_co_u32 v6, vcc_lo, v6, v4
	s_wait_alu 0xfffd
	v_sub_co_ci_u32_e64 v7, null, v7, v5, vcc_lo
	v_mov_b32_e32 v12, 0
	s_mov_b32 s11, exec_lo
; %bb.191:                              ;   in Loop: Header=BB54_32 Depth=1
	s_or_b32 exec_lo, exec_lo, s10
	s_delay_alu instid0(VALU_DEP_2)
	v_dual_mov_b32 v2, v6 :: v_dual_mov_b32 v3, v7
	s_wait_alu 0xfffe
	s_and_b32 s10, s11, exec_lo
.LBB54_192:                             ;   in Loop: Header=BB54_32 Depth=1
	s_wait_alu 0xfffe
	s_or_b32 exec_lo, exec_lo, s5
	s_mov_b32 s5, -1
                                        ; implicit-def: $sgpr14
                                        ; implicit-def: $sgpr15
	s_and_saveexec_b32 s50, s10
	s_cbranch_execz .LBB54_290
; %bb.193:                              ;   in Loop: Header=BB54_32 Depth=1
	v_cmp_eq_u64_e32 vcc_lo, 1, v[2:3]
	s_cmp_eq_u64 s[8:9], 1
                                        ; implicit-def: $sgpr15
                                        ; implicit-def: $sgpr14
	s_cselect_b32 s5, -1, 0
	s_wait_alu 0xfffe
	s_and_b32 s84, s5, vcc_lo
	s_mov_b32 s5, -1
	s_wait_alu 0xfffe
	s_and_saveexec_b32 s51, s84
	s_cbranch_execz .LBB54_229
; %bb.194:                              ;   in Loop: Header=BB54_32 Depth=1
	ds_load_b64 v[4:5], v13 offset:5120
	s_wait_loadcnt_dscnt 0x0
	s_barrier_signal -1
	s_barrier_wait -1
	global_inv scope:SCOPE_SE
	v_readfirstlane_b32 s10, v4
	v_readfirstlane_b32 s11, v5
	s_and_saveexec_b32 s5, s3
; %bb.195:                              ;   in Loop: Header=BB54_32 Depth=1
	ds_store_b32 v35, v13
; %bb.196:                              ;   in Loop: Header=BB54_32 Depth=1
	s_wait_alu 0xfffe
	s_or_b32 exec_lo, exec_lo, s5
	s_lshl_b32 s5, 2, s59
	v_or_b32_e32 v46, s16, v46
	s_wait_alu 0xfffe
	v_and_or_b32 v39, v39, s20, s5
	v_cmp_gt_i64_e64 s5, s[10:11], 0
	s_mov_b32 s14, -1
	s_mov_b32 s15, 0
	s_mov_b32 s24, -1
	s_wait_loadcnt_dscnt 0x0
	s_barrier_signal -1
	s_and_b32 vcc_lo, exec_lo, s5
	s_mov_b32 s5, 0
	s_barrier_wait -1
	global_inv scope:SCOPE_SE
                                        ; implicit-def: $vgpr27
	s_wait_alu 0xfffe
	s_cbranch_vccnz .LBB54_213
; %bb.197:                              ;   in Loop: Header=BB54_32 Depth=1
	s_mov_b32 s12, s25
	s_mov_b32 s13, s77
	s_wait_alu 0xfffe
	s_cmp_lg_u64 s[12:13], 0
	s_cbranch_scc0 .LBB54_256
; %bb.198:                              ;   in Loop: Header=BB54_32 Depth=1
	s_add_nc_u64 s[12:13], s[68:69], 0
	s_wait_alu 0xfffe
	s_xor_b64 s[12:13], s[12:13], 0
	s_wait_alu 0xfffe
	s_cvt_f32_u32 s5, s12
	s_cvt_f32_u32 s24, s13
	s_sub_nc_u64 s[88:89], 0, s[12:13]
	s_wait_alu 0xfffe
	s_delay_alu instid0(SALU_CYCLE_1) | instskip(SKIP_1) | instid1(SALU_CYCLE_2)
	s_fmamk_f32 s5, s24, 0x4f800000, s5
	s_wait_alu 0xfffe
	v_s_rcp_f32 s5, s5
	s_delay_alu instid0(TRANS32_DEP_1) | instskip(SKIP_1) | instid1(SALU_CYCLE_2)
	s_mul_f32 s5, s5, 0x5f7ffffc
	s_wait_alu 0xfffe
	s_mul_f32 s24, s5, 0x2f800000
	s_wait_alu 0xfffe
	s_delay_alu instid0(SALU_CYCLE_2) | instskip(SKIP_1) | instid1(SALU_CYCLE_2)
	s_trunc_f32 s24, s24
	s_wait_alu 0xfffe
	s_fmamk_f32 s5, s24, 0xcf800000, s5
	s_cvt_u32_f32 s87, s24
	s_wait_alu 0xfffe
	s_delay_alu instid0(SALU_CYCLE_1) | instskip(SKIP_1) | instid1(SALU_CYCLE_2)
	s_cvt_u32_f32 s86, s5
	s_wait_alu 0xfffe
	s_mul_u64 s[90:91], s[88:89], s[86:87]
	s_wait_alu 0xfffe
	s_mul_hi_u32 s93, s86, s91
	s_mul_i32 s92, s86, s91
	s_mul_hi_u32 s24, s86, s90
	s_mul_i32 s85, s87, s90
	s_wait_alu 0xfffe
	s_add_nc_u64 s[92:93], s[24:25], s[92:93]
	s_mul_hi_u32 s5, s87, s90
	s_mul_hi_u32 s94, s87, s91
	s_wait_alu 0xfffe
	s_add_co_u32 s24, s92, s85
	s_add_co_ci_u32 s24, s93, s5
	s_mul_i32 s90, s87, s91
	s_add_co_ci_u32 s91, s94, 0
	s_wait_alu 0xfffe
	s_add_nc_u64 s[90:91], s[24:25], s[90:91]
	s_wait_alu 0xfffe
	s_add_co_u32 s86, s86, s90
	s_cselect_b32 s5, -1, 0
	s_wait_alu 0xfffe
	s_cmp_lg_u32 s5, 0
	s_add_co_ci_u32 s87, s87, s91
	s_wait_alu 0xfffe
	s_mul_u64 s[88:89], s[88:89], s[86:87]
	s_wait_alu 0xfffe
	s_mul_hi_u32 s91, s86, s89
	s_mul_i32 s90, s86, s89
	s_mul_hi_u32 s24, s86, s88
	s_mul_i32 s85, s87, s88
	s_wait_alu 0xfffe
	s_add_nc_u64 s[90:91], s[24:25], s[90:91]
	s_mul_hi_u32 s5, s87, s88
	s_mul_hi_u32 s92, s87, s89
	s_wait_alu 0xfffe
	s_add_co_u32 s24, s90, s85
	s_add_co_ci_u32 s24, s91, s5
	s_mul_i32 s88, s87, s89
	s_add_co_ci_u32 s89, s92, 0
	s_wait_alu 0xfffe
	s_add_nc_u64 s[88:89], s[24:25], s[88:89]
	s_wait_alu 0xfffe
	s_add_co_u32 s5, s86, s88
	s_cselect_b32 s24, -1, 0
	s_wait_alu 0xfffe
	s_cmp_lg_u32 s24, 0
	s_add_co_ci_u32 s85, s87, s89
	s_ashr_i32 s86, s77, 31
	s_wait_alu 0xfffe
	s_mov_b32 s87, s86
	s_wait_alu 0xfffe
	s_add_nc_u64 s[88:89], s[76:77], s[86:87]
	s_wait_alu 0xfffe
	s_xor_b64 s[88:89], s[88:89], s[86:87]
	s_wait_alu 0xfffe
	s_mul_hi_u32 s91, s88, s85
	s_mul_i32 s90, s88, s85
	s_mul_hi_u32 s24, s88, s5
	s_mul_hi_u32 s94, s89, s5
	s_mul_i32 s5, s89, s5
	s_wait_alu 0xfffe
	s_add_nc_u64 s[90:91], s[24:25], s[90:91]
	s_mul_hi_u32 s93, s89, s85
	s_wait_alu 0xfffe
	s_add_co_u32 s5, s90, s5
	s_add_co_ci_u32 s24, s91, s94
	s_mul_i32 s92, s89, s85
	s_add_co_ci_u32 s93, s93, 0
	s_wait_alu 0xfffe
	s_add_nc_u64 s[90:91], s[24:25], s[92:93]
	s_wait_alu 0xfffe
	s_mul_u64 s[90:91], s[12:13], s[90:91]
	s_wait_alu 0xfffe
	s_sub_co_u32 s5, s88, s90
	s_cselect_b32 s24, -1, 0
	s_sub_co_i32 s85, s89, s91
	s_wait_alu 0xfffe
	s_cmp_lg_u32 s24, 0
	s_sub_co_ci_u32 s85, s85, s13
	s_sub_co_u32 s88, s5, s12
	s_cselect_b32 s90, -1, 0
	s_wait_alu 0xfffe
	s_cmp_lg_u32 s90, 0
	s_sub_co_ci_u32 s92, s85, 0
	s_wait_alu 0xfffe
	s_cmp_ge_u32 s92, s13
	s_cselect_b32 s93, -1, 0
	s_cmp_ge_u32 s88, s12
	s_cselect_b32 s94, -1, 0
	s_cmp_eq_u32 s92, s13
	s_wait_alu 0xfffe
	s_cselect_b32 s93, s94, s93
	s_cmp_lg_u32 s90, 0
	s_sub_co_ci_u32 s85, s85, s13
	s_sub_co_u32 s90, s88, s12
	s_cselect_b32 s94, -1, 0
	s_wait_alu 0xfffe
	s_cmp_lg_u32 s94, 0
	s_sub_co_ci_u32 s85, s85, 0
	s_cmp_lg_u32 s93, 0
	s_cselect_b32 s88, s90, s88
	s_wait_alu 0xfffe
	s_cselect_b32 s85, s85, s92
	s_cmp_lg_u32 s24, 0
	s_sub_co_ci_u32 s24, s89, s91
	s_wait_alu 0xfffe
	s_cmp_ge_u32 s24, s13
	s_cselect_b32 s89, -1, 0
	s_cmp_ge_u32 s5, s12
	s_cselect_b32 s12, -1, 0
	s_cmp_eq_u32 s24, s13
	s_wait_alu 0xfffe
	s_cselect_b32 s12, s12, s89
	s_wait_alu 0xfffe
	s_cmp_lg_u32 s12, 0
	s_cselect_b32 s13, s85, s24
	s_cselect_b32 s12, s88, s5
	s_wait_alu 0xfffe
	s_xor_b64 s[12:13], s[12:13], s[86:87]
	s_wait_alu 0xfffe
	s_sub_nc_u64 s[12:13], s[12:13], s[86:87]
	s_cbranch_execnz .LBB54_200
.LBB54_199:                             ;   in Loop: Header=BB54_32 Depth=1
	v_cvt_f32_u32_e32 v4, s68
	s_sub_co_i32 s12, 0, s68
	s_delay_alu instid0(VALU_DEP_1) | instskip(NEXT) | instid1(TRANS32_DEP_1)
	v_rcp_iflag_f32_e32 v4, v4
	v_mul_f32_e32 v4, 0x4f7ffffe, v4
	s_delay_alu instid0(VALU_DEP_1) | instskip(NEXT) | instid1(VALU_DEP_1)
	v_cvt_u32_f32_e32 v4, v4
	v_readfirstlane_b32 s5, v4
	s_wait_alu 0xfffe
	s_mul_i32 s12, s12, s5
	s_wait_alu 0xfffe
	s_mul_hi_u32 s12, s5, s12
	s_wait_alu 0xfffe
	s_add_co_i32 s5, s5, s12
	s_wait_alu 0xfffe
	s_mul_hi_u32 s5, s76, s5
	s_wait_alu 0xfffe
	s_mul_i32 s5, s5, s68
	s_wait_alu 0xfffe
	s_sub_co_i32 s5, s76, s5
	s_wait_alu 0xfffe
	s_sub_co_i32 s12, s5, s68
	s_cmp_ge_u32 s5, s68
	s_wait_alu 0xfffe
	s_cselect_b32 s5, s12, s5
	s_wait_alu 0xfffe
	s_sub_co_i32 s12, s5, s68
	s_cmp_ge_u32 s5, s68
	s_wait_alu 0xfffe
	s_cselect_b32 s24, s12, s5
	s_wait_alu 0xfffe
	s_mov_b64 s[12:13], s[24:25]
.LBB54_200:                             ;   in Loop: Header=BB54_32 Depth=1
	s_wait_alu 0xfffe
	s_sub_nc_u64 s[12:13], s[76:77], s[12:13]
	s_mov_b32 s24, 0
	s_mov_b32 s5, 0
	s_mov_b32 s85, exec_lo
                                        ; implicit-def: $vgpr27
	s_wait_alu 0xfffe
	v_cmpx_gt_i64_e64 s[12:13], v[0:1]
	s_cbranch_execz .LBB54_212
; %bb.201:                              ;   in Loop: Header=BB54_32 Depth=1
	v_dual_mov_b32 v4, v10 :: v_dual_mov_b32 v5, v11
	v_dual_mov_b32 v7, v1 :: v_dual_mov_b32 v6, v0
	s_mov_b32 s86, 0
                                        ; implicit-def: $sgpr87
	s_branch .LBB54_205
.LBB54_202:                             ;   in Loop: Header=BB54_205 Depth=2
	s_wait_alu 0xfffe
	s_or_b32 exec_lo, exec_lo, s5
	s_wait_loadcnt_dscnt 0x0
	s_barrier_signal -1
	s_barrier_wait -1
	global_inv scope:SCOPE_SE
	ds_load_b64 v[26:27], v13 offset:3072
	s_wait_loadcnt_dscnt 0x0
	s_barrier_signal -1
	s_barrier_wait -1
	global_inv scope:SCOPE_SE
	v_cmp_neq_f32_e32 vcc_lo, 0, v26
	s_cbranch_vccnz .LBB54_208
; %bb.203:                              ;   in Loop: Header=BB54_205 Depth=2
	v_add_co_u32 v6, vcc_lo, v6, s68
	s_wait_alu 0xfffd
	v_add_co_ci_u32_e64 v7, null, 0, v7, vcc_lo
	v_add_co_u32 v4, s5, v4, s70
	s_wait_alu 0xf1ff
	v_add_co_ci_u32_e64 v5, null, s71, v5, s5
	s_delay_alu instid0(VALU_DEP_3)
	v_cmp_le_i64_e32 vcc_lo, s[12:13], v[6:7]
	s_mov_b32 s5, 0
	s_or_not1_b32 s88, vcc_lo, exec_lo
.LBB54_204:                             ;   in Loop: Header=BB54_205 Depth=2
	s_wait_alu 0xfffe
	s_and_b32 s88, exec_lo, s88
	s_wait_alu 0xfffe
	s_or_b32 s86, s88, s86
	s_and_not1_b32 s87, s87, exec_lo
	s_and_b32 s5, s5, exec_lo
	s_wait_alu 0xfffe
	s_or_b32 s87, s87, s5
	s_and_not1_b32 exec_lo, exec_lo, s86
	s_cbranch_execz .LBB54_211
.LBB54_205:                             ;   Parent Loop BB54_32 Depth=1
                                        ; =>  This Inner Loop Header: Depth=2
	s_mov_b32 s5, exec_lo
	s_delay_alu instid0(VALU_DEP_1)
	v_cmpx_gt_i64_e64 s[36:37], v[6:7]
	s_cbranch_execz .LBB54_202
; %bb.206:                              ;   in Loop: Header=BB54_205 Depth=2
	global_load_b32 v26, v[4:5], off
	s_wait_loadcnt 0x0
	v_cmp_lt_i32_e32 vcc_lo, -1, v26
	s_wait_alu 0xfffd
	v_cndmask_b32_e64 v8, -1, 0x80000000, vcc_lo
	v_cmp_o_f32_e32 vcc_lo, v26, v26
	s_delay_alu instid0(VALU_DEP_2) | instskip(SKIP_1) | instid1(VALU_DEP_1)
	v_xor_b32_e32 v8, v8, v26
	s_wait_alu 0xfffd
	v_cndmask_b32_e32 v8, -1, v8, vcc_lo
	s_delay_alu instid0(VALU_DEP_1) | instskip(NEXT) | instid1(VALU_DEP_1)
	v_and_b32_e32 v8, v8, v46
	v_cmp_eq_u32_e32 vcc_lo, v8, v39
	s_and_b32 exec_lo, exec_lo, vcc_lo
	s_cbranch_execz .LBB54_202
; %bb.207:                              ;   in Loop: Header=BB54_205 Depth=2
	ds_store_b64 v13, v[25:26] offset:3072
	s_branch .LBB54_202
.LBB54_208:                             ;   in Loop: Header=BB54_205 Depth=2
	s_mov_b32 s88, -1
	s_mov_b32 s5, -1
                                        ; implicit-def: $vgpr6_vgpr7
                                        ; implicit-def: $vgpr4_vgpr5
	s_branch .LBB54_204
.LBB54_209:                             ;   in Loop: Header=BB54_32 Depth=1
                                        ; implicit-def: $sgpr12_sgpr13
	s_branch .LBB54_151
.LBB54_210:                             ;   in Loop: Header=BB54_32 Depth=1
                                        ; implicit-def: $sgpr14_sgpr15
	s_branch .LBB54_168
.LBB54_211:                             ;   in Loop: Header=BB54_32 Depth=1
	s_or_b32 exec_lo, exec_lo, s86
	s_wait_alu 0xfffe
	s_and_b32 s5, s87, exec_lo
.LBB54_212:                             ;   in Loop: Header=BB54_32 Depth=1
	s_or_b32 exec_lo, exec_lo, s85
.LBB54_213:                             ;   in Loop: Header=BB54_32 Depth=1
	s_delay_alu instid0(SALU_CYCLE_1)
	s_and_b32 vcc_lo, exec_lo, s24
	s_wait_alu 0xfffe
	s_cbranch_vccz .LBB54_228
; %bb.214:                              ;   in Loop: Header=BB54_32 Depth=1
	s_add_nc_u64 s[12:13], s[10:11], s[74:75]
	s_mov_b32 s14, s25
	s_wait_alu 0xfffe
	s_mov_b32 s15, s13
	s_wait_alu 0xfffe
	s_cmp_lg_u64 s[14:15], 0
	s_cbranch_scc0 .LBB54_257
; %bb.215:                              ;   in Loop: Header=BB54_32 Depth=1
	s_add_nc_u64 s[14:15], s[68:69], 0
	s_wait_alu 0xfffe
	s_xor_b64 s[14:15], s[14:15], 0
	s_wait_alu 0xfffe
	s_cvt_f32_u32 s24, s14
	s_cvt_f32_u32 s85, s15
	s_sub_nc_u64 s[88:89], 0, s[14:15]
	s_wait_alu 0xfffe
	s_delay_alu instid0(SALU_CYCLE_1) | instskip(SKIP_1) | instid1(SALU_CYCLE_2)
	s_fmamk_f32 s24, s85, 0x4f800000, s24
	s_wait_alu 0xfffe
	v_s_rcp_f32 s24, s24
	s_delay_alu instid0(TRANS32_DEP_1) | instskip(SKIP_1) | instid1(SALU_CYCLE_2)
	s_mul_f32 s24, s24, 0x5f7ffffc
	s_wait_alu 0xfffe
	s_mul_f32 s85, s24, 0x2f800000
	s_wait_alu 0xfffe
	s_delay_alu instid0(SALU_CYCLE_2) | instskip(SKIP_1) | instid1(SALU_CYCLE_2)
	s_trunc_f32 s85, s85
	s_wait_alu 0xfffe
	s_fmamk_f32 s24, s85, 0xcf800000, s24
	s_cvt_u32_f32 s87, s85
	s_wait_alu 0xfffe
	s_delay_alu instid0(SALU_CYCLE_1) | instskip(SKIP_1) | instid1(SALU_CYCLE_2)
	s_cvt_u32_f32 s86, s24
	s_wait_alu 0xfffe
	s_mul_u64 s[90:91], s[88:89], s[86:87]
	s_wait_alu 0xfffe
	s_mul_hi_u32 s93, s86, s91
	s_mul_i32 s92, s86, s91
	s_mul_hi_u32 s24, s86, s90
	s_mul_i32 s94, s87, s90
	s_wait_alu 0xfffe
	s_add_nc_u64 s[92:93], s[24:25], s[92:93]
	s_mul_hi_u32 s85, s87, s90
	s_mul_hi_u32 s95, s87, s91
	s_wait_alu 0xfffe
	s_add_co_u32 s24, s92, s94
	s_add_co_ci_u32 s24, s93, s85
	s_mul_i32 s90, s87, s91
	s_add_co_ci_u32 s91, s95, 0
	s_wait_alu 0xfffe
	s_add_nc_u64 s[90:91], s[24:25], s[90:91]
	s_wait_alu 0xfffe
	s_add_co_u32 s86, s86, s90
	s_cselect_b32 s24, -1, 0
	s_wait_alu 0xfffe
	s_cmp_lg_u32 s24, 0
	s_add_co_ci_u32 s87, s87, s91
	s_wait_alu 0xfffe
	s_mul_u64 s[88:89], s[88:89], s[86:87]
	s_wait_alu 0xfffe
	s_mul_hi_u32 s91, s86, s89
	s_mul_i32 s90, s86, s89
	s_mul_hi_u32 s24, s86, s88
	s_mul_i32 s92, s87, s88
	s_wait_alu 0xfffe
	s_add_nc_u64 s[90:91], s[24:25], s[90:91]
	s_mul_hi_u32 s85, s87, s88
	s_mul_hi_u32 s93, s87, s89
	s_wait_alu 0xfffe
	s_add_co_u32 s24, s90, s92
	s_add_co_ci_u32 s24, s91, s85
	s_mul_i32 s88, s87, s89
	s_add_co_ci_u32 s89, s93, 0
	s_wait_alu 0xfffe
	s_add_nc_u64 s[88:89], s[24:25], s[88:89]
	s_wait_alu 0xfffe
	s_add_co_u32 s85, s86, s88
	s_cselect_b32 s24, -1, 0
	s_wait_alu 0xfffe
	s_cmp_lg_u32 s24, 0
	s_add_co_ci_u32 s92, s87, s89
	s_ashr_i32 s86, s13, 31
	s_wait_alu 0xfffe
	s_mov_b32 s87, s86
	s_wait_alu 0xfffe
	s_add_nc_u64 s[88:89], s[12:13], s[86:87]
	s_wait_alu 0xfffe
	s_xor_b64 s[88:89], s[88:89], s[86:87]
	s_wait_alu 0xfffe
	s_mul_hi_u32 s91, s88, s92
	s_mul_i32 s90, s88, s92
	s_mul_hi_u32 s24, s88, s85
	s_mul_hi_u32 s94, s89, s85
	s_mul_i32 s85, s89, s85
	s_wait_alu 0xfffe
	s_add_nc_u64 s[90:91], s[24:25], s[90:91]
	s_mul_hi_u32 s93, s89, s92
	s_wait_alu 0xfffe
	s_add_co_u32 s24, s90, s85
	s_add_co_ci_u32 s24, s91, s94
	s_mul_i32 s92, s89, s92
	s_add_co_ci_u32 s93, s93, 0
	s_wait_alu 0xfffe
	s_add_nc_u64 s[90:91], s[24:25], s[92:93]
	s_wait_alu 0xfffe
	s_mul_u64 s[90:91], s[14:15], s[90:91]
	s_wait_alu 0xfffe
	s_sub_co_u32 s24, s88, s90
	s_cselect_b32 s85, -1, 0
	s_sub_co_i32 s88, s89, s91
	s_wait_alu 0xfffe
	s_cmp_lg_u32 s85, 0
	s_sub_co_ci_u32 s88, s88, s15
	s_sub_co_u32 s90, s24, s14
	s_cselect_b32 s92, -1, 0
	s_wait_alu 0xfffe
	s_cmp_lg_u32 s92, 0
	s_sub_co_ci_u32 s93, s88, 0
	s_wait_alu 0xfffe
	s_cmp_ge_u32 s93, s15
	s_cselect_b32 s94, -1, 0
	s_cmp_ge_u32 s90, s14
	s_cselect_b32 s95, -1, 0
	s_cmp_eq_u32 s93, s15
	s_wait_alu 0xfffe
	s_cselect_b32 s94, s95, s94
	s_cmp_lg_u32 s92, 0
	s_sub_co_ci_u32 s88, s88, s15
	s_sub_co_u32 s92, s90, s14
	s_cselect_b32 s95, -1, 0
	s_wait_alu 0xfffe
	s_cmp_lg_u32 s95, 0
	s_sub_co_ci_u32 s88, s88, 0
	s_cmp_lg_u32 s94, 0
	s_cselect_b32 s90, s92, s90
	s_wait_alu 0xfffe
	s_cselect_b32 s88, s88, s93
	s_cmp_lg_u32 s85, 0
	s_sub_co_ci_u32 s85, s89, s91
	s_wait_alu 0xfffe
	s_cmp_ge_u32 s85, s15
	s_cselect_b32 s89, -1, 0
	s_cmp_ge_u32 s24, s14
	s_cselect_b32 s14, -1, 0
	s_cmp_eq_u32 s85, s15
	s_wait_alu 0xfffe
	s_cselect_b32 s14, s14, s89
	s_wait_alu 0xfffe
	s_cmp_lg_u32 s14, 0
	s_cselect_b32 s15, s88, s85
	s_cselect_b32 s14, s90, s24
	s_wait_alu 0xfffe
	s_xor_b64 s[14:15], s[14:15], s[86:87]
	s_wait_alu 0xfffe
	s_sub_nc_u64 s[14:15], s[14:15], s[86:87]
	s_cbranch_execnz .LBB54_217
.LBB54_216:                             ;   in Loop: Header=BB54_32 Depth=1
	v_cvt_f32_u32_e32 v4, s68
	s_sub_co_i32 s15, 0, s68
	s_delay_alu instid0(VALU_DEP_1) | instskip(NEXT) | instid1(TRANS32_DEP_1)
	v_rcp_iflag_f32_e32 v4, v4
	v_mul_f32_e32 v4, 0x4f7ffffe, v4
	s_delay_alu instid0(VALU_DEP_1) | instskip(NEXT) | instid1(VALU_DEP_1)
	v_cvt_u32_f32_e32 v4, v4
	v_readfirstlane_b32 s14, v4
	s_wait_alu 0xfffe
	s_mul_i32 s15, s15, s14
	s_wait_alu 0xfffe
	s_mul_hi_u32 s15, s14, s15
	s_wait_alu 0xfffe
	s_add_co_i32 s14, s14, s15
	s_wait_alu 0xfffe
	s_mul_hi_u32 s14, s12, s14
	s_wait_alu 0xfffe
	s_mul_i32 s14, s14, s68
	s_wait_alu 0xfffe
	s_sub_co_i32 s14, s12, s14
	s_wait_alu 0xfffe
	s_sub_co_i32 s15, s14, s68
	s_cmp_ge_u32 s14, s68
	s_wait_alu 0xfffe
	s_cselect_b32 s14, s15, s14
	s_wait_alu 0xfffe
	s_sub_co_i32 s15, s14, s68
	s_cmp_ge_u32 s14, s68
	s_wait_alu 0xfffe
	s_cselect_b32 s24, s15, s14
	s_wait_alu 0xfffe
	s_mov_b64 s[14:15], s[24:25]
.LBB54_217:                             ;   in Loop: Header=BB54_32 Depth=1
	s_wait_alu 0xfffe
	s_sub_nc_u64 s[12:13], s[12:13], s[14:15]
	s_mov_b32 s14, exec_lo
                                        ; implicit-def: $vgpr27
	s_wait_alu 0xfffe
	v_cmpx_gt_i64_e64 s[12:13], v[0:1]
	s_cbranch_execz .LBB54_227
; %bb.218:                              ;   in Loop: Header=BB54_32 Depth=1
	v_dual_mov_b32 v6, v14 :: v_dual_mov_b32 v5, v1
	v_mov_b32_e32 v4, v0
	s_mov_b32 s15, 0
                                        ; implicit-def: $sgpr24
	s_branch .LBB54_222
.LBB54_219:                             ;   in Loop: Header=BB54_222 Depth=2
	s_wait_alu 0xfffe
	s_or_b32 exec_lo, exec_lo, s85
	s_wait_loadcnt_dscnt 0x0
	s_barrier_signal -1
	s_barrier_wait -1
	global_inv scope:SCOPE_SE
	ds_load_b64 v[26:27], v13 offset:3072
	s_wait_loadcnt_dscnt 0x0
	s_barrier_signal -1
	s_barrier_wait -1
	global_inv scope:SCOPE_SE
	v_cmp_eq_f32_e32 vcc_lo, 0, v26
	s_cbranch_vccz .LBB54_225
; %bb.220:                              ;   in Loop: Header=BB54_222 Depth=2
	v_add_co_u32 v4, vcc_lo, v4, s68
	s_wait_alu 0xfffd
	v_add_co_ci_u32_e64 v5, null, 0, v5, vcc_lo
	v_add_nc_u32_e32 v6, s58, v6
	s_mov_b32 s85, 0
	s_delay_alu instid0(VALU_DEP_2)
	v_cmp_le_i64_e32 vcc_lo, s[12:13], v[4:5]
	s_or_not1_b32 s86, vcc_lo, exec_lo
.LBB54_221:                             ;   in Loop: Header=BB54_222 Depth=2
	s_wait_alu 0xfffe
	s_and_b32 s86, exec_lo, s86
	s_wait_alu 0xfffe
	s_or_b32 s15, s86, s15
	s_and_not1_b32 s24, s24, exec_lo
	s_and_b32 s85, s85, exec_lo
	s_wait_alu 0xfffe
	s_or_b32 s24, s24, s85
	s_and_not1_b32 exec_lo, exec_lo, s15
	s_cbranch_execz .LBB54_226
.LBB54_222:                             ;   Parent Loop BB54_32 Depth=1
                                        ; =>  This Inner Loop Header: Depth=2
	s_mov_b32 s85, exec_lo
	s_delay_alu instid0(VALU_DEP_1)
	v_cmpx_gt_u64_e64 s[10:11], v[4:5]
	s_cbranch_execz .LBB54_219
; %bb.223:                              ;   in Loop: Header=BB54_222 Depth=2
	ds_load_b32 v26, v6
	s_wait_dscnt 0x0
	v_cmp_lt_i32_e32 vcc_lo, -1, v26
	s_wait_alu 0xfffd
	v_cndmask_b32_e64 v7, -1, 0x80000000, vcc_lo
	v_cmp_o_f32_e32 vcc_lo, v26, v26
	s_delay_alu instid0(VALU_DEP_2) | instskip(SKIP_1) | instid1(VALU_DEP_1)
	v_xor_b32_e32 v7, v7, v26
	s_wait_alu 0xfffd
	v_cndmask_b32_e32 v7, -1, v7, vcc_lo
	s_delay_alu instid0(VALU_DEP_1) | instskip(NEXT) | instid1(VALU_DEP_1)
	v_and_b32_e32 v7, v7, v46
	v_cmp_eq_u32_e32 vcc_lo, v7, v39
	s_and_b32 exec_lo, exec_lo, vcc_lo
	s_cbranch_execz .LBB54_219
; %bb.224:                              ;   in Loop: Header=BB54_222 Depth=2
	ds_store_b64 v13, v[25:26] offset:3072
	s_branch .LBB54_219
.LBB54_225:                             ;   in Loop: Header=BB54_222 Depth=2
	s_mov_b32 s86, -1
	s_mov_b32 s85, -1
                                        ; implicit-def: $vgpr4_vgpr5
                                        ; implicit-def: $vgpr6
	s_branch .LBB54_221
.LBB54_226:                             ;   in Loop: Header=BB54_32 Depth=1
	s_or_b32 exec_lo, exec_lo, s15
	s_delay_alu instid0(SALU_CYCLE_1)
	s_and_not1_b32 s5, s5, exec_lo
	s_wait_alu 0xfffe
	s_and_b32 s10, s24, exec_lo
	s_wait_alu 0xfffe
	s_or_b32 s5, s5, s10
.LBB54_227:                             ;   in Loop: Header=BB54_32 Depth=1
	s_or_b32 exec_lo, exec_lo, s14
	s_mov_b32 s14, 0
	s_mov_b32 s15, -1
.LBB54_228:                             ;   in Loop: Header=BB54_32 Depth=1
	s_wait_alu 0xfffe
	s_or_not1_b32 s5, s5, exec_lo
.LBB54_229:                             ;   in Loop: Header=BB54_32 Depth=1
	s_wait_alu 0xfffe
	s_or_b32 exec_lo, exec_lo, s51
	s_mov_b32 s10, 0
	s_and_saveexec_b32 s51, s5
	s_cbranch_execz .LBB54_289
; %bb.230:                              ;   in Loop: Header=BB54_32 Depth=1
	v_mov_b32_e32 v4, 1
	v_dual_mov_b32 v5, 0 :: v_dual_mov_b32 v12, 1
	s_xor_b32 s11, s84, -1
	s_wait_alu 0xfffe
	s_and_saveexec_b32 s5, s11
	s_cbranch_execz .LBB54_239
; %bb.231:                              ;   in Loop: Header=BB54_32 Depth=1
	s_mov_b32 s10, exec_lo
	v_cmpx_ge_i64_e64 s[8:9], v[2:3]
	s_wait_alu 0xfffe
	s_xor_b32 s10, exec_lo, s10
	s_cbranch_execz .LBB54_236
; %bb.232:                              ;   in Loop: Header=BB54_32 Depth=1
	ds_load_b64 v[4:5], v13 offset:5120
	s_lshl_b32 s11, 2, s59
	v_or_b32_e32 v46, s16, v46
	s_wait_alu 0xfffe
	v_and_or_b32 v39, v39, s20, s11
	s_wait_dscnt 0x0
	v_cmp_ne_u64_e32 vcc_lo, 0, v[4:5]
	s_cbranch_vccnz .LBB54_236
; %bb.233:                              ;   in Loop: Header=BB54_32 Depth=1
	s_and_saveexec_b32 s11, s2
; %bb.234:                              ;   in Loop: Header=BB54_32 Depth=1
	v_dual_mov_b32 v4, s8 :: v_dual_mov_b32 v5, s9
	ds_store_b64 v13, v[4:5] offset:5128
; %bb.235:                              ;   in Loop: Header=BB54_32 Depth=1
	s_wait_alu 0xfffe
	s_or_b32 exec_lo, exec_lo, s11
	s_wait_loadcnt_dscnt 0x0
	s_barrier_signal -1
	s_barrier_wait -1
	global_inv scope:SCOPE_SE
.LBB54_236:                             ;   in Loop: Header=BB54_32 Depth=1
	s_wait_alu 0xfffe
	s_or_saveexec_b32 s10, s10
	v_mov_b32_e32 v12, 8
	s_mov_b32 s11, 0
	s_wait_alu 0xfffe
	s_xor_b32 exec_lo, exec_lo, s10
; %bb.237:                              ;   in Loop: Header=BB54_32 Depth=1
	v_sub_co_u32 v2, vcc_lo, v2, s8
	s_wait_alu 0xfffd
	v_subrev_co_ci_u32_e64 v3, null, s9, v3, vcc_lo
	v_mov_b32_e32 v12, 0
	s_mov_b32 s11, exec_lo
; %bb.238:                              ;   in Loop: Header=BB54_32 Depth=1
	s_or_b32 exec_lo, exec_lo, s10
	s_delay_alu instid0(VALU_DEP_2)
	v_dual_mov_b32 v5, v3 :: v_dual_mov_b32 v4, v2
	s_wait_alu 0xfffe
	s_and_b32 s10, s11, exec_lo
.LBB54_239:                             ;   in Loop: Header=BB54_32 Depth=1
	s_wait_alu 0xfffe
	s_or_b32 exec_lo, exec_lo, s5
	s_mov_b32 s5, -1
                                        ; implicit-def: $sgpr13
                                        ; implicit-def: $sgpr12
	s_and_saveexec_b32 s20, s10
	s_cbranch_execz .LBB54_288
; %bb.240:                              ;   in Loop: Header=BB54_32 Depth=1
	v_cmp_eq_u64_e32 vcc_lo, 1, v[4:5]
	s_cmp_eq_u64 s[6:7], 1
	s_mov_b32 s8, -1
	s_cselect_b32 s5, -1, 0
                                        ; implicit-def: $sgpr13
                                        ; implicit-def: $sgpr12
	s_wait_alu 0xfffe
	s_and_b32 s84, s5, vcc_lo
	s_wait_alu 0xfffe
	s_and_saveexec_b32 s85, s84
	s_cbranch_execz .LBB54_276
; %bb.241:                              ;   in Loop: Header=BB54_32 Depth=1
	ds_load_b64 v[2:3], v13 offset:5120
	s_wait_loadcnt_dscnt 0x0
	s_barrier_signal -1
	s_barrier_wait -1
	global_inv scope:SCOPE_SE
	v_readfirstlane_b32 s8, v2
	v_readfirstlane_b32 s9, v3
	s_and_saveexec_b32 s5, s3
; %bb.242:                              ;   in Loop: Header=BB54_32 Depth=1
	ds_store_b32 v35, v13
; %bb.243:                              ;   in Loop: Header=BB54_32 Depth=1
	s_wait_alu 0xfffe
	s_or_b32 exec_lo, exec_lo, s5
	v_cmp_gt_i64_e64 s5, s[8:9], 0
	v_or_b32_e32 v39, s16, v39
	v_or_b32_e32 v46, s16, v46
	s_mov_b32 s12, -1
	s_mov_b32 s13, 0
	s_mov_b32 s24, -1
	s_and_b32 vcc_lo, exec_lo, s5
	s_mov_b32 s5, 0
	s_wait_loadcnt_dscnt 0x0
	s_barrier_signal -1
	s_barrier_wait -1
	global_inv scope:SCOPE_SE
                                        ; implicit-def: $vgpr27
	s_wait_alu 0xfffe
	s_cbranch_vccnz .LBB54_260
; %bb.244:                              ;   in Loop: Header=BB54_32 Depth=1
	s_mov_b32 s10, s25
	s_mov_b32 s11, s77
	s_wait_alu 0xfffe
	s_cmp_lg_u64 s[10:11], 0
	s_cbranch_scc0 .LBB54_295
; %bb.245:                              ;   in Loop: Header=BB54_32 Depth=1
	s_add_nc_u64 s[10:11], s[68:69], 0
	s_wait_alu 0xfffe
	s_xor_b64 s[10:11], s[10:11], 0
	s_wait_alu 0xfffe
	s_cvt_f32_u32 s5, s10
	s_cvt_f32_u32 s24, s11
	s_sub_nc_u64 s[88:89], 0, s[10:11]
	s_wait_alu 0xfffe
	s_delay_alu instid0(SALU_CYCLE_1) | instskip(SKIP_1) | instid1(SALU_CYCLE_2)
	s_fmamk_f32 s5, s24, 0x4f800000, s5
	s_wait_alu 0xfffe
	v_s_rcp_f32 s5, s5
	s_delay_alu instid0(TRANS32_DEP_1) | instskip(SKIP_1) | instid1(SALU_CYCLE_2)
	s_mul_f32 s5, s5, 0x5f7ffffc
	s_wait_alu 0xfffe
	s_mul_f32 s24, s5, 0x2f800000
	s_wait_alu 0xfffe
	s_delay_alu instid0(SALU_CYCLE_2) | instskip(SKIP_1) | instid1(SALU_CYCLE_2)
	s_trunc_f32 s24, s24
	s_wait_alu 0xfffe
	s_fmamk_f32 s5, s24, 0xcf800000, s5
	s_cvt_u32_f32 s87, s24
	s_wait_alu 0xfffe
	s_delay_alu instid0(SALU_CYCLE_1) | instskip(SKIP_1) | instid1(SALU_CYCLE_2)
	s_cvt_u32_f32 s86, s5
	s_wait_alu 0xfffe
	s_mul_u64 s[90:91], s[88:89], s[86:87]
	s_wait_alu 0xfffe
	s_mul_hi_u32 s93, s86, s91
	s_mul_i32 s92, s86, s91
	s_mul_hi_u32 s24, s86, s90
	s_mul_i32 s94, s87, s90
	s_wait_alu 0xfffe
	s_add_nc_u64 s[92:93], s[24:25], s[92:93]
	s_mul_hi_u32 s5, s87, s90
	s_mul_hi_u32 s95, s87, s91
	s_wait_alu 0xfffe
	s_add_co_u32 s24, s92, s94
	s_add_co_ci_u32 s24, s93, s5
	s_mul_i32 s90, s87, s91
	s_add_co_ci_u32 s91, s95, 0
	s_wait_alu 0xfffe
	s_add_nc_u64 s[90:91], s[24:25], s[90:91]
	s_wait_alu 0xfffe
	s_add_co_u32 s86, s86, s90
	s_cselect_b32 s5, -1, 0
	s_wait_alu 0xfffe
	s_cmp_lg_u32 s5, 0
	s_add_co_ci_u32 s87, s87, s91
	s_wait_alu 0xfffe
	s_mul_u64 s[88:89], s[88:89], s[86:87]
	s_wait_alu 0xfffe
	s_mul_hi_u32 s91, s86, s89
	s_mul_i32 s90, s86, s89
	s_mul_hi_u32 s24, s86, s88
	s_mul_i32 s92, s87, s88
	s_wait_alu 0xfffe
	s_add_nc_u64 s[90:91], s[24:25], s[90:91]
	s_mul_hi_u32 s5, s87, s88
	s_mul_hi_u32 s93, s87, s89
	s_wait_alu 0xfffe
	s_add_co_u32 s24, s90, s92
	s_add_co_ci_u32 s24, s91, s5
	s_mul_i32 s88, s87, s89
	s_add_co_ci_u32 s89, s93, 0
	s_wait_alu 0xfffe
	s_add_nc_u64 s[88:89], s[24:25], s[88:89]
	s_wait_alu 0xfffe
	s_add_co_u32 s5, s86, s88
	s_cselect_b32 s24, -1, 0
	s_wait_alu 0xfffe
	s_cmp_lg_u32 s24, 0
	s_add_co_ci_u32 s92, s87, s89
	s_ashr_i32 s86, s77, 31
	s_wait_alu 0xfffe
	s_mov_b32 s87, s86
	s_wait_alu 0xfffe
	s_add_nc_u64 s[88:89], s[76:77], s[86:87]
	s_wait_alu 0xfffe
	s_xor_b64 s[88:89], s[88:89], s[86:87]
	s_wait_alu 0xfffe
	s_mul_hi_u32 s91, s88, s92
	s_mul_i32 s90, s88, s92
	s_mul_hi_u32 s24, s88, s5
	s_mul_hi_u32 s94, s89, s5
	s_mul_i32 s5, s89, s5
	s_wait_alu 0xfffe
	s_add_nc_u64 s[90:91], s[24:25], s[90:91]
	s_mul_hi_u32 s93, s89, s92
	s_wait_alu 0xfffe
	s_add_co_u32 s5, s90, s5
	s_add_co_ci_u32 s24, s91, s94
	s_mul_i32 s92, s89, s92
	s_add_co_ci_u32 s93, s93, 0
	s_wait_alu 0xfffe
	s_add_nc_u64 s[90:91], s[24:25], s[92:93]
	s_wait_alu 0xfffe
	s_mul_u64 s[90:91], s[10:11], s[90:91]
	s_wait_alu 0xfffe
	s_sub_co_u32 s5, s88, s90
	s_cselect_b32 s24, -1, 0
	s_sub_co_i32 s88, s89, s91
	s_wait_alu 0xfffe
	s_cmp_lg_u32 s24, 0
	s_sub_co_ci_u32 s88, s88, s11
	s_sub_co_u32 s90, s5, s10
	s_cselect_b32 s92, -1, 0
	s_wait_alu 0xfffe
	s_cmp_lg_u32 s92, 0
	s_sub_co_ci_u32 s93, s88, 0
	s_wait_alu 0xfffe
	s_cmp_ge_u32 s93, s11
	s_cselect_b32 s94, -1, 0
	s_cmp_ge_u32 s90, s10
	s_cselect_b32 s95, -1, 0
	s_cmp_eq_u32 s93, s11
	s_wait_alu 0xfffe
	s_cselect_b32 s94, s95, s94
	s_cmp_lg_u32 s92, 0
	s_sub_co_ci_u32 s88, s88, s11
	s_sub_co_u32 s92, s90, s10
	s_cselect_b32 s95, -1, 0
	s_wait_alu 0xfffe
	s_cmp_lg_u32 s95, 0
	s_sub_co_ci_u32 s88, s88, 0
	s_cmp_lg_u32 s94, 0
	s_cselect_b32 s90, s92, s90
	s_wait_alu 0xfffe
	s_cselect_b32 s88, s88, s93
	s_cmp_lg_u32 s24, 0
	s_sub_co_ci_u32 s24, s89, s91
	s_wait_alu 0xfffe
	s_cmp_ge_u32 s24, s11
	s_cselect_b32 s89, -1, 0
	s_cmp_ge_u32 s5, s10
	s_cselect_b32 s10, -1, 0
	s_cmp_eq_u32 s24, s11
	s_wait_alu 0xfffe
	s_cselect_b32 s10, s10, s89
	s_wait_alu 0xfffe
	s_cmp_lg_u32 s10, 0
	s_cselect_b32 s11, s88, s24
	s_cselect_b32 s10, s90, s5
	s_wait_alu 0xfffe
	s_xor_b64 s[10:11], s[10:11], s[86:87]
	s_wait_alu 0xfffe
	s_sub_nc_u64 s[10:11], s[10:11], s[86:87]
	s_cbranch_execnz .LBB54_247
.LBB54_246:                             ;   in Loop: Header=BB54_32 Depth=1
	v_cvt_f32_u32_e32 v2, s68
	s_sub_co_i32 s10, 0, s68
	s_delay_alu instid0(VALU_DEP_1) | instskip(NEXT) | instid1(TRANS32_DEP_1)
	v_rcp_iflag_f32_e32 v2, v2
	v_mul_f32_e32 v2, 0x4f7ffffe, v2
	s_delay_alu instid0(VALU_DEP_1) | instskip(NEXT) | instid1(VALU_DEP_1)
	v_cvt_u32_f32_e32 v2, v2
	v_readfirstlane_b32 s5, v2
	s_wait_alu 0xfffe
	s_mul_i32 s10, s10, s5
	s_wait_alu 0xfffe
	s_mul_hi_u32 s10, s5, s10
	s_wait_alu 0xfffe
	s_add_co_i32 s5, s5, s10
	s_wait_alu 0xfffe
	s_mul_hi_u32 s5, s76, s5
	s_wait_alu 0xfffe
	s_mul_i32 s5, s5, s68
	s_wait_alu 0xfffe
	s_sub_co_i32 s5, s76, s5
	s_wait_alu 0xfffe
	s_sub_co_i32 s10, s5, s68
	s_cmp_ge_u32 s5, s68
	s_wait_alu 0xfffe
	s_cselect_b32 s5, s10, s5
	s_wait_alu 0xfffe
	s_sub_co_i32 s10, s5, s68
	s_cmp_ge_u32 s5, s68
	s_wait_alu 0xfffe
	s_cselect_b32 s24, s10, s5
	s_wait_alu 0xfffe
	s_mov_b64 s[10:11], s[24:25]
.LBB54_247:                             ;   in Loop: Header=BB54_32 Depth=1
	s_wait_alu 0xfffe
	s_sub_nc_u64 s[10:11], s[76:77], s[10:11]
	s_mov_b32 s24, 0
	s_mov_b32 s5, 0
	s_mov_b32 s86, exec_lo
                                        ; implicit-def: $vgpr27
	s_wait_alu 0xfffe
	v_cmpx_gt_i64_e64 s[10:11], v[0:1]
	s_cbranch_execz .LBB54_259
; %bb.248:                              ;   in Loop: Header=BB54_32 Depth=1
	v_dual_mov_b32 v2, v10 :: v_dual_mov_b32 v3, v11
	v_dual_mov_b32 v7, v1 :: v_dual_mov_b32 v6, v0
	s_mov_b32 s87, 0
                                        ; implicit-def: $sgpr88
	s_branch .LBB54_252
.LBB54_249:                             ;   in Loop: Header=BB54_252 Depth=2
	s_wait_alu 0xfffe
	s_or_b32 exec_lo, exec_lo, s5
	s_wait_loadcnt_dscnt 0x0
	s_barrier_signal -1
	s_barrier_wait -1
	global_inv scope:SCOPE_SE
	ds_load_b64 v[26:27], v13 offset:3072
	s_wait_loadcnt_dscnt 0x0
	s_barrier_signal -1
	s_barrier_wait -1
	global_inv scope:SCOPE_SE
	v_cmp_neq_f32_e32 vcc_lo, 0, v26
	s_cbranch_vccnz .LBB54_255
; %bb.250:                              ;   in Loop: Header=BB54_252 Depth=2
	v_add_co_u32 v6, vcc_lo, v6, s68
	s_wait_alu 0xfffd
	v_add_co_ci_u32_e64 v7, null, 0, v7, vcc_lo
	v_add_co_u32 v2, s5, v2, s70
	s_wait_alu 0xf1ff
	v_add_co_ci_u32_e64 v3, null, s71, v3, s5
	s_delay_alu instid0(VALU_DEP_3)
	v_cmp_le_i64_e32 vcc_lo, s[10:11], v[6:7]
	s_mov_b32 s5, 0
	s_or_not1_b32 s89, vcc_lo, exec_lo
.LBB54_251:                             ;   in Loop: Header=BB54_252 Depth=2
	s_wait_alu 0xfffe
	s_and_b32 s89, exec_lo, s89
	s_wait_alu 0xfffe
	s_or_b32 s87, s89, s87
	s_and_not1_b32 s88, s88, exec_lo
	s_and_b32 s5, s5, exec_lo
	s_wait_alu 0xfffe
	s_or_b32 s88, s88, s5
	s_and_not1_b32 exec_lo, exec_lo, s87
	s_cbranch_execz .LBB54_258
.LBB54_252:                             ;   Parent Loop BB54_32 Depth=1
                                        ; =>  This Inner Loop Header: Depth=2
	s_mov_b32 s5, exec_lo
	s_delay_alu instid0(VALU_DEP_1)
	v_cmpx_gt_i64_e64 s[36:37], v[6:7]
	s_cbranch_execz .LBB54_249
; %bb.253:                              ;   in Loop: Header=BB54_252 Depth=2
	global_load_b32 v26, v[2:3], off
	s_wait_loadcnt 0x0
	v_cmp_lt_i32_e32 vcc_lo, -1, v26
	s_wait_alu 0xfffd
	v_cndmask_b32_e64 v8, -1, 0x80000000, vcc_lo
	v_cmp_o_f32_e32 vcc_lo, v26, v26
	s_delay_alu instid0(VALU_DEP_2) | instskip(SKIP_1) | instid1(VALU_DEP_1)
	v_xor_b32_e32 v8, v8, v26
	s_wait_alu 0xfffd
	v_cndmask_b32_e32 v8, -1, v8, vcc_lo
	s_delay_alu instid0(VALU_DEP_1) | instskip(NEXT) | instid1(VALU_DEP_1)
	v_and_b32_e32 v8, v8, v46
	v_cmp_eq_u32_e32 vcc_lo, v8, v39
	s_and_b32 exec_lo, exec_lo, vcc_lo
	s_cbranch_execz .LBB54_249
; %bb.254:                              ;   in Loop: Header=BB54_252 Depth=2
	ds_store_b64 v13, v[25:26] offset:3072
	s_branch .LBB54_249
.LBB54_255:                             ;   in Loop: Header=BB54_252 Depth=2
	s_mov_b32 s89, -1
	s_mov_b32 s5, -1
                                        ; implicit-def: $vgpr6_vgpr7
                                        ; implicit-def: $vgpr2_vgpr3
	s_branch .LBB54_251
.LBB54_256:                             ;   in Loop: Header=BB54_32 Depth=1
                                        ; implicit-def: $sgpr12_sgpr13
	s_branch .LBB54_199
.LBB54_257:                             ;   in Loop: Header=BB54_32 Depth=1
                                        ; implicit-def: $sgpr14_sgpr15
	s_branch .LBB54_216
.LBB54_258:                             ;   in Loop: Header=BB54_32 Depth=1
	s_or_b32 exec_lo, exec_lo, s87
	s_wait_alu 0xfffe
	s_and_b32 s5, s88, exec_lo
.LBB54_259:                             ;   in Loop: Header=BB54_32 Depth=1
	s_or_b32 exec_lo, exec_lo, s86
.LBB54_260:                             ;   in Loop: Header=BB54_32 Depth=1
	s_delay_alu instid0(SALU_CYCLE_1)
	s_and_b32 vcc_lo, exec_lo, s24
	s_wait_alu 0xfffe
	s_cbranch_vccz .LBB54_275
; %bb.261:                              ;   in Loop: Header=BB54_32 Depth=1
	s_add_nc_u64 s[10:11], s[8:9], s[74:75]
	s_mov_b32 s12, s25
	s_wait_alu 0xfffe
	s_mov_b32 s13, s11
	s_wait_alu 0xfffe
	s_cmp_lg_u64 s[12:13], 0
	s_cbranch_scc0 .LBB54_296
; %bb.262:                              ;   in Loop: Header=BB54_32 Depth=1
	s_add_nc_u64 s[12:13], s[68:69], 0
	s_wait_alu 0xfffe
	s_xor_b64 s[12:13], s[12:13], 0
	s_wait_alu 0xfffe
	s_cvt_f32_u32 s24, s12
	s_cvt_f32_u32 s86, s13
	s_sub_nc_u64 s[88:89], 0, s[12:13]
	s_wait_alu 0xfffe
	s_delay_alu instid0(SALU_CYCLE_1) | instskip(SKIP_1) | instid1(SALU_CYCLE_2)
	s_fmamk_f32 s24, s86, 0x4f800000, s24
	s_wait_alu 0xfffe
	v_s_rcp_f32 s24, s24
	s_delay_alu instid0(TRANS32_DEP_1) | instskip(SKIP_1) | instid1(SALU_CYCLE_2)
	s_mul_f32 s24, s24, 0x5f7ffffc
	s_wait_alu 0xfffe
	s_mul_f32 s86, s24, 0x2f800000
	s_wait_alu 0xfffe
	s_delay_alu instid0(SALU_CYCLE_2) | instskip(SKIP_1) | instid1(SALU_CYCLE_2)
	s_trunc_f32 s86, s86
	s_wait_alu 0xfffe
	s_fmamk_f32 s24, s86, 0xcf800000, s24
	s_cvt_u32_f32 s87, s86
	s_wait_alu 0xfffe
	s_delay_alu instid0(SALU_CYCLE_1) | instskip(SKIP_1) | instid1(SALU_CYCLE_2)
	s_cvt_u32_f32 s86, s24
	s_wait_alu 0xfffe
	s_mul_u64 s[90:91], s[88:89], s[86:87]
	s_wait_alu 0xfffe
	s_mul_hi_u32 s93, s86, s91
	s_mul_i32 s92, s86, s91
	s_mul_hi_u32 s24, s86, s90
	s_mul_i32 s95, s87, s90
	s_wait_alu 0xfffe
	s_add_nc_u64 s[92:93], s[24:25], s[92:93]
	s_mul_hi_u32 s94, s87, s90
	s_mul_hi_u32 s96, s87, s91
	s_wait_alu 0xfffe
	s_add_co_u32 s24, s92, s95
	s_add_co_ci_u32 s24, s93, s94
	s_mul_i32 s90, s87, s91
	s_add_co_ci_u32 s91, s96, 0
	s_wait_alu 0xfffe
	s_add_nc_u64 s[90:91], s[24:25], s[90:91]
	s_wait_alu 0xfffe
	s_add_co_u32 s86, s86, s90
	s_cselect_b32 s24, -1, 0
	s_wait_alu 0xfffe
	s_cmp_lg_u32 s24, 0
	s_add_co_ci_u32 s87, s87, s91
	s_wait_alu 0xfffe
	s_mul_u64 s[88:89], s[88:89], s[86:87]
	s_wait_alu 0xfffe
	s_mul_hi_u32 s91, s86, s89
	s_mul_i32 s90, s86, s89
	s_mul_hi_u32 s24, s86, s88
	s_mul_i32 s93, s87, s88
	s_wait_alu 0xfffe
	s_add_nc_u64 s[90:91], s[24:25], s[90:91]
	s_mul_hi_u32 s92, s87, s88
	s_mul_hi_u32 s94, s87, s89
	s_wait_alu 0xfffe
	s_add_co_u32 s24, s90, s93
	s_add_co_ci_u32 s24, s91, s92
	s_mul_i32 s88, s87, s89
	s_add_co_ci_u32 s89, s94, 0
	s_wait_alu 0xfffe
	s_add_nc_u64 s[88:89], s[24:25], s[88:89]
	s_wait_alu 0xfffe
	s_add_co_u32 s92, s86, s88
	s_cselect_b32 s24, -1, 0
	s_wait_alu 0xfffe
	s_cmp_lg_u32 s24, 0
	s_add_co_ci_u32 s93, s87, s89
	s_ashr_i32 s86, s11, 31
	s_wait_alu 0xfffe
	s_mov_b32 s87, s86
	s_wait_alu 0xfffe
	s_add_nc_u64 s[88:89], s[10:11], s[86:87]
	s_wait_alu 0xfffe
	s_xor_b64 s[88:89], s[88:89], s[86:87]
	s_wait_alu 0xfffe
	s_mul_hi_u32 s91, s88, s93
	s_mul_i32 s90, s88, s93
	s_mul_hi_u32 s24, s88, s92
	s_mul_i32 s96, s89, s92
	s_wait_alu 0xfffe
	s_add_nc_u64 s[90:91], s[24:25], s[90:91]
	s_mul_hi_u32 s95, s89, s92
	s_mul_hi_u32 s94, s89, s93
	s_wait_alu 0xfffe
	s_add_co_u32 s24, s90, s96
	s_add_co_ci_u32 s24, s91, s95
	s_mul_i32 s92, s89, s93
	s_add_co_ci_u32 s93, s94, 0
	s_wait_alu 0xfffe
	s_add_nc_u64 s[90:91], s[24:25], s[92:93]
	s_wait_alu 0xfffe
	s_mul_u64 s[90:91], s[12:13], s[90:91]
	s_wait_alu 0xfffe
	s_sub_co_u32 s24, s88, s90
	s_cselect_b32 s88, -1, 0
	s_sub_co_i32 s90, s89, s91
	s_wait_alu 0xfffe
	s_cmp_lg_u32 s88, 0
	s_sub_co_ci_u32 s90, s90, s13
	s_sub_co_u32 s92, s24, s12
	s_cselect_b32 s93, -1, 0
	s_wait_alu 0xfffe
	s_cmp_lg_u32 s93, 0
	s_sub_co_ci_u32 s94, s90, 0
	s_wait_alu 0xfffe
	s_cmp_ge_u32 s94, s13
	s_cselect_b32 s95, -1, 0
	s_cmp_ge_u32 s92, s12
	s_cselect_b32 s96, -1, 0
	s_cmp_eq_u32 s94, s13
	s_wait_alu 0xfffe
	s_cselect_b32 s95, s96, s95
	s_cmp_lg_u32 s93, 0
	s_sub_co_ci_u32 s90, s90, s13
	s_sub_co_u32 s93, s92, s12
	s_cselect_b32 s96, -1, 0
	s_wait_alu 0xfffe
	s_cmp_lg_u32 s96, 0
	s_sub_co_ci_u32 s90, s90, 0
	s_cmp_lg_u32 s95, 0
	s_cselect_b32 s92, s93, s92
	s_wait_alu 0xfffe
	s_cselect_b32 s90, s90, s94
	s_cmp_lg_u32 s88, 0
	s_sub_co_ci_u32 s88, s89, s91
	s_wait_alu 0xfffe
	s_cmp_ge_u32 s88, s13
	s_cselect_b32 s89, -1, 0
	s_cmp_ge_u32 s24, s12
	s_cselect_b32 s12, -1, 0
	s_cmp_eq_u32 s88, s13
	s_wait_alu 0xfffe
	s_cselect_b32 s12, s12, s89
	s_wait_alu 0xfffe
	s_cmp_lg_u32 s12, 0
	s_cselect_b32 s13, s90, s88
	s_cselect_b32 s12, s92, s24
	s_wait_alu 0xfffe
	s_xor_b64 s[12:13], s[12:13], s[86:87]
	s_wait_alu 0xfffe
	s_sub_nc_u64 s[12:13], s[12:13], s[86:87]
	s_cbranch_execnz .LBB54_264
.LBB54_263:                             ;   in Loop: Header=BB54_32 Depth=1
	v_cvt_f32_u32_e32 v2, s68
	s_sub_co_i32 s13, 0, s68
	s_delay_alu instid0(VALU_DEP_1) | instskip(NEXT) | instid1(TRANS32_DEP_1)
	v_rcp_iflag_f32_e32 v2, v2
	v_mul_f32_e32 v2, 0x4f7ffffe, v2
	s_delay_alu instid0(VALU_DEP_1) | instskip(NEXT) | instid1(VALU_DEP_1)
	v_cvt_u32_f32_e32 v2, v2
	v_readfirstlane_b32 s12, v2
	s_wait_alu 0xfffe
	s_mul_i32 s13, s13, s12
	s_wait_alu 0xfffe
	s_mul_hi_u32 s13, s12, s13
	s_wait_alu 0xfffe
	s_add_co_i32 s12, s12, s13
	s_wait_alu 0xfffe
	s_mul_hi_u32 s12, s10, s12
	s_wait_alu 0xfffe
	s_mul_i32 s12, s12, s68
	s_wait_alu 0xfffe
	s_sub_co_i32 s12, s10, s12
	s_wait_alu 0xfffe
	s_sub_co_i32 s13, s12, s68
	s_cmp_ge_u32 s12, s68
	s_wait_alu 0xfffe
	s_cselect_b32 s12, s13, s12
	s_wait_alu 0xfffe
	s_sub_co_i32 s13, s12, s68
	s_cmp_ge_u32 s12, s68
	s_wait_alu 0xfffe
	s_cselect_b32 s24, s13, s12
	s_wait_alu 0xfffe
	s_mov_b64 s[12:13], s[24:25]
.LBB54_264:                             ;   in Loop: Header=BB54_32 Depth=1
	s_wait_alu 0xfffe
	s_sub_nc_u64 s[10:11], s[10:11], s[12:13]
	s_mov_b32 s12, exec_lo
                                        ; implicit-def: $vgpr27
	s_wait_alu 0xfffe
	v_cmpx_gt_i64_e64 s[10:11], v[0:1]
	s_cbranch_execz .LBB54_274
; %bb.265:                              ;   in Loop: Header=BB54_32 Depth=1
	v_dual_mov_b32 v6, v14 :: v_dual_mov_b32 v3, v1
	v_mov_b32_e32 v2, v0
	s_mov_b32 s13, 0
                                        ; implicit-def: $sgpr24
	s_branch .LBB54_269
.LBB54_266:                             ;   in Loop: Header=BB54_269 Depth=2
	s_wait_alu 0xfffe
	s_or_b32 exec_lo, exec_lo, s86
	s_wait_loadcnt_dscnt 0x0
	s_barrier_signal -1
	s_barrier_wait -1
	global_inv scope:SCOPE_SE
	ds_load_b64 v[26:27], v13 offset:3072
	s_wait_loadcnt_dscnt 0x0
	s_barrier_signal -1
	s_barrier_wait -1
	global_inv scope:SCOPE_SE
	v_cmp_eq_f32_e32 vcc_lo, 0, v26
	s_cbranch_vccz .LBB54_272
; %bb.267:                              ;   in Loop: Header=BB54_269 Depth=2
	v_add_co_u32 v2, vcc_lo, v2, s68
	s_wait_alu 0xfffd
	v_add_co_ci_u32_e64 v3, null, 0, v3, vcc_lo
	v_add_nc_u32_e32 v6, s58, v6
	s_mov_b32 s86, 0
	s_delay_alu instid0(VALU_DEP_2)
	v_cmp_le_i64_e32 vcc_lo, s[10:11], v[2:3]
	s_or_not1_b32 s87, vcc_lo, exec_lo
.LBB54_268:                             ;   in Loop: Header=BB54_269 Depth=2
	s_wait_alu 0xfffe
	s_and_b32 s87, exec_lo, s87
	s_wait_alu 0xfffe
	s_or_b32 s13, s87, s13
	s_and_not1_b32 s24, s24, exec_lo
	s_and_b32 s86, s86, exec_lo
	s_wait_alu 0xfffe
	s_or_b32 s24, s24, s86
	s_and_not1_b32 exec_lo, exec_lo, s13
	s_cbranch_execz .LBB54_273
.LBB54_269:                             ;   Parent Loop BB54_32 Depth=1
                                        ; =>  This Inner Loop Header: Depth=2
	s_mov_b32 s86, exec_lo
	s_delay_alu instid0(VALU_DEP_1)
	v_cmpx_gt_u64_e64 s[8:9], v[2:3]
	s_cbranch_execz .LBB54_266
; %bb.270:                              ;   in Loop: Header=BB54_269 Depth=2
	ds_load_b32 v26, v6
	s_wait_dscnt 0x0
	v_cmp_lt_i32_e32 vcc_lo, -1, v26
	s_wait_alu 0xfffd
	v_cndmask_b32_e64 v7, -1, 0x80000000, vcc_lo
	v_cmp_o_f32_e32 vcc_lo, v26, v26
	s_delay_alu instid0(VALU_DEP_2) | instskip(SKIP_1) | instid1(VALU_DEP_1)
	v_xor_b32_e32 v7, v7, v26
	s_wait_alu 0xfffd
	v_cndmask_b32_e32 v7, -1, v7, vcc_lo
	s_delay_alu instid0(VALU_DEP_1) | instskip(NEXT) | instid1(VALU_DEP_1)
	v_and_b32_e32 v7, v7, v46
	v_cmp_eq_u32_e32 vcc_lo, v7, v39
	s_and_b32 exec_lo, exec_lo, vcc_lo
	s_cbranch_execz .LBB54_266
; %bb.271:                              ;   in Loop: Header=BB54_269 Depth=2
	ds_store_b64 v13, v[25:26] offset:3072
	s_branch .LBB54_266
.LBB54_272:                             ;   in Loop: Header=BB54_269 Depth=2
	s_mov_b32 s87, -1
	s_mov_b32 s86, -1
                                        ; implicit-def: $vgpr2_vgpr3
                                        ; implicit-def: $vgpr6
	s_branch .LBB54_268
.LBB54_273:                             ;   in Loop: Header=BB54_32 Depth=1
	s_or_b32 exec_lo, exec_lo, s13
	s_delay_alu instid0(SALU_CYCLE_1)
	s_and_not1_b32 s5, s5, exec_lo
	s_wait_alu 0xfffe
	s_and_b32 s8, s24, exec_lo
	s_wait_alu 0xfffe
	s_or_b32 s5, s5, s8
.LBB54_274:                             ;   in Loop: Header=BB54_32 Depth=1
	s_or_b32 exec_lo, exec_lo, s12
	s_mov_b32 s12, 0
	s_mov_b32 s13, -1
.LBB54_275:                             ;   in Loop: Header=BB54_32 Depth=1
	s_wait_alu 0xfffe
	s_or_not1_b32 s8, s5, exec_lo
.LBB54_276:                             ;   in Loop: Header=BB54_32 Depth=1
	s_wait_alu 0xfffe
	s_or_b32 exec_lo, exec_lo, s85
	s_mov_b32 s9, 0
	s_and_saveexec_b32 s5, s8
	s_cbranch_execz .LBB54_287
; %bb.277:                              ;   in Loop: Header=BB54_32 Depth=1
	v_mov_b32_e32 v2, 1
	v_dual_mov_b32 v3, 0 :: v_dual_mov_b32 v12, 1
	s_xor_b32 s9, s84, -1
	s_wait_alu 0xfffe
	s_and_saveexec_b32 s8, s9
	s_cbranch_execz .LBB54_286
; %bb.278:                              ;   in Loop: Header=BB54_32 Depth=1
	s_mov_b32 s9, exec_lo
	v_cmpx_ge_i64_e64 s[6:7], v[4:5]
	s_wait_alu 0xfffe
	s_xor_b32 s9, exec_lo, s9
	s_cbranch_execz .LBB54_283
; %bb.279:                              ;   in Loop: Header=BB54_32 Depth=1
	ds_load_b64 v[2:3], v13 offset:5120
	v_or_b32_e32 v39, s16, v39
	v_or_b32_e32 v46, s16, v46
	s_wait_dscnt 0x0
	v_cmp_ne_u64_e32 vcc_lo, 0, v[2:3]
	s_cbranch_vccnz .LBB54_283
; %bb.280:                              ;   in Loop: Header=BB54_32 Depth=1
	s_and_saveexec_b32 s10, s2
; %bb.281:                              ;   in Loop: Header=BB54_32 Depth=1
	v_dual_mov_b32 v2, s6 :: v_dual_mov_b32 v3, s7
	ds_store_b64 v13, v[2:3] offset:5128
; %bb.282:                              ;   in Loop: Header=BB54_32 Depth=1
	s_wait_alu 0xfffe
	s_or_b32 exec_lo, exec_lo, s10
	s_wait_loadcnt_dscnt 0x0
	s_barrier_signal -1
	s_barrier_wait -1
	global_inv scope:SCOPE_SE
.LBB54_283:                             ;   in Loop: Header=BB54_32 Depth=1
	s_wait_alu 0xfffe
	s_and_not1_saveexec_b32 s9, s9
; %bb.284:                              ;   in Loop: Header=BB54_32 Depth=1
	v_sub_co_u32 v4, vcc_lo, v4, s6
	s_wait_alu 0xfffd
	v_subrev_co_ci_u32_e64 v5, null, s7, v5, vcc_lo
; %bb.285:                              ;   in Loop: Header=BB54_32 Depth=1
	s_wait_alu 0xfffe
	s_or_b32 exec_lo, exec_lo, s9
	v_mov_b32_e32 v2, v4
	s_delay_alu instid0(VALU_DEP_2)
	v_dual_mov_b32 v12, 8 :: v_dual_mov_b32 v3, v5
.LBB54_286:                             ;   in Loop: Header=BB54_32 Depth=1
	s_wait_alu 0xfffe
	s_or_b32 exec_lo, exec_lo, s8
	s_delay_alu instid0(VALU_DEP_1)
	v_dual_mov_b32 v5, v3 :: v_dual_mov_b32 v4, v2
	s_mov_b32 s9, exec_lo
.LBB54_287:                             ;   in Loop: Header=BB54_32 Depth=1
	s_wait_alu 0xfffe
	s_or_b32 exec_lo, exec_lo, s5
	s_delay_alu instid0(SALU_CYCLE_1)
	s_or_not1_b32 s5, s9, exec_lo
.LBB54_288:                             ;   in Loop: Header=BB54_32 Depth=1
	s_wait_alu 0xfffe
	s_or_b32 exec_lo, exec_lo, s20
	v_dual_mov_b32 v2, v4 :: v_dual_mov_b32 v3, v5
	s_and_not1_b32 s6, s15, exec_lo
	s_and_b32 s7, s13, exec_lo
	s_and_not1_b32 s8, s14, exec_lo
	s_and_b32 s9, s12, exec_lo
	s_wait_alu 0xfffe
	s_or_b32 s15, s6, s7
	s_or_b32 s14, s8, s9
	s_and_b32 s10, s5, exec_lo
.LBB54_289:                             ;   in Loop: Header=BB54_32 Depth=1
	s_wait_alu 0xfffe
	s_or_b32 exec_lo, exec_lo, s51
	s_delay_alu instid0(SALU_CYCLE_1)
	s_or_not1_b32 s5, s10, exec_lo
.LBB54_290:                             ;   in Loop: Header=BB54_32 Depth=1
	s_wait_alu 0xfffe
	s_or_b32 exec_lo, exec_lo, s50
	v_dual_mov_b32 v7, v3 :: v_dual_mov_b32 v6, v2
	s_and_not1_b32 s6, s22, exec_lo
	s_and_b32 s7, s15, exec_lo
	s_and_not1_b32 s8, s21, exec_lo
	s_and_b32 s9, s14, exec_lo
	s_wait_alu 0xfffe
	s_or_b32 s22, s6, s7
	s_or_b32 s21, s8, s9
	s_and_b32 s10, s5, exec_lo
.LBB54_291:                             ;   in Loop: Header=BB54_32 Depth=1
	s_wait_alu 0xfffe
	s_or_b32 exec_lo, exec_lo, s23
	s_delay_alu instid0(SALU_CYCLE_1)
	s_or_not1_b32 s5, s10, exec_lo
.LBB54_292:                             ;   in Loop: Header=BB54_32 Depth=1
	s_wait_alu 0xfffe
	s_or_b32 exec_lo, exec_lo, s19
	s_mov_b32 s6, 0
	s_and_saveexec_b32 s7, s5
	s_wait_alu 0xfffe
	s_xor_b32 s5, exec_lo, s7
	s_cbranch_execz .LBB54_30
; %bb.293:                              ;   in Loop: Header=BB54_32 Depth=1
	v_and_b32_e32 v2, 7, v12
	s_mov_b32 s7, -1
	s_mov_b32 s6, -1
	s_mov_b32 s8, exec_lo
	s_delay_alu instid0(VALU_DEP_1)
	v_cmpx_eq_u32_e32 0, v2
	s_cbranch_execz .LBB54_29
; %bb.294:                              ;   in Loop: Header=BB54_32 Depth=1
	s_xor_b32 s61, s61, 1
	s_add_co_i32 s9, s59, -2
	s_cmp_eq_u32 s59, 0
	s_wait_alu 0xfffe
	s_mov_b32 s59, s9
	s_cselect_b32 s7, -1, 0
	s_xor_b32 s6, exec_lo, -1
	s_wait_alu 0xfffe
	s_or_not1_b32 s7, s7, exec_lo
	s_branch .LBB54_29
.LBB54_295:                             ;   in Loop: Header=BB54_32 Depth=1
                                        ; implicit-def: $sgpr10_sgpr11
	s_branch .LBB54_246
.LBB54_296:                             ;   in Loop: Header=BB54_32 Depth=1
                                        ; implicit-def: $sgpr12_sgpr13
	s_branch .LBB54_263
.LBB54_297:
	s_or_b32 exec_lo, exec_lo, s60
	s_xor_b32 s5, s49, -1
	s_xor_b32 s1, s67, -1
	;; [unrolled: 1-line block ×3, first 2 shown]
	s_mov_b32 s3, 0
	s_wait_alu 0xfffe
	s_and_saveexec_b32 s6, s1
	s_wait_alu 0xfffe
	s_xor_b32 s1, exec_lo, s6
	s_cbranch_execnz .LBB54_302
; %bb.298:
	s_wait_alu 0xfffe
	s_and_not1_saveexec_b32 s0, s1
	s_cbranch_execnz .LBB54_324
.LBB54_299:
	s_wait_alu 0xfffe
	s_or_b32 exec_lo, exec_lo, s0
	s_and_saveexec_b32 s0, s3
.LBB54_300:
	; divergent unreachable
.LBB54_301:
	s_endpgm
.LBB54_302:
	s_and_saveexec_b32 s3, s5
	s_wait_alu 0xfffe
	s_xor_b32 s3, exec_lo, s3
	s_cbranch_execz .LBB54_322
; %bb.303:
	s_and_saveexec_b32 s5, s4
	s_wait_alu 0xfffe
	s_xor_b32 s4, exec_lo, s5
; %bb.304:
	v_cmp_lt_i32_e32 vcc_lo, -1, v39
	s_wait_alu 0xfffd
	v_cndmask_b32_e64 v2, 0x80000000, -1, vcc_lo
	s_delay_alu instid0(VALU_DEP_1)
	v_xor_b32_e32 v27, v2, v39
; %bb.305:
	s_wait_alu 0xfffe
	s_or_b32 exec_lo, exec_lo, s4
	s_and_saveexec_b32 s4, s2
; %bb.306:
	v_dual_mov_b32 v2, 0 :: v_dual_mov_b32 v3, s36
	ds_store_b32 v2, v3 offset:5140
; %bb.307:
	s_wait_alu 0xfffe
	s_or_b32 exec_lo, exec_lo, s4
	s_wait_loadcnt_dscnt 0x0
	s_barrier_signal -1
	s_barrier_wait -1
	global_inv scope:SCOPE_SE
	s_and_saveexec_b32 s4, s0
	s_cbranch_execz .LBB54_319
; %bb.308:
	v_mov_b32_e32 v2, 0
	v_cmp_u_f32_e32 vcc_lo, v27, v27
	s_mov_b32 s5, 0
                                        ; implicit-def: $sgpr7
                                        ; implicit-def: $sgpr8
                                        ; implicit-def: $sgpr9
	ds_load_b32 v4, v2 offset:5140
	s_xor_b32 s6, vcc_lo, -1
	s_wait_dscnt 0x0
	v_ashrrev_i32_e32 v5, 31, v4
	s_branch .LBB54_311
.LBB54_309:                             ;   in Loop: Header=BB54_311 Depth=1
	s_wait_alu 0xfffe
	s_or_b32 exec_lo, exec_lo, s13
	s_delay_alu instid0(SALU_CYCLE_1)
	s_and_not1_b32 s0, s9, exec_lo
	s_and_b32 s9, s11, exec_lo
	s_and_not1_b32 s8, s8, exec_lo
	s_and_b32 s11, s12, exec_lo
	s_wait_alu 0xfffe
	s_or_b32 s9, s0, s9
	s_or_b32 s8, s8, s11
.LBB54_310:                             ;   in Loop: Header=BB54_311 Depth=1
	s_wait_alu 0xfffe
	s_or_b32 exec_lo, exec_lo, s10
	s_delay_alu instid0(SALU_CYCLE_1)
	s_and_b32 s0, exec_lo, s8
	s_wait_alu 0xfffe
	s_or_b32 s5, s0, s5
	s_and_not1_b32 s0, s7, exec_lo
	s_and_b32 s7, s9, exec_lo
	s_wait_alu 0xfffe
	s_or_b32 s7, s0, s7
	s_and_not1_b32 exec_lo, exec_lo, s5
	s_cbranch_execz .LBB54_314
.LBB54_311:                             ; =>This Inner Loop Header: Depth=1
	v_dual_mov_b32 v3, v1 :: v_dual_mov_b32 v2, v0
	s_or_b32 s9, s9, exec_lo
	s_or_b32 s8, s8, exec_lo
	s_mov_b32 s10, exec_lo
                                        ; implicit-def: $vgpr0_vgpr1
	s_delay_alu instid0(VALU_DEP_1)
	v_cmpx_lt_i64_e64 v[2:3], v[4:5]
	s_cbranch_execz .LBB54_310
; %bb.312:                              ;   in Loop: Header=BB54_311 Depth=1
	global_load_b32 v0, v[10:11], off
	s_mov_b32 s12, -1
	s_wait_loadcnt 0x0
	v_cmp_o_f32_e32 vcc_lo, v0, v0
	v_cmp_neq_f32_e64 s0, v0, v27
                                        ; implicit-def: $vgpr0_vgpr1
	s_wait_alu 0xfffe
	s_or_b32 s11, vcc_lo, s6
	s_wait_alu 0xfffe
	s_and_b32 s0, s0, s11
	s_mov_b32 s11, 0
	s_wait_alu 0xfffe
	s_and_saveexec_b32 s13, s0
	s_cbranch_execz .LBB54_309
; %bb.313:                              ;   in Loop: Header=BB54_311 Depth=1
	v_add_co_u32 v0, vcc_lo, v2, s68
	s_wait_alu 0xfffd
	v_add_co_ci_u32_e64 v1, null, 0, v3, vcc_lo
	v_add_co_u32 v10, s0, v10, s70
	s_wait_alu 0xf1ff
	v_add_co_ci_u32_e64 v11, null, s71, v11, s0
	s_delay_alu instid0(VALU_DEP_3)
	v_cmp_le_i64_e32 vcc_lo, s[36:37], v[0:1]
	s_mov_b32 s11, exec_lo
	s_or_not1_b32 s12, vcc_lo, exec_lo
	s_branch .LBB54_309
.LBB54_314:
	s_or_b32 exec_lo, exec_lo, s5
	s_wait_alu 0xfffe
	s_xor_b32 s0, s7, -1
	s_wait_alu 0xfffe
	s_and_saveexec_b32 s5, s0
	s_wait_alu 0xfffe
	s_xor_b32 s5, exec_lo, s5
	s_cbranch_execz .LBB54_319
; %bb.315:
	s_mov_b32 s5, exec_lo
	s_brev_b32 s0, -2
.LBB54_316:                             ; =>This Inner Loop Header: Depth=1
	s_wait_alu 0xfffe
	s_ctz_i32_b32 s6, s5
	s_wait_alu 0xfffe
	v_readlane_b32 s7, v2, s6
	s_lshl_b32 s6, 1, s6
	s_wait_alu 0xfffe
	s_and_not1_b32 s5, s5, s6
	s_min_i32 s0, s0, s7
	s_wait_alu 0xfffe
	s_cmp_lg_u32 s5, 0
	s_cbranch_scc1 .LBB54_316
; %bb.317:
	v_mbcnt_lo_u32_b32 v0, exec_lo, 0
	s_mov_b32 s5, exec_lo
	s_delay_alu instid0(VALU_DEP_1)
	v_cmpx_eq_u32_e32 0, v0
	s_wait_alu 0xfffe
	s_xor_b32 s5, exec_lo, s5
; %bb.318:
	v_dual_mov_b32 v0, 0 :: v_dual_mov_b32 v1, s0
	ds_min_i32 v0, v1 offset:5140
.LBB54_319:
	s_wait_alu 0xfffe
	s_or_b32 exec_lo, exec_lo, s4
	s_wait_loadcnt_dscnt 0x0
	s_barrier_signal -1
	s_barrier_wait -1
	global_inv scope:SCOPE_SE
	s_and_saveexec_b32 s0, s2
	s_cbranch_execz .LBB54_321
; %bb.320:
	v_readlane_b32 s16, v53, 2
	v_readlane_b32 s17, v53, 3
	v_mov_b32_e32 v2, 0
	s_mul_u64 s[4:5], s[56:57], s[46:47]
	s_mul_u64 s[10:11], s[34:35], s[30:31]
	s_wait_alu 0xfffe
	s_sub_nc_u64 s[4:5], s[26:27], s[4:5]
	s_mul_u64 s[14:15], s[62:63], s[16:17]
	v_readlane_b32 s16, v53, 0
	v_readlane_b32 s17, v53, 1
	ds_load_b32 v0, v2 offset:5140
	s_sub_nc_u64 s[10:11], s[26:27], s[10:11]
	s_mul_u64 s[8:9], s[40:41], s[52:53]
	v_readlane_b32 s18, v53, 4
	s_wait_alu 0xfffe
	s_mul_u64 s[4:5], s[4:5], s[16:17]
	v_readlane_b32 s16, v53, 6
	v_readlane_b32 s17, v53, 7
	s_lshl_b64 s[8:9], s[8:9], 2
	v_readlane_b32 s19, v53, 5
	s_mul_u64 s[12:13], s[62:63], s[44:45]
	s_mul_u64 s[6:7], s[40:41], s[28:29]
	;; [unrolled: 1-line block ×3, first 2 shown]
	v_readlane_b32 s16, v53, 10
	v_readlane_b32 s17, v53, 11
	s_wait_alu 0xfffe
	s_sub_nc_u64 s[12:13], s[56:57], s[12:13]
	s_sub_nc_u64 s[6:7], s[34:35], s[6:7]
	s_lshl_b64 s[14:15], s[14:15], 3
	s_wait_alu 0xfffe
	s_mul_u64 s[12:13], s[12:13], s[18:19]
	s_add_nc_u64 s[8:9], s[16:17], s[8:9]
	v_readlane_b32 s16, v53, 8
	v_readlane_b32 s17, v53, 9
	s_mul_u64 s[6:7], s[6:7], s[54:55]
	s_wait_alu 0xfffe
	s_lshl_b64 s[12:13], s[12:13], 3
	s_lshl_b64 s[6:7], s[6:7], 2
	s_wait_dscnt 0x0
	v_ashrrev_i32_e32 v1, 31, v0
	s_add_nc_u64 s[14:15], s[16:17], s[14:15]
	s_lshl_b64 s[4:5], s[4:5], 3
	s_wait_alu 0xfffe
	s_add_nc_u64 s[12:13], s[14:15], s[12:13]
	s_lshl_b64 s[10:11], s[10:11], 2
	s_add_nc_u64 s[6:7], s[8:9], s[6:7]
	s_wait_alu 0xfffe
	s_add_nc_u64 s[4:5], s[12:13], s[4:5]
	s_add_nc_u64 s[6:7], s[6:7], s[10:11]
	s_clause 0x1
	global_store_b64 v2, v[0:1], s[4:5]
	global_store_b32 v2, v27, s[6:7]
.LBB54_321:
	s_wait_alu 0xfffe
	s_or_b32 exec_lo, exec_lo, s0
.LBB54_322:
	s_wait_alu 0xfffe
	s_or_saveexec_b32 s0, s3
	s_mov_b32 s2, 0
	s_wait_alu 0xfffe
	s_xor_b32 exec_lo, exec_lo, s0
	s_cbranch_execnz .LBB54_325
.LBB54_323:
	s_or_b32 exec_lo, exec_lo, s0
	s_wait_alu 0xfffe
	s_and_b32 s3, s2, exec_lo
	s_and_not1_saveexec_b32 s0, s1
	s_cbranch_execz .LBB54_299
.LBB54_324:
	s_wait_alu 0xfffe
	s_or_b32 s3, s3, exec_lo
	s_trap 2
	s_or_b32 exec_lo, exec_lo, s0
	s_wait_alu 0xfffe
	s_and_saveexec_b32 s0, s3
	s_cbranch_execnz .LBB54_300
	s_branch .LBB54_301
.LBB54_325:
	s_mov_b32 s2, exec_lo
	s_trap 2
	s_branch .LBB54_323
	.section	.rodata,"a",@progbits
	.p2align	6, 0x0
	.amdhsa_kernel _ZN2at6native12_GLOBAL__N_114gatherKthValueIflLi3EEEvNS_4cuda6detail10TensorInfoIKT_T0_EES8_S8_S8_S8_NS5_IS6_S8_EENS5_IlS8_EE
		.amdhsa_group_segment_fixed_size 5144
		.amdhsa_private_segment_fixed_size 0
		.amdhsa_kernarg_size 1536
		.amdhsa_user_sgpr_count 2
		.amdhsa_user_sgpr_dispatch_ptr 0
		.amdhsa_user_sgpr_queue_ptr 0
		.amdhsa_user_sgpr_kernarg_segment_ptr 1
		.amdhsa_user_sgpr_dispatch_id 0
		.amdhsa_user_sgpr_private_segment_size 0
		.amdhsa_wavefront_size32 1
		.amdhsa_uses_dynamic_stack 0
		.amdhsa_enable_private_segment 0
		.amdhsa_system_sgpr_workgroup_id_x 1
		.amdhsa_system_sgpr_workgroup_id_y 1
		.amdhsa_system_sgpr_workgroup_id_z 1
		.amdhsa_system_sgpr_workgroup_info 0
		.amdhsa_system_vgpr_workitem_id 0
		.amdhsa_next_free_vgpr 54
		.amdhsa_next_free_sgpr 105
		.amdhsa_reserve_vcc 1
		.amdhsa_float_round_mode_32 0
		.amdhsa_float_round_mode_16_64 0
		.amdhsa_float_denorm_mode_32 3
		.amdhsa_float_denorm_mode_16_64 3
		.amdhsa_fp16_overflow 0
		.amdhsa_workgroup_processor_mode 1
		.amdhsa_memory_ordered 1
		.amdhsa_forward_progress 1
		.amdhsa_inst_pref_size 187
		.amdhsa_round_robin_scheduling 0
		.amdhsa_exception_fp_ieee_invalid_op 0
		.amdhsa_exception_fp_denorm_src 0
		.amdhsa_exception_fp_ieee_div_zero 0
		.amdhsa_exception_fp_ieee_overflow 0
		.amdhsa_exception_fp_ieee_underflow 0
		.amdhsa_exception_fp_ieee_inexact 0
		.amdhsa_exception_int_div_zero 0
	.end_amdhsa_kernel
	.section	.text._ZN2at6native12_GLOBAL__N_114gatherKthValueIflLi3EEEvNS_4cuda6detail10TensorInfoIKT_T0_EES8_S8_S8_S8_NS5_IS6_S8_EENS5_IlS8_EE,"axG",@progbits,_ZN2at6native12_GLOBAL__N_114gatherKthValueIflLi3EEEvNS_4cuda6detail10TensorInfoIKT_T0_EES8_S8_S8_S8_NS5_IS6_S8_EENS5_IlS8_EE,comdat
.Lfunc_end54:
	.size	_ZN2at6native12_GLOBAL__N_114gatherKthValueIflLi3EEEvNS_4cuda6detail10TensorInfoIKT_T0_EES8_S8_S8_S8_NS5_IS6_S8_EENS5_IlS8_EE, .Lfunc_end54-_ZN2at6native12_GLOBAL__N_114gatherKthValueIflLi3EEEvNS_4cuda6detail10TensorInfoIKT_T0_EES8_S8_S8_S8_NS5_IS6_S8_EENS5_IlS8_EE
                                        ; -- End function
	.set _ZN2at6native12_GLOBAL__N_114gatherKthValueIflLi3EEEvNS_4cuda6detail10TensorInfoIKT_T0_EES8_S8_S8_S8_NS5_IS6_S8_EENS5_IlS8_EE.num_vgpr, 54
	.set _ZN2at6native12_GLOBAL__N_114gatherKthValueIflLi3EEEvNS_4cuda6detail10TensorInfoIKT_T0_EES8_S8_S8_S8_NS5_IS6_S8_EENS5_IlS8_EE.num_agpr, 0
	.set _ZN2at6native12_GLOBAL__N_114gatherKthValueIflLi3EEEvNS_4cuda6detail10TensorInfoIKT_T0_EES8_S8_S8_S8_NS5_IS6_S8_EENS5_IlS8_EE.numbered_sgpr, 105
	.set _ZN2at6native12_GLOBAL__N_114gatherKthValueIflLi3EEEvNS_4cuda6detail10TensorInfoIKT_T0_EES8_S8_S8_S8_NS5_IS6_S8_EENS5_IlS8_EE.num_named_barrier, 0
	.set _ZN2at6native12_GLOBAL__N_114gatherKthValueIflLi3EEEvNS_4cuda6detail10TensorInfoIKT_T0_EES8_S8_S8_S8_NS5_IS6_S8_EENS5_IlS8_EE.private_seg_size, 0
	.set _ZN2at6native12_GLOBAL__N_114gatherKthValueIflLi3EEEvNS_4cuda6detail10TensorInfoIKT_T0_EES8_S8_S8_S8_NS5_IS6_S8_EENS5_IlS8_EE.uses_vcc, 1
	.set _ZN2at6native12_GLOBAL__N_114gatherKthValueIflLi3EEEvNS_4cuda6detail10TensorInfoIKT_T0_EES8_S8_S8_S8_NS5_IS6_S8_EENS5_IlS8_EE.uses_flat_scratch, 0
	.set _ZN2at6native12_GLOBAL__N_114gatherKthValueIflLi3EEEvNS_4cuda6detail10TensorInfoIKT_T0_EES8_S8_S8_S8_NS5_IS6_S8_EENS5_IlS8_EE.has_dyn_sized_stack, 0
	.set _ZN2at6native12_GLOBAL__N_114gatherKthValueIflLi3EEEvNS_4cuda6detail10TensorInfoIKT_T0_EES8_S8_S8_S8_NS5_IS6_S8_EENS5_IlS8_EE.has_recursion, 0
	.set _ZN2at6native12_GLOBAL__N_114gatherKthValueIflLi3EEEvNS_4cuda6detail10TensorInfoIKT_T0_EES8_S8_S8_S8_NS5_IS6_S8_EENS5_IlS8_EE.has_indirect_call, 0
	.section	.AMDGPU.csdata,"",@progbits
; Kernel info:
; codeLenInByte = 23900
; TotalNumSgprs: 107
; NumVgprs: 54
; ScratchSize: 0
; MemoryBound: 0
; FloatMode: 240
; IeeeMode: 1
; LDSByteSize: 5144 bytes/workgroup (compile time only)
; SGPRBlocks: 0
; VGPRBlocks: 6
; NumSGPRsForWavesPerEU: 107
; NumVGPRsForWavesPerEU: 54
; Occupancy: 16
; WaveLimiterHint : 1
; COMPUTE_PGM_RSRC2:SCRATCH_EN: 0
; COMPUTE_PGM_RSRC2:USER_SGPR: 2
; COMPUTE_PGM_RSRC2:TRAP_HANDLER: 0
; COMPUTE_PGM_RSRC2:TGID_X_EN: 1
; COMPUTE_PGM_RSRC2:TGID_Y_EN: 1
; COMPUTE_PGM_RSRC2:TGID_Z_EN: 1
; COMPUTE_PGM_RSRC2:TIDIG_COMP_CNT: 0
	.section	.text._ZN2at6native12_GLOBAL__N_114gatherKthValueIflLin1EEEvNS_4cuda6detail10TensorInfoIKT_T0_EES8_S8_S8_S8_NS5_IS6_S8_EENS5_IlS8_EE,"axG",@progbits,_ZN2at6native12_GLOBAL__N_114gatherKthValueIflLin1EEEvNS_4cuda6detail10TensorInfoIKT_T0_EES8_S8_S8_S8_NS5_IS6_S8_EENS5_IlS8_EE,comdat
	.globl	_ZN2at6native12_GLOBAL__N_114gatherKthValueIflLin1EEEvNS_4cuda6detail10TensorInfoIKT_T0_EES8_S8_S8_S8_NS5_IS6_S8_EENS5_IlS8_EE ; -- Begin function _ZN2at6native12_GLOBAL__N_114gatherKthValueIflLin1EEEvNS_4cuda6detail10TensorInfoIKT_T0_EES8_S8_S8_S8_NS5_IS6_S8_EENS5_IlS8_EE
	.p2align	8
	.type	_ZN2at6native12_GLOBAL__N_114gatherKthValueIflLin1EEEvNS_4cuda6detail10TensorInfoIKT_T0_EES8_S8_S8_S8_NS5_IS6_S8_EENS5_IlS8_EE,@function
_ZN2at6native12_GLOBAL__N_114gatherKthValueIflLin1EEEvNS_4cuda6detail10TensorInfoIKT_T0_EES8_S8_S8_S8_NS5_IS6_S8_EENS5_IlS8_EE: ; @_ZN2at6native12_GLOBAL__N_114gatherKthValueIflLin1EEEvNS_4cuda6detail10TensorInfoIKT_T0_EES8_S8_S8_S8_NS5_IS6_S8_EENS5_IlS8_EE
; %bb.0:
	s_clause 0x1
	s_load_b64 s[6:7], s[0:1], 0x500
	s_load_b256 s[36:43], s[0:1], 0x1a0
	s_lshr_b32 s2, ttmp7, 16
	s_and_b32 s3, ttmp7, 0xffff
	s_wait_kmcnt 0x0
	s_mul_i32 s2, s7, s2
	s_delay_alu instid0(SALU_CYCLE_1) | instskip(SKIP_2) | instid1(SALU_CYCLE_1)
	s_add_co_i32 s2, s2, s3
	s_mov_b32 s3, 0
	s_mul_i32 s2, s2, s6
	s_add_co_i32 s2, s2, ttmp9
	s_delay_alu instid0(SALU_CYCLE_1)
	v_cmp_le_i64_e64 s4, s[40:41], s[2:3]
	s_and_b32 vcc_lo, exec_lo, s4
	s_cbranch_vccnz .LBB55_301
; %bb.1:
	s_load_b32 s7, s[0:1], 0x198
	s_mov_b64 s[4:5], 0
	s_mov_b64 s[10:11], s[2:3]
	s_wait_kmcnt 0x0
	s_cmp_lt_i32 s7, 2
	s_cbranch_scc1 .LBB55_9
; %bb.2:
	s_mov_b32 s8, 0
	s_add_co_i32 s4, s7, -1
	s_mov_b32 s5, s8
	s_add_co_i32 s7, s7, 1
	s_lshl_b64 s[4:5], s[4:5], 3
	s_mov_b64 s[14:15], s[2:3]
	s_add_nc_u64 s[10:11], s[0:1], s[4:5]
	s_mov_b64 s[4:5], 0
	s_add_nc_u64 s[12:13], s[10:11], 8
.LBB55_3:                               ; =>This Inner Loop Header: Depth=1
	s_load_b64 s[16:17], s[12:13], 0x0
	s_wait_kmcnt 0x0
	s_or_b64 s[10:11], s[14:15], s[16:17]
	s_delay_alu instid0(SALU_CYCLE_1)
	s_mov_b32 s9, s11
                                        ; implicit-def: $sgpr10_sgpr11
	s_wait_alu 0xfffe
	s_cmp_lg_u64 s[8:9], 0
	s_mov_b32 s9, -1
	s_cbranch_scc0 .LBB55_5
; %bb.4:                                ;   in Loop: Header=BB55_3 Depth=1
	s_ashr_i32 s10, s17, 31
	s_mov_b32 s25, s8
	s_mov_b32 s11, s10
	;; [unrolled: 1-line block ×3, first 2 shown]
	s_add_nc_u64 s[18:19], s[16:17], s[10:11]
	s_delay_alu instid0(SALU_CYCLE_1) | instskip(NEXT) | instid1(SALU_CYCLE_1)
	s_xor_b64 s[18:19], s[18:19], s[10:11]
	s_cvt_f32_u32 s9, s18
	s_cvt_f32_u32 s20, s19
	s_sub_nc_u64 s[22:23], 0, s[18:19]
	s_wait_alu 0xfffe
	s_delay_alu instid0(SALU_CYCLE_1) | instskip(SKIP_1) | instid1(SALU_CYCLE_2)
	s_fmamk_f32 s9, s20, 0x4f800000, s9
	s_wait_alu 0xfffe
	v_s_rcp_f32 s9, s9
	s_delay_alu instid0(TRANS32_DEP_1) | instskip(SKIP_1) | instid1(SALU_CYCLE_2)
	s_mul_f32 s9, s9, 0x5f7ffffc
	s_wait_alu 0xfffe
	s_mul_f32 s20, s9, 0x2f800000
	s_delay_alu instid0(SALU_CYCLE_3) | instskip(NEXT) | instid1(SALU_CYCLE_3)
	s_trunc_f32 s20, s20
	s_fmamk_f32 s9, s20, 0xcf800000, s9
	s_cvt_u32_f32 s21, s20
	s_wait_alu 0xfffe
	s_delay_alu instid0(SALU_CYCLE_1) | instskip(NEXT) | instid1(SALU_CYCLE_3)
	s_cvt_u32_f32 s20, s9
	s_mul_u64 s[26:27], s[22:23], s[20:21]
	s_delay_alu instid0(SALU_CYCLE_1)
	s_mul_hi_u32 s31, s20, s27
	s_mul_i32 s30, s20, s27
	s_mul_hi_u32 s24, s20, s26
	s_mul_i32 s28, s21, s26
	s_add_nc_u64 s[24:25], s[24:25], s[30:31]
	s_mul_hi_u32 s9, s21, s26
	s_mul_hi_u32 s33, s21, s27
	s_add_co_u32 s24, s24, s28
	s_wait_alu 0xfffe
	s_add_co_ci_u32 s28, s25, s9
	s_mul_i32 s26, s21, s27
	s_add_co_ci_u32 s27, s33, 0
	s_delay_alu instid0(SALU_CYCLE_1)
	s_add_nc_u64 s[24:25], s[28:29], s[26:27]
	s_mov_b32 s27, s8
	s_add_co_u32 s20, s20, s24
	s_cselect_b32 s9, -1, 0
	s_wait_alu 0xfffe
	s_cmp_lg_u32 s9, 0
	s_add_co_ci_u32 s21, s21, s25
	s_mov_b32 s25, s8
	s_mul_u64 s[22:23], s[22:23], s[20:21]
	s_delay_alu instid0(SALU_CYCLE_1)
	s_mul_hi_u32 s29, s20, s23
	s_mul_i32 s28, s20, s23
	s_mul_hi_u32 s24, s20, s22
	s_mul_i32 s26, s21, s22
	s_add_nc_u64 s[24:25], s[24:25], s[28:29]
	s_mul_hi_u32 s9, s21, s22
	s_mul_hi_u32 s30, s21, s23
	s_mul_i32 s22, s21, s23
	s_add_co_u32 s23, s24, s26
	s_wait_alu 0xfffe
	s_add_co_ci_u32 s26, s25, s9
	s_add_co_ci_u32 s23, s30, 0
	s_mov_b32 s25, s8
	s_add_nc_u64 s[22:23], s[26:27], s[22:23]
	s_delay_alu instid0(SALU_CYCLE_1) | instskip(SKIP_1) | instid1(SALU_CYCLE_1)
	s_add_co_u32 s9, s20, s22
	s_cselect_b32 s20, -1, 0
	s_cmp_lg_u32 s20, 0
	s_add_co_ci_u32 s26, s21, s23
	s_ashr_i32 s20, s15, 31
	s_delay_alu instid0(SALU_CYCLE_1) | instskip(NEXT) | instid1(SALU_CYCLE_1)
	s_mov_b32 s21, s20
	s_add_nc_u64 s[22:23], s[14:15], s[20:21]
	s_delay_alu instid0(SALU_CYCLE_1) | instskip(NEXT) | instid1(SALU_CYCLE_1)
	s_xor_b64 s[22:23], s[22:23], s[20:21]
	s_mul_hi_u32 s29, s22, s26
	s_mul_i32 s28, s22, s26
	s_wait_alu 0xfffe
	s_mul_hi_u32 s24, s22, s9
	s_mul_hi_u32 s31, s23, s9
	s_mul_i32 s9, s23, s9
	s_add_nc_u64 s[24:25], s[24:25], s[28:29]
	s_mul_hi_u32 s30, s23, s26
	s_wait_alu 0xfffe
	s_add_co_u32 s9, s24, s9
	s_mul_i32 s28, s23, s26
	s_add_co_ci_u32 s26, s25, s31
	s_add_co_ci_u32 s29, s30, 0
	s_delay_alu instid0(SALU_CYCLE_1) | instskip(NEXT) | instid1(SALU_CYCLE_1)
	s_add_nc_u64 s[24:25], s[26:27], s[28:29]
	s_mul_u64 s[26:27], s[18:19], s[24:25]
	s_delay_alu instid0(SALU_CYCLE_1)
	s_sub_co_u32 s9, s22, s26
	s_cselect_b32 s22, -1, 0
	s_sub_co_i32 s26, s23, s27
	s_cmp_lg_u32 s22, 0
	s_sub_co_ci_u32 s26, s26, s19
	s_wait_alu 0xfffe
	s_sub_co_u32 s28, s9, s18
	s_cselect_b32 s29, -1, 0
	s_delay_alu instid0(SALU_CYCLE_1) | instskip(SKIP_1) | instid1(SALU_CYCLE_1)
	s_cmp_lg_u32 s29, 0
	s_sub_co_ci_u32 s26, s26, 0
	s_cmp_ge_u32 s26, s19
	s_cselect_b32 s30, -1, 0
	s_cmp_ge_u32 s28, s18
	s_add_nc_u64 s[28:29], s[24:25], 1
	s_cselect_b32 s31, -1, 0
	s_cmp_eq_u32 s26, s19
	s_cselect_b32 s26, s31, s30
	s_add_nc_u64 s[30:31], s[24:25], 2
	s_cmp_lg_u32 s26, 0
	s_cselect_b32 s26, s30, s28
	s_cselect_b32 s28, s31, s29
	s_cmp_lg_u32 s22, 0
	s_sub_co_ci_u32 s22, s23, s27
	s_delay_alu instid0(SALU_CYCLE_1)
	s_cmp_ge_u32 s22, s19
	s_cselect_b32 s23, -1, 0
	s_cmp_ge_u32 s9, s18
	s_cselect_b32 s9, -1, 0
	s_cmp_eq_u32 s22, s19
	s_wait_alu 0xfffe
	s_cselect_b32 s9, s9, s23
	s_wait_alu 0xfffe
	s_cmp_lg_u32 s9, 0
	s_mov_b32 s9, 0
	s_cselect_b32 s19, s28, s25
	s_cselect_b32 s18, s26, s24
	s_xor_b64 s[10:11], s[20:21], s[10:11]
	s_delay_alu instid0(SALU_CYCLE_1) | instskip(NEXT) | instid1(SALU_CYCLE_1)
	s_xor_b64 s[18:19], s[18:19], s[10:11]
	s_sub_nc_u64 s[10:11], s[18:19], s[10:11]
.LBB55_5:                               ;   in Loop: Header=BB55_3 Depth=1
	s_wait_alu 0xfffe
	s_and_not1_b32 vcc_lo, exec_lo, s9
	s_cbranch_vccnz .LBB55_7
; %bb.6:                                ;   in Loop: Header=BB55_3 Depth=1
	v_cvt_f32_u32_e32 v1, s16
	s_sub_co_i32 s10, 0, s16
	s_delay_alu instid0(VALU_DEP_1) | instskip(NEXT) | instid1(TRANS32_DEP_1)
	v_rcp_iflag_f32_e32 v1, v1
	v_mul_f32_e32 v1, 0x4f7ffffe, v1
	s_delay_alu instid0(VALU_DEP_1) | instskip(NEXT) | instid1(VALU_DEP_1)
	v_cvt_u32_f32_e32 v1, v1
	v_readfirstlane_b32 s9, v1
	s_mul_i32 s10, s10, s9
	s_delay_alu instid0(SALU_CYCLE_1) | instskip(NEXT) | instid1(SALU_CYCLE_1)
	s_mul_hi_u32 s10, s9, s10
	s_add_co_i32 s9, s9, s10
	s_wait_alu 0xfffe
	s_mul_hi_u32 s9, s14, s9
	s_wait_alu 0xfffe
	s_mul_i32 s10, s9, s16
	s_add_co_i32 s11, s9, 1
	s_sub_co_i32 s10, s14, s10
	s_delay_alu instid0(SALU_CYCLE_1)
	s_sub_co_i32 s18, s10, s16
	s_cmp_ge_u32 s10, s16
	s_cselect_b32 s9, s11, s9
	s_cselect_b32 s10, s18, s10
	s_wait_alu 0xfffe
	s_add_co_i32 s11, s9, 1
	s_cmp_ge_u32 s10, s16
	s_cselect_b32 s10, s11, s9
	s_mov_b32 s11, s8
.LBB55_7:                               ;   in Loop: Header=BB55_3 Depth=1
	s_load_b64 s[18:19], s[12:13], 0xc8
	s_mul_u64 s[16:17], s[10:11], s[16:17]
	s_add_co_i32 s7, s7, -1
	s_wait_alu 0xfffe
	s_sub_nc_u64 s[14:15], s[14:15], s[16:17]
	s_cmp_gt_u32 s7, 2
	s_add_nc_u64 s[12:13], s[12:13], -8
	s_wait_kmcnt 0x0
	s_mul_u64 s[14:15], s[18:19], s[14:15]
	s_delay_alu instid0(SALU_CYCLE_1)
	s_add_nc_u64 s[4:5], s[14:15], s[4:5]
	s_cbranch_scc0 .LBB55_9
; %bb.8:                                ;   in Loop: Header=BB55_3 Depth=1
	s_mov_b64 s[14:15], s[10:11]
	s_branch .LBB55_3
.LBB55_9:
	s_load_b32 s7, s[0:1], 0x358
	s_add_nc_u64 s[8:9], s[0:1], 0x500
	s_add_nc_u64 s[12:13], s[0:1], 0x1c0
	s_mov_b64 s[26:27], 0
	s_mov_b64 s[28:29], s[2:3]
	s_wait_kmcnt 0x0
	s_cmp_lt_i32 s7, 2
	s_cbranch_scc1 .LBB55_17
; %bb.10:
	s_mov_b32 s14, 0
	s_add_co_i32 s16, s7, -1
	s_mov_b32 s17, s14
	s_add_co_i32 s7, s7, 1
	s_wait_alu 0xfffe
	s_lshl_b64 s[16:17], s[16:17], 3
	s_mov_b64 s[18:19], s[2:3]
	s_wait_alu 0xfffe
	s_add_nc_u64 s[16:17], s[12:13], s[16:17]
	s_wait_alu 0xfffe
	s_add_nc_u64 s[16:17], s[16:17], 8
.LBB55_11:                              ; =>This Inner Loop Header: Depth=1
	s_load_b64 s[20:21], s[16:17], 0x0
                                        ; implicit-def: $sgpr28_sgpr29
	s_wait_kmcnt 0x0
	s_or_b64 s[22:23], s[18:19], s[20:21]
	s_delay_alu instid0(SALU_CYCLE_1)
	s_mov_b32 s15, s23
	s_wait_alu 0xfffe
	s_cmp_lg_u64 s[14:15], 0
	s_mov_b32 s15, -1
	s_cbranch_scc0 .LBB55_13
; %bb.12:                               ;   in Loop: Header=BB55_11 Depth=1
	s_ashr_i32 s22, s21, 31
	s_mov_b32 s35, s14
	s_mov_b32 s23, s22
	;; [unrolled: 1-line block ×3, first 2 shown]
	s_add_nc_u64 s[24:25], s[20:21], s[22:23]
	s_delay_alu instid0(SALU_CYCLE_1) | instskip(NEXT) | instid1(SALU_CYCLE_1)
	s_xor_b64 s[24:25], s[24:25], s[22:23]
	s_cvt_f32_u32 s15, s24
	s_cvt_f32_u32 s28, s25
	s_sub_nc_u64 s[30:31], 0, s[24:25]
	s_wait_alu 0xfffe
	s_delay_alu instid0(SALU_CYCLE_1) | instskip(SKIP_1) | instid1(SALU_CYCLE_2)
	s_fmamk_f32 s15, s28, 0x4f800000, s15
	s_wait_alu 0xfffe
	v_s_rcp_f32 s15, s15
	s_delay_alu instid0(TRANS32_DEP_1) | instskip(SKIP_1) | instid1(SALU_CYCLE_2)
	s_mul_f32 s15, s15, 0x5f7ffffc
	s_wait_alu 0xfffe
	s_mul_f32 s28, s15, 0x2f800000
	s_delay_alu instid0(SALU_CYCLE_3) | instskip(NEXT) | instid1(SALU_CYCLE_3)
	s_trunc_f32 s28, s28
	s_fmamk_f32 s15, s28, 0xcf800000, s15
	s_cvt_u32_f32 s29, s28
	s_wait_alu 0xfffe
	s_delay_alu instid0(SALU_CYCLE_1) | instskip(NEXT) | instid1(SALU_CYCLE_3)
	s_cvt_u32_f32 s28, s15
	s_mul_u64 s[40:41], s[30:31], s[28:29]
	s_wait_alu 0xfffe
	s_mul_hi_u32 s47, s28, s41
	s_mul_i32 s46, s28, s41
	s_mul_hi_u32 s34, s28, s40
	s_mul_i32 s33, s29, s40
	s_add_nc_u64 s[34:35], s[34:35], s[46:47]
	s_mul_hi_u32 s15, s29, s40
	s_mul_hi_u32 s48, s29, s41
	s_add_co_u32 s33, s34, s33
	s_wait_alu 0xfffe
	s_add_co_ci_u32 s44, s35, s15
	s_mul_i32 s40, s29, s41
	s_add_co_ci_u32 s41, s48, 0
	s_wait_alu 0xfffe
	s_add_nc_u64 s[34:35], s[44:45], s[40:41]
	s_mov_b32 s41, s14
	s_add_co_u32 s28, s28, s34
	s_cselect_b32 s15, -1, 0
	s_wait_alu 0xfffe
	s_cmp_lg_u32 s15, 0
	s_add_co_ci_u32 s29, s29, s35
	s_mov_b32 s35, s14
	s_mul_u64 s[30:31], s[30:31], s[28:29]
	s_delay_alu instid0(SALU_CYCLE_1)
	s_mul_hi_u32 s45, s28, s31
	s_mul_i32 s44, s28, s31
	s_mul_hi_u32 s34, s28, s30
	s_mul_i32 s33, s29, s30
	s_add_nc_u64 s[34:35], s[34:35], s[44:45]
	s_mul_hi_u32 s15, s29, s30
	s_mul_hi_u32 s46, s29, s31
	s_mul_i32 s30, s29, s31
	s_add_co_u32 s31, s34, s33
	s_wait_alu 0xfffe
	s_add_co_ci_u32 s40, s35, s15
	s_add_co_ci_u32 s31, s46, 0
	s_mov_b32 s35, s14
	s_wait_alu 0xfffe
	s_add_nc_u64 s[30:31], s[40:41], s[30:31]
	s_delay_alu instid0(SALU_CYCLE_1) | instskip(SKIP_1) | instid1(SALU_CYCLE_1)
	s_add_co_u32 s15, s28, s30
	s_cselect_b32 s28, -1, 0
	s_cmp_lg_u32 s28, 0
	s_add_co_ci_u32 s33, s29, s31
	s_ashr_i32 s28, s19, 31
	s_delay_alu instid0(SALU_CYCLE_1) | instskip(NEXT) | instid1(SALU_CYCLE_1)
	s_mov_b32 s29, s28
	s_add_nc_u64 s[30:31], s[18:19], s[28:29]
	s_delay_alu instid0(SALU_CYCLE_1) | instskip(NEXT) | instid1(SALU_CYCLE_1)
	s_xor_b64 s[30:31], s[30:31], s[28:29]
	s_mul_hi_u32 s45, s30, s33
	s_mul_i32 s44, s30, s33
	s_wait_alu 0xfffe
	s_mul_hi_u32 s34, s30, s15
	s_mul_hi_u32 s40, s31, s15
	s_mul_i32 s15, s31, s15
	s_add_nc_u64 s[34:35], s[34:35], s[44:45]
	s_mul_hi_u32 s46, s31, s33
	s_wait_alu 0xfffe
	s_add_co_u32 s15, s34, s15
	s_add_co_ci_u32 s40, s35, s40
	s_mul_i32 s44, s31, s33
	s_add_co_ci_u32 s45, s46, 0
	s_wait_alu 0xfffe
	s_add_nc_u64 s[34:35], s[40:41], s[44:45]
	s_delay_alu instid0(SALU_CYCLE_1)
	s_mul_u64 s[40:41], s[24:25], s[34:35]
	s_wait_alu 0xfffe
	s_sub_co_u32 s15, s30, s40
	s_cselect_b32 s30, -1, 0
	s_sub_co_i32 s33, s31, s41
	s_cmp_lg_u32 s30, 0
	s_sub_co_ci_u32 s33, s33, s25
	s_wait_alu 0xfffe
	s_sub_co_u32 s40, s15, s24
	s_cselect_b32 s44, -1, 0
	s_delay_alu instid0(SALU_CYCLE_1) | instskip(SKIP_2) | instid1(SALU_CYCLE_1)
	s_cmp_lg_u32 s44, 0
	s_add_nc_u64 s[44:45], s[34:35], 1
	s_sub_co_ci_u32 s33, s33, 0
	s_cmp_ge_u32 s33, s25
	s_cselect_b32 s46, -1, 0
	s_wait_alu 0xfffe
	s_cmp_ge_u32 s40, s24
	s_cselect_b32 s40, -1, 0
	s_cmp_eq_u32 s33, s25
	s_wait_alu 0xfffe
	s_cselect_b32 s33, s40, s46
	s_add_nc_u64 s[46:47], s[34:35], 2
	s_cmp_lg_u32 s33, 0
	s_cselect_b32 s33, s46, s44
	s_cselect_b32 s40, s47, s45
	s_cmp_lg_u32 s30, 0
	s_sub_co_ci_u32 s30, s31, s41
	s_delay_alu instid0(SALU_CYCLE_1)
	s_cmp_ge_u32 s30, s25
	s_cselect_b32 s31, -1, 0
	s_cmp_ge_u32 s15, s24
	s_cselect_b32 s15, -1, 0
	s_cmp_eq_u32 s30, s25
	s_wait_alu 0xfffe
	s_cselect_b32 s15, s15, s31
	s_wait_alu 0xfffe
	s_cmp_lg_u32 s15, 0
	s_mov_b32 s15, 0
	s_cselect_b32 s25, s40, s35
	s_cselect_b32 s24, s33, s34
	s_xor_b64 s[22:23], s[28:29], s[22:23]
	s_delay_alu instid0(SALU_CYCLE_1) | instskip(NEXT) | instid1(SALU_CYCLE_1)
	s_xor_b64 s[24:25], s[24:25], s[22:23]
	s_sub_nc_u64 s[28:29], s[24:25], s[22:23]
.LBB55_13:                              ;   in Loop: Header=BB55_11 Depth=1
	s_wait_alu 0xfffe
	s_and_not1_b32 vcc_lo, exec_lo, s15
	s_cbranch_vccnz .LBB55_15
; %bb.14:                               ;   in Loop: Header=BB55_11 Depth=1
	v_cvt_f32_u32_e32 v1, s20
	s_sub_co_i32 s22, 0, s20
	s_mov_b32 s29, s14
	s_delay_alu instid0(VALU_DEP_1) | instskip(NEXT) | instid1(TRANS32_DEP_1)
	v_rcp_iflag_f32_e32 v1, v1
	v_mul_f32_e32 v1, 0x4f7ffffe, v1
	s_delay_alu instid0(VALU_DEP_1) | instskip(NEXT) | instid1(VALU_DEP_1)
	v_cvt_u32_f32_e32 v1, v1
	v_readfirstlane_b32 s15, v1
	s_mul_i32 s22, s22, s15
	s_delay_alu instid0(SALU_CYCLE_1) | instskip(NEXT) | instid1(SALU_CYCLE_1)
	s_mul_hi_u32 s22, s15, s22
	s_add_co_i32 s15, s15, s22
	s_wait_alu 0xfffe
	s_mul_hi_u32 s15, s18, s15
	s_wait_alu 0xfffe
	s_mul_i32 s22, s15, s20
	s_add_co_i32 s23, s15, 1
	s_sub_co_i32 s22, s18, s22
	s_delay_alu instid0(SALU_CYCLE_1)
	s_sub_co_i32 s24, s22, s20
	s_cmp_ge_u32 s22, s20
	s_cselect_b32 s15, s23, s15
	s_cselect_b32 s22, s24, s22
	s_wait_alu 0xfffe
	s_add_co_i32 s23, s15, 1
	s_cmp_ge_u32 s22, s20
	s_cselect_b32 s28, s23, s15
.LBB55_15:                              ;   in Loop: Header=BB55_11 Depth=1
	s_load_b64 s[22:23], s[16:17], 0xc8
	s_mul_u64 s[20:21], s[28:29], s[20:21]
	s_add_co_i32 s7, s7, -1
	s_wait_alu 0xfffe
	s_sub_nc_u64 s[18:19], s[18:19], s[20:21]
	s_cmp_gt_u32 s7, 2
	s_add_nc_u64 s[16:17], s[16:17], -8
	s_wait_kmcnt 0x0
	s_mul_u64 s[18:19], s[22:23], s[18:19]
	s_delay_alu instid0(SALU_CYCLE_1)
	s_add_nc_u64 s[26:27], s[18:19], s[26:27]
	s_cbranch_scc0 .LBB55_17
; %bb.16:                               ;   in Loop: Header=BB55_11 Depth=1
	s_mov_b64 s[18:19], s[28:29]
	s_branch .LBB55_11
.LBB55_17:
	s_clause 0x1
	s_load_b64 s[14:15], s[0:1], 0xd0
	s_load_b32 s7, s[0:1], 0x4f8
	s_mov_b64 s[30:31], 0
	s_wait_kmcnt 0x0
	s_cmp_lt_i32 s7, 2
	s_cbranch_scc1 .LBB55_25
; %bb.18:
	s_mov_b32 s16, 0
	s_add_co_i32 s18, s7, -1
	s_wait_alu 0xfffe
	s_mov_b32 s19, s16
	s_add_nc_u64 s[20:21], s[0:1], 0x360
	s_lshl_b64 s[18:19], s[18:19], 3
	s_add_co_i32 s7, s7, 1
	s_wait_alu 0xfffe
	s_add_nc_u64 s[18:19], s[20:21], s[18:19]
	s_delay_alu instid0(SALU_CYCLE_1)
	s_add_nc_u64 s[18:19], s[18:19], 8
.LBB55_19:                              ; =>This Inner Loop Header: Depth=1
	s_load_b64 s[20:21], s[18:19], 0x0
                                        ; implicit-def: $sgpr34_sgpr35
	s_wait_kmcnt 0x0
	s_or_b64 s[22:23], s[2:3], s[20:21]
	s_delay_alu instid0(SALU_CYCLE_1)
	s_mov_b32 s17, s23
	s_wait_alu 0xfffe
	s_cmp_lg_u64 s[16:17], 0
	s_mov_b32 s17, -1
	s_cbranch_scc0 .LBB55_21
; %bb.20:                               ;   in Loop: Header=BB55_19 Depth=1
	s_ashr_i32 s22, s21, 31
	s_mov_b32 s45, s16
	s_mov_b32 s23, s22
	s_mov_b32 s49, s16
	s_add_nc_u64 s[24:25], s[20:21], s[22:23]
	s_delay_alu instid0(SALU_CYCLE_1) | instskip(NEXT) | instid1(SALU_CYCLE_1)
	s_xor_b64 s[24:25], s[24:25], s[22:23]
	s_cvt_f32_u32 s17, s24
	s_cvt_f32_u32 s33, s25
	s_sub_nc_u64 s[40:41], 0, s[24:25]
	s_wait_alu 0xfffe
	s_delay_alu instid0(SALU_CYCLE_1) | instskip(SKIP_1) | instid1(SALU_CYCLE_2)
	s_fmamk_f32 s17, s33, 0x4f800000, s17
	s_wait_alu 0xfffe
	v_s_rcp_f32 s17, s17
	s_delay_alu instid0(TRANS32_DEP_1) | instskip(SKIP_1) | instid1(SALU_CYCLE_2)
	s_mul_f32 s17, s17, 0x5f7ffffc
	s_wait_alu 0xfffe
	s_mul_f32 s33, s17, 0x2f800000
	s_delay_alu instid0(SALU_CYCLE_3) | instskip(NEXT) | instid1(SALU_CYCLE_3)
	s_trunc_f32 s33, s33
	s_fmamk_f32 s17, s33, 0xcf800000, s17
	s_cvt_u32_f32 s35, s33
	s_wait_alu 0xfffe
	s_delay_alu instid0(SALU_CYCLE_1) | instskip(NEXT) | instid1(SALU_CYCLE_3)
	s_cvt_u32_f32 s34, s17
	s_mul_u64 s[46:47], s[40:41], s[34:35]
	s_delay_alu instid0(SALU_CYCLE_1)
	s_mul_hi_u32 s51, s34, s47
	s_mul_i32 s50, s34, s47
	s_mul_hi_u32 s44, s34, s46
	s_mul_i32 s33, s35, s46
	s_add_nc_u64 s[44:45], s[44:45], s[50:51]
	s_mul_hi_u32 s17, s35, s46
	s_mul_hi_u32 s52, s35, s47
	s_add_co_u32 s33, s44, s33
	s_wait_alu 0xfffe
	s_add_co_ci_u32 s48, s45, s17
	s_mul_i32 s46, s35, s47
	s_add_co_ci_u32 s47, s52, 0
	s_delay_alu instid0(SALU_CYCLE_1)
	s_add_nc_u64 s[44:45], s[48:49], s[46:47]
	s_mov_b32 s47, s16
	s_add_co_u32 s34, s34, s44
	s_cselect_b32 s17, -1, 0
	s_wait_alu 0xfffe
	s_cmp_lg_u32 s17, 0
	s_add_co_ci_u32 s35, s35, s45
	s_mov_b32 s45, s16
	s_mul_u64 s[40:41], s[40:41], s[34:35]
	s_wait_alu 0xfffe
	s_mul_hi_u32 s49, s34, s41
	s_mul_i32 s48, s34, s41
	s_mul_hi_u32 s44, s34, s40
	s_mul_i32 s33, s35, s40
	s_add_nc_u64 s[44:45], s[44:45], s[48:49]
	s_mul_hi_u32 s17, s35, s40
	s_mul_hi_u32 s50, s35, s41
	s_add_co_u32 s33, s44, s33
	s_wait_alu 0xfffe
	s_add_co_ci_u32 s46, s45, s17
	s_mul_i32 s40, s35, s41
	s_add_co_ci_u32 s41, s50, 0
	s_mov_b32 s45, s16
	s_wait_alu 0xfffe
	s_add_nc_u64 s[40:41], s[46:47], s[40:41]
	s_wait_alu 0xfffe
	s_add_co_u32 s17, s34, s40
	s_cselect_b32 s33, -1, 0
	s_delay_alu instid0(SALU_CYCLE_1) | instskip(SKIP_2) | instid1(SALU_CYCLE_1)
	s_cmp_lg_u32 s33, 0
	s_add_co_ci_u32 s33, s35, s41
	s_ashr_i32 s34, s3, 31
	s_mov_b32 s35, s34
	s_delay_alu instid0(SALU_CYCLE_1)
	s_add_nc_u64 s[40:41], s[2:3], s[34:35]
	s_wait_alu 0xfffe
	s_xor_b64 s[40:41], s[40:41], s[34:35]
	s_wait_alu 0xfffe
	s_mul_hi_u32 s49, s40, s33
	s_mul_i32 s48, s40, s33
	s_mul_hi_u32 s44, s40, s17
	s_mul_hi_u32 s46, s41, s17
	s_mul_i32 s17, s41, s17
	s_add_nc_u64 s[44:45], s[44:45], s[48:49]
	s_mul_hi_u32 s50, s41, s33
	s_wait_alu 0xfffe
	s_add_co_u32 s17, s44, s17
	s_add_co_ci_u32 s46, s45, s46
	s_mul_i32 s48, s41, s33
	s_add_co_ci_u32 s49, s50, 0
	s_delay_alu instid0(SALU_CYCLE_1) | instskip(NEXT) | instid1(SALU_CYCLE_1)
	s_add_nc_u64 s[44:45], s[46:47], s[48:49]
	s_mul_u64 s[46:47], s[24:25], s[44:45]
	s_delay_alu instid0(SALU_CYCLE_1)
	s_sub_co_u32 s17, s40, s46
	s_cselect_b32 s33, -1, 0
	s_sub_co_i32 s40, s41, s47
	s_cmp_lg_u32 s33, 0
	s_wait_alu 0xfffe
	s_sub_co_ci_u32 s40, s40, s25
	s_sub_co_u32 s46, s17, s24
	s_cselect_b32 s48, -1, 0
	s_delay_alu instid0(SALU_CYCLE_1)
	s_cmp_lg_u32 s48, 0
	s_add_nc_u64 s[48:49], s[44:45], 1
	s_wait_alu 0xfffe
	s_sub_co_ci_u32 s40, s40, 0
	s_wait_alu 0xfffe
	s_cmp_ge_u32 s40, s25
	s_cselect_b32 s50, -1, 0
	s_cmp_ge_u32 s46, s24
	s_cselect_b32 s46, -1, 0
	s_cmp_eq_u32 s40, s25
	s_cselect_b32 s40, s46, s50
	s_add_nc_u64 s[50:51], s[44:45], 2
	s_wait_alu 0xfffe
	s_cmp_lg_u32 s40, 0
	s_cselect_b32 s40, s50, s48
	s_cselect_b32 s46, s51, s49
	s_cmp_lg_u32 s33, 0
	s_sub_co_ci_u32 s33, s41, s47
	s_delay_alu instid0(SALU_CYCLE_1)
	s_cmp_ge_u32 s33, s25
	s_cselect_b32 s41, -1, 0
	s_cmp_ge_u32 s17, s24
	s_cselect_b32 s17, -1, 0
	s_cmp_eq_u32 s33, s25
	s_wait_alu 0xfffe
	s_cselect_b32 s17, s17, s41
	s_wait_alu 0xfffe
	s_cmp_lg_u32 s17, 0
	s_mov_b32 s17, 0
	s_cselect_b32 s25, s46, s45
	s_cselect_b32 s24, s40, s44
	s_xor_b64 s[22:23], s[34:35], s[22:23]
	s_delay_alu instid0(SALU_CYCLE_1) | instskip(NEXT) | instid1(SALU_CYCLE_1)
	s_xor_b64 s[24:25], s[24:25], s[22:23]
	s_sub_nc_u64 s[34:35], s[24:25], s[22:23]
.LBB55_21:                              ;   in Loop: Header=BB55_19 Depth=1
	s_wait_alu 0xfffe
	s_and_not1_b32 vcc_lo, exec_lo, s17
	s_cbranch_vccnz .LBB55_23
; %bb.22:                               ;   in Loop: Header=BB55_19 Depth=1
	v_cvt_f32_u32_e32 v1, s20
	s_sub_co_i32 s22, 0, s20
	s_mov_b32 s35, s16
	s_delay_alu instid0(VALU_DEP_1) | instskip(NEXT) | instid1(TRANS32_DEP_1)
	v_rcp_iflag_f32_e32 v1, v1
	v_mul_f32_e32 v1, 0x4f7ffffe, v1
	s_delay_alu instid0(VALU_DEP_1) | instskip(NEXT) | instid1(VALU_DEP_1)
	v_cvt_u32_f32_e32 v1, v1
	v_readfirstlane_b32 s17, v1
	s_mul_i32 s22, s22, s17
	s_delay_alu instid0(SALU_CYCLE_1) | instskip(NEXT) | instid1(SALU_CYCLE_1)
	s_mul_hi_u32 s22, s17, s22
	s_add_co_i32 s17, s17, s22
	s_wait_alu 0xfffe
	s_mul_hi_u32 s17, s2, s17
	s_wait_alu 0xfffe
	s_mul_i32 s22, s17, s20
	s_add_co_i32 s23, s17, 1
	s_sub_co_i32 s22, s2, s22
	s_delay_alu instid0(SALU_CYCLE_1)
	s_sub_co_i32 s24, s22, s20
	s_cmp_ge_u32 s22, s20
	s_cselect_b32 s17, s23, s17
	s_cselect_b32 s22, s24, s22
	s_wait_alu 0xfffe
	s_add_co_i32 s23, s17, 1
	s_cmp_ge_u32 s22, s20
	s_cselect_b32 s34, s23, s17
.LBB55_23:                              ;   in Loop: Header=BB55_19 Depth=1
	s_load_b64 s[22:23], s[18:19], 0xc8
	s_mul_u64 s[20:21], s[34:35], s[20:21]
	s_add_co_i32 s7, s7, -1
	s_wait_alu 0xfffe
	s_sub_nc_u64 s[2:3], s[2:3], s[20:21]
	s_cmp_gt_u32 s7, 2
	s_add_nc_u64 s[18:19], s[18:19], -8
	s_wait_kmcnt 0x0
	s_wait_alu 0xfffe
	s_mul_u64 s[2:3], s[22:23], s[2:3]
	s_wait_alu 0xfffe
	s_add_nc_u64 s[30:31], s[2:3], s[30:31]
	s_cbranch_scc0 .LBB55_26
; %bb.24:                               ;   in Loop: Header=BB55_19 Depth=1
	s_mov_b64 s[2:3], s[34:35]
	s_branch .LBB55_19
.LBB55_25:
	s_mov_b64 s[34:35], s[2:3]
.LBB55_26:
	s_clause 0x1
	s_load_b64 s[40:41], s[12:13], 0xd0
	s_load_b64 s[12:13], s[0:1], 0x0
	v_cmp_eq_u32_e64 s2, 0, v0
	s_mov_b32 s25, 0
	s_and_saveexec_b32 s3, s2
	s_cbranch_execz .LBB55_28
; %bb.27:
	v_dual_mov_b32 v1, 0 :: v_dual_mov_b32 v4, s37
	s_delay_alu instid0(VALU_DEP_1)
	v_dual_mov_b32 v3, s36 :: v_dual_mov_b32 v2, v1
	ds_store_b32 v1, v1 offset:5136
	ds_store_b128 v1, v[1:4] offset:5120
.LBB55_28:
	s_wait_alu 0xfffe
	s_or_b32 exec_lo, exec_lo, s3
	v_mad_co_u64_u32 v[2:3], null, s42, v0, 0
	s_lshl_b64 s[54:55], s[4:5], 2
	s_clause 0x2
	s_load_b64 s[48:49], s[0:1], 0x430
	s_load_b64 s[44:45], s[0:1], 0x1c0
	;; [unrolled: 1-line block ×3, first 2 shown]
	s_wait_dscnt 0x0
	s_barrier_signal -1
	s_barrier_wait -1
	global_inv scope:SCOPE_SE
	v_dual_mov_b32 v1, v3 :: v_dual_lshlrev_b32 v14, 2, v0
	v_mov_b32_e32 v13, 0
	s_load_b32 s5, s[8:9], 0xc
	s_mul_u64 s[10:11], s[14:15], s[10:11]
	s_delay_alu instid0(VALU_DEP_2) | instskip(NEXT) | instid1(VALU_DEP_2)
	v_mad_co_u64_u32 v[3:4], null, s43, v0, v[1:2]
	v_dual_mov_b32 v1, v13 :: v_dual_add_nc_u32 v42, 0xc00, v14
	v_lshlrev_b32_e32 v44, 4, v0
	s_lshl_b64 s[10:11], s[10:11], 2
	v_mbcnt_lo_u32_b32 v41, -1, 0
	s_wait_kmcnt 0x0
	s_add_nc_u64 s[14:15], s[12:13], s[10:11]
	v_cmp_gt_u32_e32 vcc_lo, 32, v0
	v_or_b32_e32 v9, 12, v44
	v_or_b32_e32 v11, 8, v44
	;; [unrolled: 1-line block ×3, first 2 shown]
	v_lshlrev_b64_e64 v[6:7], v41, -1
	v_cmp_gt_i32_e64 s0, 4, v41
	s_wait_alu 0xfffe
	v_mad_co_u64_u32 v[18:19], null, s42, v9, s[14:15]
	v_mad_co_u64_u32 v[20:21], null, s42, v11, s[14:15]
	;; [unrolled: 1-line block ×3, first 2 shown]
	v_mov_b32_e32 v15, v13
	v_not_b32_e32 v43, v6
	v_mov_b32_e32 v6, v19
	s_and_b32 s50, s5, 0xffff
	v_mov_b32_e32 v7, v21
	s_and_b32 s33, vcc_lo, s0
	s_bfe_u32 s5, s5, 0xb0005
	s_cmp_gt_u32 s50, 31
	v_mov_b32_e32 v8, v23
	s_cselect_b32 s85, -1, 0
	s_cmp_lt_u32 ttmp9, s6
	v_mad_co_u64_u32 v[9:10], null, s43, v9, v[6:7]
	s_cselect_b32 s24, 12, 18
	s_add_co_i32 s6, s5, -1
	v_lshlrev_b64_e32 v[4:5], 2, v[2:3]
	s_and_b32 s6, s6, 0xffff
	s_bfe_u32 s86, s50, 0x30005
	s_movk_i32 s7, 0x3e0
	s_cmp_gt_u32 s6, 6
	v_lshlrev_b64_e32 v[2:3], 4, v[2:3]
	v_mad_co_u64_u32 v[6:7], null, s43, v11, v[7:8]
	s_add_nc_u64 s[56:57], s[14:15], s[54:55]
	v_and_or_b32 v45, v0, s7, 0xc00
	s_cselect_b32 s87, -1, 0
	s_and_b32 s88, s5, 0x7f8
	s_add_nc_u64 s[6:7], s[10:11], s[54:55]
	v_mad_co_u64_u32 v[7:8], null, s43, v12, v[8:9]
	s_cmp_lg_u32 s86, 0
	v_add_co_u32 v16, vcc_lo, s56, v4
	s_wait_alu 0xfffe
	s_add_nc_u64 s[62:63], s[12:13], s[6:7]
	s_add_nc_u64 s[6:7], s[12:13], s[54:55]
	s_cselect_b32 s89, -1, 0
	s_lshl_b64 s[64:65], s[42:43], 2
	s_lshl_b64 s[66:67], s[42:43], 4
	v_add_co_ci_u32_e64 v17, null, s57, v5, vcc_lo
	v_add_co_u32 v24, vcc_lo, s14, v2
	s_wait_alu 0xfffe
	s_add_nc_u64 s[6:7], s[6:7], s[10:11]
	v_mul_lo_u32 v50, 0, s64
	v_mul_lo_u32 v51, 0, s66
	s_wait_alu 0xfffd
	v_add_co_ci_u32_e64 v25, null, s15, v3, vcc_lo
	v_add_co_u32 v46, s5, s36, v0
	s_wait_alu 0xfffe
	v_add_co_u32 v10, vcc_lo, s6, v4
	v_cmp_lt_i64_e64 s84, 0x300, s[36:37]
	v_cmp_gt_u64_e64 s4, s[36:37], v[0:1]
	v_cmp_gt_i64_e64 s0, s[36:37], v[0:1]
	s_mov_b32 s51, s25
	v_dual_mov_b32 v29, s38 :: v_dual_mov_b32 v52, 0
	v_cmp_eq_u32_e64 s1, 0, v41
	v_cmp_gt_u32_e64 s3, 2, v0
	v_dual_mov_b32 v19, v9 :: v_dual_mov_b32 v30, s39
	v_dual_mov_b32 v21, v6 :: v_dual_mov_b32 v26, 1.0
	v_dual_mov_b32 v23, v7 :: v_dual_mov_b32 v28, 0
	v_add_co_ci_u32_e64 v48, null, s37, 0, s5
	v_lshl_or_b32 v49, v41, 3, 0xc00
	s_wait_alu 0xfffd
	v_add_co_ci_u32_e64 v11, null, s7, v5, vcc_lo
	v_mov_b32_e32 v47, 0
	s_add_nc_u64 s[58:59], s[50:51], -1
	s_mul_u64 s[10:11], s[42:43], s[50:51]
	s_add_nc_u64 s[60:61], s[58:59], s[36:37]
	s_lshl_b64 s[52:53], s[10:11], 2
	s_lshl_b32 s90, s50, 2
	s_mov_b32 s91, 30
	s_add_nc_u64 s[38:39], s[8:9], s[24:25]
	s_mov_b32 s92, 0
	s_mov_b32 s93, 0
                                        ; implicit-def: $sgpr97
                                        ; implicit-def: $sgpr99
                                        ; implicit-def: $sgpr94
                                        ; implicit-def: $sgpr96
                                        ; implicit-def: $sgpr98
                                        ; implicit-def: $sgpr95
	s_branch .LBB55_32
.LBB55_29:                              ;   in Loop: Header=BB55_32 Depth=1
	s_wait_alu 0xfffe
	s_or_b32 exec_lo, exec_lo, s8
	s_delay_alu instid0(SALU_CYCLE_1)
	s_and_b32 s6, s6, exec_lo
	s_and_not1_b32 s22, s22, exec_lo
	s_and_not1_b32 s21, s21, exec_lo
	s_or_not1_b32 s18, s7, exec_lo
.LBB55_30:                              ;   in Loop: Header=BB55_32 Depth=1
	s_wait_alu 0xfffe
	s_or_b32 exec_lo, exec_lo, s5
	s_delay_alu instid0(SALU_CYCLE_1)
	s_and_not1_b32 s5, s95, exec_lo
	s_and_b32 s6, s6, exec_lo
	s_and_not1_b32 s7, s96, exec_lo
	s_wait_alu 0xfffe
	s_or_b32 s95, s5, s6
	s_and_not1_b32 s5, s98, exec_lo
	s_and_b32 s6, s22, exec_lo
	s_and_b32 s8, s21, exec_lo
	s_wait_alu 0xfffe
	s_or_b32 s98, s5, s6
	s_or_b32 s96, s7, s8
	s_or_not1_b32 s18, s18, exec_lo
.LBB55_31:                              ;   in Loop: Header=BB55_32 Depth=1
	s_wait_alu 0xfffe
	s_or_b32 exec_lo, exec_lo, s17
	s_delay_alu instid0(SALU_CYCLE_1)
	s_and_b32 s5, exec_lo, s18
	v_dual_mov_b32 v30, v7 :: v_dual_mov_b32 v29, v6
	s_wait_alu 0xfffe
	s_or_b32 s92, s5, s92
	s_and_not1_b32 s5, s94, exec_lo
	s_and_b32 s6, s95, exec_lo
	s_and_not1_b32 s7, s99, exec_lo
	s_wait_alu 0xfffe
	s_or_b32 s94, s5, s6
	s_and_b32 s5, s98, exec_lo
	s_and_not1_b32 s6, s97, exec_lo
	s_and_b32 s8, s96, exec_lo
	s_wait_alu 0xfffe
	s_or_b32 s99, s7, s5
	s_or_b32 s97, s6, s8
	s_and_not1_b32 exec_lo, exec_lo, s92
	s_cbranch_execz .LBB55_297
.LBB55_32:                              ; =>This Loop Header: Depth=1
                                        ;     Child Loop BB55_38 Depth 2
                                        ;     Child Loop BB55_51 Depth 2
                                        ;     Child Loop BB55_85 Depth 2
                                        ;     Child Loop BB55_89 Depth 2
                                        ;     Child Loop BB55_74 Depth 2
                                        ;     Child Loop BB55_79 Depth 2
                                        ;     Child Loop BB55_67 Depth 2
                                        ;     Child Loop BB55_98 Depth 2
                                        ;     Child Loop BB55_112 Depth 2
                                        ;     Child Loop BB55_127 Depth 2
                                        ;     Child Loop BB55_157 Depth 2
                                        ;     Child Loop BB55_174 Depth 2
                                        ;     Child Loop BB55_205 Depth 2
                                        ;     Child Loop BB55_222 Depth 2
                                        ;     Child Loop BB55_252 Depth 2
                                        ;     Child Loop BB55_269 Depth 2
	ds_load_b128 v[2:5], v13 offset:5120
	s_wait_dscnt 0x0
	v_readfirstlane_b32 s69, v3
	v_readfirstlane_b32 s68, v2
	s_wait_alu 0xf1ff
	s_delay_alu instid0(VALU_DEP_1)
	v_cmp_gt_i64_e64 s5, s[68:69], 0
	s_and_b32 vcc_lo, exec_lo, s5
	s_wait_alu 0xfffe
	s_cbranch_vccnz .LBB55_59
; %bb.33:                               ;   in Loop: Header=BB55_32 Depth=1
	s_and_b32 vcc_lo, exec_lo, s84
	s_wait_alu 0xfffe
	s_cbranch_vccz .LBB55_46
; %bb.34:                               ;   in Loop: Header=BB55_32 Depth=1
	v_cmp_gt_i64_e32 vcc_lo, 0x301, v[4:5]
	s_mov_b32 s7, 0
	s_mov_b32 s5, 0
	s_cbranch_vccz .LBB55_47
; %bb.35:                               ;   in Loop: Header=BB55_32 Depth=1
	s_and_saveexec_b32 s8, s4
	s_cbranch_execz .LBB55_93
; %bb.36:                               ;   in Loop: Header=BB55_32 Depth=1
	global_load_u16 v2, v13, s[38:39]
	global_load_b32 v7, v[16:17], off
	s_mov_b32 s9, 0
	s_wait_loadcnt 0x1
	v_and_b32_e32 v6, 0xffff, v2
	s_delay_alu instid0(VALU_DEP_1) | instskip(SKIP_2) | instid1(VALU_DEP_3)
	v_add_nc_u32_e32 v4, v0, v6
	v_mul_lo_u32 v5, v6, s65
	v_mul_hi_u32 v9, v6, s64
	v_mad_co_u64_u32 v[2:3], null, s64, v4, s[62:63]
	s_delay_alu instid0(VALU_DEP_1) | instskip(NEXT) | instid1(VALU_DEP_4)
	v_mad_co_u64_u32 v[3:4], null, s65, v4, v[3:4]
	v_add_nc_u32_e32 v4, v5, v50
	s_delay_alu instid0(VALU_DEP_1)
	v_add_nc_u32_e32 v9, v4, v9
	v_mov_b32_e32 v5, v1
	v_mul_lo_u32 v8, v6, s64
	v_mov_b32_e32 v4, v0
	s_branch .LBB55_38
.LBB55_37:                              ;   in Loop: Header=BB55_38 Depth=2
	s_wait_alu 0xfffe
	s_or_b32 exec_lo, exec_lo, s6
	v_add_co_u32 v2, vcc_lo, v2, v8
	s_wait_alu 0xfffd
	v_add_co_ci_u32_e64 v3, null, v3, v9, vcc_lo
	v_mov_b32_e32 v7, v12
	s_and_not1_b32 exec_lo, exec_lo, s9
	s_cbranch_execz .LBB55_93
.LBB55_38:                              ;   Parent Loop BB55_32 Depth=1
                                        ; =>  This Inner Loop Header: Depth=2
	s_delay_alu instid0(VALU_DEP_1)
	v_add_co_u32 v4, vcc_lo, v4, v6
	s_wait_alu 0xfffd
	v_add_co_ci_u32_e64 v5, null, 0, v5, vcc_lo
	s_wait_dscnt 0x0
	v_dual_mov_b32 v27, 0 :: v_dual_mov_b32 v12, 0
	s_mov_b32 s6, exec_lo
	s_delay_alu instid0(VALU_DEP_2)
	v_cmp_le_i64_e32 vcc_lo, s[36:37], v[4:5]
	v_cmpx_gt_i64_e64 s[36:37], v[4:5]
	s_cbranch_execz .LBB55_40
; %bb.39:                               ;   in Loop: Header=BB55_38 Depth=2
	global_load_b32 v12, v[2:3], off
.LBB55_40:                              ;   in Loop: Header=BB55_38 Depth=2
	s_wait_alu 0xfffe
	s_or_b32 exec_lo, exec_lo, s6
	s_wait_loadcnt 0x0
	v_cmp_lt_i32_e64 s5, -1, v7
	s_wait_alu 0xf1ff
	s_delay_alu instid0(VALU_DEP_1) | instskip(SKIP_1) | instid1(VALU_DEP_2)
	v_cndmask_b32_e64 v31, -1, 0x80000000, s5
	v_cmp_o_f32_e64 s5, v7, v7
	v_xor_b32_e32 v31, v31, v7
	s_wait_alu 0xf1ff
	s_delay_alu instid0(VALU_DEP_1) | instskip(NEXT) | instid1(VALU_DEP_1)
	v_cndmask_b32_e64 v31, -1, v31, s5
	v_and_b32_e32 v31, v31, v52
	s_delay_alu instid0(VALU_DEP_1)
	v_cmp_eq_u32_e64 s5, v31, v47
	s_cmp_lg_u32 s5, 0
	s_cselect_b32 s6, -1, 0
	s_wait_alu 0xfffe
	s_and_b32 s6, s1, s6
	s_wait_alu 0xfffe
	s_and_saveexec_b32 s10, s6
	s_cbranch_execz .LBB55_44
; %bb.41:                               ;   in Loop: Header=BB55_38 Depth=2
	s_mov_b32 s13, exec_lo
	s_bcnt1_i32_b32 s11, s5
	s_wait_alu 0xfffe
	v_mbcnt_lo_u32_b32 v27, s13, 0
	s_mov_b32 s12, exec_lo
                                        ; implicit-def: $vgpr31
	s_delay_alu instid0(VALU_DEP_1)
	v_cmpx_eq_u32_e32 0, v27
; %bb.42:                               ;   in Loop: Header=BB55_38 Depth=2
	s_bcnt1_i32_b32 s6, s13
	s_wait_alu 0xfffe
	s_mul_i32 s6, s11, s6
	s_wait_alu 0xfffe
	v_mov_b32_e32 v31, s6
	ds_add_rtn_u32 v31, v13, v31 offset:5136
; %bb.43:                               ;   in Loop: Header=BB55_38 Depth=2
	s_or_b32 exec_lo, exec_lo, s12
	s_wait_dscnt 0x0
	v_readfirstlane_b32 s6, v31
	s_wait_alu 0xf1ff
	s_delay_alu instid0(VALU_DEP_1)
	v_mad_u32_u24 v27, s11, v27, s6
.LBB55_44:                              ;   in Loop: Header=BB55_38 Depth=2
	s_wait_alu 0xfffe
	s_or_b32 exec_lo, exec_lo, s10
	ds_bpermute_b32 v27, v13, v27
	s_and_b32 s6, exec_lo, vcc_lo
	s_wait_alu 0xfffe
	s_or_b32 s9, s6, s9
	s_and_saveexec_b32 s6, s5
	s_cbranch_execz .LBB55_37
; %bb.45:                               ;   in Loop: Header=BB55_38 Depth=2
	v_and_b32_e32 v31, s5, v43
	s_delay_alu instid0(VALU_DEP_1) | instskip(NEXT) | instid1(VALU_DEP_1)
	v_bcnt_u32_b32 v31, v31, 0
	v_lshlrev_b32_e32 v31, 2, v31
	s_wait_dscnt 0x0
	s_delay_alu instid0(VALU_DEP_1)
	v_lshl_add_u32 v27, v27, 2, v31
	ds_store_b32 v27, v7
	s_branch .LBB55_37
.LBB55_46:                              ;   in Loop: Header=BB55_32 Depth=1
	s_mov_b32 s7, -1
	s_mov_b32 s5, 0
.LBB55_47:                              ;   in Loop: Header=BB55_32 Depth=1
	s_wait_alu 0xfffe
	s_and_b32 vcc_lo, exec_lo, s7
	s_wait_alu 0xfffe
	s_cbranch_vccz .LBB55_57
.LBB55_48:                              ;   in Loop: Header=BB55_32 Depth=1
	s_and_saveexec_b32 s6, s0
	s_cbranch_execz .LBB55_54
; %bb.49:                               ;   in Loop: Header=BB55_32 Depth=1
	global_load_u16 v2, v13, s[38:39]
	global_load_b32 v8, v[16:17], off
	s_mov_b32 s7, exec_lo
	s_wait_loadcnt 0x1
	v_dual_mov_b32 v2, v0 :: v_dual_and_b32 v9, 0xffff, v2
	s_delay_alu instid0(VALU_DEP_1) | instskip(NEXT) | instid1(VALU_DEP_1)
	v_add_nc_u32_e32 v12, v9, v0
	v_cmpx_gt_i64_e64 s[36:37], v[12:13]
	s_cbranch_execz .LBB55_53
; %bb.50:                               ;   in Loop: Header=BB55_32 Depth=1
	v_mul_lo_u32 v5, v9, s65
	v_mad_co_u64_u32 v[2:3], null, s64, v12, s[62:63]
	v_mul_hi_u32 v6, v9, s64
	v_mul_lo_u32 v27, v9, s64
	s_mov_b32 s8, 0
	s_delay_alu instid0(VALU_DEP_4) | instskip(NEXT) | instid1(VALU_DEP_4)
	v_add_nc_u32_e32 v7, v5, v50
	v_mad_co_u64_u32 v[3:4], null, s65, v12, v[3:4]
	v_dual_mov_b32 v4, v12 :: v_dual_mov_b32 v5, v13
	s_delay_alu instid0(VALU_DEP_3)
	v_dual_mov_b32 v7, v1 :: v_dual_add_nc_u32 v12, v7, v6
	v_mov_b32_e32 v6, v0
.LBB55_51:                              ;   Parent Loop BB55_32 Depth=1
                                        ; =>  This Inner Loop Header: Depth=2
	global_load_b32 v31, v[2:3], off
	v_dual_mov_b32 v33, v5 :: v_dual_mov_b32 v32, v4
	v_lshlrev_b32_e32 v6, 2, v6
	s_delay_alu instid0(VALU_DEP_2) | instskip(SKIP_1) | instid1(VALU_DEP_3)
	v_add_co_u32 v4, vcc_lo, v32, v9
	s_wait_alu 0xfffd
	v_add_co_ci_u32_e64 v5, null, 0, v33, vcc_lo
	v_add_co_u32 v2, vcc_lo, v2, v27
	s_wait_alu 0xfffd
	v_add_co_ci_u32_e64 v3, null, v3, v12, vcc_lo
	s_delay_alu instid0(VALU_DEP_3)
	v_cmp_le_i64_e64 s5, s[36:37], v[4:5]
	s_wait_loadcnt 0x1
	ds_store_b32 v6, v8
	v_dual_mov_b32 v6, v32 :: v_dual_mov_b32 v7, v33
	s_wait_alu 0xfffe
	s_or_b32 s8, s5, s8
	s_wait_loadcnt 0x0
	v_mov_b32_e32 v8, v31
	s_wait_alu 0xfffe
	s_and_not1_b32 exec_lo, exec_lo, s8
	s_cbranch_execnz .LBB55_51
; %bb.52:                               ;   in Loop: Header=BB55_32 Depth=1
	s_or_b32 exec_lo, exec_lo, s8
	v_sub_nc_u32_e32 v2, v4, v9
	v_mov_b32_e32 v8, v31
.LBB55_53:                              ;   in Loop: Header=BB55_32 Depth=1
	s_wait_alu 0xfffe
	s_or_b32 exec_lo, exec_lo, s7
	s_delay_alu instid0(VALU_DEP_2)
	v_lshlrev_b32_e32 v2, 2, v2
	s_wait_loadcnt 0x0
	ds_store_b32 v2, v8
.LBB55_54:                              ;   in Loop: Header=BB55_32 Depth=1
	s_wait_alu 0xfffe
	s_or_b32 exec_lo, exec_lo, s6
	s_wait_loadcnt_dscnt 0x0
	s_barrier_signal -1
	s_barrier_wait -1
	global_inv scope:SCOPE_SE
	s_and_saveexec_b32 s5, s2
; %bb.55:                               ;   in Loop: Header=BB55_32 Depth=1
	v_dual_mov_b32 v2, s36 :: v_dual_mov_b32 v3, s37
	ds_store_b64 v13, v[2:3] offset:5120
; %bb.56:                               ;   in Loop: Header=BB55_32 Depth=1
	s_wait_alu 0xfffe
	s_or_b32 exec_lo, exec_lo, s5
	s_wait_loadcnt_dscnt 0x0
	s_barrier_signal -1
	s_mov_b32 s5, -1
	s_barrier_wait -1
.LBB55_57:                              ;   in Loop: Header=BB55_32 Depth=1
	s_wait_alu 0xfffe
	s_and_b32 vcc_lo, exec_lo, s5
	s_wait_alu 0xfffe
	s_cbranch_vccz .LBB55_59
; %bb.58:                               ;   in Loop: Header=BB55_32 Depth=1
	s_wait_loadcnt 0x0
	global_inv scope:SCOPE_SE
	ds_load_b64 v[2:3], v13 offset:5120
	s_wait_dscnt 0x0
	v_readfirstlane_b32 s68, v2
.LBB55_59:                              ;   in Loop: Header=BB55_32 Depth=1
	s_delay_alu instid0(VALU_DEP_1)
	s_cmp_lt_i32 s68, 1
	s_mov_b32 s5, -1
                                        ; implicit-def: $vgpr2_vgpr3
                                        ; implicit-def: $vgpr6_vgpr7
	s_cbranch_scc1 .LBB55_69
; %bb.60:                               ;   in Loop: Header=BB55_32 Depth=1
	s_wait_alu 0xfffe
	s_and_b32 vcc_lo, exec_lo, s5
	s_wait_alu 0xfffe
	s_cbranch_vccnz .LBB55_83
.LBB55_61:                              ;   in Loop: Header=BB55_32 Depth=1
	s_lshl_b32 s5, s93, 7
	s_and_saveexec_b32 s6, s1
	s_cbranch_execz .LBB55_63
.LBB55_62:                              ;   in Loop: Header=BB55_32 Depth=1
	s_wait_alu 0xfffe
	v_lshl_add_u32 v12, s5, 3, v45
	ds_store_b128 v12, v[2:5]
	ds_store_b128 v12, v[6:9] offset:16
.LBB55_63:                              ;   in Loop: Header=BB55_32 Depth=1
	s_wait_alu 0xfffe
	s_or_b32 exec_lo, exec_lo, s6
	s_wait_loadcnt_dscnt 0x0
	s_barrier_signal -1
	s_barrier_wait -1
	global_inv scope:SCOPE_SE
	s_and_saveexec_b32 s6, s33
	s_cbranch_execz .LBB55_100
; %bb.64:                               ;   in Loop: Header=BB55_32 Depth=1
	v_mov_b32_e32 v2, 0
	v_mov_b32_e32 v3, 0
	s_and_not1_b32 vcc_lo, exec_lo, s85
	s_wait_alu 0xfffe
	s_cbranch_vccnz .LBB55_99
; %bb.65:                               ;   in Loop: Header=BB55_32 Depth=1
	v_mov_b32_e32 v2, 0
	v_mov_b32_e32 v3, 0
	s_and_not1_b32 vcc_lo, exec_lo, s87
	s_wait_alu 0xfffe
	s_cbranch_vccnz .LBB55_96
; %bb.66:                               ;   in Loop: Header=BB55_32 Depth=1
	v_lshl_add_u32 v4, s93, 10, v49
	s_mov_b32 s7, 0
.LBB55_67:                              ;   Parent Loop BB55_32 Depth=1
                                        ; =>  This Inner Loop Header: Depth=2
	ds_load_2addr_b64 v[5:8], v4 offset1:4
	ds_load_2addr_b64 v[31:34], v4 offset0:8 offset1:12
	ds_load_2addr_b64 v[35:38], v4 offset0:16 offset1:20
	s_wait_alu 0xfffe
	s_add_co_i32 s7, s7, 8
	s_wait_alu 0xfffe
	s_cmp_eq_u32 s88, s7
	s_wait_dscnt 0x2
	v_add_co_u32 v2, vcc_lo, v5, v2
	s_wait_alu 0xfffd
	v_add_co_ci_u32_e64 v3, null, v6, v3, vcc_lo
	s_delay_alu instid0(VALU_DEP_2) | instskip(SKIP_1) | instid1(VALU_DEP_2)
	v_add_co_u32 v2, vcc_lo, v7, v2
	s_wait_alu 0xfffd
	v_add_co_ci_u32_e64 v3, null, v8, v3, vcc_lo
	ds_load_2addr_b64 v[5:8], v4 offset0:24 offset1:28
	s_wait_dscnt 0x2
	v_add_co_u32 v2, vcc_lo, v31, v2
	s_wait_alu 0xfffd
	v_add_co_ci_u32_e64 v3, null, v32, v3, vcc_lo
	v_add_nc_u32_e32 v4, 0x100, v4
	s_delay_alu instid0(VALU_DEP_3) | instskip(SKIP_1) | instid1(VALU_DEP_3)
	v_add_co_u32 v2, vcc_lo, v33, v2
	s_wait_alu 0xfffd
	v_add_co_ci_u32_e64 v3, null, v34, v3, vcc_lo
	s_wait_dscnt 0x1
	s_delay_alu instid0(VALU_DEP_2) | instskip(SKIP_1) | instid1(VALU_DEP_2)
	v_add_co_u32 v2, vcc_lo, v35, v2
	s_wait_alu 0xfffd
	v_add_co_ci_u32_e64 v3, null, v36, v3, vcc_lo
	s_delay_alu instid0(VALU_DEP_2) | instskip(SKIP_1) | instid1(VALU_DEP_2)
	v_add_co_u32 v2, vcc_lo, v37, v2
	s_wait_alu 0xfffd
	v_add_co_ci_u32_e64 v3, null, v38, v3, vcc_lo
	s_wait_dscnt 0x0
	s_delay_alu instid0(VALU_DEP_2) | instskip(SKIP_1) | instid1(VALU_DEP_2)
	v_add_co_u32 v2, vcc_lo, v5, v2
	s_wait_alu 0xfffd
	v_add_co_ci_u32_e64 v3, null, v6, v3, vcc_lo
	s_delay_alu instid0(VALU_DEP_2) | instskip(SKIP_1) | instid1(VALU_DEP_2)
	v_add_co_u32 v2, vcc_lo, v7, v2
	s_wait_alu 0xfffd
	v_add_co_ci_u32_e64 v3, null, v8, v3, vcc_lo
	s_cbranch_scc0 .LBB55_67
; %bb.68:                               ;   in Loop: Header=BB55_32 Depth=1
	s_mov_b32 s7, s88
	s_and_not1_b32 vcc_lo, exec_lo, s89
	s_wait_alu 0xfffe
	s_cbranch_vccz .LBB55_97
	s_branch .LBB55_99
.LBB55_69:                              ;   in Loop: Header=BB55_32 Depth=1
	global_load_u16 v12, v13, s[38:39]
	s_mov_b32 s6, s25
	s_mov_b32 s7, s37
	s_wait_loadcnt 0x0
	v_readfirstlane_b32 s5, v12
	s_wait_alu 0xfffe
	s_and_b32 s5, 0xffff, s5
	s_wait_alu 0xfffe
	s_lshl_b32 s70, s5, 2
	s_cmp_lg_u64 s[6:7], 0
	s_cbranch_scc0 .LBB55_92
; %bb.70:                               ;   in Loop: Header=BB55_32 Depth=1
	s_mov_b32 s71, s25
	s_wait_alu 0xfffe
	s_add_nc_u64 s[6:7], s[70:71], 0
	s_wait_alu 0xfffe
	s_xor_b64 s[6:7], s[6:7], 0
	s_wait_alu 0xfffe
	s_cvt_f32_u32 s5, s6
	s_cvt_f32_u32 s8, s7
	s_sub_nc_u64 s[10:11], 0, s[6:7]
	s_wait_alu 0xfffe
	s_delay_alu instid0(SALU_CYCLE_1) | instskip(SKIP_1) | instid1(SALU_CYCLE_2)
	s_fmamk_f32 s5, s8, 0x4f800000, s5
	s_wait_alu 0xfffe
	v_s_rcp_f32 s5, s5
	s_delay_alu instid0(TRANS32_DEP_1) | instskip(SKIP_1) | instid1(SALU_CYCLE_2)
	s_mul_f32 s5, s5, 0x5f7ffffc
	s_wait_alu 0xfffe
	s_mul_f32 s8, s5, 0x2f800000
	s_wait_alu 0xfffe
	s_delay_alu instid0(SALU_CYCLE_2) | instskip(SKIP_1) | instid1(SALU_CYCLE_2)
	s_trunc_f32 s8, s8
	s_wait_alu 0xfffe
	s_fmamk_f32 s5, s8, 0xcf800000, s5
	s_cvt_u32_f32 s9, s8
	s_wait_alu 0xfffe
	s_delay_alu instid0(SALU_CYCLE_1) | instskip(SKIP_1) | instid1(SALU_CYCLE_2)
	s_cvt_u32_f32 s8, s5
	s_wait_alu 0xfffe
	s_mul_u64 s[12:13], s[10:11], s[8:9]
	s_wait_alu 0xfffe
	s_mul_hi_u32 s15, s8, s13
	s_mul_i32 s14, s8, s13
	s_mul_hi_u32 s24, s8, s12
	s_mul_i32 s16, s9, s12
	s_wait_alu 0xfffe
	s_add_nc_u64 s[14:15], s[24:25], s[14:15]
	s_mul_hi_u32 s5, s9, s12
	s_mul_hi_u32 s17, s9, s13
	s_mul_i32 s12, s9, s13
	s_wait_alu 0xfffe
	s_add_co_u32 s13, s14, s16
	s_add_co_ci_u32 s24, s15, s5
	s_add_co_ci_u32 s13, s17, 0
	s_wait_alu 0xfffe
	s_add_nc_u64 s[12:13], s[24:25], s[12:13]
	s_wait_alu 0xfffe
	s_add_co_u32 s8, s8, s12
	s_cselect_b32 s5, -1, 0
	s_wait_alu 0xfffe
	s_cmp_lg_u32 s5, 0
	s_add_co_ci_u32 s9, s9, s13
	s_wait_alu 0xfffe
	s_mul_u64 s[10:11], s[10:11], s[8:9]
	s_wait_alu 0xfffe
	s_mul_hi_u32 s13, s8, s11
	s_mul_i32 s12, s8, s11
	s_mul_hi_u32 s24, s8, s10
	s_mul_i32 s14, s9, s10
	s_wait_alu 0xfffe
	s_add_nc_u64 s[12:13], s[24:25], s[12:13]
	s_mul_hi_u32 s5, s9, s10
	s_mul_hi_u32 s15, s9, s11
	s_mul_i32 s10, s9, s11
	s_wait_alu 0xfffe
	s_add_co_u32 s11, s12, s14
	s_add_co_ci_u32 s24, s13, s5
	s_add_co_ci_u32 s11, s15, 0
	s_wait_alu 0xfffe
	s_add_nc_u64 s[10:11], s[24:25], s[10:11]
	s_wait_alu 0xfffe
	s_add_co_u32 s5, s8, s10
	s_cselect_b32 s8, -1, 0
	s_wait_alu 0xfffe
	s_cmp_lg_u32 s8, 0
	s_add_co_ci_u32 s14, s9, s11
	s_ashr_i32 s8, s37, 31
	s_wait_alu 0xfffe
	s_mov_b32 s9, s8
	s_wait_alu 0xfffe
	s_add_nc_u64 s[10:11], s[36:37], s[8:9]
	s_wait_alu 0xfffe
	s_xor_b64 s[10:11], s[10:11], s[8:9]
	s_wait_alu 0xfffe
	s_mul_hi_u32 s13, s10, s14
	s_mul_i32 s12, s10, s14
	s_mul_hi_u32 s24, s10, s5
	s_mul_hi_u32 s16, s11, s5
	s_mul_i32 s5, s11, s5
	s_wait_alu 0xfffe
	s_add_nc_u64 s[12:13], s[24:25], s[12:13]
	s_mul_hi_u32 s15, s11, s14
	s_wait_alu 0xfffe
	s_add_co_u32 s5, s12, s5
	s_add_co_ci_u32 s24, s13, s16
	s_mul_i32 s14, s11, s14
	s_add_co_ci_u32 s15, s15, 0
	s_wait_alu 0xfffe
	s_add_nc_u64 s[12:13], s[24:25], s[14:15]
	s_wait_alu 0xfffe
	s_mul_u64 s[12:13], s[6:7], s[12:13]
	s_wait_alu 0xfffe
	s_sub_co_u32 s5, s10, s12
	s_cselect_b32 s10, -1, 0
	s_sub_co_i32 s12, s11, s13
	s_wait_alu 0xfffe
	s_cmp_lg_u32 s10, 0
	s_sub_co_ci_u32 s12, s12, s7
	s_sub_co_u32 s14, s5, s6
	s_cselect_b32 s15, -1, 0
	s_wait_alu 0xfffe
	s_cmp_lg_u32 s15, 0
	s_sub_co_ci_u32 s16, s12, 0
	s_wait_alu 0xfffe
	s_cmp_ge_u32 s16, s7
	s_cselect_b32 s17, -1, 0
	s_cmp_ge_u32 s14, s6
	s_cselect_b32 s18, -1, 0
	s_cmp_eq_u32 s16, s7
	s_wait_alu 0xfffe
	s_cselect_b32 s17, s18, s17
	s_cmp_lg_u32 s15, 0
	s_sub_co_ci_u32 s12, s12, s7
	s_sub_co_u32 s15, s14, s6
	s_cselect_b32 s18, -1, 0
	s_delay_alu instid0(SALU_CYCLE_1)
	s_cmp_lg_u32 s18, 0
	s_wait_alu 0xfffe
	s_sub_co_ci_u32 s12, s12, 0
	s_cmp_lg_u32 s17, 0
	s_cselect_b32 s14, s15, s14
	s_wait_alu 0xfffe
	s_cselect_b32 s12, s12, s16
	s_cmp_lg_u32 s10, 0
	s_sub_co_ci_u32 s10, s11, s13
	s_wait_alu 0xfffe
	s_cmp_ge_u32 s10, s7
	s_cselect_b32 s11, -1, 0
	s_cmp_ge_u32 s5, s6
	s_cselect_b32 s6, -1, 0
	s_cmp_eq_u32 s10, s7
	s_wait_alu 0xfffe
	s_cselect_b32 s6, s6, s11
	s_wait_alu 0xfffe
	s_cmp_lg_u32 s6, 0
	s_cselect_b32 s7, s12, s10
	s_cselect_b32 s6, s14, s5
	s_wait_alu 0xfffe
	s_xor_b64 s[6:7], s[6:7], s[8:9]
	s_wait_alu 0xfffe
	s_sub_nc_u64 s[72:73], s[6:7], s[8:9]
	s_cbranch_execnz .LBB55_72
.LBB55_71:                              ;   in Loop: Header=BB55_32 Depth=1
	s_wait_alu 0xfffe
	v_cvt_f32_u32_e32 v2, s70
	s_sub_co_i32 s6, 0, s70
	s_delay_alu instid0(VALU_DEP_1) | instskip(NEXT) | instid1(TRANS32_DEP_1)
	v_rcp_iflag_f32_e32 v2, v2
	v_mul_f32_e32 v2, 0x4f7ffffe, v2
	s_delay_alu instid0(VALU_DEP_1) | instskip(NEXT) | instid1(VALU_DEP_1)
	v_cvt_u32_f32_e32 v2, v2
	v_readfirstlane_b32 s5, v2
	s_wait_alu 0xfffe
	s_mul_i32 s6, s6, s5
	s_wait_alu 0xfffe
	s_mul_hi_u32 s6, s5, s6
	s_wait_alu 0xfffe
	s_add_co_i32 s5, s5, s6
	s_wait_alu 0xfffe
	s_mul_hi_u32 s5, s36, s5
	s_wait_alu 0xfffe
	s_mul_i32 s5, s5, s70
	s_wait_alu 0xfffe
	s_sub_co_i32 s5, s36, s5
	s_wait_alu 0xfffe
	s_sub_co_i32 s6, s5, s70
	s_cmp_ge_u32 s5, s70
	s_wait_alu 0xfffe
	s_cselect_b32 s5, s6, s5
	s_wait_alu 0xfffe
	s_sub_co_i32 s6, s5, s70
	s_cmp_ge_u32 s5, s70
	s_wait_alu 0xfffe
	s_cselect_b32 s24, s6, s5
	s_wait_alu 0xfffe
	s_mov_b64 s[72:73], s[24:25]
.LBB55_72:                              ;   in Loop: Header=BB55_32 Depth=1
	v_mov_b32_e32 v2, 0
	v_dual_mov_b32 v6, 0 :: v_dual_mov_b32 v3, 0
	v_dual_mov_b32 v4, 0 :: v_dual_mov_b32 v7, 0
	;; [unrolled: 1-line block ×3, first 2 shown]
	v_dual_mov_b32 v9, 0 :: v_dual_and_b32 v12, 0xffff, v12
	s_wait_alu 0xfffe
	s_sub_nc_u64 s[74:75], s[36:37], s[72:73]
	s_mov_b32 s69, exec_lo
	s_wait_alu 0xfffe
	v_cmpx_gt_i64_e64 s[74:75], v[14:15]
	s_cbranch_execz .LBB55_76
; %bb.73:                               ;   in Loop: Header=BB55_32 Depth=1
	v_mul_lo_u32 v2, v12, s67
	v_mul_hi_u32 v3, v12, s66
	v_mul_lo_u32 v27, v12, s66
	v_mov_b32_e32 v32, v25
	v_mov_b32_e32 v34, v23
	v_dual_mov_b32 v36, v21 :: v_dual_mov_b32 v33, v22
	v_dual_mov_b32 v35, v20 :: v_dual_add_nc_u32 v2, v2, v51
	v_dual_mov_b32 v31, v24 :: v_dual_mov_b32 v38, v19
	v_dual_mov_b32 v37, v18 :: v_dual_mov_b32 v40, v15
	v_mov_b32_e32 v39, v14
	s_delay_alu instid0(VALU_DEP_4)
	v_add_nc_u32_e32 v53, v2, v3
	s_mov_b64 s[76:77], 0
	s_mov_b32 s71, 0
	s_mov_b64 s[78:79], 0
	s_mov_b64 s[80:81], 0
	s_mov_b64 s[82:83], 0
.LBB55_74:                              ;   Parent Loop BB55_32 Depth=1
                                        ; =>  This Inner Loop Header: Depth=2
	v_add_co_u32 v2, vcc_lo, v31, s54
	s_wait_alu 0xfffd
	v_add_co_ci_u32_e64 v3, null, s55, v32, vcc_lo
	v_add_co_u32 v4, vcc_lo, v33, s54
	s_wait_alu 0xfffd
	v_add_co_ci_u32_e64 v5, null, s55, v34, vcc_lo
	;; [unrolled: 3-line block ×4, first 2 shown]
	global_load_b32 v2, v[2:3], off
	global_load_b32 v3, v[4:5], off
	global_load_b32 v4, v[6:7], off
	global_load_b32 v5, v[8:9], off
	v_add_co_u32 v39, vcc_lo, v39, s70
	s_wait_alu 0xfffd
	v_add_co_ci_u32_e64 v40, null, 0, v40, vcc_lo
	v_add_co_u32 v37, vcc_lo, v37, v27
	s_wait_alu 0xfffd
	v_add_co_ci_u32_e64 v38, null, v38, v53, vcc_lo
	;; [unrolled: 3-line block ×5, first 2 shown]
	v_cmp_le_i64_e32 vcc_lo, s[74:75], v[39:40]
	s_wait_loadcnt 0x3
	v_cmp_lt_i32_e64 s5, -1, v2
	v_cmp_o_f32_e64 s8, v2, v2
	s_wait_loadcnt 0x1
	v_cmp_o_f32_e64 s6, v4, v4
	s_wait_loadcnt 0x0
	v_cmp_o_f32_e64 s7, v5, v5
	s_wait_alu 0xf1ff
	v_cndmask_b32_e64 v6, -1, 0x80000000, s5
	v_cmp_lt_i32_e64 s5, -1, v3
	s_delay_alu instid0(VALU_DEP_2) | instskip(SKIP_1) | instid1(VALU_DEP_2)
	v_xor_b32_e32 v6, v6, v2
	s_wait_alu 0xf1ff
	v_cndmask_b32_e64 v7, -1, 0x80000000, s5
	v_cmp_lt_i32_e64 s5, -1, v4
	s_delay_alu instid0(VALU_DEP_3) | instskip(NEXT) | instid1(VALU_DEP_3)
	v_cndmask_b32_e64 v2, -1, v6, s8
	v_xor_b32_e32 v7, v7, v3
	s_wait_alu 0xf1ff
	s_delay_alu instid0(VALU_DEP_3) | instskip(SKIP_4) | instid1(VALU_DEP_3)
	v_cndmask_b32_e64 v8, -1, 0x80000000, s5
	v_cmp_lt_i32_e64 s5, -1, v5
	v_and_b32_e32 v6, v2, v52
	v_bfe_u32 v2, v2, s91, 2
	s_wait_alu 0xf1ff
	v_cndmask_b32_e64 v9, -1, 0x80000000, s5
	v_cmp_o_f32_e64 s5, v3, v3
	v_xor_b32_e32 v3, v8, v4
	v_cmp_eq_u32_e64 s9, 0, v2
	v_cmp_eq_u32_e64 s13, 1, v2
	v_xor_b32_e32 v4, v9, v5
	s_wait_alu 0xf1ff
	v_cndmask_b32_e64 v5, -1, v7, s5
	v_cndmask_b32_e64 v3, -1, v3, s6
	v_cmp_eq_u32_e64 s5, v6, v47
	v_cmp_eq_u32_e64 s17, 2, v2
	v_cndmask_b32_e64 v4, -1, v4, s7
	v_and_b32_e32 v7, v5, v52
	v_bfe_u32 v5, v5, s91, 2
	v_and_b32_e32 v8, v3, v52
	v_bfe_u32 v3, v3, s91, 2
	;; [unrolled: 2-line block ×3, first 2 shown]
	v_cmp_eq_u32_e64 s6, v7, v47
	v_cmp_eq_u32_e64 s10, 0, v5
	;; [unrolled: 1-line block ×4, first 2 shown]
	s_and_b32 s9, s5, s9
	v_cmp_eq_u32_e64 s8, v9, v47
	v_cmp_eq_u32_e64 s12, 0, v4
	;; [unrolled: 1-line block ×3, first 2 shown]
	s_wait_alu 0xfffe
	v_cndmask_b32_e64 v2, 0, 1, s9
	s_and_b32 s9, s6, s10
	v_cmp_eq_u32_e64 s15, 1, v3
	v_cmp_eq_u32_e64 s19, 2, v3
	;; [unrolled: 1-line block ×3, first 2 shown]
	s_wait_alu 0xfffe
	v_cndmask_b32_e64 v3, 0, 1, s9
	s_and_b32 s9, s7, s11
	v_cmp_eq_u32_e64 s14, 1, v5
	v_cmp_eq_u32_e64 s16, 1, v4
	;; [unrolled: 1-line block ×4, first 2 shown]
	s_wait_alu 0xfffe
	v_cndmask_b32_e64 v4, 0, 1, s9
	s_and_b32 s9, s8, s12
	v_cmp_eq_u32_e64 s18, 2, v5
	v_cmp_eq_u32_e64 s22, 3, v5
	s_wait_alu 0xfffe
	v_cndmask_b32_e64 v5, 0, 1, s9
	s_and_b32 s9, s5, s13
	s_wait_alu 0xfffe
	v_cndmask_b32_e64 v6, 0, 1, s9
	s_and_b32 s9, s6, s14
	;; [unrolled: 3-line block ×4, first 2 shown]
	v_cmp_ne_u32_e64 s10, 0, v7
	s_wait_alu 0xfffe
	v_cndmask_b32_e64 v9, 0, 1, s9
	s_and_b32 s9, s5, s17
	s_and_b32 s5, s5, s21
	s_wait_alu 0xfffe
	v_cndmask_b32_e64 v54, 0, 1, s9
	v_cndmask_b32_e64 v58, 0, 1, s5
	s_and_b32 s5, s6, s22
	s_and_b32 s9, s6, s18
	s_wait_alu 0xfffe
	v_cndmask_b32_e64 v59, 0, 1, s5
	s_and_b32 s5, s7, s23
	v_cndmask_b32_e64 v55, 0, 1, s9
	s_and_b32 s9, s7, s19
	s_wait_alu 0xfffe
	v_cndmask_b32_e64 v60, 0, 1, s5
	s_and_b32 s5, s8, s24
	v_cndmask_b32_e64 v56, 0, 1, s9
	s_and_b32 s9, s8, s20
	s_wait_alu 0xfffe
	v_cndmask_b32_e64 v61, 0, 1, s5
	v_cmp_ne_u32_e64 s5, 0, v2
	v_cmp_ne_u32_e64 s6, 0, v3
	v_cndmask_b32_e64 v57, 0, 1, s9
	v_cmp_ne_u32_e64 s7, 0, v4
	v_cmp_ne_u32_e64 s9, 0, v6
	;; [unrolled: 1-line block ×6, first 2 shown]
	s_bcnt1_i32_b32 s5, s5
	s_bcnt1_i32_b32 s6, s6
	v_cmp_ne_u32_e64 s12, 0, v9
	v_cmp_ne_u32_e64 s15, 0, v56
	;; [unrolled: 1-line block ×4, first 2 shown]
	s_bcnt1_i32_b32 s7, s7
	s_bcnt1_i32_b32 s9, s9
	;; [unrolled: 1-line block ×3, first 2 shown]
	s_wait_alu 0xfffe
	s_add_co_i32 s5, s6, s5
	v_cmp_ne_u32_e64 s16, 0, v57
	v_cmp_ne_u32_e64 s19, 0, v60
	s_bcnt1_i32_b32 s8, s8
	s_bcnt1_i32_b32 s11, s11
	s_bcnt1_i32_b32 s13, s13
	s_bcnt1_i32_b32 s14, s14
	s_add_co_i32 s6, s10, s9
	s_wait_alu 0xfffe
	s_add_co_i32 s5, s5, s7
	v_cmp_ne_u32_e64 s20, 0, v61
	s_bcnt1_i32_b32 s12, s12
	s_bcnt1_i32_b32 s15, s15
	s_bcnt1_i32_b32 s17, s17
	s_bcnt1_i32_b32 s18, s18
	s_add_co_i32 s9, s14, s13
	s_add_co_i32 s6, s6, s11
	s_wait_alu 0xfffe
	s_add_co_i32 s24, s5, s8
	s_bcnt1_i32_b32 s16, s16
	s_bcnt1_i32_b32 s19, s19
	s_add_co_i32 s10, s18, s17
	s_add_co_i32 s7, s9, s15
	s_wait_alu 0xfffe
	s_add_nc_u64 s[82:83], s[82:83], s[24:25]
	s_add_co_i32 s24, s6, s12
	s_bcnt1_i32_b32 s20, s20
	s_add_co_i32 s9, s10, s19
	s_wait_alu 0xfffe
	s_add_nc_u64 s[80:81], s[80:81], s[24:25]
	s_add_co_i32 s24, s7, s16
	v_mov_b32_e32 v2, s82
	s_wait_alu 0xfffe
	s_add_nc_u64 s[78:79], s[78:79], s[24:25]
	s_add_co_i32 s24, s9, s20
	v_mov_b32_e32 v4, s80
	s_wait_alu 0xfffe
	s_add_nc_u64 s[76:77], s[76:77], s[24:25]
	v_mov_b32_e32 v3, s83
	v_dual_mov_b32 v5, s81 :: v_dual_mov_b32 v6, s78
	s_wait_alu 0xfffe
	v_dual_mov_b32 v7, s79 :: v_dual_mov_b32 v8, s76
	v_mov_b32_e32 v9, s77
	s_or_b32 s71, vcc_lo, s71
	s_wait_alu 0xfffe
	s_and_not1_b32 exec_lo, exec_lo, s71
	s_cbranch_execnz .LBB55_74
; %bb.75:                               ;   in Loop: Header=BB55_32 Depth=1
	s_or_b32 exec_lo, exec_lo, s71
.LBB55_76:                              ;   in Loop: Header=BB55_32 Depth=1
	s_wait_alu 0xfffe
	s_or_b32 exec_lo, exec_lo, s69
	v_add_co_u32 v31, s5, s74, v0
	s_wait_alu 0xf1ff
	v_add_co_ci_u32_e64 v32, null, s75, 0, s5
	s_mov_b32 s9, exec_lo
	v_cmpx_gt_i64_e64 s[36:37], v[31:32]
	s_cbranch_execz .LBB55_82
; %bb.77:                               ;   in Loop: Header=BB55_32 Depth=1
	v_mul_lo_u32 v27, v32, s42
	v_mul_lo_u32 v35, v31, s43
	v_mad_co_u64_u32 v[33:34], null, v31, s42, 0
	v_mul_hi_u32 v39, v12, s64
	s_mov_b32 s10, 0
	s_delay_alu instid0(VALU_DEP_2) | instskip(SKIP_1) | instid1(VALU_DEP_2)
	v_add3_u32 v34, v34, v35, v27
	v_mul_lo_u32 v35, v12, s65
	v_lshlrev_b64_e32 v[33:34], 2, v[33:34]
	s_delay_alu instid0(VALU_DEP_2) | instskip(NEXT) | instid1(VALU_DEP_2)
	v_add_nc_u32_e32 v35, v35, v50
	v_add_co_u32 v33, vcc_lo, s56, v33
	s_wait_alu 0xfffd
	s_delay_alu instid0(VALU_DEP_3)
	v_add_co_ci_u32_e64 v34, null, s57, v34, vcc_lo
	v_add_co_u32 v27, vcc_lo, v46, v12
	v_add_nc_u32_e32 v35, v35, v39
	global_load_b32 v37, v[33:34], off
	s_wait_alu 0xfffd
	v_add_co_ci_u32_e64 v33, null, 0, v48, vcc_lo
	v_sub_co_u32 v27, vcc_lo, v27, s72
	s_wait_alu 0xfffd
	s_delay_alu instid0(VALU_DEP_2) | instskip(NEXT) | instid1(VALU_DEP_2)
	v_subrev_co_ci_u32_e64 v33, null, s73, v33, vcc_lo
	v_mul_lo_u32 v38, s65, v27
	s_delay_alu instid0(VALU_DEP_2) | instskip(SKIP_2) | instid1(VALU_DEP_2)
	v_mul_lo_u32 v36, s64, v33
	v_mad_co_u64_u32 v[33:34], null, s64, v27, s[62:63]
	v_mul_lo_u32 v27, v12, s64
	v_add3_u32 v34, v38, v34, v36
	s_branch .LBB55_79
.LBB55_78:                              ;   in Loop: Header=BB55_79 Depth=2
	s_wait_alu 0xfffe
	s_or_b32 exec_lo, exec_lo, s6
	s_wait_loadcnt 0x0
	v_cmp_lt_i32_e64 s5, -1, v37
	s_and_b32 s6, exec_lo, vcc_lo
	s_wait_alu 0xfffe
	s_or_b32 s10, s6, s10
	v_cndmask_b32_e64 v38, -1, 0x80000000, s5
	v_cmp_o_f32_e64 s5, v37, v37
	s_delay_alu instid0(VALU_DEP_2) | instskip(SKIP_1) | instid1(VALU_DEP_1)
	v_xor_b32_e32 v38, v38, v37
	s_wait_alu 0xf1ff
	v_cndmask_b32_e64 v37, -1, v38, s5
	s_delay_alu instid0(VALU_DEP_1) | instskip(SKIP_1) | instid1(VALU_DEP_2)
	v_and_b32_e32 v38, v37, v52
	v_bfe_u32 v37, v37, s91, 2
	v_cmp_eq_u32_e32 vcc_lo, v38, v47
	s_delay_alu instid0(VALU_DEP_2)
	v_cmp_eq_u32_e64 s5, 0, v37
	v_cmp_eq_u32_e64 s6, 1, v37
	;; [unrolled: 1-line block ×4, first 2 shown]
	s_and_b32 s5, vcc_lo, s5
	s_wait_alu 0xfffe
	v_cndmask_b32_e64 v37, 0, 1, s5
	s_and_b32 s5, vcc_lo, s6
	s_wait_alu 0xfffe
	v_cndmask_b32_e64 v38, 0, 1, s5
	;; [unrolled: 3-line block ×3, first 2 shown]
	s_and_b32 s5, vcc_lo, s8
	v_cmp_ne_u32_e32 vcc_lo, 0, v37
	s_wait_alu 0xfffe
	v_cndmask_b32_e64 v40, 0, 1, s5
	v_cmp_ne_u32_e64 s5, 0, v38
	v_cmp_ne_u32_e64 s6, 0, v39
	v_mov_b32_e32 v37, v36
	s_bcnt1_i32_b32 s8, vcc_lo
	v_cmp_ne_u32_e64 s7, 0, v40
	s_bcnt1_i32_b32 s5, s5
	s_wait_alu 0xfffe
	v_add_co_u32 v2, vcc_lo, v2, s8
	s_bcnt1_i32_b32 s6, s6
	s_wait_alu 0xfffd
	v_add_co_ci_u32_e64 v3, null, 0, v3, vcc_lo
	v_add_co_u32 v4, vcc_lo, v4, s5
	s_wait_alu 0xfffd
	v_add_co_ci_u32_e64 v5, null, 0, v5, vcc_lo
	s_wait_alu 0xfffe
	v_add_co_u32 v6, vcc_lo, v6, s6
	s_bcnt1_i32_b32 s5, s7
	s_wait_alu 0xfffd
	v_add_co_ci_u32_e64 v7, null, 0, v7, vcc_lo
	s_wait_alu 0xfffe
	v_add_co_u32 v8, vcc_lo, v8, s5
	s_wait_alu 0xfffd
	v_add_co_ci_u32_e64 v9, null, 0, v9, vcc_lo
	v_add_co_u32 v33, vcc_lo, v33, v27
	s_wait_alu 0xfffd
	v_add_co_ci_u32_e64 v34, null, v34, v35, vcc_lo
	s_and_not1_b32 exec_lo, exec_lo, s10
	s_cbranch_execz .LBB55_81
.LBB55_79:                              ;   Parent Loop BB55_32 Depth=1
                                        ; =>  This Inner Loop Header: Depth=2
	v_add_co_u32 v31, vcc_lo, v31, v12
	s_wait_alu 0xfffd
	v_add_co_ci_u32_e64 v32, null, 0, v32, vcc_lo
	v_mov_b32_e32 v36, 0
	s_mov_b32 s6, exec_lo
	s_delay_alu instid0(VALU_DEP_2)
	v_cmp_le_i64_e32 vcc_lo, s[36:37], v[31:32]
	v_cmpx_gt_i64_e64 s[36:37], v[31:32]
	s_cbranch_execz .LBB55_78
; %bb.80:                               ;   in Loop: Header=BB55_79 Depth=2
	global_load_b32 v36, v[33:34], off
	s_branch .LBB55_78
.LBB55_81:                              ;   in Loop: Header=BB55_32 Depth=1
	s_or_b32 exec_lo, exec_lo, s10
.LBB55_82:                              ;   in Loop: Header=BB55_32 Depth=1
	s_wait_alu 0xfffe
	s_or_b32 exec_lo, exec_lo, s9
	s_branch .LBB55_61
.LBB55_83:                              ;   in Loop: Header=BB55_32 Depth=1
	global_load_u16 v2, v13, s[38:39]
	v_mov_b32_e32 v4, 0
	v_mov_b32_e32 v6, 0
	v_dual_mov_b32 v8, 0 :: v_dual_mov_b32 v7, 0
	v_mov_b32_e32 v9, 0
	s_mov_b32 s80, exec_lo
	v_mov_b32_e32 v5, 0
	s_wait_loadcnt 0x0
	v_readfirstlane_b32 s5, v2
	v_and_b32_e32 v12, 0xffff, v2
	s_and_b32 s78, 0xffff, s5
	s_wait_alu 0xfffe
	s_lshl_b32 s69, s78, 2
	s_wait_alu 0xfffe
	s_cvt_f32_u32 s5, s69
	s_sub_co_i32 s6, 0, s69
	s_wait_alu 0xfffe
	s_delay_alu instid0(SALU_CYCLE_1) | instskip(NEXT) | instid1(TRANS32_DEP_1)
	v_rcp_iflag_f32_e32 v3, s5
	v_readfirstlane_b32 s5, v3
	s_mul_f32 s5, s5, 0x4f7ffffe
	s_wait_alu 0xfffe
	s_delay_alu instid0(SALU_CYCLE_2) | instskip(SKIP_1) | instid1(SALU_CYCLE_2)
	s_cvt_u32_f32 s5, s5
	s_wait_alu 0xfffe
	s_mul_i32 s6, s6, s5
	s_wait_alu 0xfffe
	s_mul_hi_u32 s6, s5, s6
	s_wait_alu 0xfffe
	s_add_co_i32 s5, s5, s6
	s_wait_alu 0xfffe
	s_mul_hi_u32 s5, s68, s5
	s_wait_alu 0xfffe
	s_mul_i32 s6, s5, s69
	s_add_co_i32 s7, s5, 1
	s_wait_alu 0xfffe
	s_sub_co_i32 s6, s68, s6
	s_wait_alu 0xfffe
	s_sub_co_i32 s8, s6, s69
	s_cmp_ge_u32 s6, s69
	s_cselect_b32 s5, s7, s5
	s_wait_alu 0xfffe
	s_cselect_b32 s6, s8, s6
	s_add_co_i32 s7, s5, 1
	s_wait_alu 0xfffe
	s_cmp_ge_u32 s6, s69
	s_cselect_b32 s79, s7, s5
	s_wait_alu 0xfffe
	v_mul_hi_u32 v3, s79, v12
	v_mul_lo_u32 v2, s79, v12
	s_delay_alu instid0(VALU_DEP_1) | instskip(SKIP_2) | instid1(VALU_DEP_3)
	v_lshlrev_b64_e32 v[31:32], 2, v[2:3]
	v_mov_b32_e32 v2, 0
	v_mov_b32_e32 v3, 0
	v_cmpx_gt_u64_e64 v[31:32], v[14:15]
	s_cbranch_execz .LBB55_87
; %bb.84:                               ;   in Loop: Header=BB55_32 Depth=1
	v_dual_mov_b32 v27, v44 :: v_dual_mov_b32 v34, v15
	v_mov_b32_e32 v33, v14
	s_lshl_b32 s81, s78, 4
	s_mov_b64 s[70:71], 0
	s_mov_b32 s82, 0
	s_mov_b64 s[72:73], 0
	s_mov_b64 s[74:75], 0
	;; [unrolled: 1-line block ×3, first 2 shown]
.LBB55_85:                              ;   Parent Loop BB55_32 Depth=1
                                        ; =>  This Inner Loop Header: Depth=2
	ds_load_b128 v[2:5], v27
	v_add_co_u32 v33, vcc_lo, v33, s69
	s_wait_alu 0xfffd
	v_add_co_ci_u32_e64 v34, null, 0, v34, vcc_lo
	s_delay_alu instid0(VALU_DEP_1)
	v_cmp_ge_u64_e32 vcc_lo, v[33:34], v[31:32]
	s_wait_dscnt 0x0
	v_cmp_lt_i32_e64 s5, -1, v2
	v_cmp_o_f32_e64 s8, v2, v2
	v_cmp_o_f32_e64 s6, v4, v4
	;; [unrolled: 1-line block ×3, first 2 shown]
	s_wait_alu 0xf1ff
	v_cndmask_b32_e64 v6, -1, 0x80000000, s5
	v_cmp_lt_i32_e64 s5, -1, v3
	s_delay_alu instid0(VALU_DEP_2) | instskip(SKIP_1) | instid1(VALU_DEP_2)
	v_xor_b32_e32 v6, v6, v2
	s_wait_alu 0xf1ff
	v_cndmask_b32_e64 v7, -1, 0x80000000, s5
	v_cmp_lt_i32_e64 s5, -1, v4
	s_delay_alu instid0(VALU_DEP_3) | instskip(NEXT) | instid1(VALU_DEP_3)
	v_cndmask_b32_e64 v2, -1, v6, s8
	v_xor_b32_e32 v7, v7, v3
	s_wait_alu 0xf1ff
	s_delay_alu instid0(VALU_DEP_3) | instskip(SKIP_4) | instid1(VALU_DEP_3)
	v_cndmask_b32_e64 v8, -1, 0x80000000, s5
	v_cmp_lt_i32_e64 s5, -1, v5
	v_and_b32_e32 v6, v2, v52
	v_bfe_u32 v2, v2, s91, 2
	s_wait_alu 0xf1ff
	v_cndmask_b32_e64 v9, -1, 0x80000000, s5
	v_cmp_o_f32_e64 s5, v3, v3
	v_xor_b32_e32 v3, v8, v4
	v_cmp_eq_u32_e64 s9, 0, v2
	v_cmp_eq_u32_e64 s13, 1, v2
	v_xor_b32_e32 v4, v9, v5
	s_wait_alu 0xf1ff
	v_cndmask_b32_e64 v5, -1, v7, s5
	v_cndmask_b32_e64 v3, -1, v3, s6
	v_cmp_eq_u32_e64 s5, v6, v47
	v_cmp_eq_u32_e64 s17, 2, v2
	v_cndmask_b32_e64 v4, -1, v4, s7
	v_and_b32_e32 v7, v5, v52
	v_bfe_u32 v5, v5, s91, 2
	v_and_b32_e32 v8, v3, v52
	v_bfe_u32 v3, v3, s91, 2
	;; [unrolled: 2-line block ×3, first 2 shown]
	v_cmp_eq_u32_e64 s6, v7, v47
	v_cmp_eq_u32_e64 s10, 0, v5
	;; [unrolled: 1-line block ×4, first 2 shown]
	s_and_b32 s9, s5, s9
	v_cmp_eq_u32_e64 s8, v9, v47
	v_cmp_eq_u32_e64 s12, 0, v4
	;; [unrolled: 1-line block ×3, first 2 shown]
	s_wait_alu 0xfffe
	v_cndmask_b32_e64 v2, 0, 1, s9
	s_and_b32 s9, s6, s10
	v_cmp_eq_u32_e64 s15, 1, v3
	v_cmp_eq_u32_e64 s19, 2, v3
	;; [unrolled: 1-line block ×3, first 2 shown]
	s_wait_alu 0xfffe
	v_cndmask_b32_e64 v3, 0, 1, s9
	s_and_b32 s9, s7, s11
	v_cmp_eq_u32_e64 s14, 1, v5
	v_cmp_eq_u32_e64 s16, 1, v4
	;; [unrolled: 1-line block ×4, first 2 shown]
	s_wait_alu 0xfffe
	v_cndmask_b32_e64 v4, 0, 1, s9
	s_and_b32 s9, s8, s12
	v_cmp_eq_u32_e64 s18, 2, v5
	v_cmp_eq_u32_e64 s22, 3, v5
	s_wait_alu 0xfffe
	v_cndmask_b32_e64 v5, 0, 1, s9
	s_and_b32 s9, s5, s13
	s_wait_alu 0xfffe
	v_cndmask_b32_e64 v6, 0, 1, s9
	s_and_b32 s9, s6, s14
	;; [unrolled: 3-line block ×4, first 2 shown]
	v_cmp_ne_u32_e64 s10, 0, v7
	s_wait_alu 0xfffe
	v_cndmask_b32_e64 v9, 0, 1, s9
	s_and_b32 s9, s5, s17
	s_and_b32 s5, s5, s21
	s_wait_alu 0xfffe
	v_cndmask_b32_e64 v35, 0, 1, s9
	v_cndmask_b32_e64 v39, 0, 1, s5
	s_and_b32 s5, s6, s22
	s_and_b32 s9, s6, s18
	s_wait_alu 0xfffe
	v_cndmask_b32_e64 v40, 0, 1, s5
	s_and_b32 s5, s7, s23
	v_cndmask_b32_e64 v36, 0, 1, s9
	s_and_b32 s9, s7, s19
	s_wait_alu 0xfffe
	v_cndmask_b32_e64 v53, 0, 1, s5
	s_and_b32 s5, s8, s24
	v_cndmask_b32_e64 v37, 0, 1, s9
	s_and_b32 s9, s8, s20
	s_wait_alu 0xfffe
	v_cndmask_b32_e64 v54, 0, 1, s5
	v_cmp_ne_u32_e64 s5, 0, v2
	v_cmp_ne_u32_e64 s6, 0, v3
	v_cndmask_b32_e64 v38, 0, 1, s9
	v_cmp_ne_u32_e64 s7, 0, v4
	v_cmp_ne_u32_e64 s9, 0, v6
	;; [unrolled: 1-line block ×6, first 2 shown]
	s_bcnt1_i32_b32 s5, s5
	s_bcnt1_i32_b32 s6, s6
	v_cmp_ne_u32_e64 s12, 0, v9
	v_cmp_ne_u32_e64 s15, 0, v37
	;; [unrolled: 1-line block ×4, first 2 shown]
	s_bcnt1_i32_b32 s7, s7
	s_bcnt1_i32_b32 s9, s9
	;; [unrolled: 1-line block ×3, first 2 shown]
	s_wait_alu 0xfffe
	s_add_co_i32 s5, s6, s5
	v_cmp_ne_u32_e64 s16, 0, v38
	v_cmp_ne_u32_e64 s19, 0, v53
	s_bcnt1_i32_b32 s8, s8
	s_bcnt1_i32_b32 s11, s11
	;; [unrolled: 1-line block ×4, first 2 shown]
	s_add_co_i32 s6, s10, s9
	s_wait_alu 0xfffe
	s_add_co_i32 s5, s5, s7
	v_cmp_ne_u32_e64 s20, 0, v54
	s_bcnt1_i32_b32 s12, s12
	s_bcnt1_i32_b32 s15, s15
	;; [unrolled: 1-line block ×4, first 2 shown]
	s_add_co_i32 s9, s14, s13
	s_add_co_i32 s6, s6, s11
	s_wait_alu 0xfffe
	s_add_co_i32 s24, s5, s8
	s_bcnt1_i32_b32 s16, s16
	s_bcnt1_i32_b32 s19, s19
	s_add_co_i32 s10, s18, s17
	s_add_co_i32 s7, s9, s15
	s_wait_alu 0xfffe
	s_add_nc_u64 s[76:77], s[76:77], s[24:25]
	s_add_co_i32 s24, s6, s12
	s_bcnt1_i32_b32 s20, s20
	s_add_co_i32 s9, s10, s19
	s_wait_alu 0xfffe
	s_add_nc_u64 s[74:75], s[74:75], s[24:25]
	s_add_co_i32 s24, s7, s16
	v_dual_mov_b32 v2, s76 :: v_dual_add_nc_u32 v27, s81, v27
	s_wait_alu 0xfffe
	s_add_nc_u64 s[72:73], s[72:73], s[24:25]
	s_add_co_i32 s24, s9, s20
	s_wait_alu 0xfffe
	v_mov_b32_e32 v6, s72
	s_add_nc_u64 s[70:71], s[70:71], s[24:25]
	v_dual_mov_b32 v4, s74 :: v_dual_mov_b32 v7, s73
	s_wait_alu 0xfffe
	v_dual_mov_b32 v8, s70 :: v_dual_mov_b32 v3, s77
	v_mov_b32_e32 v5, s75
	v_mov_b32_e32 v9, s71
	s_or_b32 s82, vcc_lo, s82
	s_wait_alu 0xfffe
	s_and_not1_b32 exec_lo, exec_lo, s82
	s_cbranch_execnz .LBB55_85
; %bb.86:                               ;   in Loop: Header=BB55_32 Depth=1
	s_or_b32 exec_lo, exec_lo, s82
.LBB55_87:                              ;   in Loop: Header=BB55_32 Depth=1
	s_delay_alu instid0(SALU_CYCLE_1)
	s_or_b32 exec_lo, exec_lo, s80
	v_add_co_u32 v31, vcc_lo, v31, v0
	s_wait_alu 0xfffd
	v_add_co_ci_u32_e64 v32, null, 0, v32, vcc_lo
	s_and_b32 s24, s68, 0x7fffffff
	s_mov_b32 s10, exec_lo
	s_wait_alu 0xfffe
	v_cmpx_gt_u64_e64 s[24:25], v[31:32]
	s_cbranch_execz .LBB55_91
; %bb.88:                               ;   in Loop: Header=BB55_32 Depth=1
	s_mul_i32 s79, s79, s78
	s_mov_b32 s11, 0
	s_wait_alu 0xfffe
	v_lshl_add_u32 v27, s79, 4, v14
.LBB55_89:                              ;   Parent Loop BB55_32 Depth=1
                                        ; =>  This Inner Loop Header: Depth=2
	ds_load_b32 v33, v27
	v_add_co_u32 v31, vcc_lo, v31, v12
	s_wait_alu 0xfffd
	v_add_co_ci_u32_e64 v32, null, 0, v32, vcc_lo
	v_add_nc_u32_e32 v27, s69, v27
	s_delay_alu instid0(VALU_DEP_2) | instskip(SKIP_3) | instid1(VALU_DEP_1)
	v_cmp_le_u64_e32 vcc_lo, s[24:25], v[31:32]
	s_wait_dscnt 0x0
	v_cmp_lt_i32_e64 s5, -1, v33
	s_wait_alu 0xf1ff
	v_cndmask_b32_e64 v34, -1, 0x80000000, s5
	v_cmp_o_f32_e64 s5, v33, v33
	s_delay_alu instid0(VALU_DEP_2) | instskip(SKIP_1) | instid1(VALU_DEP_1)
	v_xor_b32_e32 v34, v34, v33
	s_wait_alu 0xf1ff
	v_cndmask_b32_e64 v33, -1, v34, s5
	s_delay_alu instid0(VALU_DEP_1) | instskip(SKIP_1) | instid1(VALU_DEP_2)
	v_and_b32_e32 v34, v33, v52
	v_bfe_u32 v33, v33, s91, 2
	v_cmp_eq_u32_e64 s5, v34, v47
	s_delay_alu instid0(VALU_DEP_2)
	v_cmp_eq_u32_e64 s6, 0, v33
	v_cmp_eq_u32_e64 s7, 1, v33
	;; [unrolled: 1-line block ×4, first 2 shown]
	s_and_b32 s6, s5, s6
	s_wait_alu 0xfffe
	v_cndmask_b32_e64 v33, 0, 1, s6
	s_and_b32 s6, s5, s7
	s_wait_alu 0xfffe
	v_cndmask_b32_e64 v34, 0, 1, s6
	s_and_b32 s6, s5, s8
	s_and_b32 s5, s5, s9
	s_wait_alu 0xfffe
	v_cndmask_b32_e64 v35, 0, 1, s6
	v_cndmask_b32_e64 v36, 0, 1, s5
	v_cmp_ne_u32_e64 s5, 0, v33
	v_cmp_ne_u32_e64 s6, 0, v34
	s_delay_alu instid0(VALU_DEP_4) | instskip(NEXT) | instid1(VALU_DEP_4)
	v_cmp_ne_u32_e64 s7, 0, v35
	v_cmp_ne_u32_e64 s8, 0, v36
	s_bcnt1_i32_b32 s5, s5
	s_bcnt1_i32_b32 s6, s6
	s_wait_alu 0xfffe
	v_add_co_u32 v2, s5, v2, s5
	s_bcnt1_i32_b32 s7, s7
	v_add_co_ci_u32_e64 v3, null, 0, v3, s5
	v_add_co_u32 v4, s5, v4, s6
	s_bcnt1_i32_b32 s8, s8
	v_add_co_ci_u32_e64 v5, null, 0, v5, s5
	s_wait_alu 0xfffe
	v_add_co_u32 v6, s5, v6, s7
	s_wait_alu 0xf1ff
	v_add_co_ci_u32_e64 v7, null, 0, v7, s5
	v_add_co_u32 v8, s5, v8, s8
	s_wait_alu 0xf1ff
	v_add_co_ci_u32_e64 v9, null, 0, v9, s5
	s_or_b32 s11, vcc_lo, s11
	s_wait_alu 0xfffe
	s_and_not1_b32 exec_lo, exec_lo, s11
	s_cbranch_execnz .LBB55_89
; %bb.90:                               ;   in Loop: Header=BB55_32 Depth=1
	s_or_b32 exec_lo, exec_lo, s11
.LBB55_91:                              ;   in Loop: Header=BB55_32 Depth=1
	s_wait_alu 0xfffe
	s_or_b32 exec_lo, exec_lo, s10
	s_lshl_b32 s5, s93, 7
	s_and_saveexec_b32 s6, s1
	s_cbranch_execnz .LBB55_62
	s_branch .LBB55_63
.LBB55_92:                              ;   in Loop: Header=BB55_32 Depth=1
                                        ; implicit-def: $sgpr72_sgpr73
	s_branch .LBB55_71
.LBB55_93:                              ;   in Loop: Header=BB55_32 Depth=1
	s_wait_alu 0xfffe
	s_or_b32 exec_lo, exec_lo, s8
	s_wait_loadcnt_dscnt 0x0
	s_barrier_signal -1
	s_barrier_wait -1
	global_inv scope:SCOPE_SE
	s_and_saveexec_b32 s5, s2
	s_cbranch_execz .LBB55_95
; %bb.94:                               ;   in Loop: Header=BB55_32 Depth=1
	ds_load_b32 v2, v13 offset:5136
	s_wait_dscnt 0x0
	v_ashrrev_i32_e32 v3, 31, v2
	ds_store_b64 v13, v[2:3] offset:5120
.LBB55_95:                              ;   in Loop: Header=BB55_32 Depth=1
	s_wait_alu 0xfffe
	s_or_b32 exec_lo, exec_lo, s5
	s_wait_loadcnt_dscnt 0x0
	s_barrier_signal -1
	s_mov_b32 s5, -1
	s_barrier_wait -1
	s_and_b32 vcc_lo, exec_lo, s7
	s_wait_alu 0xfffe
	s_cbranch_vccnz .LBB55_48
	s_branch .LBB55_57
.LBB55_96:                              ;   in Loop: Header=BB55_32 Depth=1
	s_mov_b32 s7, 0
	s_and_not1_b32 vcc_lo, exec_lo, s89
	s_wait_alu 0xfffe
	s_cbranch_vccnz .LBB55_99
.LBB55_97:                              ;   in Loop: Header=BB55_32 Depth=1
	s_lshl_b32 s8, s93, 10
	s_lshl_b32 s7, s7, 5
	s_wait_alu 0xfffe
	v_add3_u32 v4, s8, s7, v49
	s_mov_b32 s7, s86
.LBB55_98:                              ;   Parent Loop BB55_32 Depth=1
                                        ; =>  This Inner Loop Header: Depth=2
	ds_load_b64 v[5:6], v4
	v_add_nc_u32_e32 v4, 32, v4
	s_wait_alu 0xfffe
	s_add_co_i32 s7, s7, -1
	s_wait_alu 0xfffe
	s_cmp_lg_u32 s7, 0
	s_wait_dscnt 0x0
	v_add_co_u32 v2, vcc_lo, v5, v2
	s_wait_alu 0xfffd
	v_add_co_ci_u32_e64 v3, null, v6, v3, vcc_lo
	s_cbranch_scc1 .LBB55_98
.LBB55_99:                              ;   in Loop: Header=BB55_32 Depth=1
	v_add_lshl_u32 v4, s5, v41, 3
	ds_store_b64 v4, v[2:3] offset:3072
.LBB55_100:                             ;   in Loop: Header=BB55_32 Depth=1
	s_wait_alu 0xfffe
	s_or_b32 exec_lo, exec_lo, s6
	s_lshl_b32 s5, s5, 3
	s_wait_loadcnt_dscnt 0x0
	s_wait_alu 0xfffe
	v_mov_b32_e32 v6, s5
	s_barrier_signal -1
	s_barrier_wait -1
	global_inv scope:SCOPE_SE
	v_cmp_eq_u64_e32 vcc_lo, 1, v[29:30]
	ds_load_b128 v[2:5], v6 offset:3072
	ds_load_b128 v[6:9], v6 offset:3088
	s_lshl_b32 s16, 3, s91
	s_mov_b32 s18, -1
	s_wait_alu 0xfffe
	s_not_b32 s20, s16
                                        ; implicit-def: $sgpr15
                                        ; implicit-def: $sgpr14
	s_wait_dscnt 0x1
	v_cmp_eq_u64_e64 s5, 1, v[2:3]
	s_wait_dscnt 0x0
	v_readfirstlane_b32 s8, v6
	v_readfirstlane_b32 s9, v7
	;; [unrolled: 1-line block ×4, first 2 shown]
	s_and_b32 s19, s5, vcc_lo
	s_mov_b32 s5, -1
	s_and_saveexec_b32 s17, s19
	s_cbranch_execz .LBB55_134
; %bb.101:                              ;   in Loop: Header=BB55_32 Depth=1
	ds_load_b64 v[6:7], v13 offset:5120
	s_wait_loadcnt_dscnt 0x0
	s_barrier_signal -1
	s_barrier_wait -1
	global_inv scope:SCOPE_SE
	v_readfirstlane_b32 s10, v6
	v_readfirstlane_b32 s11, v7
	s_and_saveexec_b32 s5, s3
; %bb.102:                              ;   in Loop: Header=BB55_32 Depth=1
	ds_store_b32 v42, v13
; %bb.103:                              ;   in Loop: Header=BB55_32 Depth=1
	s_wait_alu 0xfffe
	s_or_b32 exec_lo, exec_lo, s5
	v_cmp_lt_i64_e64 s5, s[10:11], 1
	v_and_b32_e32 v47, s20, v47
	v_or_b32_e32 v52, s16, v52
	s_mov_b32 s14, -1
	s_mov_b32 s15, 0
	s_mov_b32 s21, -1
	s_and_b32 vcc_lo, exec_lo, s5
	s_mov_b32 s5, 0
	s_wait_loadcnt_dscnt 0x0
	s_barrier_signal -1
	s_barrier_wait -1
	global_inv scope:SCOPE_SE
                                        ; implicit-def: $vgpr28
	s_wait_alu 0xfffe
	s_cbranch_vccz .LBB55_118
; %bb.104:                              ;   in Loop: Header=BB55_32 Depth=1
	s_mov_b32 s12, s25
	s_mov_b32 s13, s61
	s_wait_alu 0xfffe
	s_cmp_lg_u64 s[12:13], 0
	s_cbranch_scc0 .LBB55_161
; %bb.105:                              ;   in Loop: Header=BB55_32 Depth=1
	s_add_nc_u64 s[12:13], s[50:51], 0
	s_wait_alu 0xfffe
	s_xor_b64 s[12:13], s[12:13], 0
	s_wait_alu 0xfffe
	s_cvt_f32_u32 s5, s12
	s_cvt_f32_u32 s21, s13
	s_sub_nc_u64 s[68:69], 0, s[12:13]
	s_wait_alu 0xfffe
	s_delay_alu instid0(SALU_CYCLE_1) | instskip(SKIP_1) | instid1(SALU_CYCLE_2)
	s_fmamk_f32 s5, s21, 0x4f800000, s5
	s_wait_alu 0xfffe
	v_s_rcp_f32 s5, s5
	s_delay_alu instid0(TRANS32_DEP_1) | instskip(SKIP_1) | instid1(SALU_CYCLE_2)
	s_mul_f32 s5, s5, 0x5f7ffffc
	s_wait_alu 0xfffe
	s_mul_f32 s21, s5, 0x2f800000
	s_wait_alu 0xfffe
	s_delay_alu instid0(SALU_CYCLE_2) | instskip(SKIP_1) | instid1(SALU_CYCLE_2)
	s_trunc_f32 s21, s21
	s_wait_alu 0xfffe
	s_fmamk_f32 s5, s21, 0xcf800000, s5
	s_cvt_u32_f32 s23, s21
	s_wait_alu 0xfffe
	s_delay_alu instid0(SALU_CYCLE_1) | instskip(NEXT) | instid1(SALU_CYCLE_3)
	s_cvt_u32_f32 s22, s5
	s_mul_u64 s[70:71], s[68:69], s[22:23]
	s_wait_alu 0xfffe
	s_mul_hi_u32 s73, s22, s71
	s_mul_i32 s72, s22, s71
	s_mul_hi_u32 s24, s22, s70
	s_mul_i32 s21, s23, s70
	s_wait_alu 0xfffe
	s_add_nc_u64 s[72:73], s[24:25], s[72:73]
	s_mul_hi_u32 s5, s23, s70
	s_mul_hi_u32 s74, s23, s71
	s_wait_alu 0xfffe
	s_add_co_u32 s21, s72, s21
	s_add_co_ci_u32 s24, s73, s5
	s_mul_i32 s70, s23, s71
	s_add_co_ci_u32 s71, s74, 0
	s_wait_alu 0xfffe
	s_add_nc_u64 s[70:71], s[24:25], s[70:71]
	s_wait_alu 0xfffe
	s_add_co_u32 s22, s22, s70
	s_cselect_b32 s5, -1, 0
	s_wait_alu 0xfffe
	s_cmp_lg_u32 s5, 0
	s_add_co_ci_u32 s23, s23, s71
	s_delay_alu instid0(SALU_CYCLE_1)
	s_mul_u64 s[68:69], s[68:69], s[22:23]
	s_wait_alu 0xfffe
	s_mul_hi_u32 s71, s22, s69
	s_mul_i32 s70, s22, s69
	s_mul_hi_u32 s24, s22, s68
	s_mul_i32 s21, s23, s68
	s_wait_alu 0xfffe
	s_add_nc_u64 s[70:71], s[24:25], s[70:71]
	s_mul_hi_u32 s5, s23, s68
	s_mul_hi_u32 s72, s23, s69
	s_wait_alu 0xfffe
	s_add_co_u32 s21, s70, s21
	s_add_co_ci_u32 s24, s71, s5
	s_mul_i32 s68, s23, s69
	s_add_co_ci_u32 s69, s72, 0
	s_wait_alu 0xfffe
	s_add_nc_u64 s[68:69], s[24:25], s[68:69]
	s_wait_alu 0xfffe
	s_add_co_u32 s5, s22, s68
	s_cselect_b32 s21, -1, 0
	s_wait_alu 0xfffe
	s_cmp_lg_u32 s21, 0
	s_add_co_ci_u32 s21, s23, s69
	s_ashr_i32 s22, s61, 31
	s_delay_alu instid0(SALU_CYCLE_1) | instskip(NEXT) | instid1(SALU_CYCLE_1)
	s_mov_b32 s23, s22
	s_add_nc_u64 s[68:69], s[60:61], s[22:23]
	s_wait_alu 0xfffe
	s_xor_b64 s[68:69], s[68:69], s[22:23]
	s_wait_alu 0xfffe
	s_mul_hi_u32 s71, s68, s21
	s_mul_i32 s70, s68, s21
	s_mul_hi_u32 s24, s68, s5
	s_mul_hi_u32 s74, s69, s5
	s_mul_i32 s5, s69, s5
	s_wait_alu 0xfffe
	s_add_nc_u64 s[70:71], s[24:25], s[70:71]
	s_mul_hi_u32 s73, s69, s21
	s_wait_alu 0xfffe
	s_add_co_u32 s5, s70, s5
	s_add_co_ci_u32 s24, s71, s74
	s_mul_i32 s72, s69, s21
	s_add_co_ci_u32 s73, s73, 0
	s_wait_alu 0xfffe
	s_add_nc_u64 s[70:71], s[24:25], s[72:73]
	s_wait_alu 0xfffe
	s_mul_u64 s[70:71], s[12:13], s[70:71]
	s_wait_alu 0xfffe
	s_sub_co_u32 s5, s68, s70
	s_cselect_b32 s21, -1, 0
	s_sub_co_i32 s24, s69, s71
	s_wait_alu 0xfffe
	s_cmp_lg_u32 s21, 0
	s_sub_co_ci_u32 s24, s24, s13
	s_sub_co_u32 s68, s5, s12
	s_cselect_b32 s70, -1, 0
	s_wait_alu 0xfffe
	s_cmp_lg_u32 s70, 0
	s_sub_co_ci_u32 s72, s24, 0
	s_wait_alu 0xfffe
	s_cmp_ge_u32 s72, s13
	s_cselect_b32 s73, -1, 0
	s_cmp_ge_u32 s68, s12
	s_cselect_b32 s74, -1, 0
	s_cmp_eq_u32 s72, s13
	s_wait_alu 0xfffe
	s_cselect_b32 s73, s74, s73
	s_cmp_lg_u32 s70, 0
	s_sub_co_ci_u32 s24, s24, s13
	s_sub_co_u32 s70, s68, s12
	s_cselect_b32 s74, -1, 0
	s_wait_alu 0xfffe
	s_cmp_lg_u32 s74, 0
	s_sub_co_ci_u32 s24, s24, 0
	s_cmp_lg_u32 s73, 0
	s_cselect_b32 s68, s70, s68
	s_wait_alu 0xfffe
	s_cselect_b32 s24, s24, s72
	s_cmp_lg_u32 s21, 0
	s_sub_co_ci_u32 s21, s69, s71
	s_wait_alu 0xfffe
	s_cmp_ge_u32 s21, s13
	s_cselect_b32 s69, -1, 0
	s_cmp_ge_u32 s5, s12
	s_cselect_b32 s12, -1, 0
	s_cmp_eq_u32 s21, s13
	s_wait_alu 0xfffe
	s_cselect_b32 s12, s12, s69
	s_wait_alu 0xfffe
	s_cmp_lg_u32 s12, 0
	s_cselect_b32 s13, s24, s21
	s_cselect_b32 s12, s68, s5
	s_wait_alu 0xfffe
	s_xor_b64 s[12:13], s[12:13], s[22:23]
	s_wait_alu 0xfffe
	s_sub_nc_u64 s[12:13], s[12:13], s[22:23]
	s_cbranch_execnz .LBB55_107
.LBB55_106:                             ;   in Loop: Header=BB55_32 Depth=1
	v_cvt_f32_u32_e32 v6, s50
	s_sub_co_i32 s12, 0, s50
	s_delay_alu instid0(VALU_DEP_1) | instskip(NEXT) | instid1(TRANS32_DEP_1)
	v_rcp_iflag_f32_e32 v6, v6
	v_mul_f32_e32 v6, 0x4f7ffffe, v6
	s_delay_alu instid0(VALU_DEP_1) | instskip(NEXT) | instid1(VALU_DEP_1)
	v_cvt_u32_f32_e32 v6, v6
	v_readfirstlane_b32 s5, v6
	s_wait_alu 0xfffe
	s_mul_i32 s12, s12, s5
	s_wait_alu 0xfffe
	s_mul_hi_u32 s12, s5, s12
	s_wait_alu 0xfffe
	s_add_co_i32 s5, s5, s12
	s_wait_alu 0xfffe
	s_mul_hi_u32 s5, s60, s5
	s_wait_alu 0xfffe
	s_mul_i32 s5, s5, s50
	s_wait_alu 0xfffe
	s_sub_co_i32 s5, s60, s5
	s_wait_alu 0xfffe
	s_sub_co_i32 s12, s5, s50
	s_cmp_ge_u32 s5, s50
	s_wait_alu 0xfffe
	s_cselect_b32 s5, s12, s5
	s_wait_alu 0xfffe
	s_sub_co_i32 s12, s5, s50
	s_cmp_ge_u32 s5, s50
	s_wait_alu 0xfffe
	s_cselect_b32 s24, s12, s5
	s_wait_alu 0xfffe
	s_mov_b64 s[12:13], s[24:25]
.LBB55_107:                             ;   in Loop: Header=BB55_32 Depth=1
	s_wait_alu 0xfffe
	s_sub_nc_u64 s[12:13], s[60:61], s[12:13]
	s_mov_b32 s21, 0
	s_mov_b32 s5, 0
	s_mov_b32 s22, exec_lo
                                        ; implicit-def: $vgpr28
	s_wait_alu 0xfffe
	v_cmpx_gt_i64_e64 s[12:13], v[0:1]
	s_cbranch_execz .LBB55_117
; %bb.108:                              ;   in Loop: Header=BB55_32 Depth=1
	v_dual_mov_b32 v6, v10 :: v_dual_mov_b32 v7, v11
	v_dual_mov_b32 v9, v1 :: v_dual_mov_b32 v8, v0
	s_mov_b32 s23, 0
                                        ; implicit-def: $sgpr24
	s_branch .LBB55_112
.LBB55_109:                             ;   in Loop: Header=BB55_112 Depth=2
	s_wait_alu 0xfffe
	s_or_b32 exec_lo, exec_lo, s5
	s_wait_loadcnt_dscnt 0x0
	s_barrier_signal -1
	s_barrier_wait -1
	global_inv scope:SCOPE_SE
	ds_load_b64 v[27:28], v13 offset:3072
	s_wait_loadcnt_dscnt 0x0
	s_barrier_signal -1
	s_barrier_wait -1
	global_inv scope:SCOPE_SE
	v_cmp_neq_f32_e32 vcc_lo, 0, v27
	s_cbranch_vccnz .LBB55_115
; %bb.110:                              ;   in Loop: Header=BB55_112 Depth=2
	v_add_co_u32 v8, vcc_lo, v8, s50
	s_wait_alu 0xfffd
	v_add_co_ci_u32_e64 v9, null, 0, v9, vcc_lo
	v_add_co_u32 v6, s5, v6, s52
	s_wait_alu 0xf1ff
	v_add_co_ci_u32_e64 v7, null, s53, v7, s5
	s_delay_alu instid0(VALU_DEP_3)
	v_cmp_le_i64_e32 vcc_lo, s[12:13], v[8:9]
	s_mov_b32 s5, 0
	s_or_not1_b32 s68, vcc_lo, exec_lo
.LBB55_111:                             ;   in Loop: Header=BB55_112 Depth=2
	s_wait_alu 0xfffe
	s_and_b32 s68, exec_lo, s68
	s_wait_alu 0xfffe
	s_or_b32 s23, s68, s23
	s_and_not1_b32 s24, s24, exec_lo
	s_and_b32 s5, s5, exec_lo
	s_wait_alu 0xfffe
	s_or_b32 s24, s24, s5
	s_and_not1_b32 exec_lo, exec_lo, s23
	s_cbranch_execz .LBB55_116
.LBB55_112:                             ;   Parent Loop BB55_32 Depth=1
                                        ; =>  This Inner Loop Header: Depth=2
	s_mov_b32 s5, exec_lo
	s_delay_alu instid0(VALU_DEP_1)
	v_cmpx_gt_i64_e64 s[36:37], v[8:9]
	s_cbranch_execz .LBB55_109
; %bb.113:                              ;   in Loop: Header=BB55_112 Depth=2
	global_load_b32 v27, v[6:7], off
	s_wait_loadcnt 0x0
	v_cmp_lt_i32_e32 vcc_lo, -1, v27
	s_wait_alu 0xfffd
	v_cndmask_b32_e64 v12, -1, 0x80000000, vcc_lo
	v_cmp_o_f32_e32 vcc_lo, v27, v27
	s_delay_alu instid0(VALU_DEP_2) | instskip(SKIP_1) | instid1(VALU_DEP_1)
	v_xor_b32_e32 v12, v12, v27
	s_wait_alu 0xfffd
	v_cndmask_b32_e32 v12, -1, v12, vcc_lo
	s_delay_alu instid0(VALU_DEP_1) | instskip(NEXT) | instid1(VALU_DEP_1)
	v_and_b32_e32 v12, v12, v52
	v_cmp_eq_u32_e32 vcc_lo, v12, v47
	s_and_b32 exec_lo, exec_lo, vcc_lo
	s_cbranch_execz .LBB55_109
; %bb.114:                              ;   in Loop: Header=BB55_112 Depth=2
	ds_store_b64 v13, v[26:27] offset:3072
	s_branch .LBB55_109
.LBB55_115:                             ;   in Loop: Header=BB55_112 Depth=2
	s_mov_b32 s68, -1
	s_mov_b32 s5, -1
                                        ; implicit-def: $vgpr8_vgpr9
                                        ; implicit-def: $vgpr6_vgpr7
	s_branch .LBB55_111
.LBB55_116:                             ;   in Loop: Header=BB55_32 Depth=1
	s_or_b32 exec_lo, exec_lo, s23
	s_wait_alu 0xfffe
	s_and_b32 s5, s24, exec_lo
.LBB55_117:                             ;   in Loop: Header=BB55_32 Depth=1
	s_or_b32 exec_lo, exec_lo, s22
.LBB55_118:                             ;   in Loop: Header=BB55_32 Depth=1
	s_delay_alu instid0(SALU_CYCLE_1)
	s_and_b32 vcc_lo, exec_lo, s21
	s_wait_alu 0xfffe
	s_cbranch_vccz .LBB55_133
; %bb.119:                              ;   in Loop: Header=BB55_32 Depth=1
	s_add_nc_u64 s[12:13], s[10:11], s[58:59]
	s_mov_b32 s14, s25
	s_wait_alu 0xfffe
	s_mov_b32 s15, s13
	s_wait_alu 0xfffe
	s_cmp_lg_u64 s[14:15], 0
	s_cbranch_scc0 .LBB55_162
; %bb.120:                              ;   in Loop: Header=BB55_32 Depth=1
	s_add_nc_u64 s[14:15], s[50:51], 0
	s_wait_alu 0xfffe
	s_xor_b64 s[14:15], s[14:15], 0
	s_wait_alu 0xfffe
	s_cvt_f32_u32 s21, s14
	s_cvt_f32_u32 s22, s15
	s_sub_nc_u64 s[68:69], 0, s[14:15]
	s_wait_alu 0xfffe
	s_delay_alu instid0(SALU_CYCLE_1) | instskip(SKIP_1) | instid1(SALU_CYCLE_2)
	s_fmamk_f32 s21, s22, 0x4f800000, s21
	s_wait_alu 0xfffe
	v_s_rcp_f32 s21, s21
	s_delay_alu instid0(TRANS32_DEP_1) | instskip(SKIP_1) | instid1(SALU_CYCLE_2)
	s_mul_f32 s21, s21, 0x5f7ffffc
	s_wait_alu 0xfffe
	s_mul_f32 s22, s21, 0x2f800000
	s_delay_alu instid0(SALU_CYCLE_3) | instskip(NEXT) | instid1(SALU_CYCLE_3)
	s_trunc_f32 s22, s22
	s_fmamk_f32 s21, s22, 0xcf800000, s21
	s_cvt_u32_f32 s23, s22
	s_wait_alu 0xfffe
	s_delay_alu instid0(SALU_CYCLE_1) | instskip(NEXT) | instid1(SALU_CYCLE_3)
	s_cvt_u32_f32 s22, s21
	s_mul_u64 s[70:71], s[68:69], s[22:23]
	s_wait_alu 0xfffe
	s_mul_hi_u32 s73, s22, s71
	s_mul_i32 s72, s22, s71
	s_mul_hi_u32 s24, s22, s70
	s_mul_i32 s74, s23, s70
	s_wait_alu 0xfffe
	s_add_nc_u64 s[72:73], s[24:25], s[72:73]
	s_mul_hi_u32 s21, s23, s70
	s_mul_hi_u32 s75, s23, s71
	s_wait_alu 0xfffe
	s_add_co_u32 s24, s72, s74
	s_add_co_ci_u32 s24, s73, s21
	s_mul_i32 s70, s23, s71
	s_add_co_ci_u32 s71, s75, 0
	s_wait_alu 0xfffe
	s_add_nc_u64 s[70:71], s[24:25], s[70:71]
	s_wait_alu 0xfffe
	s_add_co_u32 s22, s22, s70
	s_cselect_b32 s21, -1, 0
	s_wait_alu 0xfffe
	s_cmp_lg_u32 s21, 0
	s_add_co_ci_u32 s23, s23, s71
	s_delay_alu instid0(SALU_CYCLE_1)
	s_mul_u64 s[68:69], s[68:69], s[22:23]
	s_wait_alu 0xfffe
	s_mul_hi_u32 s71, s22, s69
	s_mul_i32 s70, s22, s69
	s_mul_hi_u32 s24, s22, s68
	s_mul_i32 s72, s23, s68
	s_wait_alu 0xfffe
	s_add_nc_u64 s[70:71], s[24:25], s[70:71]
	s_mul_hi_u32 s21, s23, s68
	s_mul_hi_u32 s73, s23, s69
	s_wait_alu 0xfffe
	s_add_co_u32 s24, s70, s72
	s_add_co_ci_u32 s24, s71, s21
	s_mul_i32 s68, s23, s69
	s_add_co_ci_u32 s69, s73, 0
	s_wait_alu 0xfffe
	s_add_nc_u64 s[68:69], s[24:25], s[68:69]
	s_wait_alu 0xfffe
	s_add_co_u32 s21, s22, s68
	s_cselect_b32 s22, -1, 0
	s_delay_alu instid0(SALU_CYCLE_1) | instskip(SKIP_2) | instid1(SALU_CYCLE_1)
	s_cmp_lg_u32 s22, 0
	s_add_co_ci_u32 s72, s23, s69
	s_ashr_i32 s22, s13, 31
	s_mov_b32 s23, s22
	s_delay_alu instid0(SALU_CYCLE_1)
	s_add_nc_u64 s[68:69], s[12:13], s[22:23]
	s_wait_alu 0xfffe
	s_xor_b64 s[68:69], s[68:69], s[22:23]
	s_wait_alu 0xfffe
	s_mul_hi_u32 s71, s68, s72
	s_mul_i32 s70, s68, s72
	s_mul_hi_u32 s24, s68, s21
	s_mul_hi_u32 s74, s69, s21
	s_mul_i32 s21, s69, s21
	s_wait_alu 0xfffe
	s_add_nc_u64 s[70:71], s[24:25], s[70:71]
	s_mul_hi_u32 s73, s69, s72
	s_wait_alu 0xfffe
	s_add_co_u32 s21, s70, s21
	s_add_co_ci_u32 s24, s71, s74
	s_mul_i32 s72, s69, s72
	s_add_co_ci_u32 s73, s73, 0
	s_wait_alu 0xfffe
	s_add_nc_u64 s[70:71], s[24:25], s[72:73]
	s_wait_alu 0xfffe
	s_mul_u64 s[70:71], s[14:15], s[70:71]
	s_wait_alu 0xfffe
	s_sub_co_u32 s21, s68, s70
	s_cselect_b32 s24, -1, 0
	s_sub_co_i32 s68, s69, s71
	s_wait_alu 0xfffe
	s_cmp_lg_u32 s24, 0
	s_sub_co_ci_u32 s68, s68, s15
	s_sub_co_u32 s70, s21, s14
	s_cselect_b32 s72, -1, 0
	s_wait_alu 0xfffe
	s_cmp_lg_u32 s72, 0
	s_sub_co_ci_u32 s73, s68, 0
	s_wait_alu 0xfffe
	s_cmp_ge_u32 s73, s15
	s_cselect_b32 s74, -1, 0
	s_cmp_ge_u32 s70, s14
	s_cselect_b32 s75, -1, 0
	s_cmp_eq_u32 s73, s15
	s_wait_alu 0xfffe
	s_cselect_b32 s74, s75, s74
	s_cmp_lg_u32 s72, 0
	s_sub_co_ci_u32 s68, s68, s15
	s_sub_co_u32 s72, s70, s14
	s_cselect_b32 s75, -1, 0
	s_wait_alu 0xfffe
	s_cmp_lg_u32 s75, 0
	s_sub_co_ci_u32 s68, s68, 0
	s_cmp_lg_u32 s74, 0
	s_cselect_b32 s70, s72, s70
	s_wait_alu 0xfffe
	s_cselect_b32 s68, s68, s73
	s_cmp_lg_u32 s24, 0
	s_sub_co_ci_u32 s24, s69, s71
	s_wait_alu 0xfffe
	s_cmp_ge_u32 s24, s15
	s_cselect_b32 s69, -1, 0
	s_cmp_ge_u32 s21, s14
	s_cselect_b32 s14, -1, 0
	s_cmp_eq_u32 s24, s15
	s_wait_alu 0xfffe
	s_cselect_b32 s14, s14, s69
	s_wait_alu 0xfffe
	s_cmp_lg_u32 s14, 0
	s_cselect_b32 s15, s68, s24
	s_cselect_b32 s14, s70, s21
	s_wait_alu 0xfffe
	s_xor_b64 s[14:15], s[14:15], s[22:23]
	s_wait_alu 0xfffe
	s_sub_nc_u64 s[14:15], s[14:15], s[22:23]
	s_cbranch_execnz .LBB55_122
.LBB55_121:                             ;   in Loop: Header=BB55_32 Depth=1
	v_cvt_f32_u32_e32 v6, s50
	s_sub_co_i32 s15, 0, s50
	s_delay_alu instid0(VALU_DEP_1) | instskip(NEXT) | instid1(TRANS32_DEP_1)
	v_rcp_iflag_f32_e32 v6, v6
	v_mul_f32_e32 v6, 0x4f7ffffe, v6
	s_delay_alu instid0(VALU_DEP_1) | instskip(NEXT) | instid1(VALU_DEP_1)
	v_cvt_u32_f32_e32 v6, v6
	v_readfirstlane_b32 s14, v6
	s_wait_alu 0xfffe
	s_mul_i32 s15, s15, s14
	s_wait_alu 0xfffe
	s_mul_hi_u32 s15, s14, s15
	s_wait_alu 0xfffe
	s_add_co_i32 s14, s14, s15
	s_wait_alu 0xfffe
	s_mul_hi_u32 s14, s12, s14
	s_wait_alu 0xfffe
	s_mul_i32 s14, s14, s50
	s_wait_alu 0xfffe
	s_sub_co_i32 s14, s12, s14
	s_wait_alu 0xfffe
	s_sub_co_i32 s15, s14, s50
	s_cmp_ge_u32 s14, s50
	s_wait_alu 0xfffe
	s_cselect_b32 s14, s15, s14
	s_wait_alu 0xfffe
	s_sub_co_i32 s15, s14, s50
	s_cmp_ge_u32 s14, s50
	s_wait_alu 0xfffe
	s_cselect_b32 s24, s15, s14
	s_wait_alu 0xfffe
	s_mov_b64 s[14:15], s[24:25]
.LBB55_122:                             ;   in Loop: Header=BB55_32 Depth=1
	s_wait_alu 0xfffe
	s_sub_nc_u64 s[12:13], s[12:13], s[14:15]
	s_mov_b32 s14, exec_lo
                                        ; implicit-def: $vgpr28
	s_wait_alu 0xfffe
	v_cmpx_gt_i64_e64 s[12:13], v[0:1]
	s_cbranch_execz .LBB55_132
; %bb.123:                              ;   in Loop: Header=BB55_32 Depth=1
	v_dual_mov_b32 v8, v14 :: v_dual_mov_b32 v7, v1
	v_mov_b32_e32 v6, v0
	s_mov_b32 s15, 0
                                        ; implicit-def: $sgpr21
	s_branch .LBB55_127
.LBB55_124:                             ;   in Loop: Header=BB55_127 Depth=2
	s_or_b32 exec_lo, exec_lo, s22
	s_wait_loadcnt_dscnt 0x0
	s_barrier_signal -1
	s_barrier_wait -1
	global_inv scope:SCOPE_SE
	ds_load_b64 v[27:28], v13 offset:3072
	s_wait_loadcnt_dscnt 0x0
	s_barrier_signal -1
	s_barrier_wait -1
	global_inv scope:SCOPE_SE
	v_cmp_neq_f32_e32 vcc_lo, 0, v27
	s_cbranch_vccnz .LBB55_130
; %bb.125:                              ;   in Loop: Header=BB55_127 Depth=2
	v_add_co_u32 v6, vcc_lo, v6, s50
	s_wait_alu 0xfffd
	v_add_co_ci_u32_e64 v7, null, 0, v7, vcc_lo
	v_add_nc_u32_e32 v8, s90, v8
	s_mov_b32 s22, 0
	s_delay_alu instid0(VALU_DEP_2)
	v_cmp_le_i64_e32 vcc_lo, s[12:13], v[6:7]
	s_or_not1_b32 s23, vcc_lo, exec_lo
.LBB55_126:                             ;   in Loop: Header=BB55_127 Depth=2
	s_delay_alu instid0(SALU_CYCLE_1)
	s_and_b32 s23, exec_lo, s23
	s_wait_alu 0xfffe
	s_or_b32 s15, s23, s15
	s_and_not1_b32 s21, s21, exec_lo
	s_and_b32 s22, s22, exec_lo
	s_wait_alu 0xfffe
	s_or_b32 s21, s21, s22
	s_and_not1_b32 exec_lo, exec_lo, s15
	s_cbranch_execz .LBB55_131
.LBB55_127:                             ;   Parent Loop BB55_32 Depth=1
                                        ; =>  This Inner Loop Header: Depth=2
	s_mov_b32 s22, exec_lo
	s_delay_alu instid0(VALU_DEP_1)
	v_cmpx_gt_u64_e64 s[10:11], v[6:7]
	s_cbranch_execz .LBB55_124
; %bb.128:                              ;   in Loop: Header=BB55_127 Depth=2
	ds_load_b32 v27, v8
	s_wait_dscnt 0x0
	v_cmp_lt_i32_e32 vcc_lo, -1, v27
	s_wait_alu 0xfffd
	v_cndmask_b32_e64 v9, -1, 0x80000000, vcc_lo
	v_cmp_o_f32_e32 vcc_lo, v27, v27
	s_delay_alu instid0(VALU_DEP_2) | instskip(SKIP_1) | instid1(VALU_DEP_1)
	v_xor_b32_e32 v9, v9, v27
	s_wait_alu 0xfffd
	v_cndmask_b32_e32 v9, -1, v9, vcc_lo
	s_delay_alu instid0(VALU_DEP_1) | instskip(NEXT) | instid1(VALU_DEP_1)
	v_and_b32_e32 v9, v9, v52
	v_cmp_eq_u32_e32 vcc_lo, v9, v47
	s_and_b32 exec_lo, exec_lo, vcc_lo
	s_cbranch_execz .LBB55_124
; %bb.129:                              ;   in Loop: Header=BB55_127 Depth=2
	ds_store_b64 v13, v[26:27] offset:3072
	s_branch .LBB55_124
.LBB55_130:                             ;   in Loop: Header=BB55_127 Depth=2
	s_mov_b32 s23, -1
	s_mov_b32 s22, -1
                                        ; implicit-def: $vgpr6_vgpr7
                                        ; implicit-def: $vgpr8
	s_branch .LBB55_126
.LBB55_131:                             ;   in Loop: Header=BB55_32 Depth=1
	s_or_b32 exec_lo, exec_lo, s15
	s_delay_alu instid0(SALU_CYCLE_1)
	s_and_not1_b32 s5, s5, exec_lo
	s_wait_alu 0xfffe
	s_and_b32 s10, s21, exec_lo
	s_wait_alu 0xfffe
	s_or_b32 s5, s5, s10
.LBB55_132:                             ;   in Loop: Header=BB55_32 Depth=1
	s_or_b32 exec_lo, exec_lo, s14
	s_mov_b32 s14, 0
	s_mov_b32 s15, -1
.LBB55_133:                             ;   in Loop: Header=BB55_32 Depth=1
	s_wait_alu 0xfffe
	s_or_not1_b32 s5, s5, exec_lo
.LBB55_134:                             ;   in Loop: Header=BB55_32 Depth=1
	s_wait_alu 0xfffe
	s_or_b32 exec_lo, exec_lo, s17
	s_delay_alu instid0(SALU_CYCLE_1)
	s_and_not1_b32 s10, s98, exec_lo
	s_and_b32 s11, s15, exec_lo
	s_and_not1_b32 s12, s96, exec_lo
	s_and_b32 s13, s14, exec_lo
	s_and_not1_b32 s95, s95, exec_lo
	s_wait_alu 0xfffe
	s_or_b32 s98, s10, s11
	s_or_b32 s96, s12, s13
                                        ; implicit-def: $vgpr6_vgpr7
	s_and_saveexec_b32 s17, s5
	s_cbranch_execz .LBB55_31
; %bb.135:                              ;   in Loop: Header=BB55_32 Depth=1
	v_mov_b32_e32 v6, 1
	v_dual_mov_b32 v7, 0 :: v_dual_mov_b32 v12, 1
	s_xor_b32 s11, s19, -1
	s_mov_b32 s10, 0
	s_wait_alu 0xfffe
	s_and_saveexec_b32 s5, s11
	s_cbranch_execz .LBB55_144
; %bb.136:                              ;   in Loop: Header=BB55_32 Depth=1
	s_mov_b32 s10, exec_lo
	v_cmpx_le_i64_e64 v[29:30], v[2:3]
	s_wait_alu 0xfffe
	s_xor_b32 s10, exec_lo, s10
	s_cbranch_execz .LBB55_141
; %bb.137:                              ;   in Loop: Header=BB55_32 Depth=1
	ds_load_b64 v[6:7], v13 offset:5120
	v_and_b32_e32 v47, s20, v47
	v_or_b32_e32 v52, s16, v52
	s_wait_dscnt 0x0
	v_cmp_ne_u64_e32 vcc_lo, 0, v[6:7]
	s_cbranch_vccnz .LBB55_141
; %bb.138:                              ;   in Loop: Header=BB55_32 Depth=1
	s_and_saveexec_b32 s11, s2
; %bb.139:                              ;   in Loop: Header=BB55_32 Depth=1
	ds_store_b64 v13, v[2:3] offset:5128
; %bb.140:                              ;   in Loop: Header=BB55_32 Depth=1
	s_wait_alu 0xfffe
	s_or_b32 exec_lo, exec_lo, s11
	s_wait_loadcnt_dscnt 0x0
	s_barrier_signal -1
	s_barrier_wait -1
	global_inv scope:SCOPE_SE
.LBB55_141:                             ;   in Loop: Header=BB55_32 Depth=1
	s_wait_alu 0xfffe
	s_or_saveexec_b32 s10, s10
	v_mov_b32_e32 v12, 8
	s_mov_b32 s11, 0
	s_wait_alu 0xfffe
	s_xor_b32 exec_lo, exec_lo, s10
; %bb.142:                              ;   in Loop: Header=BB55_32 Depth=1
	v_sub_co_u32 v29, vcc_lo, v29, v2
	s_wait_alu 0xfffd
	v_sub_co_ci_u32_e64 v30, null, v30, v3, vcc_lo
	v_mov_b32_e32 v12, 0
	s_mov_b32 s11, exec_lo
; %bb.143:                              ;   in Loop: Header=BB55_32 Depth=1
	s_or_b32 exec_lo, exec_lo, s10
	s_delay_alu instid0(VALU_DEP_2)
	v_dual_mov_b32 v6, v29 :: v_dual_mov_b32 v7, v30
	s_wait_alu 0xfffe
	s_and_b32 s10, s11, exec_lo
.LBB55_144:                             ;   in Loop: Header=BB55_32 Depth=1
	s_wait_alu 0xfffe
	s_or_b32 exec_lo, exec_lo, s5
	s_mov_b32 s18, -1
	s_mov_b32 s5, -1
                                        ; implicit-def: $sgpr21
                                        ; implicit-def: $sgpr22
	s_and_saveexec_b32 s11, s10
	s_wait_alu 0xfffe
	s_xor_b32 s19, exec_lo, s11
	s_cbranch_execz .LBB55_292
; %bb.145:                              ;   in Loop: Header=BB55_32 Depth=1
	v_cmp_eq_u64_e32 vcc_lo, 1, v[4:5]
	v_cmp_eq_u64_e64 s5, 1, v[6:7]
                                        ; implicit-def: $sgpr22
                                        ; implicit-def: $sgpr21
	s_and_b32 s68, vcc_lo, s5
	s_mov_b32 s5, -1
	s_wait_alu 0xfffe
	s_and_saveexec_b32 s23, s68
	s_cbranch_execz .LBB55_181
; %bb.146:                              ;   in Loop: Header=BB55_32 Depth=1
	ds_load_b64 v[2:3], v13 offset:5120
	s_wait_loadcnt_dscnt 0x0
	s_barrier_signal -1
	s_barrier_wait -1
	global_inv scope:SCOPE_SE
	v_readfirstlane_b32 s10, v2
	v_readfirstlane_b32 s11, v3
	s_and_saveexec_b32 s5, s3
; %bb.147:                              ;   in Loop: Header=BB55_32 Depth=1
	ds_store_b32 v42, v13
; %bb.148:                              ;   in Loop: Header=BB55_32 Depth=1
	s_wait_alu 0xfffe
	s_or_b32 exec_lo, exec_lo, s5
	s_lshl_b32 s5, 1, s91
	v_or_b32_e32 v52, s16, v52
	s_wait_alu 0xfffe
	v_and_or_b32 v47, v47, s20, s5
	v_cmp_gt_i64_e64 s5, s[10:11], 0
	s_mov_b32 s21, -1
	s_mov_b32 s22, 0
	s_mov_b32 s14, -1
	s_wait_loadcnt_dscnt 0x0
	s_barrier_signal -1
	s_and_b32 vcc_lo, exec_lo, s5
	s_mov_b32 s5, 0
	s_barrier_wait -1
	global_inv scope:SCOPE_SE
                                        ; implicit-def: $vgpr28
	s_wait_alu 0xfffe
	s_cbranch_vccnz .LBB55_165
; %bb.149:                              ;   in Loop: Header=BB55_32 Depth=1
	s_mov_b32 s12, s25
	s_mov_b32 s13, s61
	s_wait_alu 0xfffe
	s_cmp_lg_u64 s[12:13], 0
	s_cbranch_scc0 .LBB55_209
; %bb.150:                              ;   in Loop: Header=BB55_32 Depth=1
	s_add_nc_u64 s[12:13], s[50:51], 0
	s_wait_alu 0xfffe
	s_xor_b64 s[12:13], s[12:13], 0
	s_wait_alu 0xfffe
	s_cvt_f32_u32 s5, s12
	s_cvt_f32_u32 s14, s13
	s_sub_nc_u64 s[70:71], 0, s[12:13]
	s_wait_alu 0xfffe
	s_delay_alu instid0(SALU_CYCLE_1) | instskip(SKIP_1) | instid1(SALU_CYCLE_2)
	s_fmamk_f32 s5, s14, 0x4f800000, s5
	s_wait_alu 0xfffe
	v_s_rcp_f32 s5, s5
	s_delay_alu instid0(TRANS32_DEP_1) | instskip(SKIP_1) | instid1(SALU_CYCLE_2)
	s_mul_f32 s5, s5, 0x5f7ffffc
	s_wait_alu 0xfffe
	s_mul_f32 s14, s5, 0x2f800000
	s_wait_alu 0xfffe
	s_delay_alu instid0(SALU_CYCLE_2) | instskip(SKIP_1) | instid1(SALU_CYCLE_2)
	s_trunc_f32 s14, s14
	s_wait_alu 0xfffe
	s_fmamk_f32 s5, s14, 0xcf800000, s5
	s_cvt_u32_f32 s15, s14
	s_wait_alu 0xfffe
	s_delay_alu instid0(SALU_CYCLE_1) | instskip(SKIP_1) | instid1(SALU_CYCLE_2)
	s_cvt_u32_f32 s14, s5
	s_wait_alu 0xfffe
	s_mul_u64 s[72:73], s[70:71], s[14:15]
	s_wait_alu 0xfffe
	s_mul_hi_u32 s75, s14, s73
	s_mul_i32 s74, s14, s73
	s_mul_hi_u32 s24, s14, s72
	s_mul_i32 s69, s15, s72
	s_wait_alu 0xfffe
	s_add_nc_u64 s[74:75], s[24:25], s[74:75]
	s_mul_hi_u32 s5, s15, s72
	s_mul_hi_u32 s76, s15, s73
	s_wait_alu 0xfffe
	s_add_co_u32 s24, s74, s69
	s_add_co_ci_u32 s24, s75, s5
	s_mul_i32 s72, s15, s73
	s_add_co_ci_u32 s73, s76, 0
	s_wait_alu 0xfffe
	s_add_nc_u64 s[72:73], s[24:25], s[72:73]
	s_wait_alu 0xfffe
	s_add_co_u32 s14, s14, s72
	s_cselect_b32 s5, -1, 0
	s_wait_alu 0xfffe
	s_cmp_lg_u32 s5, 0
	s_add_co_ci_u32 s15, s15, s73
	s_wait_alu 0xfffe
	s_mul_u64 s[70:71], s[70:71], s[14:15]
	s_wait_alu 0xfffe
	s_mul_hi_u32 s73, s14, s71
	s_mul_i32 s72, s14, s71
	s_mul_hi_u32 s24, s14, s70
	s_mul_i32 s69, s15, s70
	s_wait_alu 0xfffe
	s_add_nc_u64 s[72:73], s[24:25], s[72:73]
	s_mul_hi_u32 s5, s15, s70
	s_mul_hi_u32 s74, s15, s71
	s_wait_alu 0xfffe
	s_add_co_u32 s24, s72, s69
	s_add_co_ci_u32 s24, s73, s5
	s_mul_i32 s70, s15, s71
	s_add_co_ci_u32 s71, s74, 0
	s_wait_alu 0xfffe
	s_add_nc_u64 s[70:71], s[24:25], s[70:71]
	s_wait_alu 0xfffe
	s_add_co_u32 s5, s14, s70
	s_cselect_b32 s14, -1, 0
	s_wait_alu 0xfffe
	s_cmp_lg_u32 s14, 0
	s_add_co_ci_u32 s69, s15, s71
	s_ashr_i32 s14, s61, 31
	s_wait_alu 0xfffe
	s_mov_b32 s15, s14
	s_wait_alu 0xfffe
	s_add_nc_u64 s[70:71], s[60:61], s[14:15]
	s_wait_alu 0xfffe
	s_xor_b64 s[70:71], s[70:71], s[14:15]
	s_wait_alu 0xfffe
	s_mul_hi_u32 s73, s70, s69
	s_mul_i32 s72, s70, s69
	s_mul_hi_u32 s24, s70, s5
	s_mul_hi_u32 s76, s71, s5
	s_mul_i32 s5, s71, s5
	s_wait_alu 0xfffe
	s_add_nc_u64 s[72:73], s[24:25], s[72:73]
	s_mul_hi_u32 s75, s71, s69
	s_wait_alu 0xfffe
	s_add_co_u32 s5, s72, s5
	s_add_co_ci_u32 s24, s73, s76
	s_mul_i32 s74, s71, s69
	s_add_co_ci_u32 s75, s75, 0
	s_wait_alu 0xfffe
	s_add_nc_u64 s[72:73], s[24:25], s[74:75]
	s_wait_alu 0xfffe
	s_mul_u64 s[72:73], s[12:13], s[72:73]
	s_wait_alu 0xfffe
	s_sub_co_u32 s5, s70, s72
	s_cselect_b32 s24, -1, 0
	s_sub_co_i32 s69, s71, s73
	s_wait_alu 0xfffe
	s_cmp_lg_u32 s24, 0
	s_sub_co_ci_u32 s69, s69, s13
	s_sub_co_u32 s70, s5, s12
	s_cselect_b32 s72, -1, 0
	s_wait_alu 0xfffe
	s_cmp_lg_u32 s72, 0
	s_sub_co_ci_u32 s74, s69, 0
	s_wait_alu 0xfffe
	s_cmp_ge_u32 s74, s13
	s_cselect_b32 s75, -1, 0
	s_cmp_ge_u32 s70, s12
	s_cselect_b32 s76, -1, 0
	s_cmp_eq_u32 s74, s13
	s_wait_alu 0xfffe
	s_cselect_b32 s75, s76, s75
	s_cmp_lg_u32 s72, 0
	s_sub_co_ci_u32 s69, s69, s13
	s_sub_co_u32 s72, s70, s12
	s_cselect_b32 s76, -1, 0
	s_wait_alu 0xfffe
	s_cmp_lg_u32 s76, 0
	s_sub_co_ci_u32 s69, s69, 0
	s_cmp_lg_u32 s75, 0
	s_cselect_b32 s70, s72, s70
	s_wait_alu 0xfffe
	s_cselect_b32 s69, s69, s74
	s_cmp_lg_u32 s24, 0
	s_sub_co_ci_u32 s24, s71, s73
	s_wait_alu 0xfffe
	s_cmp_ge_u32 s24, s13
	s_cselect_b32 s71, -1, 0
	s_cmp_ge_u32 s5, s12
	s_cselect_b32 s12, -1, 0
	s_cmp_eq_u32 s24, s13
	s_wait_alu 0xfffe
	s_cselect_b32 s12, s12, s71
	s_wait_alu 0xfffe
	s_cmp_lg_u32 s12, 0
	s_cselect_b32 s13, s69, s24
	s_cselect_b32 s12, s70, s5
	s_wait_alu 0xfffe
	s_xor_b64 s[12:13], s[12:13], s[14:15]
	s_wait_alu 0xfffe
	s_sub_nc_u64 s[12:13], s[12:13], s[14:15]
	s_cbranch_execnz .LBB55_152
.LBB55_151:                             ;   in Loop: Header=BB55_32 Depth=1
	v_cvt_f32_u32_e32 v2, s50
	s_sub_co_i32 s12, 0, s50
	s_delay_alu instid0(VALU_DEP_1) | instskip(NEXT) | instid1(TRANS32_DEP_1)
	v_rcp_iflag_f32_e32 v2, v2
	v_mul_f32_e32 v2, 0x4f7ffffe, v2
	s_delay_alu instid0(VALU_DEP_1) | instskip(NEXT) | instid1(VALU_DEP_1)
	v_cvt_u32_f32_e32 v2, v2
	v_readfirstlane_b32 s5, v2
	s_wait_alu 0xfffe
	s_mul_i32 s12, s12, s5
	s_wait_alu 0xfffe
	s_mul_hi_u32 s12, s5, s12
	s_wait_alu 0xfffe
	s_add_co_i32 s5, s5, s12
	s_wait_alu 0xfffe
	s_mul_hi_u32 s5, s60, s5
	s_wait_alu 0xfffe
	s_mul_i32 s5, s5, s50
	s_wait_alu 0xfffe
	s_sub_co_i32 s5, s60, s5
	s_wait_alu 0xfffe
	s_sub_co_i32 s12, s5, s50
	s_cmp_ge_u32 s5, s50
	s_wait_alu 0xfffe
	s_cselect_b32 s5, s12, s5
	s_wait_alu 0xfffe
	s_sub_co_i32 s12, s5, s50
	s_cmp_ge_u32 s5, s50
	s_wait_alu 0xfffe
	s_cselect_b32 s24, s12, s5
	s_wait_alu 0xfffe
	s_mov_b64 s[12:13], s[24:25]
.LBB55_152:                             ;   in Loop: Header=BB55_32 Depth=1
	s_wait_alu 0xfffe
	s_sub_nc_u64 s[12:13], s[60:61], s[12:13]
	s_mov_b32 s14, 0
	s_mov_b32 s5, 0
	s_mov_b32 s15, exec_lo
                                        ; implicit-def: $vgpr28
	s_wait_alu 0xfffe
	v_cmpx_gt_i64_e64 s[12:13], v[0:1]
	s_cbranch_execz .LBB55_164
; %bb.153:                              ;   in Loop: Header=BB55_32 Depth=1
	v_dual_mov_b32 v2, v10 :: v_dual_mov_b32 v3, v11
	v_dual_mov_b32 v9, v1 :: v_dual_mov_b32 v8, v0
	s_mov_b32 s24, 0
                                        ; implicit-def: $sgpr69
	s_branch .LBB55_157
.LBB55_154:                             ;   in Loop: Header=BB55_157 Depth=2
	s_wait_alu 0xfffe
	s_or_b32 exec_lo, exec_lo, s5
	s_wait_loadcnt_dscnt 0x0
	s_barrier_signal -1
	s_barrier_wait -1
	global_inv scope:SCOPE_SE
	ds_load_b64 v[27:28], v13 offset:3072
	s_wait_loadcnt_dscnt 0x0
	s_barrier_signal -1
	s_barrier_wait -1
	global_inv scope:SCOPE_SE
	v_cmp_neq_f32_e32 vcc_lo, 0, v27
	s_cbranch_vccnz .LBB55_160
; %bb.155:                              ;   in Loop: Header=BB55_157 Depth=2
	v_add_co_u32 v8, vcc_lo, v8, s50
	s_wait_alu 0xfffd
	v_add_co_ci_u32_e64 v9, null, 0, v9, vcc_lo
	v_add_co_u32 v2, s5, v2, s52
	s_wait_alu 0xf1ff
	v_add_co_ci_u32_e64 v3, null, s53, v3, s5
	s_delay_alu instid0(VALU_DEP_3)
	v_cmp_le_i64_e32 vcc_lo, s[12:13], v[8:9]
	s_mov_b32 s5, 0
	s_or_not1_b32 s70, vcc_lo, exec_lo
.LBB55_156:                             ;   in Loop: Header=BB55_157 Depth=2
	s_wait_alu 0xfffe
	s_and_b32 s70, exec_lo, s70
	s_wait_alu 0xfffe
	s_or_b32 s24, s70, s24
	s_and_not1_b32 s69, s69, exec_lo
	s_and_b32 s5, s5, exec_lo
	s_wait_alu 0xfffe
	s_or_b32 s69, s69, s5
	s_and_not1_b32 exec_lo, exec_lo, s24
	s_cbranch_execz .LBB55_163
.LBB55_157:                             ;   Parent Loop BB55_32 Depth=1
                                        ; =>  This Inner Loop Header: Depth=2
	s_mov_b32 s5, exec_lo
	s_delay_alu instid0(VALU_DEP_1)
	v_cmpx_gt_i64_e64 s[36:37], v[8:9]
	s_cbranch_execz .LBB55_154
; %bb.158:                              ;   in Loop: Header=BB55_157 Depth=2
	global_load_b32 v27, v[2:3], off
	s_wait_loadcnt 0x0
	v_cmp_lt_i32_e32 vcc_lo, -1, v27
	s_wait_alu 0xfffd
	v_cndmask_b32_e64 v28, -1, 0x80000000, vcc_lo
	v_cmp_o_f32_e32 vcc_lo, v27, v27
	s_delay_alu instid0(VALU_DEP_2) | instskip(SKIP_1) | instid1(VALU_DEP_1)
	v_xor_b32_e32 v28, v28, v27
	s_wait_alu 0xfffd
	v_cndmask_b32_e32 v28, -1, v28, vcc_lo
	s_delay_alu instid0(VALU_DEP_1) | instskip(NEXT) | instid1(VALU_DEP_1)
	v_and_b32_e32 v28, v28, v52
	v_cmp_eq_u32_e32 vcc_lo, v28, v47
	s_and_b32 exec_lo, exec_lo, vcc_lo
	s_cbranch_execz .LBB55_154
; %bb.159:                              ;   in Loop: Header=BB55_157 Depth=2
	ds_store_b64 v13, v[26:27] offset:3072
	s_branch .LBB55_154
.LBB55_160:                             ;   in Loop: Header=BB55_157 Depth=2
	s_mov_b32 s70, -1
	s_mov_b32 s5, -1
                                        ; implicit-def: $vgpr8_vgpr9
                                        ; implicit-def: $vgpr2_vgpr3
	s_branch .LBB55_156
.LBB55_161:                             ;   in Loop: Header=BB55_32 Depth=1
                                        ; implicit-def: $sgpr12_sgpr13
	s_branch .LBB55_106
.LBB55_162:                             ;   in Loop: Header=BB55_32 Depth=1
                                        ; implicit-def: $sgpr14_sgpr15
	s_branch .LBB55_121
.LBB55_163:                             ;   in Loop: Header=BB55_32 Depth=1
	s_or_b32 exec_lo, exec_lo, s24
	s_wait_alu 0xfffe
	s_and_b32 s5, s69, exec_lo
.LBB55_164:                             ;   in Loop: Header=BB55_32 Depth=1
	s_or_b32 exec_lo, exec_lo, s15
.LBB55_165:                             ;   in Loop: Header=BB55_32 Depth=1
	s_delay_alu instid0(SALU_CYCLE_1)
	s_and_b32 vcc_lo, exec_lo, s14
	s_wait_alu 0xfffe
	s_cbranch_vccz .LBB55_180
; %bb.166:                              ;   in Loop: Header=BB55_32 Depth=1
	s_add_nc_u64 s[12:13], s[10:11], s[58:59]
	s_mov_b32 s14, s25
	s_wait_alu 0xfffe
	s_mov_b32 s15, s13
	s_wait_alu 0xfffe
	s_cmp_lg_u64 s[14:15], 0
	s_cbranch_scc0 .LBB55_210
; %bb.167:                              ;   in Loop: Header=BB55_32 Depth=1
	s_add_nc_u64 s[14:15], s[50:51], 0
	s_wait_alu 0xfffe
	s_xor_b64 s[14:15], s[14:15], 0
	s_wait_alu 0xfffe
	s_cvt_f32_u32 s21, s14
	s_cvt_f32_u32 s22, s15
	s_sub_nc_u64 s[72:73], 0, s[14:15]
	s_wait_alu 0xfffe
	s_delay_alu instid0(SALU_CYCLE_1) | instskip(SKIP_1) | instid1(SALU_CYCLE_2)
	s_fmamk_f32 s21, s22, 0x4f800000, s21
	s_wait_alu 0xfffe
	v_s_rcp_f32 s21, s21
	s_delay_alu instid0(TRANS32_DEP_1) | instskip(SKIP_1) | instid1(SALU_CYCLE_2)
	s_mul_f32 s21, s21, 0x5f7ffffc
	s_wait_alu 0xfffe
	s_mul_f32 s22, s21, 0x2f800000
	s_delay_alu instid0(SALU_CYCLE_3) | instskip(NEXT) | instid1(SALU_CYCLE_3)
	s_trunc_f32 s22, s22
	s_fmamk_f32 s21, s22, 0xcf800000, s21
	s_cvt_u32_f32 s71, s22
	s_wait_alu 0xfffe
	s_delay_alu instid0(SALU_CYCLE_1) | instskip(SKIP_1) | instid1(SALU_CYCLE_2)
	s_cvt_u32_f32 s70, s21
	s_wait_alu 0xfffe
	s_mul_u64 s[74:75], s[72:73], s[70:71]
	s_wait_alu 0xfffe
	s_mul_hi_u32 s77, s70, s75
	s_mul_i32 s76, s70, s75
	s_mul_hi_u32 s24, s70, s74
	s_mul_i32 s22, s71, s74
	s_wait_alu 0xfffe
	s_add_nc_u64 s[76:77], s[24:25], s[76:77]
	s_mul_hi_u32 s21, s71, s74
	s_mul_hi_u32 s69, s71, s75
	s_wait_alu 0xfffe
	s_add_co_u32 s22, s76, s22
	s_add_co_ci_u32 s24, s77, s21
	s_mul_i32 s74, s71, s75
	s_add_co_ci_u32 s75, s69, 0
	s_wait_alu 0xfffe
	s_add_nc_u64 s[74:75], s[24:25], s[74:75]
	s_wait_alu 0xfffe
	s_add_co_u32 s70, s70, s74
	s_cselect_b32 s21, -1, 0
	s_wait_alu 0xfffe
	s_cmp_lg_u32 s21, 0
	s_add_co_ci_u32 s71, s71, s75
	s_wait_alu 0xfffe
	s_mul_u64 s[72:73], s[72:73], s[70:71]
	s_wait_alu 0xfffe
	s_mul_hi_u32 s75, s70, s73
	s_mul_i32 s74, s70, s73
	s_mul_hi_u32 s24, s70, s72
	s_mul_i32 s22, s71, s72
	s_wait_alu 0xfffe
	s_add_nc_u64 s[74:75], s[24:25], s[74:75]
	s_mul_hi_u32 s21, s71, s72
	s_mul_hi_u32 s69, s71, s73
	s_wait_alu 0xfffe
	s_add_co_u32 s22, s74, s22
	s_add_co_ci_u32 s24, s75, s21
	s_mul_i32 s72, s71, s73
	s_add_co_ci_u32 s73, s69, 0
	s_wait_alu 0xfffe
	s_add_nc_u64 s[72:73], s[24:25], s[72:73]
	s_wait_alu 0xfffe
	s_add_co_u32 s21, s70, s72
	s_cselect_b32 s22, -1, 0
	s_delay_alu instid0(SALU_CYCLE_1)
	s_cmp_lg_u32 s22, 0
	s_add_co_ci_u32 s22, s71, s73
	s_ashr_i32 s70, s13, 31
	s_wait_alu 0xfffe
	s_mov_b32 s71, s70
	s_wait_alu 0xfffe
	s_add_nc_u64 s[72:73], s[12:13], s[70:71]
	s_wait_alu 0xfffe
	s_xor_b64 s[72:73], s[72:73], s[70:71]
	s_wait_alu 0xfffe
	s_mul_hi_u32 s75, s72, s22
	s_mul_i32 s74, s72, s22
	s_mul_hi_u32 s24, s72, s21
	s_mul_hi_u32 s77, s73, s21
	s_mul_i32 s21, s73, s21
	s_wait_alu 0xfffe
	s_add_nc_u64 s[74:75], s[24:25], s[74:75]
	s_mul_hi_u32 s69, s73, s22
	s_wait_alu 0xfffe
	s_add_co_u32 s21, s74, s21
	s_add_co_ci_u32 s24, s75, s77
	s_mul_i32 s76, s73, s22
	s_add_co_ci_u32 s77, s69, 0
	s_wait_alu 0xfffe
	s_add_nc_u64 s[74:75], s[24:25], s[76:77]
	s_wait_alu 0xfffe
	s_mul_u64 s[74:75], s[14:15], s[74:75]
	s_wait_alu 0xfffe
	s_sub_co_u32 s21, s72, s74
	s_cselect_b32 s22, -1, 0
	s_sub_co_i32 s24, s73, s75
	s_cmp_lg_u32 s22, 0
	s_wait_alu 0xfffe
	s_sub_co_ci_u32 s24, s24, s15
	s_sub_co_u32 s69, s21, s14
	s_cselect_b32 s72, -1, 0
	s_wait_alu 0xfffe
	s_cmp_lg_u32 s72, 0
	s_sub_co_ci_u32 s74, s24, 0
	s_wait_alu 0xfffe
	s_cmp_ge_u32 s74, s15
	s_cselect_b32 s76, -1, 0
	s_cmp_ge_u32 s69, s14
	s_cselect_b32 s77, -1, 0
	s_cmp_eq_u32 s74, s15
	s_wait_alu 0xfffe
	s_cselect_b32 s76, s77, s76
	s_cmp_lg_u32 s72, 0
	s_sub_co_ci_u32 s24, s24, s15
	s_sub_co_u32 s72, s69, s14
	s_cselect_b32 s77, -1, 0
	s_wait_alu 0xfffe
	s_cmp_lg_u32 s77, 0
	s_sub_co_ci_u32 s24, s24, 0
	s_cmp_lg_u32 s76, 0
	s_cselect_b32 s69, s72, s69
	s_wait_alu 0xfffe
	s_cselect_b32 s24, s24, s74
	s_cmp_lg_u32 s22, 0
	s_sub_co_ci_u32 s22, s73, s75
	s_delay_alu instid0(SALU_CYCLE_1)
	s_cmp_ge_u32 s22, s15
	s_cselect_b32 s72, -1, 0
	s_cmp_ge_u32 s21, s14
	s_cselect_b32 s14, -1, 0
	s_cmp_eq_u32 s22, s15
	s_wait_alu 0xfffe
	s_cselect_b32 s14, s14, s72
	s_wait_alu 0xfffe
	s_cmp_lg_u32 s14, 0
	s_cselect_b32 s15, s24, s22
	s_cselect_b32 s14, s69, s21
	s_wait_alu 0xfffe
	s_xor_b64 s[14:15], s[14:15], s[70:71]
	s_wait_alu 0xfffe
	s_sub_nc_u64 s[14:15], s[14:15], s[70:71]
	s_cbranch_execnz .LBB55_169
.LBB55_168:                             ;   in Loop: Header=BB55_32 Depth=1
	v_cvt_f32_u32_e32 v2, s50
	s_sub_co_i32 s15, 0, s50
	s_delay_alu instid0(VALU_DEP_1) | instskip(NEXT) | instid1(TRANS32_DEP_1)
	v_rcp_iflag_f32_e32 v2, v2
	v_mul_f32_e32 v2, 0x4f7ffffe, v2
	s_delay_alu instid0(VALU_DEP_1) | instskip(NEXT) | instid1(VALU_DEP_1)
	v_cvt_u32_f32_e32 v2, v2
	v_readfirstlane_b32 s14, v2
	s_wait_alu 0xfffe
	s_mul_i32 s15, s15, s14
	s_wait_alu 0xfffe
	s_mul_hi_u32 s15, s14, s15
	s_wait_alu 0xfffe
	s_add_co_i32 s14, s14, s15
	s_wait_alu 0xfffe
	s_mul_hi_u32 s14, s12, s14
	s_wait_alu 0xfffe
	s_mul_i32 s14, s14, s50
	s_wait_alu 0xfffe
	s_sub_co_i32 s14, s12, s14
	s_wait_alu 0xfffe
	s_sub_co_i32 s15, s14, s50
	s_cmp_ge_u32 s14, s50
	s_wait_alu 0xfffe
	s_cselect_b32 s14, s15, s14
	s_wait_alu 0xfffe
	s_sub_co_i32 s15, s14, s50
	s_cmp_ge_u32 s14, s50
	s_wait_alu 0xfffe
	s_cselect_b32 s24, s15, s14
	s_wait_alu 0xfffe
	s_mov_b64 s[14:15], s[24:25]
.LBB55_169:                             ;   in Loop: Header=BB55_32 Depth=1
	s_wait_alu 0xfffe
	s_sub_nc_u64 s[12:13], s[12:13], s[14:15]
	s_mov_b32 s14, exec_lo
                                        ; implicit-def: $vgpr28
	s_wait_alu 0xfffe
	v_cmpx_gt_i64_e64 s[12:13], v[0:1]
	s_cbranch_execz .LBB55_179
; %bb.170:                              ;   in Loop: Header=BB55_32 Depth=1
	v_dual_mov_b32 v8, v14 :: v_dual_mov_b32 v3, v1
	v_mov_b32_e32 v2, v0
	s_mov_b32 s15, 0
                                        ; implicit-def: $sgpr21
	s_branch .LBB55_174
.LBB55_171:                             ;   in Loop: Header=BB55_174 Depth=2
	s_or_b32 exec_lo, exec_lo, s22
	s_wait_loadcnt_dscnt 0x0
	s_barrier_signal -1
	s_barrier_wait -1
	global_inv scope:SCOPE_SE
	ds_load_b64 v[27:28], v13 offset:3072
	s_wait_loadcnt_dscnt 0x0
	s_barrier_signal -1
	s_barrier_wait -1
	global_inv scope:SCOPE_SE
	v_cmp_eq_f32_e32 vcc_lo, 0, v27
	s_cbranch_vccz .LBB55_177
; %bb.172:                              ;   in Loop: Header=BB55_174 Depth=2
	v_add_co_u32 v2, vcc_lo, v2, s50
	s_wait_alu 0xfffd
	v_add_co_ci_u32_e64 v3, null, 0, v3, vcc_lo
	v_add_nc_u32_e32 v8, s90, v8
	s_mov_b32 s22, 0
	s_delay_alu instid0(VALU_DEP_2)
	v_cmp_le_i64_e32 vcc_lo, s[12:13], v[2:3]
	s_or_not1_b32 s24, vcc_lo, exec_lo
.LBB55_173:                             ;   in Loop: Header=BB55_174 Depth=2
	s_wait_alu 0xfffe
	s_and_b32 s24, exec_lo, s24
	s_wait_alu 0xfffe
	s_or_b32 s15, s24, s15
	s_and_not1_b32 s21, s21, exec_lo
	s_and_b32 s22, s22, exec_lo
	s_wait_alu 0xfffe
	s_or_b32 s21, s21, s22
	s_and_not1_b32 exec_lo, exec_lo, s15
	s_cbranch_execz .LBB55_178
.LBB55_174:                             ;   Parent Loop BB55_32 Depth=1
                                        ; =>  This Inner Loop Header: Depth=2
	s_mov_b32 s22, exec_lo
	s_delay_alu instid0(VALU_DEP_1)
	v_cmpx_gt_u64_e64 s[10:11], v[2:3]
	s_cbranch_execz .LBB55_171
; %bb.175:                              ;   in Loop: Header=BB55_174 Depth=2
	ds_load_b32 v27, v8
	s_wait_dscnt 0x0
	v_cmp_lt_i32_e32 vcc_lo, -1, v27
	s_wait_alu 0xfffd
	v_cndmask_b32_e64 v9, -1, 0x80000000, vcc_lo
	v_cmp_o_f32_e32 vcc_lo, v27, v27
	s_delay_alu instid0(VALU_DEP_2) | instskip(SKIP_1) | instid1(VALU_DEP_1)
	v_xor_b32_e32 v9, v9, v27
	s_wait_alu 0xfffd
	v_cndmask_b32_e32 v9, -1, v9, vcc_lo
	s_delay_alu instid0(VALU_DEP_1) | instskip(NEXT) | instid1(VALU_DEP_1)
	v_and_b32_e32 v9, v9, v52
	v_cmp_eq_u32_e32 vcc_lo, v9, v47
	s_and_b32 exec_lo, exec_lo, vcc_lo
	s_cbranch_execz .LBB55_171
; %bb.176:                              ;   in Loop: Header=BB55_174 Depth=2
	ds_store_b64 v13, v[26:27] offset:3072
	s_branch .LBB55_171
.LBB55_177:                             ;   in Loop: Header=BB55_174 Depth=2
	s_mov_b32 s24, -1
	s_mov_b32 s22, -1
                                        ; implicit-def: $vgpr2_vgpr3
                                        ; implicit-def: $vgpr8
	s_branch .LBB55_173
.LBB55_178:                             ;   in Loop: Header=BB55_32 Depth=1
	s_or_b32 exec_lo, exec_lo, s15
	s_delay_alu instid0(SALU_CYCLE_1)
	s_and_not1_b32 s5, s5, exec_lo
	s_wait_alu 0xfffe
	s_and_b32 s10, s21, exec_lo
	s_wait_alu 0xfffe
	s_or_b32 s5, s5, s10
.LBB55_179:                             ;   in Loop: Header=BB55_32 Depth=1
	s_or_b32 exec_lo, exec_lo, s14
	s_mov_b32 s21, 0
	s_mov_b32 s22, -1
.LBB55_180:                             ;   in Loop: Header=BB55_32 Depth=1
	s_wait_alu 0xfffe
	s_or_not1_b32 s5, s5, exec_lo
.LBB55_181:                             ;   in Loop: Header=BB55_32 Depth=1
	s_or_b32 exec_lo, exec_lo, s23
	s_mov_b32 s10, 0
	s_wait_alu 0xfffe
	s_and_saveexec_b32 s23, s5
	s_cbranch_execz .LBB55_291
; %bb.182:                              ;   in Loop: Header=BB55_32 Depth=1
	v_mov_b32_e32 v2, 1
	v_dual_mov_b32 v3, 0 :: v_dual_mov_b32 v12, 1
	s_xor_b32 s11, s68, -1
	s_wait_alu 0xfffe
	s_and_saveexec_b32 s5, s11
	s_cbranch_execz .LBB55_192
; %bb.183:                              ;   in Loop: Header=BB55_32 Depth=1
	s_mov_b32 s10, exec_lo
	v_cmpx_le_i64_e64 v[6:7], v[4:5]
	s_wait_alu 0xfffe
	s_xor_b32 s10, exec_lo, s10
	s_cbranch_execz .LBB55_189
; %bb.184:                              ;   in Loop: Header=BB55_32 Depth=1
	ds_load_b64 v[2:3], v13 offset:5120
	s_lshl_b32 s11, 1, s91
	v_or_b32_e32 v52, s16, v52
	s_wait_alu 0xfffe
	v_and_or_b32 v47, v47, s20, s11
	s_wait_dscnt 0x0
	v_cmp_ne_u64_e32 vcc_lo, 0, v[2:3]
	s_cbranch_vccnz .LBB55_188
; %bb.185:                              ;   in Loop: Header=BB55_32 Depth=1
	s_and_saveexec_b32 s11, s2
; %bb.186:                              ;   in Loop: Header=BB55_32 Depth=1
	ds_store_b64 v13, v[4:5] offset:5128
; %bb.187:                              ;   in Loop: Header=BB55_32 Depth=1
	s_wait_alu 0xfffe
	s_or_b32 exec_lo, exec_lo, s11
	s_wait_loadcnt_dscnt 0x0
	s_barrier_signal -1
	s_barrier_wait -1
	global_inv scope:SCOPE_SE
.LBB55_188:                             ;   in Loop: Header=BB55_32 Depth=1
                                        ; implicit-def: $vgpr2_vgpr3_vgpr4_vgpr5
.LBB55_189:                             ;   in Loop: Header=BB55_32 Depth=1
	s_wait_alu 0xfffe
	s_or_saveexec_b32 s10, s10
	v_mov_b32_e32 v12, 8
	s_mov_b32 s11, 0
	s_wait_alu 0xfffe
	s_xor_b32 exec_lo, exec_lo, s10
; %bb.190:                              ;   in Loop: Header=BB55_32 Depth=1
	v_sub_co_u32 v6, vcc_lo, v6, v4
	s_wait_alu 0xfffd
	v_sub_co_ci_u32_e64 v7, null, v7, v5, vcc_lo
	v_mov_b32_e32 v12, 0
	s_mov_b32 s11, exec_lo
; %bb.191:                              ;   in Loop: Header=BB55_32 Depth=1
	s_or_b32 exec_lo, exec_lo, s10
	s_delay_alu instid0(VALU_DEP_2)
	v_dual_mov_b32 v2, v6 :: v_dual_mov_b32 v3, v7
	s_wait_alu 0xfffe
	s_and_b32 s10, s11, exec_lo
.LBB55_192:                             ;   in Loop: Header=BB55_32 Depth=1
	s_wait_alu 0xfffe
	s_or_b32 exec_lo, exec_lo, s5
	s_mov_b32 s5, -1
                                        ; implicit-def: $sgpr14
                                        ; implicit-def: $sgpr15
	s_and_saveexec_b32 s68, s10
	s_cbranch_execz .LBB55_290
; %bb.193:                              ;   in Loop: Header=BB55_32 Depth=1
	v_cmp_eq_u64_e32 vcc_lo, 1, v[2:3]
	s_cmp_eq_u64 s[8:9], 1
                                        ; implicit-def: $sgpr15
                                        ; implicit-def: $sgpr14
	s_cselect_b32 s5, -1, 0
	s_wait_alu 0xfffe
	s_and_b32 s70, s5, vcc_lo
	s_mov_b32 s5, -1
	s_wait_alu 0xfffe
	s_and_saveexec_b32 s69, s70
	s_cbranch_execz .LBB55_229
; %bb.194:                              ;   in Loop: Header=BB55_32 Depth=1
	ds_load_b64 v[4:5], v13 offset:5120
	s_wait_loadcnt_dscnt 0x0
	s_barrier_signal -1
	s_barrier_wait -1
	global_inv scope:SCOPE_SE
	v_readfirstlane_b32 s10, v4
	v_readfirstlane_b32 s11, v5
	s_and_saveexec_b32 s5, s3
; %bb.195:                              ;   in Loop: Header=BB55_32 Depth=1
	ds_store_b32 v42, v13
; %bb.196:                              ;   in Loop: Header=BB55_32 Depth=1
	s_wait_alu 0xfffe
	s_or_b32 exec_lo, exec_lo, s5
	s_lshl_b32 s5, 2, s91
	v_or_b32_e32 v52, s16, v52
	s_wait_alu 0xfffe
	v_and_or_b32 v47, v47, s20, s5
	v_cmp_gt_i64_e64 s5, s[10:11], 0
	s_mov_b32 s14, -1
	s_mov_b32 s15, 0
	s_mov_b32 s24, -1
	s_wait_loadcnt_dscnt 0x0
	s_barrier_signal -1
	s_and_b32 vcc_lo, exec_lo, s5
	s_mov_b32 s5, 0
	s_barrier_wait -1
	global_inv scope:SCOPE_SE
                                        ; implicit-def: $vgpr28
	s_wait_alu 0xfffe
	s_cbranch_vccnz .LBB55_213
; %bb.197:                              ;   in Loop: Header=BB55_32 Depth=1
	s_mov_b32 s12, s25
	s_mov_b32 s13, s61
	s_wait_alu 0xfffe
	s_cmp_lg_u64 s[12:13], 0
	s_cbranch_scc0 .LBB55_256
; %bb.198:                              ;   in Loop: Header=BB55_32 Depth=1
	s_add_nc_u64 s[12:13], s[50:51], 0
	s_wait_alu 0xfffe
	s_xor_b64 s[12:13], s[12:13], 0
	s_wait_alu 0xfffe
	s_cvt_f32_u32 s5, s12
	s_cvt_f32_u32 s24, s13
	s_sub_nc_u64 s[74:75], 0, s[12:13]
	s_wait_alu 0xfffe
	s_delay_alu instid0(SALU_CYCLE_1) | instskip(SKIP_1) | instid1(SALU_CYCLE_2)
	s_fmamk_f32 s5, s24, 0x4f800000, s5
	s_wait_alu 0xfffe
	v_s_rcp_f32 s5, s5
	s_delay_alu instid0(TRANS32_DEP_1) | instskip(SKIP_1) | instid1(SALU_CYCLE_2)
	s_mul_f32 s5, s5, 0x5f7ffffc
	s_wait_alu 0xfffe
	s_mul_f32 s24, s5, 0x2f800000
	s_wait_alu 0xfffe
	s_delay_alu instid0(SALU_CYCLE_2) | instskip(SKIP_1) | instid1(SALU_CYCLE_2)
	s_trunc_f32 s24, s24
	s_wait_alu 0xfffe
	s_fmamk_f32 s5, s24, 0xcf800000, s5
	s_cvt_u32_f32 s73, s24
	s_wait_alu 0xfffe
	s_delay_alu instid0(SALU_CYCLE_1) | instskip(SKIP_1) | instid1(SALU_CYCLE_2)
	s_cvt_u32_f32 s72, s5
	s_wait_alu 0xfffe
	s_mul_u64 s[76:77], s[74:75], s[72:73]
	s_wait_alu 0xfffe
	s_mul_hi_u32 s79, s72, s77
	s_mul_i32 s78, s72, s77
	s_mul_hi_u32 s24, s72, s76
	s_mul_i32 s71, s73, s76
	s_wait_alu 0xfffe
	s_add_nc_u64 s[78:79], s[24:25], s[78:79]
	s_mul_hi_u32 s5, s73, s76
	s_mul_hi_u32 s80, s73, s77
	s_wait_alu 0xfffe
	s_add_co_u32 s24, s78, s71
	s_add_co_ci_u32 s24, s79, s5
	s_mul_i32 s76, s73, s77
	s_add_co_ci_u32 s77, s80, 0
	s_wait_alu 0xfffe
	s_add_nc_u64 s[76:77], s[24:25], s[76:77]
	s_wait_alu 0xfffe
	s_add_co_u32 s72, s72, s76
	s_cselect_b32 s5, -1, 0
	s_wait_alu 0xfffe
	s_cmp_lg_u32 s5, 0
	s_add_co_ci_u32 s73, s73, s77
	s_wait_alu 0xfffe
	s_mul_u64 s[74:75], s[74:75], s[72:73]
	s_wait_alu 0xfffe
	s_mul_hi_u32 s77, s72, s75
	s_mul_i32 s76, s72, s75
	s_mul_hi_u32 s24, s72, s74
	s_mul_i32 s71, s73, s74
	s_wait_alu 0xfffe
	s_add_nc_u64 s[76:77], s[24:25], s[76:77]
	s_mul_hi_u32 s5, s73, s74
	s_mul_hi_u32 s78, s73, s75
	s_wait_alu 0xfffe
	s_add_co_u32 s24, s76, s71
	s_add_co_ci_u32 s24, s77, s5
	s_mul_i32 s74, s73, s75
	s_add_co_ci_u32 s75, s78, 0
	s_wait_alu 0xfffe
	s_add_nc_u64 s[74:75], s[24:25], s[74:75]
	s_wait_alu 0xfffe
	s_add_co_u32 s5, s72, s74
	s_cselect_b32 s24, -1, 0
	s_wait_alu 0xfffe
	s_cmp_lg_u32 s24, 0
	s_add_co_ci_u32 s71, s73, s75
	s_ashr_i32 s72, s61, 31
	s_wait_alu 0xfffe
	s_mov_b32 s73, s72
	s_wait_alu 0xfffe
	s_add_nc_u64 s[74:75], s[60:61], s[72:73]
	s_wait_alu 0xfffe
	s_xor_b64 s[74:75], s[74:75], s[72:73]
	s_wait_alu 0xfffe
	s_mul_hi_u32 s77, s74, s71
	s_mul_i32 s76, s74, s71
	s_mul_hi_u32 s24, s74, s5
	s_mul_hi_u32 s80, s75, s5
	s_mul_i32 s5, s75, s5
	s_wait_alu 0xfffe
	s_add_nc_u64 s[76:77], s[24:25], s[76:77]
	s_mul_hi_u32 s79, s75, s71
	s_wait_alu 0xfffe
	s_add_co_u32 s5, s76, s5
	s_add_co_ci_u32 s24, s77, s80
	s_mul_i32 s78, s75, s71
	s_add_co_ci_u32 s79, s79, 0
	s_wait_alu 0xfffe
	s_add_nc_u64 s[76:77], s[24:25], s[78:79]
	s_wait_alu 0xfffe
	s_mul_u64 s[76:77], s[12:13], s[76:77]
	s_wait_alu 0xfffe
	s_sub_co_u32 s5, s74, s76
	s_cselect_b32 s24, -1, 0
	s_sub_co_i32 s71, s75, s77
	s_wait_alu 0xfffe
	s_cmp_lg_u32 s24, 0
	s_sub_co_ci_u32 s71, s71, s13
	s_sub_co_u32 s74, s5, s12
	s_cselect_b32 s76, -1, 0
	s_wait_alu 0xfffe
	s_cmp_lg_u32 s76, 0
	s_sub_co_ci_u32 s78, s71, 0
	s_wait_alu 0xfffe
	s_cmp_ge_u32 s78, s13
	s_cselect_b32 s79, -1, 0
	s_cmp_ge_u32 s74, s12
	s_cselect_b32 s80, -1, 0
	s_cmp_eq_u32 s78, s13
	s_wait_alu 0xfffe
	s_cselect_b32 s79, s80, s79
	s_cmp_lg_u32 s76, 0
	s_sub_co_ci_u32 s71, s71, s13
	s_sub_co_u32 s76, s74, s12
	s_cselect_b32 s80, -1, 0
	s_wait_alu 0xfffe
	s_cmp_lg_u32 s80, 0
	s_sub_co_ci_u32 s71, s71, 0
	s_cmp_lg_u32 s79, 0
	s_cselect_b32 s74, s76, s74
	s_wait_alu 0xfffe
	s_cselect_b32 s71, s71, s78
	s_cmp_lg_u32 s24, 0
	s_sub_co_ci_u32 s24, s75, s77
	s_wait_alu 0xfffe
	s_cmp_ge_u32 s24, s13
	s_cselect_b32 s75, -1, 0
	s_cmp_ge_u32 s5, s12
	s_cselect_b32 s12, -1, 0
	s_cmp_eq_u32 s24, s13
	s_wait_alu 0xfffe
	s_cselect_b32 s12, s12, s75
	s_wait_alu 0xfffe
	s_cmp_lg_u32 s12, 0
	s_cselect_b32 s13, s71, s24
	s_cselect_b32 s12, s74, s5
	s_wait_alu 0xfffe
	s_xor_b64 s[12:13], s[12:13], s[72:73]
	s_wait_alu 0xfffe
	s_sub_nc_u64 s[12:13], s[12:13], s[72:73]
	s_cbranch_execnz .LBB55_200
.LBB55_199:                             ;   in Loop: Header=BB55_32 Depth=1
	v_cvt_f32_u32_e32 v4, s50
	s_sub_co_i32 s12, 0, s50
	s_delay_alu instid0(VALU_DEP_1) | instskip(NEXT) | instid1(TRANS32_DEP_1)
	v_rcp_iflag_f32_e32 v4, v4
	v_mul_f32_e32 v4, 0x4f7ffffe, v4
	s_delay_alu instid0(VALU_DEP_1) | instskip(NEXT) | instid1(VALU_DEP_1)
	v_cvt_u32_f32_e32 v4, v4
	v_readfirstlane_b32 s5, v4
	s_wait_alu 0xfffe
	s_mul_i32 s12, s12, s5
	s_wait_alu 0xfffe
	s_mul_hi_u32 s12, s5, s12
	s_wait_alu 0xfffe
	s_add_co_i32 s5, s5, s12
	s_wait_alu 0xfffe
	s_mul_hi_u32 s5, s60, s5
	s_wait_alu 0xfffe
	s_mul_i32 s5, s5, s50
	s_wait_alu 0xfffe
	s_sub_co_i32 s5, s60, s5
	s_wait_alu 0xfffe
	s_sub_co_i32 s12, s5, s50
	s_cmp_ge_u32 s5, s50
	s_wait_alu 0xfffe
	s_cselect_b32 s5, s12, s5
	s_wait_alu 0xfffe
	s_sub_co_i32 s12, s5, s50
	s_cmp_ge_u32 s5, s50
	s_wait_alu 0xfffe
	s_cselect_b32 s24, s12, s5
	s_wait_alu 0xfffe
	s_mov_b64 s[12:13], s[24:25]
.LBB55_200:                             ;   in Loop: Header=BB55_32 Depth=1
	s_wait_alu 0xfffe
	s_sub_nc_u64 s[12:13], s[60:61], s[12:13]
	s_mov_b32 s24, 0
	s_mov_b32 s5, 0
	s_mov_b32 s71, exec_lo
                                        ; implicit-def: $vgpr28
	s_wait_alu 0xfffe
	v_cmpx_gt_i64_e64 s[12:13], v[0:1]
	s_cbranch_execz .LBB55_212
; %bb.201:                              ;   in Loop: Header=BB55_32 Depth=1
	v_dual_mov_b32 v4, v10 :: v_dual_mov_b32 v5, v11
	v_dual_mov_b32 v7, v1 :: v_dual_mov_b32 v6, v0
	s_mov_b32 s72, 0
                                        ; implicit-def: $sgpr73
	s_branch .LBB55_205
.LBB55_202:                             ;   in Loop: Header=BB55_205 Depth=2
	s_wait_alu 0xfffe
	s_or_b32 exec_lo, exec_lo, s5
	s_wait_loadcnt_dscnt 0x0
	s_barrier_signal -1
	s_barrier_wait -1
	global_inv scope:SCOPE_SE
	ds_load_b64 v[27:28], v13 offset:3072
	s_wait_loadcnt_dscnt 0x0
	s_barrier_signal -1
	s_barrier_wait -1
	global_inv scope:SCOPE_SE
	v_cmp_neq_f32_e32 vcc_lo, 0, v27
	s_cbranch_vccnz .LBB55_208
; %bb.203:                              ;   in Loop: Header=BB55_205 Depth=2
	v_add_co_u32 v6, vcc_lo, v6, s50
	s_wait_alu 0xfffd
	v_add_co_ci_u32_e64 v7, null, 0, v7, vcc_lo
	v_add_co_u32 v4, s5, v4, s52
	s_wait_alu 0xf1ff
	v_add_co_ci_u32_e64 v5, null, s53, v5, s5
	s_delay_alu instid0(VALU_DEP_3)
	v_cmp_le_i64_e32 vcc_lo, s[12:13], v[6:7]
	s_mov_b32 s5, 0
	s_or_not1_b32 s74, vcc_lo, exec_lo
.LBB55_204:                             ;   in Loop: Header=BB55_205 Depth=2
	s_wait_alu 0xfffe
	s_and_b32 s74, exec_lo, s74
	s_wait_alu 0xfffe
	s_or_b32 s72, s74, s72
	s_and_not1_b32 s73, s73, exec_lo
	s_and_b32 s5, s5, exec_lo
	s_wait_alu 0xfffe
	s_or_b32 s73, s73, s5
	s_and_not1_b32 exec_lo, exec_lo, s72
	s_cbranch_execz .LBB55_211
.LBB55_205:                             ;   Parent Loop BB55_32 Depth=1
                                        ; =>  This Inner Loop Header: Depth=2
	s_mov_b32 s5, exec_lo
	s_delay_alu instid0(VALU_DEP_1)
	v_cmpx_gt_i64_e64 s[36:37], v[6:7]
	s_cbranch_execz .LBB55_202
; %bb.206:                              ;   in Loop: Header=BB55_205 Depth=2
	global_load_b32 v27, v[4:5], off
	s_wait_loadcnt 0x0
	v_cmp_lt_i32_e32 vcc_lo, -1, v27
	s_wait_alu 0xfffd
	v_cndmask_b32_e64 v8, -1, 0x80000000, vcc_lo
	v_cmp_o_f32_e32 vcc_lo, v27, v27
	s_delay_alu instid0(VALU_DEP_2) | instskip(SKIP_1) | instid1(VALU_DEP_1)
	v_xor_b32_e32 v8, v8, v27
	s_wait_alu 0xfffd
	v_cndmask_b32_e32 v8, -1, v8, vcc_lo
	s_delay_alu instid0(VALU_DEP_1) | instskip(NEXT) | instid1(VALU_DEP_1)
	v_and_b32_e32 v8, v8, v52
	v_cmp_eq_u32_e32 vcc_lo, v8, v47
	s_and_b32 exec_lo, exec_lo, vcc_lo
	s_cbranch_execz .LBB55_202
; %bb.207:                              ;   in Loop: Header=BB55_205 Depth=2
	ds_store_b64 v13, v[26:27] offset:3072
	s_branch .LBB55_202
.LBB55_208:                             ;   in Loop: Header=BB55_205 Depth=2
	s_mov_b32 s74, -1
	s_mov_b32 s5, -1
                                        ; implicit-def: $vgpr6_vgpr7
                                        ; implicit-def: $vgpr4_vgpr5
	s_branch .LBB55_204
.LBB55_209:                             ;   in Loop: Header=BB55_32 Depth=1
                                        ; implicit-def: $sgpr12_sgpr13
	s_branch .LBB55_151
.LBB55_210:                             ;   in Loop: Header=BB55_32 Depth=1
                                        ; implicit-def: $sgpr14_sgpr15
	s_branch .LBB55_168
.LBB55_211:                             ;   in Loop: Header=BB55_32 Depth=1
	s_or_b32 exec_lo, exec_lo, s72
	s_wait_alu 0xfffe
	s_and_b32 s5, s73, exec_lo
.LBB55_212:                             ;   in Loop: Header=BB55_32 Depth=1
	s_or_b32 exec_lo, exec_lo, s71
.LBB55_213:                             ;   in Loop: Header=BB55_32 Depth=1
	s_delay_alu instid0(SALU_CYCLE_1)
	s_and_b32 vcc_lo, exec_lo, s24
	s_wait_alu 0xfffe
	s_cbranch_vccz .LBB55_228
; %bb.214:                              ;   in Loop: Header=BB55_32 Depth=1
	s_add_nc_u64 s[12:13], s[10:11], s[58:59]
	s_mov_b32 s14, s25
	s_wait_alu 0xfffe
	s_mov_b32 s15, s13
	s_wait_alu 0xfffe
	s_cmp_lg_u64 s[14:15], 0
	s_cbranch_scc0 .LBB55_257
; %bb.215:                              ;   in Loop: Header=BB55_32 Depth=1
	s_add_nc_u64 s[14:15], s[50:51], 0
	s_wait_alu 0xfffe
	s_xor_b64 s[14:15], s[14:15], 0
	s_wait_alu 0xfffe
	s_cvt_f32_u32 s24, s14
	s_cvt_f32_u32 s71, s15
	s_sub_nc_u64 s[74:75], 0, s[14:15]
	s_wait_alu 0xfffe
	s_delay_alu instid0(SALU_CYCLE_1) | instskip(SKIP_1) | instid1(SALU_CYCLE_2)
	s_fmamk_f32 s24, s71, 0x4f800000, s24
	s_wait_alu 0xfffe
	v_s_rcp_f32 s24, s24
	s_delay_alu instid0(TRANS32_DEP_1) | instskip(SKIP_1) | instid1(SALU_CYCLE_2)
	s_mul_f32 s24, s24, 0x5f7ffffc
	s_wait_alu 0xfffe
	s_mul_f32 s71, s24, 0x2f800000
	s_wait_alu 0xfffe
	s_delay_alu instid0(SALU_CYCLE_2) | instskip(SKIP_1) | instid1(SALU_CYCLE_2)
	s_trunc_f32 s71, s71
	s_wait_alu 0xfffe
	s_fmamk_f32 s24, s71, 0xcf800000, s24
	s_cvt_u32_f32 s73, s71
	s_wait_alu 0xfffe
	s_delay_alu instid0(SALU_CYCLE_1) | instskip(SKIP_1) | instid1(SALU_CYCLE_2)
	s_cvt_u32_f32 s72, s24
	s_wait_alu 0xfffe
	s_mul_u64 s[76:77], s[74:75], s[72:73]
	s_wait_alu 0xfffe
	s_mul_hi_u32 s79, s72, s77
	s_mul_i32 s78, s72, s77
	s_mul_hi_u32 s24, s72, s76
	s_mul_i32 s80, s73, s76
	s_wait_alu 0xfffe
	s_add_nc_u64 s[78:79], s[24:25], s[78:79]
	s_mul_hi_u32 s71, s73, s76
	s_mul_hi_u32 s81, s73, s77
	s_wait_alu 0xfffe
	s_add_co_u32 s24, s78, s80
	s_add_co_ci_u32 s24, s79, s71
	s_mul_i32 s76, s73, s77
	s_add_co_ci_u32 s77, s81, 0
	s_wait_alu 0xfffe
	s_add_nc_u64 s[76:77], s[24:25], s[76:77]
	s_wait_alu 0xfffe
	s_add_co_u32 s72, s72, s76
	s_cselect_b32 s24, -1, 0
	s_wait_alu 0xfffe
	s_cmp_lg_u32 s24, 0
	s_add_co_ci_u32 s73, s73, s77
	s_wait_alu 0xfffe
	s_mul_u64 s[74:75], s[74:75], s[72:73]
	s_wait_alu 0xfffe
	s_mul_hi_u32 s77, s72, s75
	s_mul_i32 s76, s72, s75
	s_mul_hi_u32 s24, s72, s74
	s_mul_i32 s78, s73, s74
	s_wait_alu 0xfffe
	s_add_nc_u64 s[76:77], s[24:25], s[76:77]
	s_mul_hi_u32 s71, s73, s74
	s_mul_hi_u32 s79, s73, s75
	s_wait_alu 0xfffe
	s_add_co_u32 s24, s76, s78
	s_add_co_ci_u32 s24, s77, s71
	s_mul_i32 s74, s73, s75
	s_add_co_ci_u32 s75, s79, 0
	s_wait_alu 0xfffe
	s_add_nc_u64 s[74:75], s[24:25], s[74:75]
	s_wait_alu 0xfffe
	s_add_co_u32 s71, s72, s74
	s_cselect_b32 s24, -1, 0
	s_wait_alu 0xfffe
	s_cmp_lg_u32 s24, 0
	s_add_co_ci_u32 s78, s73, s75
	s_ashr_i32 s72, s13, 31
	s_wait_alu 0xfffe
	s_mov_b32 s73, s72
	s_wait_alu 0xfffe
	s_add_nc_u64 s[74:75], s[12:13], s[72:73]
	s_wait_alu 0xfffe
	s_xor_b64 s[74:75], s[74:75], s[72:73]
	s_wait_alu 0xfffe
	s_mul_hi_u32 s77, s74, s78
	s_mul_i32 s76, s74, s78
	s_mul_hi_u32 s24, s74, s71
	s_mul_hi_u32 s80, s75, s71
	s_mul_i32 s71, s75, s71
	s_wait_alu 0xfffe
	s_add_nc_u64 s[76:77], s[24:25], s[76:77]
	s_mul_hi_u32 s79, s75, s78
	s_wait_alu 0xfffe
	s_add_co_u32 s24, s76, s71
	s_add_co_ci_u32 s24, s77, s80
	s_mul_i32 s78, s75, s78
	s_add_co_ci_u32 s79, s79, 0
	s_wait_alu 0xfffe
	s_add_nc_u64 s[76:77], s[24:25], s[78:79]
	s_wait_alu 0xfffe
	s_mul_u64 s[76:77], s[14:15], s[76:77]
	s_wait_alu 0xfffe
	s_sub_co_u32 s24, s74, s76
	s_cselect_b32 s71, -1, 0
	s_sub_co_i32 s74, s75, s77
	s_wait_alu 0xfffe
	s_cmp_lg_u32 s71, 0
	s_sub_co_ci_u32 s74, s74, s15
	s_sub_co_u32 s76, s24, s14
	s_cselect_b32 s78, -1, 0
	s_wait_alu 0xfffe
	s_cmp_lg_u32 s78, 0
	s_sub_co_ci_u32 s79, s74, 0
	s_wait_alu 0xfffe
	s_cmp_ge_u32 s79, s15
	s_cselect_b32 s80, -1, 0
	s_cmp_ge_u32 s76, s14
	s_cselect_b32 s81, -1, 0
	s_cmp_eq_u32 s79, s15
	s_wait_alu 0xfffe
	s_cselect_b32 s80, s81, s80
	s_cmp_lg_u32 s78, 0
	s_sub_co_ci_u32 s74, s74, s15
	s_sub_co_u32 s78, s76, s14
	s_cselect_b32 s81, -1, 0
	s_wait_alu 0xfffe
	s_cmp_lg_u32 s81, 0
	s_sub_co_ci_u32 s74, s74, 0
	s_cmp_lg_u32 s80, 0
	s_cselect_b32 s76, s78, s76
	s_wait_alu 0xfffe
	s_cselect_b32 s74, s74, s79
	s_cmp_lg_u32 s71, 0
	s_sub_co_ci_u32 s71, s75, s77
	s_wait_alu 0xfffe
	s_cmp_ge_u32 s71, s15
	s_cselect_b32 s75, -1, 0
	s_cmp_ge_u32 s24, s14
	s_cselect_b32 s14, -1, 0
	s_cmp_eq_u32 s71, s15
	s_wait_alu 0xfffe
	s_cselect_b32 s14, s14, s75
	s_wait_alu 0xfffe
	s_cmp_lg_u32 s14, 0
	s_cselect_b32 s15, s74, s71
	s_cselect_b32 s14, s76, s24
	s_wait_alu 0xfffe
	s_xor_b64 s[14:15], s[14:15], s[72:73]
	s_wait_alu 0xfffe
	s_sub_nc_u64 s[14:15], s[14:15], s[72:73]
	s_cbranch_execnz .LBB55_217
.LBB55_216:                             ;   in Loop: Header=BB55_32 Depth=1
	v_cvt_f32_u32_e32 v4, s50
	s_sub_co_i32 s15, 0, s50
	s_delay_alu instid0(VALU_DEP_1) | instskip(NEXT) | instid1(TRANS32_DEP_1)
	v_rcp_iflag_f32_e32 v4, v4
	v_mul_f32_e32 v4, 0x4f7ffffe, v4
	s_delay_alu instid0(VALU_DEP_1) | instskip(NEXT) | instid1(VALU_DEP_1)
	v_cvt_u32_f32_e32 v4, v4
	v_readfirstlane_b32 s14, v4
	s_wait_alu 0xfffe
	s_mul_i32 s15, s15, s14
	s_wait_alu 0xfffe
	s_mul_hi_u32 s15, s14, s15
	s_wait_alu 0xfffe
	s_add_co_i32 s14, s14, s15
	s_wait_alu 0xfffe
	s_mul_hi_u32 s14, s12, s14
	s_wait_alu 0xfffe
	s_mul_i32 s14, s14, s50
	s_wait_alu 0xfffe
	s_sub_co_i32 s14, s12, s14
	s_wait_alu 0xfffe
	s_sub_co_i32 s15, s14, s50
	s_cmp_ge_u32 s14, s50
	s_wait_alu 0xfffe
	s_cselect_b32 s14, s15, s14
	s_wait_alu 0xfffe
	s_sub_co_i32 s15, s14, s50
	s_cmp_ge_u32 s14, s50
	s_wait_alu 0xfffe
	s_cselect_b32 s24, s15, s14
	s_wait_alu 0xfffe
	s_mov_b64 s[14:15], s[24:25]
.LBB55_217:                             ;   in Loop: Header=BB55_32 Depth=1
	s_wait_alu 0xfffe
	s_sub_nc_u64 s[12:13], s[12:13], s[14:15]
	s_mov_b32 s14, exec_lo
                                        ; implicit-def: $vgpr28
	s_wait_alu 0xfffe
	v_cmpx_gt_i64_e64 s[12:13], v[0:1]
	s_cbranch_execz .LBB55_227
; %bb.218:                              ;   in Loop: Header=BB55_32 Depth=1
	v_dual_mov_b32 v6, v14 :: v_dual_mov_b32 v5, v1
	v_mov_b32_e32 v4, v0
	s_mov_b32 s15, 0
                                        ; implicit-def: $sgpr24
	s_branch .LBB55_222
.LBB55_219:                             ;   in Loop: Header=BB55_222 Depth=2
	s_wait_alu 0xfffe
	s_or_b32 exec_lo, exec_lo, s71
	s_wait_loadcnt_dscnt 0x0
	s_barrier_signal -1
	s_barrier_wait -1
	global_inv scope:SCOPE_SE
	ds_load_b64 v[27:28], v13 offset:3072
	s_wait_loadcnt_dscnt 0x0
	s_barrier_signal -1
	s_barrier_wait -1
	global_inv scope:SCOPE_SE
	v_cmp_eq_f32_e32 vcc_lo, 0, v27
	s_cbranch_vccz .LBB55_225
; %bb.220:                              ;   in Loop: Header=BB55_222 Depth=2
	v_add_co_u32 v4, vcc_lo, v4, s50
	s_wait_alu 0xfffd
	v_add_co_ci_u32_e64 v5, null, 0, v5, vcc_lo
	v_add_nc_u32_e32 v6, s90, v6
	s_mov_b32 s71, 0
	s_delay_alu instid0(VALU_DEP_2)
	v_cmp_le_i64_e32 vcc_lo, s[12:13], v[4:5]
	s_or_not1_b32 s72, vcc_lo, exec_lo
.LBB55_221:                             ;   in Loop: Header=BB55_222 Depth=2
	s_wait_alu 0xfffe
	s_and_b32 s72, exec_lo, s72
	s_wait_alu 0xfffe
	s_or_b32 s15, s72, s15
	s_and_not1_b32 s24, s24, exec_lo
	s_and_b32 s71, s71, exec_lo
	s_wait_alu 0xfffe
	s_or_b32 s24, s24, s71
	s_and_not1_b32 exec_lo, exec_lo, s15
	s_cbranch_execz .LBB55_226
.LBB55_222:                             ;   Parent Loop BB55_32 Depth=1
                                        ; =>  This Inner Loop Header: Depth=2
	s_mov_b32 s71, exec_lo
	s_delay_alu instid0(VALU_DEP_1)
	v_cmpx_gt_u64_e64 s[10:11], v[4:5]
	s_cbranch_execz .LBB55_219
; %bb.223:                              ;   in Loop: Header=BB55_222 Depth=2
	ds_load_b32 v27, v6
	s_wait_dscnt 0x0
	v_cmp_lt_i32_e32 vcc_lo, -1, v27
	s_wait_alu 0xfffd
	v_cndmask_b32_e64 v7, -1, 0x80000000, vcc_lo
	v_cmp_o_f32_e32 vcc_lo, v27, v27
	s_delay_alu instid0(VALU_DEP_2) | instskip(SKIP_1) | instid1(VALU_DEP_1)
	v_xor_b32_e32 v7, v7, v27
	s_wait_alu 0xfffd
	v_cndmask_b32_e32 v7, -1, v7, vcc_lo
	s_delay_alu instid0(VALU_DEP_1) | instskip(NEXT) | instid1(VALU_DEP_1)
	v_and_b32_e32 v7, v7, v52
	v_cmp_eq_u32_e32 vcc_lo, v7, v47
	s_and_b32 exec_lo, exec_lo, vcc_lo
	s_cbranch_execz .LBB55_219
; %bb.224:                              ;   in Loop: Header=BB55_222 Depth=2
	ds_store_b64 v13, v[26:27] offset:3072
	s_branch .LBB55_219
.LBB55_225:                             ;   in Loop: Header=BB55_222 Depth=2
	s_mov_b32 s72, -1
	s_mov_b32 s71, -1
                                        ; implicit-def: $vgpr4_vgpr5
                                        ; implicit-def: $vgpr6
	s_branch .LBB55_221
.LBB55_226:                             ;   in Loop: Header=BB55_32 Depth=1
	s_or_b32 exec_lo, exec_lo, s15
	s_delay_alu instid0(SALU_CYCLE_1)
	s_and_not1_b32 s5, s5, exec_lo
	s_wait_alu 0xfffe
	s_and_b32 s10, s24, exec_lo
	s_wait_alu 0xfffe
	s_or_b32 s5, s5, s10
.LBB55_227:                             ;   in Loop: Header=BB55_32 Depth=1
	s_or_b32 exec_lo, exec_lo, s14
	s_mov_b32 s14, 0
	s_mov_b32 s15, -1
.LBB55_228:                             ;   in Loop: Header=BB55_32 Depth=1
	s_wait_alu 0xfffe
	s_or_not1_b32 s5, s5, exec_lo
.LBB55_229:                             ;   in Loop: Header=BB55_32 Depth=1
	s_wait_alu 0xfffe
	s_or_b32 exec_lo, exec_lo, s69
	s_mov_b32 s10, 0
	s_and_saveexec_b32 s69, s5
	s_cbranch_execz .LBB55_289
; %bb.230:                              ;   in Loop: Header=BB55_32 Depth=1
	v_mov_b32_e32 v4, 1
	v_dual_mov_b32 v5, 0 :: v_dual_mov_b32 v12, 1
	s_xor_b32 s11, s70, -1
	s_wait_alu 0xfffe
	s_and_saveexec_b32 s5, s11
	s_cbranch_execz .LBB55_239
; %bb.231:                              ;   in Loop: Header=BB55_32 Depth=1
	s_mov_b32 s10, exec_lo
	v_cmpx_ge_i64_e64 s[8:9], v[2:3]
	s_wait_alu 0xfffe
	s_xor_b32 s10, exec_lo, s10
	s_cbranch_execz .LBB55_236
; %bb.232:                              ;   in Loop: Header=BB55_32 Depth=1
	ds_load_b64 v[4:5], v13 offset:5120
	s_lshl_b32 s11, 2, s91
	v_or_b32_e32 v52, s16, v52
	s_wait_alu 0xfffe
	v_and_or_b32 v47, v47, s20, s11
	s_wait_dscnt 0x0
	v_cmp_ne_u64_e32 vcc_lo, 0, v[4:5]
	s_cbranch_vccnz .LBB55_236
; %bb.233:                              ;   in Loop: Header=BB55_32 Depth=1
	s_and_saveexec_b32 s11, s2
; %bb.234:                              ;   in Loop: Header=BB55_32 Depth=1
	v_dual_mov_b32 v4, s8 :: v_dual_mov_b32 v5, s9
	ds_store_b64 v13, v[4:5] offset:5128
; %bb.235:                              ;   in Loop: Header=BB55_32 Depth=1
	s_wait_alu 0xfffe
	s_or_b32 exec_lo, exec_lo, s11
	s_wait_loadcnt_dscnt 0x0
	s_barrier_signal -1
	s_barrier_wait -1
	global_inv scope:SCOPE_SE
.LBB55_236:                             ;   in Loop: Header=BB55_32 Depth=1
	s_wait_alu 0xfffe
	s_or_saveexec_b32 s10, s10
	v_mov_b32_e32 v12, 8
	s_mov_b32 s11, 0
	s_wait_alu 0xfffe
	s_xor_b32 exec_lo, exec_lo, s10
; %bb.237:                              ;   in Loop: Header=BB55_32 Depth=1
	v_sub_co_u32 v2, vcc_lo, v2, s8
	s_wait_alu 0xfffd
	v_subrev_co_ci_u32_e64 v3, null, s9, v3, vcc_lo
	v_mov_b32_e32 v12, 0
	s_mov_b32 s11, exec_lo
; %bb.238:                              ;   in Loop: Header=BB55_32 Depth=1
	s_or_b32 exec_lo, exec_lo, s10
	s_delay_alu instid0(VALU_DEP_2)
	v_dual_mov_b32 v5, v3 :: v_dual_mov_b32 v4, v2
	s_wait_alu 0xfffe
	s_and_b32 s10, s11, exec_lo
.LBB55_239:                             ;   in Loop: Header=BB55_32 Depth=1
	s_wait_alu 0xfffe
	s_or_b32 exec_lo, exec_lo, s5
	s_mov_b32 s5, -1
                                        ; implicit-def: $sgpr13
                                        ; implicit-def: $sgpr12
	s_and_saveexec_b32 s20, s10
	s_cbranch_execz .LBB55_288
; %bb.240:                              ;   in Loop: Header=BB55_32 Depth=1
	v_cmp_eq_u64_e32 vcc_lo, 1, v[4:5]
	s_cmp_eq_u64 s[6:7], 1
	s_mov_b32 s8, -1
	s_cselect_b32 s5, -1, 0
                                        ; implicit-def: $sgpr13
                                        ; implicit-def: $sgpr12
	s_wait_alu 0xfffe
	s_and_b32 s70, s5, vcc_lo
	s_wait_alu 0xfffe
	s_and_saveexec_b32 s71, s70
	s_cbranch_execz .LBB55_276
; %bb.241:                              ;   in Loop: Header=BB55_32 Depth=1
	ds_load_b64 v[2:3], v13 offset:5120
	s_wait_loadcnt_dscnt 0x0
	s_barrier_signal -1
	s_barrier_wait -1
	global_inv scope:SCOPE_SE
	v_readfirstlane_b32 s8, v2
	v_readfirstlane_b32 s9, v3
	s_and_saveexec_b32 s5, s3
; %bb.242:                              ;   in Loop: Header=BB55_32 Depth=1
	ds_store_b32 v42, v13
; %bb.243:                              ;   in Loop: Header=BB55_32 Depth=1
	s_wait_alu 0xfffe
	s_or_b32 exec_lo, exec_lo, s5
	v_cmp_gt_i64_e64 s5, s[8:9], 0
	v_or_b32_e32 v47, s16, v47
	v_or_b32_e32 v52, s16, v52
	s_mov_b32 s12, -1
	s_mov_b32 s13, 0
	s_mov_b32 s24, -1
	s_and_b32 vcc_lo, exec_lo, s5
	s_mov_b32 s5, 0
	s_wait_loadcnt_dscnt 0x0
	s_barrier_signal -1
	s_barrier_wait -1
	global_inv scope:SCOPE_SE
                                        ; implicit-def: $vgpr28
	s_wait_alu 0xfffe
	s_cbranch_vccnz .LBB55_260
; %bb.244:                              ;   in Loop: Header=BB55_32 Depth=1
	s_mov_b32 s10, s25
	s_mov_b32 s11, s61
	s_wait_alu 0xfffe
	s_cmp_lg_u64 s[10:11], 0
	s_cbranch_scc0 .LBB55_295
; %bb.245:                              ;   in Loop: Header=BB55_32 Depth=1
	s_add_nc_u64 s[10:11], s[50:51], 0
	s_wait_alu 0xfffe
	s_xor_b64 s[10:11], s[10:11], 0
	s_wait_alu 0xfffe
	s_cvt_f32_u32 s5, s10
	s_cvt_f32_u32 s24, s11
	s_sub_nc_u64 s[74:75], 0, s[10:11]
	s_wait_alu 0xfffe
	s_delay_alu instid0(SALU_CYCLE_1) | instskip(SKIP_1) | instid1(SALU_CYCLE_2)
	s_fmamk_f32 s5, s24, 0x4f800000, s5
	s_wait_alu 0xfffe
	v_s_rcp_f32 s5, s5
	s_delay_alu instid0(TRANS32_DEP_1) | instskip(SKIP_1) | instid1(SALU_CYCLE_2)
	s_mul_f32 s5, s5, 0x5f7ffffc
	s_wait_alu 0xfffe
	s_mul_f32 s24, s5, 0x2f800000
	s_wait_alu 0xfffe
	s_delay_alu instid0(SALU_CYCLE_2) | instskip(SKIP_1) | instid1(SALU_CYCLE_2)
	s_trunc_f32 s24, s24
	s_wait_alu 0xfffe
	s_fmamk_f32 s5, s24, 0xcf800000, s5
	s_cvt_u32_f32 s73, s24
	s_wait_alu 0xfffe
	s_delay_alu instid0(SALU_CYCLE_1) | instskip(SKIP_1) | instid1(SALU_CYCLE_2)
	s_cvt_u32_f32 s72, s5
	s_wait_alu 0xfffe
	s_mul_u64 s[76:77], s[74:75], s[72:73]
	s_wait_alu 0xfffe
	s_mul_hi_u32 s79, s72, s77
	s_mul_i32 s78, s72, s77
	s_mul_hi_u32 s24, s72, s76
	s_mul_i32 s80, s73, s76
	s_wait_alu 0xfffe
	s_add_nc_u64 s[78:79], s[24:25], s[78:79]
	s_mul_hi_u32 s5, s73, s76
	s_mul_hi_u32 s81, s73, s77
	s_wait_alu 0xfffe
	s_add_co_u32 s24, s78, s80
	s_add_co_ci_u32 s24, s79, s5
	s_mul_i32 s76, s73, s77
	s_add_co_ci_u32 s77, s81, 0
	s_wait_alu 0xfffe
	s_add_nc_u64 s[76:77], s[24:25], s[76:77]
	s_wait_alu 0xfffe
	s_add_co_u32 s72, s72, s76
	s_cselect_b32 s5, -1, 0
	s_wait_alu 0xfffe
	s_cmp_lg_u32 s5, 0
	s_add_co_ci_u32 s73, s73, s77
	s_wait_alu 0xfffe
	s_mul_u64 s[74:75], s[74:75], s[72:73]
	s_wait_alu 0xfffe
	s_mul_hi_u32 s77, s72, s75
	s_mul_i32 s76, s72, s75
	s_mul_hi_u32 s24, s72, s74
	s_mul_i32 s78, s73, s74
	s_wait_alu 0xfffe
	s_add_nc_u64 s[76:77], s[24:25], s[76:77]
	s_mul_hi_u32 s5, s73, s74
	s_mul_hi_u32 s79, s73, s75
	s_wait_alu 0xfffe
	s_add_co_u32 s24, s76, s78
	s_add_co_ci_u32 s24, s77, s5
	s_mul_i32 s74, s73, s75
	s_add_co_ci_u32 s75, s79, 0
	s_wait_alu 0xfffe
	s_add_nc_u64 s[74:75], s[24:25], s[74:75]
	s_wait_alu 0xfffe
	s_add_co_u32 s5, s72, s74
	s_cselect_b32 s24, -1, 0
	s_wait_alu 0xfffe
	s_cmp_lg_u32 s24, 0
	s_add_co_ci_u32 s78, s73, s75
	s_ashr_i32 s72, s61, 31
	s_wait_alu 0xfffe
	s_mov_b32 s73, s72
	s_wait_alu 0xfffe
	s_add_nc_u64 s[74:75], s[60:61], s[72:73]
	s_wait_alu 0xfffe
	s_xor_b64 s[74:75], s[74:75], s[72:73]
	s_wait_alu 0xfffe
	s_mul_hi_u32 s77, s74, s78
	s_mul_i32 s76, s74, s78
	s_mul_hi_u32 s24, s74, s5
	s_mul_hi_u32 s80, s75, s5
	s_mul_i32 s5, s75, s5
	s_wait_alu 0xfffe
	s_add_nc_u64 s[76:77], s[24:25], s[76:77]
	s_mul_hi_u32 s79, s75, s78
	s_wait_alu 0xfffe
	s_add_co_u32 s5, s76, s5
	s_add_co_ci_u32 s24, s77, s80
	s_mul_i32 s78, s75, s78
	s_add_co_ci_u32 s79, s79, 0
	s_wait_alu 0xfffe
	s_add_nc_u64 s[76:77], s[24:25], s[78:79]
	s_wait_alu 0xfffe
	s_mul_u64 s[76:77], s[10:11], s[76:77]
	s_wait_alu 0xfffe
	s_sub_co_u32 s5, s74, s76
	s_cselect_b32 s24, -1, 0
	s_sub_co_i32 s74, s75, s77
	s_wait_alu 0xfffe
	s_cmp_lg_u32 s24, 0
	s_sub_co_ci_u32 s74, s74, s11
	s_sub_co_u32 s76, s5, s10
	s_cselect_b32 s78, -1, 0
	s_wait_alu 0xfffe
	s_cmp_lg_u32 s78, 0
	s_sub_co_ci_u32 s79, s74, 0
	s_wait_alu 0xfffe
	s_cmp_ge_u32 s79, s11
	s_cselect_b32 s80, -1, 0
	s_cmp_ge_u32 s76, s10
	s_cselect_b32 s81, -1, 0
	s_cmp_eq_u32 s79, s11
	s_wait_alu 0xfffe
	s_cselect_b32 s80, s81, s80
	s_cmp_lg_u32 s78, 0
	s_sub_co_ci_u32 s74, s74, s11
	s_sub_co_u32 s78, s76, s10
	s_cselect_b32 s81, -1, 0
	s_wait_alu 0xfffe
	s_cmp_lg_u32 s81, 0
	s_sub_co_ci_u32 s74, s74, 0
	s_cmp_lg_u32 s80, 0
	s_cselect_b32 s76, s78, s76
	s_wait_alu 0xfffe
	s_cselect_b32 s74, s74, s79
	s_cmp_lg_u32 s24, 0
	s_sub_co_ci_u32 s24, s75, s77
	s_wait_alu 0xfffe
	s_cmp_ge_u32 s24, s11
	s_cselect_b32 s75, -1, 0
	s_cmp_ge_u32 s5, s10
	s_cselect_b32 s10, -1, 0
	s_cmp_eq_u32 s24, s11
	s_wait_alu 0xfffe
	s_cselect_b32 s10, s10, s75
	s_wait_alu 0xfffe
	s_cmp_lg_u32 s10, 0
	s_cselect_b32 s11, s74, s24
	s_cselect_b32 s10, s76, s5
	s_wait_alu 0xfffe
	s_xor_b64 s[10:11], s[10:11], s[72:73]
	s_wait_alu 0xfffe
	s_sub_nc_u64 s[10:11], s[10:11], s[72:73]
	s_cbranch_execnz .LBB55_247
.LBB55_246:                             ;   in Loop: Header=BB55_32 Depth=1
	v_cvt_f32_u32_e32 v2, s50
	s_sub_co_i32 s10, 0, s50
	s_delay_alu instid0(VALU_DEP_1) | instskip(NEXT) | instid1(TRANS32_DEP_1)
	v_rcp_iflag_f32_e32 v2, v2
	v_mul_f32_e32 v2, 0x4f7ffffe, v2
	s_delay_alu instid0(VALU_DEP_1) | instskip(NEXT) | instid1(VALU_DEP_1)
	v_cvt_u32_f32_e32 v2, v2
	v_readfirstlane_b32 s5, v2
	s_wait_alu 0xfffe
	s_mul_i32 s10, s10, s5
	s_wait_alu 0xfffe
	s_mul_hi_u32 s10, s5, s10
	s_wait_alu 0xfffe
	s_add_co_i32 s5, s5, s10
	s_wait_alu 0xfffe
	s_mul_hi_u32 s5, s60, s5
	s_wait_alu 0xfffe
	s_mul_i32 s5, s5, s50
	s_wait_alu 0xfffe
	s_sub_co_i32 s5, s60, s5
	s_wait_alu 0xfffe
	s_sub_co_i32 s10, s5, s50
	s_cmp_ge_u32 s5, s50
	s_wait_alu 0xfffe
	s_cselect_b32 s5, s10, s5
	s_wait_alu 0xfffe
	s_sub_co_i32 s10, s5, s50
	s_cmp_ge_u32 s5, s50
	s_wait_alu 0xfffe
	s_cselect_b32 s24, s10, s5
	s_wait_alu 0xfffe
	s_mov_b64 s[10:11], s[24:25]
.LBB55_247:                             ;   in Loop: Header=BB55_32 Depth=1
	s_wait_alu 0xfffe
	s_sub_nc_u64 s[10:11], s[60:61], s[10:11]
	s_mov_b32 s24, 0
	s_mov_b32 s5, 0
	s_mov_b32 s72, exec_lo
                                        ; implicit-def: $vgpr28
	s_wait_alu 0xfffe
	v_cmpx_gt_i64_e64 s[10:11], v[0:1]
	s_cbranch_execz .LBB55_259
; %bb.248:                              ;   in Loop: Header=BB55_32 Depth=1
	v_dual_mov_b32 v2, v10 :: v_dual_mov_b32 v3, v11
	v_dual_mov_b32 v7, v1 :: v_dual_mov_b32 v6, v0
	s_mov_b32 s73, 0
                                        ; implicit-def: $sgpr74
	s_branch .LBB55_252
.LBB55_249:                             ;   in Loop: Header=BB55_252 Depth=2
	s_wait_alu 0xfffe
	s_or_b32 exec_lo, exec_lo, s5
	s_wait_loadcnt_dscnt 0x0
	s_barrier_signal -1
	s_barrier_wait -1
	global_inv scope:SCOPE_SE
	ds_load_b64 v[27:28], v13 offset:3072
	s_wait_loadcnt_dscnt 0x0
	s_barrier_signal -1
	s_barrier_wait -1
	global_inv scope:SCOPE_SE
	v_cmp_neq_f32_e32 vcc_lo, 0, v27
	s_cbranch_vccnz .LBB55_255
; %bb.250:                              ;   in Loop: Header=BB55_252 Depth=2
	v_add_co_u32 v6, vcc_lo, v6, s50
	s_wait_alu 0xfffd
	v_add_co_ci_u32_e64 v7, null, 0, v7, vcc_lo
	v_add_co_u32 v2, s5, v2, s52
	s_wait_alu 0xf1ff
	v_add_co_ci_u32_e64 v3, null, s53, v3, s5
	s_delay_alu instid0(VALU_DEP_3)
	v_cmp_le_i64_e32 vcc_lo, s[10:11], v[6:7]
	s_mov_b32 s5, 0
	s_or_not1_b32 s75, vcc_lo, exec_lo
.LBB55_251:                             ;   in Loop: Header=BB55_252 Depth=2
	s_wait_alu 0xfffe
	s_and_b32 s75, exec_lo, s75
	s_wait_alu 0xfffe
	s_or_b32 s73, s75, s73
	s_and_not1_b32 s74, s74, exec_lo
	s_and_b32 s5, s5, exec_lo
	s_wait_alu 0xfffe
	s_or_b32 s74, s74, s5
	s_and_not1_b32 exec_lo, exec_lo, s73
	s_cbranch_execz .LBB55_258
.LBB55_252:                             ;   Parent Loop BB55_32 Depth=1
                                        ; =>  This Inner Loop Header: Depth=2
	s_mov_b32 s5, exec_lo
	s_delay_alu instid0(VALU_DEP_1)
	v_cmpx_gt_i64_e64 s[36:37], v[6:7]
	s_cbranch_execz .LBB55_249
; %bb.253:                              ;   in Loop: Header=BB55_252 Depth=2
	global_load_b32 v27, v[2:3], off
	s_wait_loadcnt 0x0
	v_cmp_lt_i32_e32 vcc_lo, -1, v27
	s_wait_alu 0xfffd
	v_cndmask_b32_e64 v8, -1, 0x80000000, vcc_lo
	v_cmp_o_f32_e32 vcc_lo, v27, v27
	s_delay_alu instid0(VALU_DEP_2) | instskip(SKIP_1) | instid1(VALU_DEP_1)
	v_xor_b32_e32 v8, v8, v27
	s_wait_alu 0xfffd
	v_cndmask_b32_e32 v8, -1, v8, vcc_lo
	s_delay_alu instid0(VALU_DEP_1) | instskip(NEXT) | instid1(VALU_DEP_1)
	v_and_b32_e32 v8, v8, v52
	v_cmp_eq_u32_e32 vcc_lo, v8, v47
	s_and_b32 exec_lo, exec_lo, vcc_lo
	s_cbranch_execz .LBB55_249
; %bb.254:                              ;   in Loop: Header=BB55_252 Depth=2
	ds_store_b64 v13, v[26:27] offset:3072
	s_branch .LBB55_249
.LBB55_255:                             ;   in Loop: Header=BB55_252 Depth=2
	s_mov_b32 s75, -1
	s_mov_b32 s5, -1
                                        ; implicit-def: $vgpr6_vgpr7
                                        ; implicit-def: $vgpr2_vgpr3
	s_branch .LBB55_251
.LBB55_256:                             ;   in Loop: Header=BB55_32 Depth=1
                                        ; implicit-def: $sgpr12_sgpr13
	s_branch .LBB55_199
.LBB55_257:                             ;   in Loop: Header=BB55_32 Depth=1
                                        ; implicit-def: $sgpr14_sgpr15
	s_branch .LBB55_216
.LBB55_258:                             ;   in Loop: Header=BB55_32 Depth=1
	s_or_b32 exec_lo, exec_lo, s73
	s_wait_alu 0xfffe
	s_and_b32 s5, s74, exec_lo
.LBB55_259:                             ;   in Loop: Header=BB55_32 Depth=1
	s_or_b32 exec_lo, exec_lo, s72
.LBB55_260:                             ;   in Loop: Header=BB55_32 Depth=1
	s_delay_alu instid0(SALU_CYCLE_1)
	s_and_b32 vcc_lo, exec_lo, s24
	s_wait_alu 0xfffe
	s_cbranch_vccz .LBB55_275
; %bb.261:                              ;   in Loop: Header=BB55_32 Depth=1
	s_add_nc_u64 s[10:11], s[8:9], s[58:59]
	s_mov_b32 s12, s25
	s_wait_alu 0xfffe
	s_mov_b32 s13, s11
	s_wait_alu 0xfffe
	s_cmp_lg_u64 s[12:13], 0
	s_cbranch_scc0 .LBB55_296
; %bb.262:                              ;   in Loop: Header=BB55_32 Depth=1
	s_add_nc_u64 s[12:13], s[50:51], 0
	s_wait_alu 0xfffe
	s_xor_b64 s[12:13], s[12:13], 0
	s_wait_alu 0xfffe
	s_cvt_f32_u32 s24, s12
	s_cvt_f32_u32 s72, s13
	s_sub_nc_u64 s[74:75], 0, s[12:13]
	s_wait_alu 0xfffe
	s_delay_alu instid0(SALU_CYCLE_1) | instskip(SKIP_1) | instid1(SALU_CYCLE_2)
	s_fmamk_f32 s24, s72, 0x4f800000, s24
	s_wait_alu 0xfffe
	v_s_rcp_f32 s24, s24
	s_delay_alu instid0(TRANS32_DEP_1) | instskip(SKIP_1) | instid1(SALU_CYCLE_2)
	s_mul_f32 s24, s24, 0x5f7ffffc
	s_wait_alu 0xfffe
	s_mul_f32 s72, s24, 0x2f800000
	s_wait_alu 0xfffe
	s_delay_alu instid0(SALU_CYCLE_2) | instskip(SKIP_1) | instid1(SALU_CYCLE_2)
	s_trunc_f32 s72, s72
	s_wait_alu 0xfffe
	s_fmamk_f32 s24, s72, 0xcf800000, s24
	s_cvt_u32_f32 s73, s72
	s_wait_alu 0xfffe
	s_delay_alu instid0(SALU_CYCLE_1) | instskip(SKIP_1) | instid1(SALU_CYCLE_2)
	s_cvt_u32_f32 s72, s24
	s_wait_alu 0xfffe
	s_mul_u64 s[76:77], s[74:75], s[72:73]
	s_wait_alu 0xfffe
	s_mul_hi_u32 s79, s72, s77
	s_mul_i32 s78, s72, s77
	s_mul_hi_u32 s24, s72, s76
	s_mul_i32 s81, s73, s76
	s_wait_alu 0xfffe
	s_add_nc_u64 s[78:79], s[24:25], s[78:79]
	s_mul_hi_u32 s80, s73, s76
	s_mul_hi_u32 s82, s73, s77
	s_wait_alu 0xfffe
	s_add_co_u32 s24, s78, s81
	s_add_co_ci_u32 s24, s79, s80
	s_mul_i32 s76, s73, s77
	s_add_co_ci_u32 s77, s82, 0
	s_wait_alu 0xfffe
	s_add_nc_u64 s[76:77], s[24:25], s[76:77]
	s_wait_alu 0xfffe
	s_add_co_u32 s72, s72, s76
	s_cselect_b32 s24, -1, 0
	s_wait_alu 0xfffe
	s_cmp_lg_u32 s24, 0
	s_add_co_ci_u32 s73, s73, s77
	s_wait_alu 0xfffe
	s_mul_u64 s[74:75], s[74:75], s[72:73]
	s_wait_alu 0xfffe
	s_mul_hi_u32 s77, s72, s75
	s_mul_i32 s76, s72, s75
	s_mul_hi_u32 s24, s72, s74
	s_mul_i32 s79, s73, s74
	s_wait_alu 0xfffe
	s_add_nc_u64 s[76:77], s[24:25], s[76:77]
	s_mul_hi_u32 s78, s73, s74
	s_mul_hi_u32 s80, s73, s75
	s_wait_alu 0xfffe
	s_add_co_u32 s24, s76, s79
	s_add_co_ci_u32 s24, s77, s78
	s_mul_i32 s74, s73, s75
	s_add_co_ci_u32 s75, s80, 0
	s_wait_alu 0xfffe
	s_add_nc_u64 s[74:75], s[24:25], s[74:75]
	s_wait_alu 0xfffe
	s_add_co_u32 s78, s72, s74
	s_cselect_b32 s24, -1, 0
	s_wait_alu 0xfffe
	s_cmp_lg_u32 s24, 0
	s_add_co_ci_u32 s79, s73, s75
	s_ashr_i32 s72, s11, 31
	s_wait_alu 0xfffe
	s_mov_b32 s73, s72
	s_wait_alu 0xfffe
	s_add_nc_u64 s[74:75], s[10:11], s[72:73]
	s_wait_alu 0xfffe
	s_xor_b64 s[74:75], s[74:75], s[72:73]
	s_wait_alu 0xfffe
	s_mul_hi_u32 s77, s74, s79
	s_mul_i32 s76, s74, s79
	s_mul_hi_u32 s24, s74, s78
	s_mul_i32 s82, s75, s78
	s_wait_alu 0xfffe
	s_add_nc_u64 s[76:77], s[24:25], s[76:77]
	s_mul_hi_u32 s81, s75, s78
	s_mul_hi_u32 s80, s75, s79
	s_wait_alu 0xfffe
	s_add_co_u32 s24, s76, s82
	s_add_co_ci_u32 s24, s77, s81
	s_mul_i32 s78, s75, s79
	s_add_co_ci_u32 s79, s80, 0
	s_wait_alu 0xfffe
	s_add_nc_u64 s[76:77], s[24:25], s[78:79]
	s_wait_alu 0xfffe
	s_mul_u64 s[76:77], s[12:13], s[76:77]
	s_wait_alu 0xfffe
	s_sub_co_u32 s24, s74, s76
	s_cselect_b32 s74, -1, 0
	s_sub_co_i32 s76, s75, s77
	s_wait_alu 0xfffe
	s_cmp_lg_u32 s74, 0
	s_sub_co_ci_u32 s76, s76, s13
	s_sub_co_u32 s78, s24, s12
	s_cselect_b32 s79, -1, 0
	s_wait_alu 0xfffe
	s_cmp_lg_u32 s79, 0
	s_sub_co_ci_u32 s80, s76, 0
	s_wait_alu 0xfffe
	s_cmp_ge_u32 s80, s13
	s_cselect_b32 s81, -1, 0
	s_cmp_ge_u32 s78, s12
	s_cselect_b32 s82, -1, 0
	s_cmp_eq_u32 s80, s13
	s_wait_alu 0xfffe
	s_cselect_b32 s81, s82, s81
	s_cmp_lg_u32 s79, 0
	s_sub_co_ci_u32 s76, s76, s13
	s_sub_co_u32 s79, s78, s12
	s_cselect_b32 s82, -1, 0
	s_wait_alu 0xfffe
	s_cmp_lg_u32 s82, 0
	s_sub_co_ci_u32 s76, s76, 0
	s_cmp_lg_u32 s81, 0
	s_cselect_b32 s78, s79, s78
	s_wait_alu 0xfffe
	s_cselect_b32 s76, s76, s80
	s_cmp_lg_u32 s74, 0
	s_sub_co_ci_u32 s74, s75, s77
	s_wait_alu 0xfffe
	s_cmp_ge_u32 s74, s13
	s_cselect_b32 s75, -1, 0
	s_cmp_ge_u32 s24, s12
	s_cselect_b32 s12, -1, 0
	s_cmp_eq_u32 s74, s13
	s_wait_alu 0xfffe
	s_cselect_b32 s12, s12, s75
	s_wait_alu 0xfffe
	s_cmp_lg_u32 s12, 0
	s_cselect_b32 s13, s76, s74
	s_cselect_b32 s12, s78, s24
	s_wait_alu 0xfffe
	s_xor_b64 s[12:13], s[12:13], s[72:73]
	s_wait_alu 0xfffe
	s_sub_nc_u64 s[12:13], s[12:13], s[72:73]
	s_cbranch_execnz .LBB55_264
.LBB55_263:                             ;   in Loop: Header=BB55_32 Depth=1
	v_cvt_f32_u32_e32 v2, s50
	s_sub_co_i32 s13, 0, s50
	s_delay_alu instid0(VALU_DEP_1) | instskip(NEXT) | instid1(TRANS32_DEP_1)
	v_rcp_iflag_f32_e32 v2, v2
	v_mul_f32_e32 v2, 0x4f7ffffe, v2
	s_delay_alu instid0(VALU_DEP_1) | instskip(NEXT) | instid1(VALU_DEP_1)
	v_cvt_u32_f32_e32 v2, v2
	v_readfirstlane_b32 s12, v2
	s_wait_alu 0xfffe
	s_mul_i32 s13, s13, s12
	s_wait_alu 0xfffe
	s_mul_hi_u32 s13, s12, s13
	s_wait_alu 0xfffe
	s_add_co_i32 s12, s12, s13
	s_wait_alu 0xfffe
	s_mul_hi_u32 s12, s10, s12
	s_wait_alu 0xfffe
	s_mul_i32 s12, s12, s50
	s_wait_alu 0xfffe
	s_sub_co_i32 s12, s10, s12
	s_wait_alu 0xfffe
	s_sub_co_i32 s13, s12, s50
	s_cmp_ge_u32 s12, s50
	s_wait_alu 0xfffe
	s_cselect_b32 s12, s13, s12
	s_wait_alu 0xfffe
	s_sub_co_i32 s13, s12, s50
	s_cmp_ge_u32 s12, s50
	s_wait_alu 0xfffe
	s_cselect_b32 s24, s13, s12
	s_wait_alu 0xfffe
	s_mov_b64 s[12:13], s[24:25]
.LBB55_264:                             ;   in Loop: Header=BB55_32 Depth=1
	s_wait_alu 0xfffe
	s_sub_nc_u64 s[10:11], s[10:11], s[12:13]
	s_mov_b32 s12, exec_lo
                                        ; implicit-def: $vgpr28
	s_wait_alu 0xfffe
	v_cmpx_gt_i64_e64 s[10:11], v[0:1]
	s_cbranch_execz .LBB55_274
; %bb.265:                              ;   in Loop: Header=BB55_32 Depth=1
	v_dual_mov_b32 v6, v14 :: v_dual_mov_b32 v3, v1
	v_mov_b32_e32 v2, v0
	s_mov_b32 s13, 0
                                        ; implicit-def: $sgpr24
	s_branch .LBB55_269
.LBB55_266:                             ;   in Loop: Header=BB55_269 Depth=2
	s_wait_alu 0xfffe
	s_or_b32 exec_lo, exec_lo, s72
	s_wait_loadcnt_dscnt 0x0
	s_barrier_signal -1
	s_barrier_wait -1
	global_inv scope:SCOPE_SE
	ds_load_b64 v[27:28], v13 offset:3072
	s_wait_loadcnt_dscnt 0x0
	s_barrier_signal -1
	s_barrier_wait -1
	global_inv scope:SCOPE_SE
	v_cmp_eq_f32_e32 vcc_lo, 0, v27
	s_cbranch_vccz .LBB55_272
; %bb.267:                              ;   in Loop: Header=BB55_269 Depth=2
	v_add_co_u32 v2, vcc_lo, v2, s50
	s_wait_alu 0xfffd
	v_add_co_ci_u32_e64 v3, null, 0, v3, vcc_lo
	v_add_nc_u32_e32 v6, s90, v6
	s_mov_b32 s72, 0
	s_delay_alu instid0(VALU_DEP_2)
	v_cmp_le_i64_e32 vcc_lo, s[10:11], v[2:3]
	s_or_not1_b32 s73, vcc_lo, exec_lo
.LBB55_268:                             ;   in Loop: Header=BB55_269 Depth=2
	s_wait_alu 0xfffe
	s_and_b32 s73, exec_lo, s73
	s_wait_alu 0xfffe
	s_or_b32 s13, s73, s13
	s_and_not1_b32 s24, s24, exec_lo
	s_and_b32 s72, s72, exec_lo
	s_wait_alu 0xfffe
	s_or_b32 s24, s24, s72
	s_and_not1_b32 exec_lo, exec_lo, s13
	s_cbranch_execz .LBB55_273
.LBB55_269:                             ;   Parent Loop BB55_32 Depth=1
                                        ; =>  This Inner Loop Header: Depth=2
	s_mov_b32 s72, exec_lo
	s_delay_alu instid0(VALU_DEP_1)
	v_cmpx_gt_u64_e64 s[8:9], v[2:3]
	s_cbranch_execz .LBB55_266
; %bb.270:                              ;   in Loop: Header=BB55_269 Depth=2
	ds_load_b32 v27, v6
	s_wait_dscnt 0x0
	v_cmp_lt_i32_e32 vcc_lo, -1, v27
	s_wait_alu 0xfffd
	v_cndmask_b32_e64 v7, -1, 0x80000000, vcc_lo
	v_cmp_o_f32_e32 vcc_lo, v27, v27
	s_delay_alu instid0(VALU_DEP_2) | instskip(SKIP_1) | instid1(VALU_DEP_1)
	v_xor_b32_e32 v7, v7, v27
	s_wait_alu 0xfffd
	v_cndmask_b32_e32 v7, -1, v7, vcc_lo
	s_delay_alu instid0(VALU_DEP_1) | instskip(NEXT) | instid1(VALU_DEP_1)
	v_and_b32_e32 v7, v7, v52
	v_cmp_eq_u32_e32 vcc_lo, v7, v47
	s_and_b32 exec_lo, exec_lo, vcc_lo
	s_cbranch_execz .LBB55_266
; %bb.271:                              ;   in Loop: Header=BB55_269 Depth=2
	ds_store_b64 v13, v[26:27] offset:3072
	s_branch .LBB55_266
.LBB55_272:                             ;   in Loop: Header=BB55_269 Depth=2
	s_mov_b32 s73, -1
	s_mov_b32 s72, -1
                                        ; implicit-def: $vgpr2_vgpr3
                                        ; implicit-def: $vgpr6
	s_branch .LBB55_268
.LBB55_273:                             ;   in Loop: Header=BB55_32 Depth=1
	s_or_b32 exec_lo, exec_lo, s13
	s_delay_alu instid0(SALU_CYCLE_1)
	s_and_not1_b32 s5, s5, exec_lo
	s_wait_alu 0xfffe
	s_and_b32 s8, s24, exec_lo
	s_wait_alu 0xfffe
	s_or_b32 s5, s5, s8
.LBB55_274:                             ;   in Loop: Header=BB55_32 Depth=1
	s_or_b32 exec_lo, exec_lo, s12
	s_mov_b32 s12, 0
	s_mov_b32 s13, -1
.LBB55_275:                             ;   in Loop: Header=BB55_32 Depth=1
	s_wait_alu 0xfffe
	s_or_not1_b32 s8, s5, exec_lo
.LBB55_276:                             ;   in Loop: Header=BB55_32 Depth=1
	s_wait_alu 0xfffe
	s_or_b32 exec_lo, exec_lo, s71
	s_mov_b32 s9, 0
	s_and_saveexec_b32 s5, s8
	s_cbranch_execz .LBB55_287
; %bb.277:                              ;   in Loop: Header=BB55_32 Depth=1
	v_mov_b32_e32 v2, 1
	v_dual_mov_b32 v3, 0 :: v_dual_mov_b32 v12, 1
	s_xor_b32 s9, s70, -1
	s_wait_alu 0xfffe
	s_and_saveexec_b32 s8, s9
	s_cbranch_execz .LBB55_286
; %bb.278:                              ;   in Loop: Header=BB55_32 Depth=1
	s_mov_b32 s9, exec_lo
	v_cmpx_ge_i64_e64 s[6:7], v[4:5]
	s_wait_alu 0xfffe
	s_xor_b32 s9, exec_lo, s9
	s_cbranch_execz .LBB55_283
; %bb.279:                              ;   in Loop: Header=BB55_32 Depth=1
	ds_load_b64 v[2:3], v13 offset:5120
	v_or_b32_e32 v47, s16, v47
	v_or_b32_e32 v52, s16, v52
	s_wait_dscnt 0x0
	v_cmp_ne_u64_e32 vcc_lo, 0, v[2:3]
	s_cbranch_vccnz .LBB55_283
; %bb.280:                              ;   in Loop: Header=BB55_32 Depth=1
	s_and_saveexec_b32 s10, s2
; %bb.281:                              ;   in Loop: Header=BB55_32 Depth=1
	v_dual_mov_b32 v2, s6 :: v_dual_mov_b32 v3, s7
	ds_store_b64 v13, v[2:3] offset:5128
; %bb.282:                              ;   in Loop: Header=BB55_32 Depth=1
	s_wait_alu 0xfffe
	s_or_b32 exec_lo, exec_lo, s10
	s_wait_loadcnt_dscnt 0x0
	s_barrier_signal -1
	s_barrier_wait -1
	global_inv scope:SCOPE_SE
.LBB55_283:                             ;   in Loop: Header=BB55_32 Depth=1
	s_wait_alu 0xfffe
	s_and_not1_saveexec_b32 s9, s9
; %bb.284:                              ;   in Loop: Header=BB55_32 Depth=1
	v_sub_co_u32 v4, vcc_lo, v4, s6
	s_wait_alu 0xfffd
	v_subrev_co_ci_u32_e64 v5, null, s7, v5, vcc_lo
; %bb.285:                              ;   in Loop: Header=BB55_32 Depth=1
	s_wait_alu 0xfffe
	s_or_b32 exec_lo, exec_lo, s9
	v_mov_b32_e32 v2, v4
	s_delay_alu instid0(VALU_DEP_2)
	v_dual_mov_b32 v12, 8 :: v_dual_mov_b32 v3, v5
.LBB55_286:                             ;   in Loop: Header=BB55_32 Depth=1
	s_wait_alu 0xfffe
	s_or_b32 exec_lo, exec_lo, s8
	s_delay_alu instid0(VALU_DEP_1)
	v_dual_mov_b32 v5, v3 :: v_dual_mov_b32 v4, v2
	s_mov_b32 s9, exec_lo
.LBB55_287:                             ;   in Loop: Header=BB55_32 Depth=1
	s_wait_alu 0xfffe
	s_or_b32 exec_lo, exec_lo, s5
	s_delay_alu instid0(SALU_CYCLE_1)
	s_or_not1_b32 s5, s9, exec_lo
.LBB55_288:                             ;   in Loop: Header=BB55_32 Depth=1
	s_wait_alu 0xfffe
	s_or_b32 exec_lo, exec_lo, s20
	v_dual_mov_b32 v2, v4 :: v_dual_mov_b32 v3, v5
	s_and_not1_b32 s6, s15, exec_lo
	s_and_b32 s7, s13, exec_lo
	s_and_not1_b32 s8, s14, exec_lo
	s_and_b32 s9, s12, exec_lo
	s_wait_alu 0xfffe
	s_or_b32 s15, s6, s7
	s_or_b32 s14, s8, s9
	s_and_b32 s10, s5, exec_lo
.LBB55_289:                             ;   in Loop: Header=BB55_32 Depth=1
	s_wait_alu 0xfffe
	s_or_b32 exec_lo, exec_lo, s69
	s_delay_alu instid0(SALU_CYCLE_1)
	s_or_not1_b32 s5, s10, exec_lo
.LBB55_290:                             ;   in Loop: Header=BB55_32 Depth=1
	s_wait_alu 0xfffe
	s_or_b32 exec_lo, exec_lo, s68
	v_dual_mov_b32 v7, v3 :: v_dual_mov_b32 v6, v2
	s_and_not1_b32 s6, s22, exec_lo
	s_and_b32 s7, s15, exec_lo
	s_and_not1_b32 s8, s21, exec_lo
	s_and_b32 s9, s14, exec_lo
	s_wait_alu 0xfffe
	s_or_b32 s22, s6, s7
	s_or_b32 s21, s8, s9
	s_and_b32 s10, s5, exec_lo
.LBB55_291:                             ;   in Loop: Header=BB55_32 Depth=1
	s_or_b32 exec_lo, exec_lo, s23
	s_wait_alu 0xfffe
	s_or_not1_b32 s5, s10, exec_lo
.LBB55_292:                             ;   in Loop: Header=BB55_32 Depth=1
	s_or_b32 exec_lo, exec_lo, s19
	s_mov_b32 s6, 0
	s_wait_alu 0xfffe
	s_and_saveexec_b32 s7, s5
	s_wait_alu 0xfffe
	s_xor_b32 s5, exec_lo, s7
	s_cbranch_execz .LBB55_30
; %bb.293:                              ;   in Loop: Header=BB55_32 Depth=1
	v_and_b32_e32 v2, 7, v12
	s_mov_b32 s7, -1
	s_mov_b32 s6, -1
	s_mov_b32 s8, exec_lo
	s_delay_alu instid0(VALU_DEP_1)
	v_cmpx_eq_u32_e32 0, v2
	s_cbranch_execz .LBB55_29
; %bb.294:                              ;   in Loop: Header=BB55_32 Depth=1
	s_xor_b32 s93, s93, 1
	s_add_co_i32 s9, s91, -2
	s_cmp_eq_u32 s91, 0
	s_wait_alu 0xfffe
	s_mov_b32 s91, s9
	s_cselect_b32 s7, -1, 0
	s_xor_b32 s6, exec_lo, -1
	s_wait_alu 0xfffe
	s_or_not1_b32 s7, s7, exec_lo
	s_branch .LBB55_29
.LBB55_295:                             ;   in Loop: Header=BB55_32 Depth=1
                                        ; implicit-def: $sgpr10_sgpr11
	s_branch .LBB55_246
.LBB55_296:                             ;   in Loop: Header=BB55_32 Depth=1
                                        ; implicit-def: $sgpr12_sgpr13
	s_branch .LBB55_263
.LBB55_297:
	s_or_b32 exec_lo, exec_lo, s92
	s_xor_b32 s5, s99, -1
	s_xor_b32 s1, s97, -1
	;; [unrolled: 1-line block ×3, first 2 shown]
	s_mov_b32 s3, 0
	s_and_saveexec_b32 s6, s1
	s_wait_alu 0xfffe
	s_xor_b32 s1, exec_lo, s6
	s_cbranch_execnz .LBB55_302
; %bb.298:
	s_and_not1_saveexec_b32 s0, s1
	s_cbranch_execnz .LBB55_324
.LBB55_299:
	s_wait_alu 0xfffe
	s_or_b32 exec_lo, exec_lo, s0
	s_and_saveexec_b32 s0, s3
.LBB55_300:
	; divergent unreachable
.LBB55_301:
	s_endpgm
.LBB55_302:
	s_and_saveexec_b32 s3, s5
	s_wait_alu 0xfffe
	s_xor_b32 s3, exec_lo, s3
	s_cbranch_execz .LBB55_322
; %bb.303:
	s_and_saveexec_b32 s5, s4
	s_wait_alu 0xfffe
	s_xor_b32 s4, exec_lo, s5
; %bb.304:
	v_cmp_lt_i32_e32 vcc_lo, -1, v47
	s_wait_alu 0xfffd
	v_cndmask_b32_e64 v2, 0x80000000, -1, vcc_lo
	s_delay_alu instid0(VALU_DEP_1)
	v_xor_b32_e32 v28, v2, v47
; %bb.305:
	s_wait_alu 0xfffe
	s_or_b32 exec_lo, exec_lo, s4
	s_and_saveexec_b32 s4, s2
; %bb.306:
	v_dual_mov_b32 v2, 0 :: v_dual_mov_b32 v3, s36
	ds_store_b32 v2, v3 offset:5140
; %bb.307:
	s_wait_alu 0xfffe
	s_or_b32 exec_lo, exec_lo, s4
	s_wait_loadcnt_dscnt 0x0
	s_barrier_signal -1
	s_barrier_wait -1
	global_inv scope:SCOPE_SE
	s_and_saveexec_b32 s4, s0
	s_cbranch_execz .LBB55_319
; %bb.308:
	v_mov_b32_e32 v2, 0
	v_cmp_u_f32_e32 vcc_lo, v28, v28
	s_mov_b32 s5, 0
                                        ; implicit-def: $sgpr7
                                        ; implicit-def: $sgpr8
                                        ; implicit-def: $sgpr9
	ds_load_b32 v4, v2 offset:5140
	s_xor_b32 s6, vcc_lo, -1
	s_wait_dscnt 0x0
	v_ashrrev_i32_e32 v5, 31, v4
	s_branch .LBB55_311
.LBB55_309:                             ;   in Loop: Header=BB55_311 Depth=1
	s_wait_alu 0xfffe
	s_or_b32 exec_lo, exec_lo, s13
	s_delay_alu instid0(SALU_CYCLE_1)
	s_and_not1_b32 s0, s9, exec_lo
	s_and_b32 s9, s11, exec_lo
	s_and_not1_b32 s8, s8, exec_lo
	s_and_b32 s11, s12, exec_lo
	s_wait_alu 0xfffe
	s_or_b32 s9, s0, s9
	s_or_b32 s8, s8, s11
.LBB55_310:                             ;   in Loop: Header=BB55_311 Depth=1
	s_wait_alu 0xfffe
	s_or_b32 exec_lo, exec_lo, s10
	s_delay_alu instid0(SALU_CYCLE_1)
	s_and_b32 s0, exec_lo, s8
	s_wait_alu 0xfffe
	s_or_b32 s5, s0, s5
	s_and_not1_b32 s0, s7, exec_lo
	s_and_b32 s7, s9, exec_lo
	s_wait_alu 0xfffe
	s_or_b32 s7, s0, s7
	s_and_not1_b32 exec_lo, exec_lo, s5
	s_cbranch_execz .LBB55_314
.LBB55_311:                             ; =>This Inner Loop Header: Depth=1
	v_dual_mov_b32 v3, v1 :: v_dual_mov_b32 v2, v0
	s_or_b32 s9, s9, exec_lo
	s_or_b32 s8, s8, exec_lo
	s_mov_b32 s10, exec_lo
                                        ; implicit-def: $vgpr0_vgpr1
	s_delay_alu instid0(VALU_DEP_1)
	v_cmpx_lt_i64_e64 v[2:3], v[4:5]
	s_cbranch_execz .LBB55_310
; %bb.312:                              ;   in Loop: Header=BB55_311 Depth=1
	global_load_b32 v0, v[10:11], off
	s_mov_b32 s12, -1
	s_wait_loadcnt 0x0
	v_cmp_o_f32_e32 vcc_lo, v0, v0
	v_cmp_neq_f32_e64 s0, v0, v28
                                        ; implicit-def: $vgpr0_vgpr1
	s_wait_alu 0xfffe
	s_or_b32 s11, vcc_lo, s6
	s_wait_alu 0xfffe
	s_and_b32 s0, s0, s11
	s_mov_b32 s11, 0
	s_wait_alu 0xfffe
	s_and_saveexec_b32 s13, s0
	s_cbranch_execz .LBB55_309
; %bb.313:                              ;   in Loop: Header=BB55_311 Depth=1
	v_add_co_u32 v0, vcc_lo, v2, s50
	s_wait_alu 0xfffd
	v_add_co_ci_u32_e64 v1, null, 0, v3, vcc_lo
	v_add_co_u32 v10, s0, v10, s52
	s_wait_alu 0xf1ff
	v_add_co_ci_u32_e64 v11, null, s53, v11, s0
	s_delay_alu instid0(VALU_DEP_3)
	v_cmp_le_i64_e32 vcc_lo, s[36:37], v[0:1]
	s_mov_b32 s11, exec_lo
	s_or_not1_b32 s12, vcc_lo, exec_lo
	s_branch .LBB55_309
.LBB55_314:
	s_or_b32 exec_lo, exec_lo, s5
	s_wait_alu 0xfffe
	s_xor_b32 s0, s7, -1
	s_wait_alu 0xfffe
	s_and_saveexec_b32 s5, s0
	s_wait_alu 0xfffe
	s_xor_b32 s5, exec_lo, s5
	s_cbranch_execz .LBB55_319
; %bb.315:
	s_mov_b32 s5, exec_lo
	s_brev_b32 s0, -2
.LBB55_316:                             ; =>This Inner Loop Header: Depth=1
	s_wait_alu 0xfffe
	s_ctz_i32_b32 s6, s5
	s_wait_alu 0xfffe
	v_readlane_b32 s7, v2, s6
	s_lshl_b32 s6, 1, s6
	s_wait_alu 0xfffe
	s_and_not1_b32 s5, s5, s6
	s_min_i32 s0, s0, s7
	s_wait_alu 0xfffe
	s_cmp_lg_u32 s5, 0
	s_cbranch_scc1 .LBB55_316
; %bb.317:
	v_mbcnt_lo_u32_b32 v0, exec_lo, 0
	s_mov_b32 s5, exec_lo
	s_delay_alu instid0(VALU_DEP_1)
	v_cmpx_eq_u32_e32 0, v0
	s_wait_alu 0xfffe
	s_xor_b32 s5, exec_lo, s5
; %bb.318:
	v_dual_mov_b32 v0, 0 :: v_dual_mov_b32 v1, s0
	ds_min_i32 v0, v1 offset:5140
.LBB55_319:
	s_wait_alu 0xfffe
	s_or_b32 exec_lo, exec_lo, s4
	s_wait_loadcnt_dscnt 0x0
	s_barrier_signal -1
	s_barrier_wait -1
	global_inv scope:SCOPE_SE
	s_and_saveexec_b32 s0, s2
	s_cbranch_execz .LBB55_321
; %bb.320:
	v_mov_b32_e32 v2, 0
	s_mul_u64 s[6:7], s[48:49], s[34:35]
	s_mul_u64 s[4:5], s[40:41], s[28:29]
	s_wait_alu 0xfffe
	s_lshl_b64 s[6:7], s[6:7], 3
	s_lshl_b64 s[4:5], s[4:5], 2
	ds_load_b32 v0, v2 offset:5140
	s_lshl_b64 s[10:11], s[30:31], 3
	s_wait_alu 0xfffe
	s_add_nc_u64 s[6:7], s[46:47], s[6:7]
	s_lshl_b64 s[8:9], s[26:27], 2
	s_add_nc_u64 s[4:5], s[44:45], s[4:5]
	s_wait_alu 0xfffe
	s_add_nc_u64 s[6:7], s[6:7], s[10:11]
	s_add_nc_u64 s[4:5], s[4:5], s[8:9]
	s_wait_dscnt 0x0
	v_ashrrev_i32_e32 v1, 31, v0
	s_clause 0x1
	global_store_b64 v2, v[0:1], s[6:7]
	global_store_b32 v2, v28, s[4:5]
.LBB55_321:
	s_wait_alu 0xfffe
	s_or_b32 exec_lo, exec_lo, s0
.LBB55_322:
	s_wait_alu 0xfffe
	s_or_saveexec_b32 s0, s3
	s_mov_b32 s2, 0
	s_wait_alu 0xfffe
	s_xor_b32 exec_lo, exec_lo, s0
	s_cbranch_execnz .LBB55_325
.LBB55_323:
	s_or_b32 exec_lo, exec_lo, s0
	s_wait_alu 0xfffe
	s_and_b32 s3, s2, exec_lo
	s_and_not1_saveexec_b32 s0, s1
	s_cbranch_execz .LBB55_299
.LBB55_324:
	s_wait_alu 0xfffe
	s_or_b32 s3, s3, exec_lo
	s_trap 2
	s_or_b32 exec_lo, exec_lo, s0
	s_wait_alu 0xfffe
	s_and_saveexec_b32 s0, s3
	s_cbranch_execnz .LBB55_300
	s_branch .LBB55_301
.LBB55_325:
	s_mov_b32 s2, exec_lo
	s_trap 2
	s_branch .LBB55_323
	.section	.rodata,"a",@progbits
	.p2align	6, 0x0
	.amdhsa_kernel _ZN2at6native12_GLOBAL__N_114gatherKthValueIflLin1EEEvNS_4cuda6detail10TensorInfoIKT_T0_EES8_S8_S8_S8_NS5_IS6_S8_EENS5_IlS8_EE
		.amdhsa_group_segment_fixed_size 5144
		.amdhsa_private_segment_fixed_size 0
		.amdhsa_kernarg_size 1536
		.amdhsa_user_sgpr_count 2
		.amdhsa_user_sgpr_dispatch_ptr 0
		.amdhsa_user_sgpr_queue_ptr 0
		.amdhsa_user_sgpr_kernarg_segment_ptr 1
		.amdhsa_user_sgpr_dispatch_id 0
		.amdhsa_user_sgpr_private_segment_size 0
		.amdhsa_wavefront_size32 1
		.amdhsa_uses_dynamic_stack 0
		.amdhsa_enable_private_segment 0
		.amdhsa_system_sgpr_workgroup_id_x 1
		.amdhsa_system_sgpr_workgroup_id_y 1
		.amdhsa_system_sgpr_workgroup_id_z 1
		.amdhsa_system_sgpr_workgroup_info 0
		.amdhsa_system_vgpr_workitem_id 0
		.amdhsa_next_free_vgpr 62
		.amdhsa_next_free_sgpr 100
		.amdhsa_reserve_vcc 1
		.amdhsa_float_round_mode_32 0
		.amdhsa_float_round_mode_16_64 0
		.amdhsa_float_denorm_mode_32 3
		.amdhsa_float_denorm_mode_16_64 3
		.amdhsa_fp16_overflow 0
		.amdhsa_workgroup_processor_mode 1
		.amdhsa_memory_ordered 1
		.amdhsa_forward_progress 1
		.amdhsa_inst_pref_size 172
		.amdhsa_round_robin_scheduling 0
		.amdhsa_exception_fp_ieee_invalid_op 0
		.amdhsa_exception_fp_denorm_src 0
		.amdhsa_exception_fp_ieee_div_zero 0
		.amdhsa_exception_fp_ieee_overflow 0
		.amdhsa_exception_fp_ieee_underflow 0
		.amdhsa_exception_fp_ieee_inexact 0
		.amdhsa_exception_int_div_zero 0
	.end_amdhsa_kernel
	.section	.text._ZN2at6native12_GLOBAL__N_114gatherKthValueIflLin1EEEvNS_4cuda6detail10TensorInfoIKT_T0_EES8_S8_S8_S8_NS5_IS6_S8_EENS5_IlS8_EE,"axG",@progbits,_ZN2at6native12_GLOBAL__N_114gatherKthValueIflLin1EEEvNS_4cuda6detail10TensorInfoIKT_T0_EES8_S8_S8_S8_NS5_IS6_S8_EENS5_IlS8_EE,comdat
.Lfunc_end55:
	.size	_ZN2at6native12_GLOBAL__N_114gatherKthValueIflLin1EEEvNS_4cuda6detail10TensorInfoIKT_T0_EES8_S8_S8_S8_NS5_IS6_S8_EENS5_IlS8_EE, .Lfunc_end55-_ZN2at6native12_GLOBAL__N_114gatherKthValueIflLin1EEEvNS_4cuda6detail10TensorInfoIKT_T0_EES8_S8_S8_S8_NS5_IS6_S8_EENS5_IlS8_EE
                                        ; -- End function
	.set _ZN2at6native12_GLOBAL__N_114gatherKthValueIflLin1EEEvNS_4cuda6detail10TensorInfoIKT_T0_EES8_S8_S8_S8_NS5_IS6_S8_EENS5_IlS8_EE.num_vgpr, 62
	.set _ZN2at6native12_GLOBAL__N_114gatherKthValueIflLin1EEEvNS_4cuda6detail10TensorInfoIKT_T0_EES8_S8_S8_S8_NS5_IS6_S8_EENS5_IlS8_EE.num_agpr, 0
	.set _ZN2at6native12_GLOBAL__N_114gatherKthValueIflLin1EEEvNS_4cuda6detail10TensorInfoIKT_T0_EES8_S8_S8_S8_NS5_IS6_S8_EENS5_IlS8_EE.numbered_sgpr, 100
	.set _ZN2at6native12_GLOBAL__N_114gatherKthValueIflLin1EEEvNS_4cuda6detail10TensorInfoIKT_T0_EES8_S8_S8_S8_NS5_IS6_S8_EENS5_IlS8_EE.num_named_barrier, 0
	.set _ZN2at6native12_GLOBAL__N_114gatherKthValueIflLin1EEEvNS_4cuda6detail10TensorInfoIKT_T0_EES8_S8_S8_S8_NS5_IS6_S8_EENS5_IlS8_EE.private_seg_size, 0
	.set _ZN2at6native12_GLOBAL__N_114gatherKthValueIflLin1EEEvNS_4cuda6detail10TensorInfoIKT_T0_EES8_S8_S8_S8_NS5_IS6_S8_EENS5_IlS8_EE.uses_vcc, 1
	.set _ZN2at6native12_GLOBAL__N_114gatherKthValueIflLin1EEEvNS_4cuda6detail10TensorInfoIKT_T0_EES8_S8_S8_S8_NS5_IS6_S8_EENS5_IlS8_EE.uses_flat_scratch, 0
	.set _ZN2at6native12_GLOBAL__N_114gatherKthValueIflLin1EEEvNS_4cuda6detail10TensorInfoIKT_T0_EES8_S8_S8_S8_NS5_IS6_S8_EENS5_IlS8_EE.has_dyn_sized_stack, 0
	.set _ZN2at6native12_GLOBAL__N_114gatherKthValueIflLin1EEEvNS_4cuda6detail10TensorInfoIKT_T0_EES8_S8_S8_S8_NS5_IS6_S8_EENS5_IlS8_EE.has_recursion, 0
	.set _ZN2at6native12_GLOBAL__N_114gatherKthValueIflLin1EEEvNS_4cuda6detail10TensorInfoIKT_T0_EES8_S8_S8_S8_NS5_IS6_S8_EENS5_IlS8_EE.has_indirect_call, 0
	.section	.AMDGPU.csdata,"",@progbits
; Kernel info:
; codeLenInByte = 21960
; TotalNumSgprs: 102
; NumVgprs: 62
; ScratchSize: 0
; MemoryBound: 0
; FloatMode: 240
; IeeeMode: 1
; LDSByteSize: 5144 bytes/workgroup (compile time only)
; SGPRBlocks: 0
; VGPRBlocks: 7
; NumSGPRsForWavesPerEU: 102
; NumVGPRsForWavesPerEU: 62
; Occupancy: 16
; WaveLimiterHint : 1
; COMPUTE_PGM_RSRC2:SCRATCH_EN: 0
; COMPUTE_PGM_RSRC2:USER_SGPR: 2
; COMPUTE_PGM_RSRC2:TRAP_HANDLER: 0
; COMPUTE_PGM_RSRC2:TGID_X_EN: 1
; COMPUTE_PGM_RSRC2:TGID_Y_EN: 1
; COMPUTE_PGM_RSRC2:TGID_Z_EN: 1
; COMPUTE_PGM_RSRC2:TIDIG_COMP_CNT: 0
	.section	.text._ZN2at6native12_GLOBAL__N_114gatherKthValueIN3c104HalfEiLi1EEEvNS_4cuda6detail10TensorInfoIKT_T0_EESA_SA_SA_SA_NS7_IS8_SA_EENS7_IlSA_EE,"axG",@progbits,_ZN2at6native12_GLOBAL__N_114gatherKthValueIN3c104HalfEiLi1EEEvNS_4cuda6detail10TensorInfoIKT_T0_EESA_SA_SA_SA_NS7_IS8_SA_EENS7_IlSA_EE,comdat
	.globl	_ZN2at6native12_GLOBAL__N_114gatherKthValueIN3c104HalfEiLi1EEEvNS_4cuda6detail10TensorInfoIKT_T0_EESA_SA_SA_SA_NS7_IS8_SA_EENS7_IlSA_EE ; -- Begin function _ZN2at6native12_GLOBAL__N_114gatherKthValueIN3c104HalfEiLi1EEEvNS_4cuda6detail10TensorInfoIKT_T0_EESA_SA_SA_SA_NS7_IS8_SA_EENS7_IlSA_EE
	.p2align	8
	.type	_ZN2at6native12_GLOBAL__N_114gatherKthValueIN3c104HalfEiLi1EEEvNS_4cuda6detail10TensorInfoIKT_T0_EESA_SA_SA_SA_NS7_IS8_SA_EENS7_IlSA_EE,@function
_ZN2at6native12_GLOBAL__N_114gatherKthValueIN3c104HalfEiLi1EEEvNS_4cuda6detail10TensorInfoIKT_T0_EESA_SA_SA_SA_NS7_IS8_SA_EENS7_IlSA_EE: ; @_ZN2at6native12_GLOBAL__N_114gatherKthValueIN3c104HalfEiLi1EEEvNS_4cuda6detail10TensorInfoIKT_T0_EESA_SA_SA_SA_NS7_IS8_SA_EENS7_IlSA_EE
; %bb.0:
	s_clause 0x1
	s_load_b64 s[4:5], s[0:1], 0x298
	s_load_b128 s[36:39], s[0:1], 0xd8
	s_lshr_b32 s2, ttmp7, 16
	s_and_b32 s3, ttmp7, 0xffff
	s_wait_kmcnt 0x0
	s_mul_i32 s2, s5, s2
	s_delay_alu instid0(SALU_CYCLE_1) | instskip(NEXT) | instid1(SALU_CYCLE_1)
	s_add_co_i32 s2, s2, s3
	s_mul_i32 s29, s2, s4
	s_delay_alu instid0(SALU_CYCLE_1) | instskip(NEXT) | instid1(SALU_CYCLE_1)
	s_add_co_i32 s29, s29, ttmp9
	s_cmp_ge_i32 s29, s38
	s_cbranch_scc1 .LBB56_241
; %bb.1:
	s_clause 0x1
	s_load_b32 s3, s[0:1], 0x6c
	s_load_b64 s[6:7], s[0:1], 0x0
	v_cmp_eq_u32_e64 s2, 0, v0
	s_add_nc_u64 s[10:11], s[0:1], 0x298
	s_mov_b32 s41, 0
	s_and_saveexec_b32 s5, s2
; %bb.2:
	v_dual_mov_b32 v1, 0 :: v_dual_mov_b32 v2, s36
	s_delay_alu instid0(VALU_DEP_1)
	v_mov_b32_e32 v3, v1
	ds_store_b96 v1, v[1:3] offset:4096
; %bb.3:
	s_or_b32 exec_lo, exec_lo, s5
	s_wait_dscnt 0x0
	s_barrier_signal -1
	s_barrier_wait -1
	global_inv scope:SCOPE_SE
	s_load_b32 s5, s[10:11], 0xc
	v_mbcnt_lo_u32_b32 v15, -1, 0
	s_clause 0x3
	s_load_b32 s33, s[0:1], 0x22c
	s_load_b64 s[30:31], s[0:1], 0x1c0
	s_load_b32 s38, s[0:1], 0x154
	s_load_b64 s[34:35], s[0:1], 0xe8
	v_cmp_gt_u32_e32 vcc_lo, 32, v0
	s_wait_kmcnt 0x0
	s_mul_i32 s8, s3, s29
	v_dual_mov_b32 v7, 0 :: v_dual_lshlrev_b32 v16, 2, v0
	v_cmp_gt_i32_e64 s1, 4, v15
	s_ashr_i32 s9, s8, 31
	v_mul_lo_u32 v5, s39, v0
	s_lshl_b64 s[8:9], s[8:9], 1
	v_dual_mov_b32 v6, v7 :: v_dual_lshlrev_b32 v17, 1, v0
	s_and_b32 s51, vcc_lo, s1
	s_add_nc_u64 s[42:43], s[6:7], s[8:9]
	v_cmp_gt_u32_e64 s0, 2, v0
	s_delay_alu instid0(VALU_DEP_2) | instskip(NEXT) | instid1(VALU_DEP_4)
	v_dual_mov_b32 v33, s37 :: v_dual_add_nc_u32 v18, 0xc00, v17
	v_dual_mov_b32 v30, 0 :: v_dual_lshlrev_b32 v25, 2, v5
	s_and_b32 s50, s5, 0xffff
	s_bfe_u32 s3, s5, 0xb0005
	s_lshl_b32 s52, s50, 2
	s_add_co_i32 s53, s50, -1
	s_cvt_f32_u32 s1, s52
	s_add_co_i32 s62, s53, s36
	s_cmp_gt_i32 s36, 0x600
	s_cvt_f32_u32 s12, s50
	v_rcp_iflag_f32_e32 v1, s1
	s_cselect_b32 s55, -1, 0
	s_cmp_gt_u32 s50, 31
	v_rcp_iflag_f32_e32 v4, s12
	s_cselect_b32 s56, -1, 0
	s_cmp_lt_u32 ttmp9, s4
	v_cmp_gt_u32_e64 s1, s36, v0
	s_cselect_b32 s40, 12, 18
	s_add_co_i32 s4, s3, -1
	s_bfe_u32 s57, s50, 0x30005
	v_readfirstlane_b32 s5, v1
	s_and_b32 s4, s4, 0xffff
	v_lshlrev_b64_e64 v[1:2], v15, -1
	s_cmp_gt_u32 s4, 6
	v_lshlrev_b64_e32 v[2:3], 1, v[5:6]
	s_mul_f32 s4, s5, 0x4f7ffffe
	s_cselect_b32 s58, -1, 0
	s_and_b32 s59, s3, 0x7f8
	s_cmp_lg_u32 s57, 0
	s_cvt_u32_f32 s5, s4
	s_cselect_b32 s60, -1, 0
	s_sub_co_i32 s4, 0, s52
	v_not_b32_e32 v20, v1
	s_mul_i32 s4, s4, s5
	v_add_co_u32 v8, vcc_lo, s42, v2
	s_mul_hi_u32 s13, s5, s4
	v_lshrrev_b32_e32 v2, 1, v0
	s_wait_alu 0xfffe
	s_add_co_i32 s44, s5, s13
	v_add_co_ci_u32_e64 v9, null, s43, v3, vcc_lo
	s_mul_hi_u32 s5, s36, s44
	v_or_b32_e32 v3, 3, v16
	s_mul_i32 s5, s5, s52
	v_cmp_gt_i32_e64 s3, s36, v0
	s_sub_co_i32 s5, s36, s5
	v_cmp_eq_u32_e64 s4, 0, v15
	s_sub_co_i32 s12, s5, s52
	s_cmp_ge_u32 s5, s52
	v_mul_lo_u32 v24, s39, v3
	s_wait_alu 0xfffe
	s_cselect_b32 s5, s12, s5
	v_readfirstlane_b32 s12, v4
	s_sub_co_i32 s13, s5, s52
	s_cmp_ge_u32 s5, s52
	v_mov_b32_e32 v32, 0
	s_wait_alu 0xfffe
	s_cselect_b32 s9, s13, s5
	s_mul_f32 s5, s12, 0x4f7ffffe
	s_sub_co_i32 s61, s36, s9
	s_sub_co_i32 s6, 0, s50
	v_add_nc_u32_e32 v19, s61, v0
	s_cvt_u32_f32 s5, s5
	s_abs_i32 s7, s62
	s_mov_b32 s12, s39
	v_dual_mov_b32 v22, 0 :: v_dual_lshlrev_b32 v27, 3, v0
	v_mul_lo_u32 v1, v19, s39
	s_mul_i32 s6, s6, s5
	s_wait_alu 0xfffe
	v_mad_co_u64_u32 v[12:13], null, s39, v16, s[12:13]
	s_mul_hi_u32 s6, s5, s6
	v_lshl_or_b32 v28, v15, 2, 0xc00
	s_add_co_i32 s46, s5, s6
	s_movk_i32 s5, 0x1f0
	s_mul_hi_u32 s6, s7, s46
	v_and_or_b32 v21, v2, s5, 0xc00
	v_ashrrev_i32_e32 v2, 31, v1
	s_mul_i32 s6, s6, s50
	v_mov_b32_e32 v29, 0x8000
	s_sub_co_i32 s5, s7, s6
	s_ashr_i32 s7, s62, 31
	v_lshlrev_b64_e32 v[1:2], 1, v[1:2]
	s_wait_alu 0xfffe
	s_sub_co_i32 s6, s5, s50
	s_cmp_ge_u32 s5, s50
	v_mov_b32_e32 v31, 0
	s_cselect_b32 s6, s6, s5
	v_cmp_gt_i32_e64 s5, s61, v16
	v_add_co_u32 v10, vcc_lo, s42, v1
	v_add3_u32 v1, s50, s36, v0
	s_sub_co_i32 s8, s6, s50
	s_cmp_ge_u32 s6, s50
	s_wait_alu 0xfffd
	v_add_co_ci_u32_e64 v11, null, s43, v2, vcc_lo
	s_cselect_b32 s8, s8, s6
	v_or_b32_e32 v2, 2, v16
	v_subrev_nc_u32_e32 v1, s9, v1
	s_xor_b32 s8, s8, s7
	v_cmp_gt_u32_e64 s6, s36, v19
	s_wait_alu 0xfffe
	s_sub_co_i32 s8, s7, s8
	v_mul_lo_u32 v23, s39, v2
	v_mul_lo_u32 v26, s39, v1
	s_wait_alu 0xfffe
	s_add_co_i32 s62, s62, s8
	v_cmp_gt_i32_e64 s7, s36, v19
	v_cmp_gt_i32_e64 s8, s62, v0
	s_mul_i32 s54, s39, s50
	s_mov_b32 s45, s41
	s_mov_b32 s47, s41
	s_lshl_b32 s63, s54, 2
	s_lshl_b32 s64, s50, 3
	;; [unrolled: 1-line block ×3, first 2 shown]
	s_mov_b32 s73, 14
	s_add_nc_u64 s[48:49], s[10:11], s[40:41]
	s_movk_i32 s66, 0x3c00
	s_mov_b32 s37, 0
                                        ; implicit-def: $sgpr70
                                        ; implicit-def: $sgpr72
                                        ; implicit-def: $sgpr67
                                        ; implicit-def: $sgpr69
                                        ; implicit-def: $sgpr71
                                        ; implicit-def: $sgpr68
	s_branch .LBB56_7
.LBB56_4:                               ;   in Loop: Header=BB56_7 Depth=1
	s_wait_alu 0xfffe
	s_or_b32 exec_lo, exec_lo, s13
	s_delay_alu instid0(SALU_CYCLE_1)
	s_and_b32 s10, s10, exec_lo
	s_and_not1_b32 s15, s15, exec_lo
	s_and_not1_b32 s14, s14, exec_lo
	s_or_not1_b32 s12, s12, exec_lo
.LBB56_5:                               ;   in Loop: Header=BB56_7 Depth=1
	s_wait_alu 0xfffe
	s_or_b32 exec_lo, exec_lo, s9
	s_delay_alu instid0(SALU_CYCLE_1)
	s_and_not1_b32 s9, s68, exec_lo
	s_and_b32 s10, s10, exec_lo
	s_and_not1_b32 s13, s69, exec_lo
	s_wait_alu 0xfffe
	s_or_b32 s68, s9, s10
	s_and_not1_b32 s9, s71, exec_lo
	s_and_b32 s10, s15, exec_lo
	s_and_b32 s14, s14, exec_lo
	s_wait_alu 0xfffe
	s_or_b32 s71, s9, s10
	s_or_b32 s69, s13, s14
	s_or_not1_b32 s13, s12, exec_lo
.LBB56_6:                               ;   in Loop: Header=BB56_7 Depth=1
	s_wait_alu 0xfffe
	s_or_b32 exec_lo, exec_lo, s11
	s_delay_alu instid0(SALU_CYCLE_1)
	s_and_b32 s9, exec_lo, s13
	v_mov_b32_e32 v33, v4
	s_wait_alu 0xfffe
	s_or_b32 s37, s9, s37
	s_and_not1_b32 s9, s67, exec_lo
	s_and_b32 s10, s68, exec_lo
	s_and_not1_b32 s11, s72, exec_lo
	s_wait_alu 0xfffe
	s_or_b32 s67, s9, s10
	s_and_b32 s9, s71, exec_lo
	s_and_not1_b32 s10, s70, exec_lo
	s_and_b32 s12, s69, exec_lo
	s_wait_alu 0xfffe
	s_or_b32 s72, s11, s9
	s_or_b32 s70, s10, s12
	s_mov_b32 s73, s21
	s_and_not1_b32 exec_lo, exec_lo, s37
	s_cbranch_execz .LBB56_237
.LBB56_7:                               ; =>This Loop Header: Depth=1
                                        ;     Child Loop BB56_12 Depth 2
                                        ;     Child Loop BB56_27 Depth 2
	;; [unrolled: 1-line block ×16, first 2 shown]
	ds_load_b64 v[1:2], v7 offset:4096
	s_wait_dscnt 0x0
	v_readfirstlane_b32 s40, v1
	s_cmp_gt_i32 s40, 0
	s_cbranch_scc1 .LBB56_34
; %bb.8:                                ;   in Loop: Header=BB56_7 Depth=1
	s_and_b32 vcc_lo, exec_lo, s55
	s_wait_alu 0xfffe
	s_cbranch_vccz .LBB56_20
; %bb.9:                                ;   in Loop: Header=BB56_7 Depth=1
	v_cmp_gt_i32_e32 vcc_lo, 0x601, v2
	s_mov_b32 s10, 0
	s_mov_b32 s9, 0
	s_cbranch_vccz .LBB56_21
; %bb.10:                               ;   in Loop: Header=BB56_7 Depth=1
	global_load_u16 v2, v[8:9], off
	s_load_u16 s11, s[48:49], 0x0
	s_mov_b32 s12, 0
	s_wait_kmcnt 0x0
	v_add_nc_u32_e32 v1, s11, v0
	s_mul_i32 s13, s39, s11
	s_delay_alu instid0(VALU_DEP_1)
	v_mul_lo_u32 v6, s39, v1
	v_mov_b32_e32 v1, v0
	s_branch .LBB56_12
.LBB56_11:                              ;   in Loop: Header=BB56_12 Depth=2
	s_wait_alu 0xfffe
	s_or_b32 exec_lo, exec_lo, s9
	v_cmp_le_i32_e32 vcc_lo, s36, v1
	v_add_nc_u32_e32 v6, s13, v6
	v_mov_b32_e32 v2, v3
	s_or_b32 s12, vcc_lo, s12
	s_wait_alu 0xfffe
	s_and_not1_b32 exec_lo, exec_lo, s12
	s_cbranch_execz .LBB56_66
.LBB56_12:                              ;   Parent Loop BB56_7 Depth=1
                                        ; =>  This Inner Loop Header: Depth=2
	s_wait_dscnt 0x0
	s_delay_alu instid0(VALU_DEP_1) | instskip(SKIP_2) | instid1(VALU_DEP_2)
	v_dual_mov_b32 v4, 0 :: v_dual_add_nc_u32 v1, s11, v1
	v_mov_b32_e32 v3, 0
	s_mov_b32 s9, exec_lo
	v_cmpx_gt_u32_e64 s36, v1
	s_cbranch_execz .LBB56_14
; %bb.13:                               ;   in Loop: Header=BB56_12 Depth=2
	v_lshlrev_b64_e32 v[13:14], 1, v[6:7]
	s_delay_alu instid0(VALU_DEP_1) | instskip(SKIP_1) | instid1(VALU_DEP_2)
	v_add_co_u32 v13, vcc_lo, s42, v13
	s_wait_alu 0xfffd
	v_add_co_ci_u32_e64 v14, null, s43, v14, vcc_lo
	global_load_u16 v3, v[13:14], off
.LBB56_14:                              ;   in Loop: Header=BB56_12 Depth=2
	s_wait_alu 0xfffe
	s_or_b32 exec_lo, exec_lo, s9
	s_wait_loadcnt 0x0
	v_cmp_lt_i16_e32 vcc_lo, -1, v2
	s_wait_alu 0xfffd
	v_dual_cndmask_b32 v14, 0xffff, v29 :: v_dual_and_b32 v13, 0xffff, v2
	v_cmp_o_f16_e32 vcc_lo, v2, v2
	s_delay_alu instid0(VALU_DEP_2) | instskip(SKIP_1) | instid1(VALU_DEP_1)
	v_xor_b32_e32 v13, v14, v13
	s_wait_alu 0xfffd
	v_cndmask_b32_e32 v13, 0xffff, v13, vcc_lo
	s_delay_alu instid0(VALU_DEP_1) | instskip(NEXT) | instid1(VALU_DEP_1)
	v_and_b32_e32 v13, v13, v31
	v_cmp_eq_u32_e32 vcc_lo, v13, v22
	s_cmp_lg_u32 vcc_lo, 0
	s_cselect_b32 s9, -1, 0
	s_wait_alu 0xfffe
	s_and_b32 s9, s4, s9
	s_wait_alu 0xfffe
	s_and_saveexec_b32 s14, s9
	s_cbranch_execz .LBB56_18
; %bb.15:                               ;   in Loop: Header=BB56_12 Depth=2
	s_mov_b32 s17, exec_lo
	s_bcnt1_i32_b32 s15, vcc_lo
	s_wait_alu 0xfffe
	v_mbcnt_lo_u32_b32 v4, s17, 0
	s_mov_b32 s16, exec_lo
                                        ; implicit-def: $vgpr13
	s_delay_alu instid0(VALU_DEP_1)
	v_cmpx_eq_u32_e32 0, v4
; %bb.16:                               ;   in Loop: Header=BB56_12 Depth=2
	s_bcnt1_i32_b32 s9, s17
	s_wait_alu 0xfffe
	s_mul_i32 s9, s15, s9
	s_wait_alu 0xfffe
	v_mov_b32_e32 v13, s9
	ds_add_rtn_u32 v13, v7, v13 offset:4104
; %bb.17:                               ;   in Loop: Header=BB56_12 Depth=2
	s_or_b32 exec_lo, exec_lo, s16
	s_wait_dscnt 0x0
	v_readfirstlane_b32 s9, v13
	s_wait_alu 0xf1ff
	s_delay_alu instid0(VALU_DEP_1)
	v_mad_u32_u24 v4, s15, v4, s9
.LBB56_18:                              ;   in Loop: Header=BB56_12 Depth=2
	s_wait_alu 0xfffe
	s_or_b32 exec_lo, exec_lo, s14
	ds_bpermute_b32 v4, v7, v4
	s_and_saveexec_b32 s9, vcc_lo
	s_cbranch_execz .LBB56_11
; %bb.19:                               ;   in Loop: Header=BB56_12 Depth=2
	v_and_b32_e32 v13, vcc_lo, v20
	s_delay_alu instid0(VALU_DEP_1) | instskip(NEXT) | instid1(VALU_DEP_1)
	v_bcnt_u32_b32 v13, v13, 0
	v_lshlrev_b32_e32 v13, 1, v13
	s_wait_dscnt 0x0
	s_delay_alu instid0(VALU_DEP_1)
	v_lshl_add_u32 v4, v4, 1, v13
	ds_store_b16 v4, v2
	s_branch .LBB56_11
.LBB56_20:                              ;   in Loop: Header=BB56_7 Depth=1
	s_mov_b32 s10, -1
	s_mov_b32 s9, 0
.LBB56_21:                              ;   in Loop: Header=BB56_7 Depth=1
	s_wait_alu 0xfffe
	s_and_b32 vcc_lo, exec_lo, s10
	s_wait_alu 0xfffe
	s_cbranch_vccz .LBB56_32
.LBB56_22:                              ;   in Loop: Header=BB56_7 Depth=1
	v_mov_b32_e32 v1, 0
	s_and_saveexec_b32 s9, s1
	s_cbranch_execz .LBB56_24
; %bb.23:                               ;   in Loop: Header=BB56_7 Depth=1
	global_load_u16 v1, v[8:9], off
.LBB56_24:                              ;   in Loop: Header=BB56_7 Depth=1
	s_wait_alu 0xfffe
	s_or_b32 exec_lo, exec_lo, s9
	s_and_saveexec_b32 s9, s3
	s_cbranch_execz .LBB56_29
; %bb.25:                               ;   in Loop: Header=BB56_7 Depth=1
	s_load_u16 s10, s[48:49], 0x0
	s_mov_b32 s13, 0
	s_wait_kmcnt 0x0
	v_dual_mov_b32 v3, v0 :: v_dual_add_nc_u32 v2, s10, v0
	s_lshl_b32 s11, s10, 1
	s_mul_i32 s12, s39, s10
	s_delay_alu instid0(VALU_DEP_1)
	v_mul_lo_u32 v6, s39, v2
	v_mov_b32_e32 v2, v17
	s_branch .LBB56_27
.LBB56_26:                              ;   in Loop: Header=BB56_27 Depth=2
	s_wait_alu 0xfffe
	s_or_b32 exec_lo, exec_lo, s14
	v_cmp_le_i32_e32 vcc_lo, s36, v3
	s_wait_loadcnt 0x0
	ds_store_b16 v2, v1
	v_dual_mov_b32 v1, v4 :: v_dual_add_nc_u32 v2, s11, v2
	v_add_nc_u32_e32 v6, s12, v6
	s_or_b32 s13, vcc_lo, s13
	s_wait_alu 0xfffe
	s_and_not1_b32 exec_lo, exec_lo, s13
	s_cbranch_execz .LBB56_29
.LBB56_27:                              ;   Parent Loop BB56_7 Depth=1
                                        ; =>  This Inner Loop Header: Depth=2
	v_dual_mov_b32 v4, 0 :: v_dual_add_nc_u32 v3, s10, v3
	s_mov_b32 s14, exec_lo
	s_delay_alu instid0(VALU_DEP_1)
	v_cmpx_gt_u32_e64 s36, v3
	s_cbranch_execz .LBB56_26
; %bb.28:                               ;   in Loop: Header=BB56_27 Depth=2
	s_delay_alu instid0(VALU_DEP_4) | instskip(NEXT) | instid1(VALU_DEP_1)
	v_lshlrev_b64_e32 v[13:14], 1, v[6:7]
	v_add_co_u32 v13, vcc_lo, s42, v13
	s_wait_alu 0xfffd
	s_delay_alu instid0(VALU_DEP_2)
	v_add_co_ci_u32_e64 v14, null, s43, v14, vcc_lo
	global_load_u16 v4, v[13:14], off
	s_branch .LBB56_26
.LBB56_29:                              ;   in Loop: Header=BB56_7 Depth=1
	s_wait_alu 0xfffe
	s_or_b32 exec_lo, exec_lo, s9
	s_wait_loadcnt_dscnt 0x0
	s_barrier_signal -1
	s_barrier_wait -1
	global_inv scope:SCOPE_SE
	s_and_saveexec_b32 s9, s2
; %bb.30:                               ;   in Loop: Header=BB56_7 Depth=1
	v_mov_b32_e32 v1, s36
	ds_store_b32 v7, v1 offset:4096
; %bb.31:                               ;   in Loop: Header=BB56_7 Depth=1
	s_wait_alu 0xfffe
	s_or_b32 exec_lo, exec_lo, s9
	s_mov_b32 s9, -1
	s_wait_loadcnt_dscnt 0x0
	s_barrier_signal -1
	s_barrier_wait -1
.LBB56_32:                              ;   in Loop: Header=BB56_7 Depth=1
	s_wait_alu 0xfffe
	s_and_b32 vcc_lo, exec_lo, s9
	s_wait_alu 0xfffe
	s_cbranch_vccz .LBB56_34
; %bb.33:                               ;   in Loop: Header=BB56_7 Depth=1
	s_wait_loadcnt 0x0
	global_inv scope:SCOPE_SE
	ds_load_b32 v1, v7 offset:4096
	s_wait_dscnt 0x0
	v_readfirstlane_b32 s40, v1
.LBB56_34:                              ;   in Loop: Header=BB56_7 Depth=1
	s_delay_alu instid0(VALU_DEP_1)
	s_cmp_lt_i32 s40, 1
	s_mov_b32 s9, -1
                                        ; implicit-def: $vgpr1
	s_cbranch_scc1 .LBB56_44
; %bb.35:                               ;   in Loop: Header=BB56_7 Depth=1
	s_wait_alu 0xfffe
	s_and_b32 vcc_lo, exec_lo, s9
	s_wait_alu 0xfffe
	s_cbranch_vccnz .LBB56_57
.LBB56_36:                              ;   in Loop: Header=BB56_7 Depth=1
	v_lshlrev_b32_e32 v6, 7, v30
	s_and_saveexec_b32 s9, s4
.LBB56_37:                              ;   in Loop: Header=BB56_7 Depth=1
	s_delay_alu instid0(VALU_DEP_1)
	v_lshl_add_u32 v13, v6, 2, v21
	ds_store_b128 v13, v[1:4]
.LBB56_38:                              ;   in Loop: Header=BB56_7 Depth=1
	s_wait_alu 0xfffe
	s_or_b32 exec_lo, exec_lo, s9
	s_wait_loadcnt_dscnt 0x0
	s_barrier_signal -1
	s_barrier_wait -1
	global_inv scope:SCOPE_SE
	s_and_saveexec_b32 s9, s51
	s_cbranch_execz .LBB56_73
; %bb.39:                               ;   in Loop: Header=BB56_7 Depth=1
	v_mov_b32_e32 v1, 0
	s_and_not1_b32 vcc_lo, exec_lo, s56
	s_wait_alu 0xfffe
	s_cbranch_vccnz .LBB56_72
; %bb.40:                               ;   in Loop: Header=BB56_7 Depth=1
	s_and_not1_b32 vcc_lo, exec_lo, s58
	s_wait_alu 0xfffe
	s_cbranch_vccnz .LBB56_69
; %bb.41:                               ;   in Loop: Header=BB56_7 Depth=1
	v_lshl_add_u32 v2, v30, 9, v28
	v_mov_b32_e32 v1, 0
	s_mov_b32 s10, 0
.LBB56_42:                              ;   Parent Loop BB56_7 Depth=1
                                        ; =>  This Inner Loop Header: Depth=2
	ds_load_2addr_b32 v[3:4], v2 offset1:4
	ds_load_2addr_b32 v[13:14], v2 offset0:8 offset1:12
	ds_load_2addr_b32 v[34:35], v2 offset0:16 offset1:20
	;; [unrolled: 1-line block ×3, first 2 shown]
	v_add_nc_u32_e32 v2, 0x80, v2
	s_wait_alu 0xfffe
	s_add_co_i32 s10, s10, 8
	s_wait_alu 0xfffe
	s_cmp_eq_u32 s59, s10
	s_wait_dscnt 0x3
	v_add3_u32 v1, v3, v1, v4
	s_wait_dscnt 0x2
	s_delay_alu instid0(VALU_DEP_1) | instskip(SKIP_1) | instid1(VALU_DEP_1)
	v_add3_u32 v1, v13, v1, v14
	s_wait_dscnt 0x1
	v_add3_u32 v1, v34, v1, v35
	s_wait_dscnt 0x0
	s_delay_alu instid0(VALU_DEP_1)
	v_add3_u32 v1, v36, v1, v37
	s_cbranch_scc0 .LBB56_42
; %bb.43:                               ;   in Loop: Header=BB56_7 Depth=1
	s_mov_b32 s10, s59
	s_and_not1_b32 vcc_lo, exec_lo, s60
	s_wait_alu 0xfffe
	s_cbranch_vccz .LBB56_70
	s_branch .LBB56_72
.LBB56_44:                              ;   in Loop: Header=BB56_7 Depth=1
	v_dual_mov_b32 v1, 0 :: v_dual_mov_b32 v2, 0
	v_dual_mov_b32 v3, 0 :: v_dual_mov_b32 v4, 0
	s_and_saveexec_b32 s74, s5
	s_cbranch_execnz .LBB56_47
; %bb.45:                               ;   in Loop: Header=BB56_7 Depth=1
	s_wait_alu 0xfffe
	s_or_b32 exec_lo, exec_lo, s74
	v_mov_b32_e32 v34, 0
	s_and_saveexec_b32 s9, s6
	s_cbranch_execnz .LBB56_50
.LBB56_46:                              ;   in Loop: Header=BB56_7 Depth=1
	s_wait_alu 0xfffe
	s_or_b32 exec_lo, exec_lo, s9
	s_and_saveexec_b32 s13, s7
	s_cbranch_execnz .LBB56_51
	s_branch .LBB56_56
.LBB56_47:                              ;   in Loop: Header=BB56_7 Depth=1
	v_mov_b32_e32 v6, v16
	s_mov_b32 s75, 0
	s_mov_b32 s76, 0
	;; [unrolled: 1-line block ×6, first 2 shown]
.LBB56_48:                              ;   Parent Loop BB56_7 Depth=1
                                        ; =>  This Inner Loop Header: Depth=2
	s_wait_alu 0xfffe
	v_add_nc_u32_e32 v1, s76, v25
	v_add_nc_u32_e32 v3, s76, v12
	;; [unrolled: 1-line block ×4, first 2 shown]
	s_add_co_i32 s76, s76, s63
	v_ashrrev_i32_e32 v2, 31, v1
	v_ashrrev_i32_e32 v4, 31, v3
	v_ashrrev_i32_e32 v14, 31, v13
	v_ashrrev_i32_e32 v35, 31, v34
	s_delay_alu instid0(VALU_DEP_4) | instskip(NEXT) | instid1(VALU_DEP_4)
	v_lshlrev_b64_e32 v[1:2], 1, v[1:2]
	v_lshlrev_b64_e32 v[3:4], 1, v[3:4]
	s_delay_alu instid0(VALU_DEP_4) | instskip(NEXT) | instid1(VALU_DEP_4)
	v_lshlrev_b64_e32 v[13:14], 1, v[13:14]
	v_lshlrev_b64_e32 v[34:35], 1, v[34:35]
	s_delay_alu instid0(VALU_DEP_4)
	v_add_co_u32 v1, vcc_lo, s42, v1
	s_wait_alu 0xfffd
	v_add_co_ci_u32_e64 v2, null, s43, v2, vcc_lo
	v_add_co_u32 v3, vcc_lo, s42, v3
	s_wait_alu 0xfffd
	v_add_co_ci_u32_e64 v4, null, s43, v4, vcc_lo
	;; [unrolled: 3-line block ×4, first 2 shown]
	s_clause 0x3
	global_load_u16 v1, v[1:2], off
	global_load_u16 v2, v[3:4], off
	global_load_u16 v3, v[13:14], off
	global_load_u16 v4, v[34:35], off
	s_wait_loadcnt 0x3
	v_cmp_lt_i16_e64 s9, -1, v1
	v_and_b32_e32 v13, 0xffff, v1
	s_wait_loadcnt 0x2
	v_and_b32_e32 v34, 0xffff, v2
	s_wait_loadcnt 0x1
	v_and_b32_e32 v36, 0xffff, v3
	v_cmp_o_f16_e64 s12, v1, v1
	s_wait_alu 0xf1ff
	v_cndmask_b32_e64 v14, 0xffff, v29, s9
	v_cmp_lt_i16_e64 s9, -1, v2
	s_wait_loadcnt 0x0
	v_and_b32_e32 v38, 0xffff, v4
	v_cmp_o_f16_e64 s10, v3, v3
	v_cmp_o_f16_e64 s11, v4, v4
	v_xor_b32_e32 v13, v14, v13
	s_wait_alu 0xf1ff
	v_cndmask_b32_e64 v35, 0xffff, v29, s9
	v_cmp_lt_i16_e64 s9, -1, v3
	s_delay_alu instid0(VALU_DEP_3) | instskip(NEXT) | instid1(VALU_DEP_3)
	v_cndmask_b32_e64 v1, 0xffff, v13, s12
	v_xor_b32_e32 v14, v35, v34
	s_wait_alu 0xf1ff
	s_delay_alu instid0(VALU_DEP_3) | instskip(SKIP_4) | instid1(VALU_DEP_3)
	v_cndmask_b32_e64 v37, 0xffff, v29, s9
	v_cmp_lt_i16_e64 s9, -1, v4
	v_and_b32_e32 v13, v1, v31
	v_bfe_u32 v1, v1, s73, 2
	s_wait_alu 0xf1ff
	v_cndmask_b32_e64 v39, 0xffff, v29, s9
	v_cmp_o_f16_e64 s9, v2, v2
	v_xor_b32_e32 v2, v37, v36
	v_cmp_eq_u32_e64 s13, 0, v1
	v_cmp_eq_u32_e64 s17, 1, v1
	v_xor_b32_e32 v3, v39, v38
	s_wait_alu 0xf1ff
	v_cndmask_b32_e64 v4, 0xffff, v14, s9
	v_cndmask_b32_e64 v2, 0xffff, v2, s10
	v_cmp_eq_u32_e64 s9, v13, v22
	v_cmp_eq_u32_e64 s21, 2, v1
	v_cndmask_b32_e64 v3, 0xffff, v3, s11
	v_and_b32_e32 v14, v4, v31
	v_bfe_u32 v4, v4, s73, 2
	v_and_b32_e32 v34, v2, v31
	v_bfe_u32 v2, v2, s73, 2
	;; [unrolled: 2-line block ×3, first 2 shown]
	v_cmp_eq_u32_e64 s10, v14, v22
	v_cmp_eq_u32_e64 s14, 0, v4
	v_cmp_eq_u32_e64 s11, v34, v22
	v_cmp_eq_u32_e64 s15, 0, v2
	s_and_b32 s13, s9, s13
	v_cmp_eq_u32_e64 s12, v35, v22
	v_cmp_eq_u32_e64 s16, 0, v3
	;; [unrolled: 1-line block ×3, first 2 shown]
	s_wait_alu 0xfffe
	v_cndmask_b32_e64 v1, 0, 1, s13
	s_and_b32 s13, s10, s14
	v_cmp_eq_u32_e64 s19, 1, v2
	v_cmp_eq_u32_e64 s23, 2, v2
	v_cmp_eq_u32_e64 s27, 3, v2
	s_wait_alu 0xfffe
	v_cndmask_b32_e64 v2, 0, 1, s13
	s_and_b32 s13, s11, s15
	v_cmp_eq_u32_e64 s18, 1, v4
	v_cmp_eq_u32_e64 s20, 1, v3
	;; [unrolled: 1-line block ×4, first 2 shown]
	s_wait_alu 0xfffe
	v_cndmask_b32_e64 v3, 0, 1, s13
	s_and_b32 s13, s12, s16
	v_cmp_eq_u32_e64 s22, 2, v4
	v_cmp_eq_u32_e64 s26, 3, v4
	s_wait_alu 0xfffe
	v_cndmask_b32_e64 v4, 0, 1, s13
	s_and_b32 s13, s9, s17
	s_wait_alu 0xfffe
	v_cndmask_b32_e64 v13, 0, 1, s13
	s_and_b32 s13, s10, s18
	s_wait_alu 0xfffe
	v_cndmask_b32_e64 v14, 0, 1, s13
	s_and_b32 s13, s11, s19
	s_wait_alu 0xfffe
	v_cndmask_b32_e64 v34, 0, 1, s13
	s_and_b32 s13, s12, s20
	v_cmp_ne_u32_e64 s14, 0, v14
	s_wait_alu 0xfffe
	v_cndmask_b32_e64 v35, 0, 1, s13
	s_and_b32 s13, s9, s21
	s_and_b32 s9, s9, s25
	s_wait_alu 0xfffe
	v_cndmask_b32_e64 v36, 0, 1, s13
	s_and_b32 s13, s10, s22
	v_cndmask_b32_e64 v40, 0, 1, s9
	s_and_b32 s9, s10, s26
	s_wait_alu 0xfffe
	v_cndmask_b32_e64 v37, 0, 1, s13
	s_and_b32 s13, s11, s23
	v_cndmask_b32_e64 v41, 0, 1, s9
	;; [unrolled: 5-line block ×3, first 2 shown]
	s_and_b32 s9, s12, s28
	s_wait_alu 0xfffe
	v_cndmask_b32_e64 v39, 0, 1, s13
	v_cndmask_b32_e64 v43, 0, 1, s9
	v_cmp_ne_u32_e64 s9, 0, v1
	v_cmp_ne_u32_e64 s13, 0, v13
	v_cmp_ne_u32_e64 s17, 0, v36
	v_cmp_ne_u32_e64 s10, 0, v2
	v_cmp_ne_u32_e64 s18, 0, v37
	v_cmp_ne_u32_e64 s11, 0, v3
	v_cmp_ne_u32_e64 s19, 0, v38
	v_cmp_ne_u32_e64 s21, 0, v40
	s_bcnt1_i32_b32 s9, s9
	s_bcnt1_i32_b32 s13, s13
	s_bcnt1_i32_b32 s17, s17
	v_cmp_ne_u32_e64 s20, 0, v39
	v_cmp_ne_u32_e64 s22, 0, v41
	s_bcnt1_i32_b32 s10, s10
	s_bcnt1_i32_b32 s14, s14
	;; [unrolled: 1-line block ×3, first 2 shown]
	s_wait_alu 0xfffe
	s_add_co_i32 s9, s9, s80
	s_add_co_i32 s13, s13, s79
	;; [unrolled: 1-line block ×3, first 2 shown]
	v_cmp_ne_u32_e64 s15, 0, v34
	v_cmp_ne_u32_e64 s23, 0, v42
	s_bcnt1_i32_b32 s11, s11
	s_bcnt1_i32_b32 s19, s19
	s_wait_alu 0xfffe
	s_add_co_i32 s9, s9, s10
	s_add_co_i32 s10, s13, s14
	;; [unrolled: 1-line block ×3, first 2 shown]
	s_bcnt1_i32_b32 s21, s21
	v_cmp_ne_u32_e64 s12, 0, v4
	v_cmp_ne_u32_e64 s16, 0, v35
	;; [unrolled: 1-line block ×3, first 2 shown]
	s_bcnt1_i32_b32 s20, s20
	s_wait_alu 0xfffe
	s_add_co_i32 s9, s9, s11
	s_add_co_i32 s11, s13, s19
	s_bcnt1_i32_b32 s22, s22
	s_add_co_i32 s21, s21, s77
	s_wait_alu 0xfffe
	s_add_co_i32 s78, s11, s20
	s_wait_alu 0xfffe
	v_dual_mov_b32 v3, s78 :: v_dual_add_nc_u32 v6, s52, v6
	s_bcnt1_i32_b32 s15, s15
	s_bcnt1_i32_b32 s23, s23
	s_add_co_i32 s14, s21, s22
	s_bcnt1_i32_b32 s12, s12
	s_bcnt1_i32_b32 s16, s16
	;; [unrolled: 1-line block ×3, first 2 shown]
	s_wait_alu 0xfffe
	s_add_co_i32 s10, s10, s15
	s_add_co_i32 s13, s14, s23
	v_cmp_le_i32_e32 vcc_lo, s61, v6
	s_add_co_i32 s80, s9, s12
	s_wait_alu 0xfffe
	s_add_co_i32 s79, s10, s16
	s_add_co_i32 s77, s13, s24
	s_wait_alu 0xfffe
	v_dual_mov_b32 v1, s80 :: v_dual_mov_b32 v2, s79
	v_mov_b32_e32 v4, s77
	s_or_b32 s75, vcc_lo, s75
	s_wait_alu 0xfffe
	s_and_not1_b32 exec_lo, exec_lo, s75
	s_cbranch_execnz .LBB56_48
; %bb.49:                               ;   in Loop: Header=BB56_7 Depth=1
	s_or_b32 exec_lo, exec_lo, s75
	s_delay_alu instid0(SALU_CYCLE_1)
	s_or_b32 exec_lo, exec_lo, s74
	v_mov_b32_e32 v34, 0
	s_and_saveexec_b32 s9, s6
	s_cbranch_execz .LBB56_46
.LBB56_50:                              ;   in Loop: Header=BB56_7 Depth=1
	global_load_u16 v34, v[10:11], off
	s_wait_alu 0xfffe
	s_or_b32 exec_lo, exec_lo, s9
	s_and_saveexec_b32 s13, s7
	s_cbranch_execz .LBB56_56
.LBB56_51:                              ;   in Loop: Header=BB56_7 Depth=1
	v_dual_mov_b32 v13, v26 :: v_dual_mov_b32 v6, v19
	s_mov_b32 s14, 0
	s_branch .LBB56_53
.LBB56_52:                              ;   in Loop: Header=BB56_53 Depth=2
	s_wait_alu 0xfffe
	s_or_b32 exec_lo, exec_lo, s9
	s_wait_loadcnt 0x0
	v_cmp_lt_i16_e32 vcc_lo, -1, v34
	v_and_b32_e32 v35, 0xffff, v34
	v_add_nc_u32_e32 v13, s54, v13
	s_wait_alu 0xfffd
	v_cndmask_b32_e32 v36, 0xffff, v29, vcc_lo
	v_cmp_o_f16_e32 vcc_lo, v34, v34
	s_delay_alu instid0(VALU_DEP_2) | instskip(SKIP_1) | instid1(VALU_DEP_1)
	v_xor_b32_e32 v35, v36, v35
	s_wait_alu 0xfffd
	v_cndmask_b32_e32 v34, 0xffff, v35, vcc_lo
	s_delay_alu instid0(VALU_DEP_1) | instskip(SKIP_1) | instid1(VALU_DEP_2)
	v_and_b32_e32 v35, v34, v31
	v_bfe_u32 v34, v34, s73, 2
	v_cmp_eq_u32_e32 vcc_lo, v35, v22
	s_delay_alu instid0(VALU_DEP_2)
	v_cmp_eq_u32_e64 s9, 0, v34
	v_cmp_eq_u32_e64 s10, 1, v34
	v_cmp_eq_u32_e64 s11, 2, v34
	v_cmp_eq_u32_e64 s12, 3, v34
	s_and_b32 s9, vcc_lo, s9
	s_wait_alu 0xfffe
	v_cndmask_b32_e64 v34, 0, 1, s9
	s_and_b32 s9, vcc_lo, s10
	s_wait_alu 0xfffe
	v_cndmask_b32_e64 v35, 0, 1, s9
	;; [unrolled: 3-line block ×3, first 2 shown]
	s_and_b32 s9, vcc_lo, s12
	v_cmp_ne_u32_e32 vcc_lo, 0, v34
	s_wait_alu 0xfffe
	v_cndmask_b32_e64 v37, 0, 1, s9
	v_cmp_ne_u32_e64 s9, 0, v35
	v_cmp_ne_u32_e64 s10, 0, v36
	v_cmp_le_i32_e64 s12, s36, v6
	s_bcnt1_i32_b32 s15, vcc_lo
	v_cmp_ne_u32_e64 s11, 0, v37
	s_bcnt1_i32_b32 s9, s9
	s_bcnt1_i32_b32 s10, s10
	s_wait_alu 0xfffe
	v_add_nc_u32_e32 v1, s15, v1
	v_add_nc_u32_e32 v2, s9, v2
	s_bcnt1_i32_b32 s11, s11
	v_add_nc_u32_e32 v3, s10, v3
	s_wait_alu 0xfffe
	v_add_nc_u32_e32 v4, s11, v4
	v_mov_b32_e32 v34, v14
	s_or_b32 s14, s12, s14
	s_wait_alu 0xfffe
	s_and_not1_b32 exec_lo, exec_lo, s14
	s_cbranch_execz .LBB56_55
.LBB56_53:                              ;   Parent Loop BB56_7 Depth=1
                                        ; =>  This Inner Loop Header: Depth=2
	s_delay_alu instid0(VALU_DEP_1) | instskip(SKIP_2) | instid1(VALU_DEP_2)
	v_add_nc_u32_e32 v6, s50, v6
	v_mov_b32_e32 v14, 0
	s_mov_b32 s9, exec_lo
	v_cmpx_gt_u32_e64 s36, v6
	s_cbranch_execz .LBB56_52
; %bb.54:                               ;   in Loop: Header=BB56_53 Depth=2
	v_ashrrev_i32_e32 v14, 31, v13
	s_delay_alu instid0(VALU_DEP_1) | instskip(NEXT) | instid1(VALU_DEP_1)
	v_lshlrev_b64_e32 v[35:36], 1, v[13:14]
	v_add_co_u32 v35, vcc_lo, s42, v35
	s_wait_alu 0xfffd
	s_delay_alu instid0(VALU_DEP_2)
	v_add_co_ci_u32_e64 v36, null, s43, v36, vcc_lo
	global_load_u16 v14, v[35:36], off
	s_branch .LBB56_52
.LBB56_55:                              ;   in Loop: Header=BB56_7 Depth=1
	s_or_b32 exec_lo, exec_lo, s14
.LBB56_56:                              ;   in Loop: Header=BB56_7 Depth=1
	s_wait_alu 0xfffe
	s_or_b32 exec_lo, exec_lo, s13
	s_branch .LBB56_36
.LBB56_57:                              ;   in Loop: Header=BB56_7 Depth=1
	s_mul_u64 s[10:11], s[40:41], s[44:45]
	v_dual_mov_b32 v1, 0 :: v_dual_mov_b32 v2, 0
	s_wait_alu 0xfffe
	s_mul_i32 s9, s11, s52
	v_dual_mov_b32 v3, 0 :: v_dual_mov_b32 v4, 0
	s_wait_alu 0xfffe
	s_sub_co_i32 s9, s40, s9
	s_mov_b32 s24, exec_lo
	s_wait_alu 0xfffe
	s_sub_co_i32 s10, s9, s52
	s_cmp_ge_u32 s9, s52
	s_wait_alu 0xfffe
	s_cselect_b32 s9, s10, s9
	s_wait_alu 0xfffe
	s_sub_co_i32 s10, s9, s52
	s_cmp_ge_u32 s9, s52
	s_wait_alu 0xfffe
	s_cselect_b32 s9, s10, s9
	s_wait_alu 0xfffe
	s_sub_co_i32 s23, s40, s9
	s_wait_alu 0xfffe
	v_cmpx_gt_u32_e64 s23, v16
	s_cbranch_execz .LBB56_61
; %bb.58:                               ;   in Loop: Header=BB56_7 Depth=1
	v_dual_mov_b32 v6, v27 :: v_dual_mov_b32 v13, v16
	s_mov_b32 s25, 0
	s_mov_b32 s26, 0
	;; [unrolled: 1-line block ×5, first 2 shown]
.LBB56_59:                              ;   Parent Loop BB56_7 Depth=1
                                        ; =>  This Inner Loop Header: Depth=2
	ds_load_b64 v[1:2], v6
	s_wait_dscnt 0x0
	v_cmp_lt_i16_e64 s9, -1, v1
	v_lshrrev_b32_e32 v3, 16, v1
	v_lshrrev_b32_e32 v36, 16, v2
	v_and_b32_e32 v4, 0xffff, v1
	s_wait_loadcnt 0x0
	v_and_b32_e32 v34, 0xffff, v2
	s_wait_alu 0xf1ff
	v_cndmask_b32_e64 v14, 0xffff, v29, s9
	v_cmp_lt_i16_e64 s9, -1, v2
	v_cmp_lt_i16_e64 s10, -1, v36
	s_delay_alu instid0(VALU_DEP_3) | instskip(SKIP_1) | instid1(VALU_DEP_3)
	v_xor_b32_e32 v4, v14, v4
	s_wait_alu 0xf1ff
	v_cndmask_b32_e64 v35, 0xffff, v29, s9
	v_cmp_lt_i16_e64 s9, -1, v3
	s_delay_alu instid0(VALU_DEP_2) | instskip(SKIP_1) | instid1(VALU_DEP_2)
	v_xor_b32_e32 v34, v35, v34
	s_wait_alu 0xf1ff
	v_cndmask_b32_e64 v14, 0xffff, v29, s9
	v_cmp_o_f16_e64 s9, v2, v2
	v_cndmask_b32_e64 v2, 0xffff, v29, s10
	v_cmp_o_f16_e64 s10, v1, v1
	s_delay_alu instid0(VALU_DEP_2) | instskip(SKIP_1) | instid1(VALU_DEP_2)
	v_xor_b32_e32 v2, v2, v36
	s_wait_alu 0xf1ff
	v_cndmask_b32_e64 v1, 0xffff, v4, s10
	v_xor_b32_e32 v4, v14, v3
	v_cmp_o_f16_e64 s10, v3, v3
	v_cndmask_b32_e64 v14, 0xffff, v34, s9
	v_cmp_o_f16_e64 s9, v36, v36
	s_wait_alu 0xf1ff
	s_delay_alu instid0(VALU_DEP_3)
	v_cndmask_b32_e64 v3, 0xffff, v4, s10
	v_and_b32_e32 v4, v1, v31
	v_bfe_u32 v1, v1, s73, 2
	v_and_b32_e32 v34, v14, v31
	v_bfe_u32 v14, v14, s73, 2
	v_cndmask_b32_e64 v2, 0xffff, v2, s9
	v_cmp_eq_u32_e64 s9, v4, v22
	v_cmp_eq_u32_e64 s11, 0, v1
	;; [unrolled: 1-line block ×4, first 2 shown]
	v_and_b32_e32 v4, v3, v31
	v_and_b32_e32 v34, v2, v31
	v_bfe_u32 v3, v3, s73, 2
	v_bfe_u32 v2, v2, s73, 2
	v_cmp_eq_u32_e64 s13, 1, v1
	v_cmp_eq_u32_e64 s15, 2, v1
	s_and_b32 s11, s9, s11
	v_cmp_eq_u32_e64 s14, 1, v14
	v_cmp_eq_u32_e64 s16, 2, v14
	;; [unrolled: 1-line block ×3, first 2 shown]
	s_wait_alu 0xfffe
	v_cndmask_b32_e64 v1, 0, 1, s11
	s_and_b32 s11, s10, s12
	v_cmp_eq_u32_e64 s18, 3, v14
	v_cmp_eq_u32_e64 s19, v4, v22
	v_cmp_eq_u32_e64 s20, v34, v22
	v_cmp_eq_u32_e64 s21, 0, v3
	v_cmp_eq_u32_e64 s22, 0, v2
	s_wait_alu 0xfffe
	v_cndmask_b32_e64 v4, 0, 1, s11
	v_cmp_eq_u32_e64 s11, 1, v3
	s_and_b32 s13, s9, s13
	s_and_b32 s15, s9, s15
	s_wait_alu 0xfffe
	v_cndmask_b32_e64 v14, 0, 1, s13
	s_and_b32 s13, s10, s14
	v_cndmask_b32_e64 v35, 0, 1, s15
	s_and_b32 s15, s10, s16
	s_and_b32 s9, s9, s17
	v_cmp_eq_u32_e64 s12, 1, v2
	s_wait_alu 0xfffe
	v_cndmask_b32_e64 v34, 0, 1, s13
	v_cmp_eq_u32_e64 s13, 2, v3
	v_cmp_eq_u32_e64 s14, 2, v2
	v_cndmask_b32_e64 v36, 0, 1, s15
	v_cmp_eq_u32_e64 s15, 3, v3
	v_cmp_eq_u32_e64 s16, 3, v2
	v_cndmask_b32_e64 v2, 0, 1, s9
	s_and_b32 s9, s10, s18
	s_and_b32 s10, s19, s21
	;; [unrolled: 1-line block ×4, first 2 shown]
	s_wait_alu 0xfffe
	v_cndmask_b32_e64 v3, 0, 1, s9
	v_cmp_ne_u32_e64 s9, 0, v1
	v_cndmask_b32_e64 v1, 0, 1, s10
	v_cmp_ne_u32_e64 s10, 0, v4
	;; [unrolled: 2-line block ×3, first 2 shown]
	v_cndmask_b32_e64 v14, 0, 1, s11
	s_and_b32 s12, s20, s12
	s_and_b32 s13, s19, s13
	;; [unrolled: 1-line block ×5, first 2 shown]
	v_cmp_ne_u32_e64 s11, 0, v34
	s_wait_alu 0xfffe
	v_cndmask_b32_e64 v34, 0, 1, s12
	v_cmp_ne_u32_e64 s12, 0, v35
	v_cndmask_b32_e64 v35, 0, 1, s13
	v_cmp_ne_u32_e64 s13, 0, v36
	;; [unrolled: 2-line block ×5, first 2 shown]
	s_bcnt1_i32_b32 s17, s17
	s_bcnt1_i32_b32 s20, s11
	v_cmp_ne_u32_e64 s11, 0, v34
	s_bcnt1_i32_b32 s18, s9
	v_cmp_ne_u32_e64 s9, 0, v1
	;; [unrolled: 2-line block ×4, first 2 shown]
	s_wait_alu 0xfffe
	s_add_co_i32 s17, s17, s28
	s_bcnt1_i32_b32 s16, s16
	s_bcnt1_i32_b32 s19, s10
	s_wait_alu 0xfffe
	s_add_co_i32 s16, s17, s16
	v_cmp_ne_u32_e64 s10, 0, v4
	s_bcnt1_i32_b32 s22, s13
	v_cmp_ne_u32_e64 s13, 0, v36
	s_bcnt1_i32_b32 s76, s15
	;; [unrolled: 2-line block ×3, first 2 shown]
	s_wait_alu 0xfffe
	s_add_co_i32 s16, s16, s20
	s_add_co_i32 s18, s18, s74
	s_add_co_i32 s21, s21, s27
	s_add_co_i32 s26, s75, s26
	s_bcnt1_i32_b32 s9, s9
	s_bcnt1_i32_b32 s12, s12
	;; [unrolled: 1-line block ×3, first 2 shown]
	s_wait_alu 0xfffe
	s_add_co_i32 s28, s16, s11
	s_wait_alu 0xfffe
	v_dual_mov_b32 v2, s28 :: v_dual_add_nc_u32 v13, s52, v13
	s_add_co_i32 s9, s18, s9
	s_add_co_i32 s12, s21, s12
	;; [unrolled: 1-line block ×3, first 2 shown]
	s_bcnt1_i32_b32 s10, s10
	s_bcnt1_i32_b32 s13, s13
	;; [unrolled: 1-line block ×3, first 2 shown]
	s_wait_alu 0xfffe
	s_add_co_i32 s9, s9, s19
	s_add_co_i32 s12, s12, s22
	;; [unrolled: 1-line block ×3, first 2 shown]
	v_cmp_le_i32_e32 vcc_lo, s23, v13
	s_wait_alu 0xfffe
	s_add_co_i32 s74, s9, s10
	s_add_co_i32 s27, s12, s13
	s_add_co_i32 s26, s14, s15
	s_wait_alu 0xfffe
	v_dual_mov_b32 v1, s74 :: v_dual_add_nc_u32 v6, s64, v6
	v_dual_mov_b32 v3, s27 :: v_dual_mov_b32 v4, s26
	s_or_b32 s25, vcc_lo, s25
	s_wait_alu 0xfffe
	s_and_not1_b32 exec_lo, exec_lo, s25
	s_cbranch_execnz .LBB56_59
; %bb.60:                               ;   in Loop: Header=BB56_7 Depth=1
	s_or_b32 exec_lo, exec_lo, s25
.LBB56_61:                              ;   in Loop: Header=BB56_7 Depth=1
	s_delay_alu instid0(SALU_CYCLE_1) | instskip(SKIP_2) | instid1(VALU_DEP_1)
	s_or_b32 exec_lo, exec_lo, s24
	v_add_nc_u32_e32 v6, s23, v0
	s_mov_b32 s14, exec_lo
	v_cmpx_gt_i32_e64 s40, v6
	s_cbranch_execz .LBB56_65
; %bb.62:                               ;   in Loop: Header=BB56_7 Depth=1
	v_lshlrev_b32_e32 v13, 1, v6
	s_mov_b32 s15, 0
.LBB56_63:                              ;   Parent Loop BB56_7 Depth=1
                                        ; =>  This Inner Loop Header: Depth=2
	ds_load_u16 v14, v13
	v_add_nc_u32_e32 v6, s50, v6
	v_add_nc_u32_e32 v13, s65, v13
	s_delay_alu instid0(VALU_DEP_2)
	v_cmp_le_i32_e32 vcc_lo, s40, v6
	s_wait_dscnt 0x0
	v_cmp_lt_i16_e64 s9, -1, v14
	s_wait_loadcnt 0x0
	v_and_b32_e32 v34, 0xffff, v14
	s_wait_alu 0xf1ff
	s_delay_alu instid0(VALU_DEP_2) | instskip(SKIP_1) | instid1(VALU_DEP_2)
	v_cndmask_b32_e64 v35, 0xffff, v29, s9
	v_cmp_o_f16_e64 s9, v14, v14
	v_xor_b32_e32 v34, v35, v34
	s_wait_alu 0xf1ff
	s_delay_alu instid0(VALU_DEP_1) | instskip(NEXT) | instid1(VALU_DEP_1)
	v_cndmask_b32_e64 v14, 0xffff, v34, s9
	v_and_b32_e32 v34, v14, v31
	v_bfe_u32 v14, v14, s73, 2
	s_delay_alu instid0(VALU_DEP_2) | instskip(NEXT) | instid1(VALU_DEP_2)
	v_cmp_eq_u32_e64 s9, v34, v22
	v_cmp_eq_u32_e64 s10, 0, v14
	;; [unrolled: 1-line block ×5, first 2 shown]
	s_and_b32 s10, s9, s10
	s_wait_alu 0xfffe
	v_cndmask_b32_e64 v14, 0, 1, s10
	s_and_b32 s10, s9, s11
	s_wait_alu 0xfffe
	v_cndmask_b32_e64 v34, 0, 1, s10
	s_and_b32 s10, s9, s12
	s_and_b32 s9, s9, s13
	s_wait_alu 0xfffe
	v_cndmask_b32_e64 v35, 0, 1, s10
	v_cndmask_b32_e64 v36, 0, 1, s9
	v_cmp_ne_u32_e64 s9, 0, v14
	v_cmp_ne_u32_e64 s10, 0, v34
	s_delay_alu instid0(VALU_DEP_4) | instskip(NEXT) | instid1(VALU_DEP_4)
	v_cmp_ne_u32_e64 s11, 0, v35
	v_cmp_ne_u32_e64 s12, 0, v36
	s_bcnt1_i32_b32 s9, s9
	s_bcnt1_i32_b32 s10, s10
	s_wait_alu 0xfffe
	v_add_nc_u32_e32 v1, s9, v1
	s_bcnt1_i32_b32 s11, s11
	s_bcnt1_i32_b32 s12, s12
	v_add_nc_u32_e32 v2, s10, v2
	s_wait_alu 0xfffe
	v_add_nc_u32_e32 v3, s11, v3
	v_add_nc_u32_e32 v4, s12, v4
	s_or_b32 s15, vcc_lo, s15
	s_wait_alu 0xfffe
	s_and_not1_b32 exec_lo, exec_lo, s15
	s_cbranch_execnz .LBB56_63
; %bb.64:                               ;   in Loop: Header=BB56_7 Depth=1
	s_or_b32 exec_lo, exec_lo, s15
.LBB56_65:                              ;   in Loop: Header=BB56_7 Depth=1
	s_wait_alu 0xfffe
	s_or_b32 exec_lo, exec_lo, s14
	v_lshlrev_b32_e32 v6, 7, v30
	s_and_saveexec_b32 s9, s4
	s_cbranch_execnz .LBB56_37
	s_branch .LBB56_38
.LBB56_66:                              ;   in Loop: Header=BB56_7 Depth=1
	s_or_b32 exec_lo, exec_lo, s12
	s_wait_dscnt 0x0
	s_barrier_signal -1
	s_barrier_wait -1
	global_inv scope:SCOPE_SE
	s_and_saveexec_b32 s9, s2
	s_cbranch_execz .LBB56_68
; %bb.67:                               ;   in Loop: Header=BB56_7 Depth=1
	ds_load_b32 v1, v7 offset:4104
	s_wait_dscnt 0x0
	ds_store_b32 v7, v1 offset:4096
.LBB56_68:                              ;   in Loop: Header=BB56_7 Depth=1
	s_wait_alu 0xfffe
	s_or_b32 exec_lo, exec_lo, s9
	s_wait_loadcnt_dscnt 0x0
	s_barrier_signal -1
	s_mov_b32 s9, -1
	s_barrier_wait -1
	s_and_b32 vcc_lo, exec_lo, s10
	s_wait_alu 0xfffe
	s_cbranch_vccnz .LBB56_22
	s_branch .LBB56_32
.LBB56_69:                              ;   in Loop: Header=BB56_7 Depth=1
	v_mov_b32_e32 v1, 0
	s_mov_b32 s10, 0
	s_and_not1_b32 vcc_lo, exec_lo, s60
	s_wait_alu 0xfffe
	s_cbranch_vccnz .LBB56_72
.LBB56_70:                              ;   in Loop: Header=BB56_7 Depth=1
	v_lshlrev_b32_e32 v2, 9, v30
	s_lshl_b32 s10, s10, 4
	s_wait_alu 0xfffe
	s_delay_alu instid0(VALU_DEP_1)
	v_add3_u32 v2, v2, s10, v28
	s_mov_b32 s10, s57
.LBB56_71:                              ;   Parent Loop BB56_7 Depth=1
                                        ; =>  This Inner Loop Header: Depth=2
	ds_load_b32 v3, v2
	v_add_nc_u32_e32 v2, 16, v2
	s_wait_alu 0xfffe
	s_add_co_i32 s10, s10, -1
	s_wait_alu 0xfffe
	s_cmp_lg_u32 s10, 0
	s_wait_dscnt 0x0
	v_add_nc_u32_e32 v1, v3, v1
	s_cbranch_scc1 .LBB56_71
.LBB56_72:                              ;   in Loop: Header=BB56_7 Depth=1
	v_add_lshl_u32 v2, v6, v15, 2
	ds_store_b32 v2, v1 offset:3072
.LBB56_73:                              ;   in Loop: Header=BB56_7 Depth=1
	s_wait_alu 0xfffe
	s_or_b32 exec_lo, exec_lo, s9
	v_lshlrev_b32_e32 v1, 2, v6
	s_wait_loadcnt_dscnt 0x0
	s_barrier_signal -1
	s_barrier_wait -1
	global_inv scope:SCOPE_SE
	ds_load_b128 v[1:4], v1 offset:3072
	s_lshl_b32 s10, 3, s73
	v_cmp_eq_u32_e32 vcc_lo, 1, v33
	s_wait_alu 0xfffe
	s_not_b32 s17, s10
	s_mov_b32 s13, -1
	s_mov_b32 s15, -1
                                        ; implicit-def: $sgpr20
                                        ; implicit-def: $sgpr18
	s_wait_dscnt 0x0
	v_readfirstlane_b32 s12, v1
	v_readfirstlane_b32 s19, v2
	;; [unrolled: 1-line block ×4, first 2 shown]
	s_cmp_eq_u32 s12, 1
	s_cselect_b32 s11, -1, 0
	s_wait_alu 0xfffe
	s_and_b32 s14, s11, vcc_lo
	s_wait_alu 0xfffe
	s_and_saveexec_b32 s11, s14
	s_cbranch_execz .LBB56_101
; %bb.74:                               ;   in Loop: Header=BB56_7 Depth=1
	ds_load_b32 v1, v7 offset:4096
	s_wait_loadcnt_dscnt 0x0
	s_barrier_signal -1
	s_barrier_wait -1
	global_inv scope:SCOPE_SE
	v_readfirstlane_b32 s15, v1
	s_and_saveexec_b32 s18, s0
; %bb.75:                               ;   in Loop: Header=BB56_7 Depth=1
	ds_store_b16 v18, v7
; %bb.76:                               ;   in Loop: Header=BB56_7 Depth=1
	s_wait_alu 0xfffe
	s_or_b32 exec_lo, exec_lo, s18
	v_and_b32_e32 v22, s17, v22
	v_or_b32_e32 v31, s10, v31
	s_mov_b32 s18, -1
	s_mov_b32 s20, 0
	s_cmp_lt_i32 s15, 1
	s_mov_b32 s21, 0
	s_mov_b32 s22, -1
	s_wait_loadcnt_dscnt 0x0
	s_barrier_signal -1
	s_barrier_wait -1
	global_inv scope:SCOPE_SE
                                        ; implicit-def: $vgpr32
	s_cbranch_scc0 .LBB56_88
; %bb.77:                               ;   in Loop: Header=BB56_7 Depth=1
	s_mov_b32 s22, 0
                                        ; implicit-def: $vgpr32
	s_and_saveexec_b32 s23, s8
	s_cbranch_execz .LBB56_87
; %bb.78:                               ;   in Loop: Header=BB56_7 Depth=1
	v_mov_b32_e32 v1, v5
	v_mov_b32_e32 v3, v0
                                        ; implicit-def: $sgpr24
	s_branch .LBB56_82
.LBB56_79:                              ;   in Loop: Header=BB56_82 Depth=2
	s_wait_alu 0xfffe
	s_or_b32 exec_lo, exec_lo, s25
	s_wait_loadcnt_dscnt 0x0
	s_barrier_signal -1
	s_barrier_wait -1
	global_inv scope:SCOPE_SE
	ds_load_b32 v2, v7 offset:3072
	s_wait_loadcnt_dscnt 0x0
	s_barrier_signal -1
	s_barrier_wait -1
	global_inv scope:SCOPE_SE
	v_cmp_neq_f16_e32 vcc_lo, 0, v2
	s_cbranch_vccnz .LBB56_85
; %bb.80:                               ;   in Loop: Header=BB56_82 Depth=2
	v_add_nc_u32_e32 v3, s50, v3
	v_add_nc_u32_e32 v1, s54, v1
	s_mov_b32 s25, 0
	s_delay_alu instid0(VALU_DEP_2)
	v_cmp_le_i32_e32 vcc_lo, s62, v3
	s_or_not1_b32 s26, vcc_lo, exec_lo
.LBB56_81:                              ;   in Loop: Header=BB56_82 Depth=2
	s_wait_alu 0xfffe
	s_and_b32 s26, exec_lo, s26
	s_wait_alu 0xfffe
	s_or_b32 s21, s26, s21
	s_and_not1_b32 s24, s24, exec_lo
	s_and_b32 s25, s25, exec_lo
	s_wait_alu 0xfffe
	s_or_b32 s24, s24, s25
	s_and_not1_b32 exec_lo, exec_lo, s21
	s_cbranch_execz .LBB56_86
.LBB56_82:                              ;   Parent Loop BB56_7 Depth=1
                                        ; =>  This Inner Loop Header: Depth=2
	s_mov_b32 s25, exec_lo
	s_delay_alu instid0(VALU_DEP_1)
	v_cmpx_gt_i32_e64 s36, v3
	s_cbranch_execz .LBB56_79
; %bb.83:                               ;   in Loop: Header=BB56_82 Depth=2
	v_ashrrev_i32_e32 v2, 31, v1
	s_delay_alu instid0(VALU_DEP_1) | instskip(NEXT) | instid1(VALU_DEP_1)
	v_lshlrev_b64_e32 v[13:14], 1, v[1:2]
	v_add_co_u32 v13, vcc_lo, s42, v13
	s_wait_alu 0xfffd
	s_delay_alu instid0(VALU_DEP_2)
	v_add_co_ci_u32_e64 v14, null, s43, v14, vcc_lo
	global_load_u16 v2, v[13:14], off
	s_wait_loadcnt 0x0
	v_cmp_lt_i16_e32 vcc_lo, -1, v2
	v_and_b32_e32 v4, 0xffff, v2
	s_wait_alu 0xfffd
	v_cndmask_b32_e32 v6, 0xffff, v29, vcc_lo
	v_cmp_o_f16_e32 vcc_lo, v2, v2
	s_delay_alu instid0(VALU_DEP_2) | instskip(SKIP_1) | instid1(VALU_DEP_1)
	v_xor_b32_e32 v4, v6, v4
	s_wait_alu 0xfffd
	v_cndmask_b32_e32 v4, 0xffff, v4, vcc_lo
	s_delay_alu instid0(VALU_DEP_1) | instskip(NEXT) | instid1(VALU_DEP_1)
	v_and_b32_e32 v4, v4, v31
	v_cmp_eq_u32_e32 vcc_lo, v4, v22
	s_and_b32 exec_lo, exec_lo, vcc_lo
	s_cbranch_execz .LBB56_79
; %bb.84:                               ;   in Loop: Header=BB56_82 Depth=2
	v_perm_b32 v2, v2, s66, 0x5040100
	ds_store_b32 v7, v2 offset:3072
	s_branch .LBB56_79
.LBB56_85:                              ;   in Loop: Header=BB56_82 Depth=2
	s_mov_b32 s26, -1
	s_mov_b32 s25, -1
                                        ; implicit-def: $vgpr3
                                        ; implicit-def: $vgpr1
	s_branch .LBB56_81
.LBB56_86:                              ;   in Loop: Header=BB56_7 Depth=1
	s_or_b32 exec_lo, exec_lo, s21
	v_lshrrev_b32_e32 v32, 16, v2
	s_wait_alu 0xfffe
	s_and_b32 s21, s24, exec_lo
.LBB56_87:                              ;   in Loop: Header=BB56_7 Depth=1
	s_wait_alu 0xfffe
	s_or_b32 exec_lo, exec_lo, s23
.LBB56_88:                              ;   in Loop: Header=BB56_7 Depth=1
	s_wait_alu 0xfffe
	s_and_b32 vcc_lo, exec_lo, s22
	s_wait_alu 0xfffe
	s_cbranch_vccz .LBB56_100
; %bb.89:                               ;   in Loop: Header=BB56_7 Depth=1
	s_add_co_i32 s20, s15, s53
                                        ; implicit-def: $vgpr32
	s_wait_alu 0xfffe
	s_abs_i32 s40, s20
	s_wait_alu 0xfffe
	s_mul_u64 s[22:23], s[40:41], s[46:47]
	s_ashr_i32 s22, s20, 31
	s_wait_alu 0xfffe
	s_mul_i32 s18, s23, s50
	s_wait_alu 0xfffe
	s_sub_co_i32 s18, s40, s18
	s_wait_alu 0xfffe
	s_sub_co_i32 s23, s18, s50
	s_cmp_ge_u32 s18, s50
	s_wait_alu 0xfffe
	s_cselect_b32 s18, s23, s18
	s_wait_alu 0xfffe
	s_sub_co_i32 s23, s18, s50
	s_cmp_ge_u32 s18, s50
	s_wait_alu 0xfffe
	s_cselect_b32 s18, s23, s18
	s_wait_alu 0xfffe
	s_xor_b32 s18, s18, s22
	s_wait_alu 0xfffe
	s_sub_co_i32 s18, s22, s18
	s_wait_alu 0xfffe
	s_add_co_i32 s20, s20, s18
	s_mov_b32 s18, exec_lo
	s_wait_alu 0xfffe
	v_cmpx_gt_i32_e64 s20, v0
	s_cbranch_execz .LBB56_99
; %bb.90:                               ;   in Loop: Header=BB56_7 Depth=1
	v_dual_mov_b32 v1, v17 :: v_dual_mov_b32 v2, v0
	s_mov_b32 s22, 0
                                        ; implicit-def: $sgpr23
	s_branch .LBB56_94
.LBB56_91:                              ;   in Loop: Header=BB56_94 Depth=2
	s_wait_alu 0xfffe
	s_or_b32 exec_lo, exec_lo, s24
	s_wait_loadcnt_dscnt 0x0
	s_barrier_signal -1
	s_barrier_wait -1
	global_inv scope:SCOPE_SE
	ds_load_b32 v3, v7 offset:3072
	s_wait_loadcnt_dscnt 0x0
	s_barrier_signal -1
	s_barrier_wait -1
	global_inv scope:SCOPE_SE
	v_cmp_neq_f16_e32 vcc_lo, 0, v3
	s_cbranch_vccnz .LBB56_97
; %bb.92:                               ;   in Loop: Header=BB56_94 Depth=2
	v_add_nc_u32_e32 v2, s50, v2
	v_add_nc_u32_e32 v1, s65, v1
	s_mov_b32 s24, 0
	s_delay_alu instid0(VALU_DEP_2)
	v_cmp_le_i32_e32 vcc_lo, s20, v2
	s_or_not1_b32 s25, vcc_lo, exec_lo
.LBB56_93:                              ;   in Loop: Header=BB56_94 Depth=2
	s_wait_alu 0xfffe
	s_and_b32 s25, exec_lo, s25
	s_wait_alu 0xfffe
	s_or_b32 s22, s25, s22
	s_and_not1_b32 s23, s23, exec_lo
	s_and_b32 s24, s24, exec_lo
	s_wait_alu 0xfffe
	s_or_b32 s23, s23, s24
	s_and_not1_b32 exec_lo, exec_lo, s22
	s_cbranch_execz .LBB56_98
.LBB56_94:                              ;   Parent Loop BB56_7 Depth=1
                                        ; =>  This Inner Loop Header: Depth=2
	s_mov_b32 s24, exec_lo
	s_delay_alu instid0(VALU_DEP_1)
	v_cmpx_gt_i32_e64 s15, v2
	s_cbranch_execz .LBB56_91
; %bb.95:                               ;   in Loop: Header=BB56_94 Depth=2
	ds_load_u16 v3, v1
	s_wait_dscnt 0x0
	v_cmp_lt_i16_e32 vcc_lo, -1, v3
	v_and_b32_e32 v4, 0xffff, v3
	s_wait_alu 0xfffd
	v_cndmask_b32_e32 v6, 0xffff, v29, vcc_lo
	v_cmp_o_f16_e32 vcc_lo, v3, v3
	s_delay_alu instid0(VALU_DEP_2) | instskip(SKIP_1) | instid1(VALU_DEP_1)
	v_xor_b32_e32 v4, v6, v4
	s_wait_alu 0xfffd
	v_cndmask_b32_e32 v4, 0xffff, v4, vcc_lo
	s_delay_alu instid0(VALU_DEP_1) | instskip(NEXT) | instid1(VALU_DEP_1)
	v_and_b32_e32 v4, v4, v31
	v_cmp_eq_u32_e32 vcc_lo, v4, v22
	s_and_b32 exec_lo, exec_lo, vcc_lo
	s_cbranch_execz .LBB56_91
; %bb.96:                               ;   in Loop: Header=BB56_94 Depth=2
	v_perm_b32 v3, v3, s66, 0x5040100
	ds_store_b32 v7, v3 offset:3072
	s_branch .LBB56_91
.LBB56_97:                              ;   in Loop: Header=BB56_94 Depth=2
	s_mov_b32 s25, -1
	s_mov_b32 s24, -1
                                        ; implicit-def: $vgpr2
                                        ; implicit-def: $vgpr1
	s_branch .LBB56_93
.LBB56_98:                              ;   in Loop: Header=BB56_7 Depth=1
	s_or_b32 exec_lo, exec_lo, s22
	s_delay_alu instid0(SALU_CYCLE_1)
	s_and_not1_b32 s15, s21, exec_lo
	s_wait_alu 0xfffe
	s_and_b32 s20, s23, exec_lo
	v_lshrrev_b32_e32 v32, 16, v3
	s_wait_alu 0xfffe
	s_or_b32 s21, s15, s20
.LBB56_99:                              ;   in Loop: Header=BB56_7 Depth=1
	s_or_b32 exec_lo, exec_lo, s18
	s_mov_b32 s18, 0
	s_mov_b32 s20, -1
.LBB56_100:                             ;   in Loop: Header=BB56_7 Depth=1
	s_wait_alu 0xfffe
	s_or_not1_b32 s15, s21, exec_lo
.LBB56_101:                             ;   in Loop: Header=BB56_7 Depth=1
	s_wait_alu 0xfffe
	s_or_b32 exec_lo, exec_lo, s11
	v_readfirstlane_b32 s21, v0
	s_and_not1_b32 s11, s71, exec_lo
	s_and_b32 s20, s20, exec_lo
	s_and_not1_b32 s22, s69, exec_lo
	s_and_b32 s18, s18, exec_lo
	s_and_not1_b32 s68, s68, exec_lo
	s_wait_alu 0xfffe
	s_or_b32 s71, s11, s20
	s_or_b32 s69, s22, s18
                                        ; implicit-def: $vgpr4
	s_and_saveexec_b32 s11, s15
	s_cbranch_execz .LBB56_6
; %bb.102:                              ;   in Loop: Header=BB56_7 Depth=1
	v_dual_mov_b32 v4, 1 :: v_dual_mov_b32 v3, 1
	s_xor_b32 s14, s14, -1
	s_mov_b32 s20, 0
	s_wait_alu 0xfffe
	s_and_saveexec_b32 s13, s14
	s_cbranch_execz .LBB56_111
; %bb.103:                              ;   in Loop: Header=BB56_7 Depth=1
	s_mov_b32 s14, exec_lo
	v_cmpx_ge_i32_e64 s12, v33
	s_wait_alu 0xfffe
	s_xor_b32 s14, exec_lo, s14
	s_cbranch_execz .LBB56_108
; %bb.104:                              ;   in Loop: Header=BB56_7 Depth=1
	ds_load_b32 v1, v7 offset:4096
	v_and_b32_e32 v22, s17, v22
	v_or_b32_e32 v31, s10, v31
	s_wait_dscnt 0x0
	v_cmp_ne_u32_e32 vcc_lo, 0, v1
	s_cbranch_vccnz .LBB56_108
; %bb.105:                              ;   in Loop: Header=BB56_7 Depth=1
	s_and_saveexec_b32 s15, s2
; %bb.106:                              ;   in Loop: Header=BB56_7 Depth=1
	v_mov_b32_e32 v1, s12
	ds_store_b32 v7, v1 offset:4100
; %bb.107:                              ;   in Loop: Header=BB56_7 Depth=1
	s_wait_alu 0xfffe
	s_or_b32 exec_lo, exec_lo, s15
	s_wait_loadcnt_dscnt 0x0
	s_barrier_signal -1
	s_barrier_wait -1
	global_inv scope:SCOPE_SE
.LBB56_108:                             ;   in Loop: Header=BB56_7 Depth=1
	s_wait_alu 0xfffe
	s_or_saveexec_b32 s14, s14
	v_mov_b32_e32 v3, 8
	s_mov_b32 s15, 0
	s_wait_alu 0xfffe
	s_xor_b32 exec_lo, exec_lo, s14
; %bb.109:                              ;   in Loop: Header=BB56_7 Depth=1
	v_subrev_nc_u32_e32 v33, s12, v33
	v_mov_b32_e32 v3, 0
	s_mov_b32 s15, exec_lo
; %bb.110:                              ;   in Loop: Header=BB56_7 Depth=1
	s_or_b32 exec_lo, exec_lo, s14
	s_delay_alu instid0(VALU_DEP_2)
	v_mov_b32_e32 v4, v33
	s_wait_alu 0xfffe
	s_and_b32 s20, s15, exec_lo
.LBB56_111:                             ;   in Loop: Header=BB56_7 Depth=1
	s_wait_alu 0xfffe
	s_or_b32 exec_lo, exec_lo, s13
	s_mov_b32 s12, -1
	s_mov_b32 s18, -1
                                        ; implicit-def: $sgpr14
                                        ; implicit-def: $sgpr15
	s_and_saveexec_b32 s13, s20
	s_wait_alu 0xfffe
	s_xor_b32 s13, exec_lo, s13
	s_cbranch_execz .LBB56_234
; %bb.112:                              ;   in Loop: Header=BB56_7 Depth=1
	v_cmp_eq_u32_e32 vcc_lo, 1, v4
	s_cmp_eq_u32 s19, 1
	s_mov_b32 s21, -1
	s_cselect_b32 s14, -1, 0
                                        ; implicit-def: $sgpr15
	s_wait_alu 0xfffe
	s_and_b32 s20, s14, vcc_lo
                                        ; implicit-def: $sgpr14
	s_wait_alu 0xfffe
	s_and_saveexec_b32 s18, s20
	s_cbranch_execz .LBB56_140
; %bb.113:                              ;   in Loop: Header=BB56_7 Depth=1
	ds_load_b32 v1, v7 offset:4096
	s_wait_loadcnt_dscnt 0x0
	s_barrier_signal -1
	s_barrier_wait -1
	global_inv scope:SCOPE_SE
	v_readfirstlane_b32 s21, v1
	s_and_saveexec_b32 s14, s0
; %bb.114:                              ;   in Loop: Header=BB56_7 Depth=1
	ds_store_b16 v18, v7
; %bb.115:                              ;   in Loop: Header=BB56_7 Depth=1
	s_wait_alu 0xfffe
	s_or_b32 exec_lo, exec_lo, s14
	s_lshl_b32 s14, 1, s73
	v_or_b32_e32 v31, s10, v31
	s_wait_alu 0xfffe
	v_and_or_b32 v22, v22, s17, s14
	s_mov_b32 s14, -1
	s_mov_b32 s15, 0
	s_cmp_gt_i32 s21, 0
	s_mov_b32 s22, 0
	s_mov_b32 s23, -1
	s_wait_loadcnt_dscnt 0x0
	s_barrier_signal -1
	s_barrier_wait -1
	global_inv scope:SCOPE_SE
                                        ; implicit-def: $vgpr32
	s_cbranch_scc1 .LBB56_127
; %bb.116:                              ;   in Loop: Header=BB56_7 Depth=1
	s_mov_b32 s23, 0
                                        ; implicit-def: $vgpr32
	s_and_saveexec_b32 s24, s8
	s_cbranch_execz .LBB56_126
; %bb.117:                              ;   in Loop: Header=BB56_7 Depth=1
	v_dual_mov_b32 v1, v5 :: v_dual_mov_b32 v6, v0
                                        ; implicit-def: $sgpr25
	s_branch .LBB56_121
.LBB56_118:                             ;   in Loop: Header=BB56_121 Depth=2
	s_wait_alu 0xfffe
	s_or_b32 exec_lo, exec_lo, s26
	s_wait_loadcnt_dscnt 0x0
	s_barrier_signal -1
	s_barrier_wait -1
	global_inv scope:SCOPE_SE
	ds_load_b32 v2, v7 offset:3072
	s_wait_loadcnt_dscnt 0x0
	s_barrier_signal -1
	s_barrier_wait -1
	global_inv scope:SCOPE_SE
	v_cmp_neq_f16_e32 vcc_lo, 0, v2
	s_cbranch_vccnz .LBB56_124
; %bb.119:                              ;   in Loop: Header=BB56_121 Depth=2
	v_add_nc_u32_e32 v6, s50, v6
	v_add_nc_u32_e32 v1, s54, v1
	s_mov_b32 s26, 0
	s_delay_alu instid0(VALU_DEP_2)
	v_cmp_le_i32_e32 vcc_lo, s62, v6
	s_or_not1_b32 s27, vcc_lo, exec_lo
.LBB56_120:                             ;   in Loop: Header=BB56_121 Depth=2
	s_wait_alu 0xfffe
	s_and_b32 s27, exec_lo, s27
	s_wait_alu 0xfffe
	s_or_b32 s22, s27, s22
	s_and_not1_b32 s25, s25, exec_lo
	s_and_b32 s26, s26, exec_lo
	s_wait_alu 0xfffe
	s_or_b32 s25, s25, s26
	s_and_not1_b32 exec_lo, exec_lo, s22
	s_cbranch_execz .LBB56_125
.LBB56_121:                             ;   Parent Loop BB56_7 Depth=1
                                        ; =>  This Inner Loop Header: Depth=2
	s_mov_b32 s26, exec_lo
	s_delay_alu instid0(VALU_DEP_1)
	v_cmpx_gt_i32_e64 s36, v6
	s_cbranch_execz .LBB56_118
; %bb.122:                              ;   in Loop: Header=BB56_121 Depth=2
	v_ashrrev_i32_e32 v2, 31, v1
	s_delay_alu instid0(VALU_DEP_1) | instskip(NEXT) | instid1(VALU_DEP_1)
	v_lshlrev_b64_e32 v[13:14], 1, v[1:2]
	v_add_co_u32 v13, vcc_lo, s42, v13
	s_wait_alu 0xfffd
	s_delay_alu instid0(VALU_DEP_2)
	v_add_co_ci_u32_e64 v14, null, s43, v14, vcc_lo
	global_load_u16 v2, v[13:14], off
	s_wait_loadcnt 0x0
	v_cmp_lt_i16_e32 vcc_lo, -1, v2
	s_wait_alu 0xfffd
	v_dual_cndmask_b32 v14, 0xffff, v29 :: v_dual_and_b32 v13, 0xffff, v2
	v_cmp_o_f16_e32 vcc_lo, v2, v2
	s_delay_alu instid0(VALU_DEP_2) | instskip(SKIP_1) | instid1(VALU_DEP_1)
	v_xor_b32_e32 v13, v14, v13
	s_wait_alu 0xfffd
	v_cndmask_b32_e32 v13, 0xffff, v13, vcc_lo
	s_delay_alu instid0(VALU_DEP_1) | instskip(NEXT) | instid1(VALU_DEP_1)
	v_and_b32_e32 v13, v13, v31
	v_cmp_eq_u32_e32 vcc_lo, v13, v22
	s_and_b32 exec_lo, exec_lo, vcc_lo
	s_cbranch_execz .LBB56_118
; %bb.123:                              ;   in Loop: Header=BB56_121 Depth=2
	v_perm_b32 v2, v2, s66, 0x5040100
	ds_store_b32 v7, v2 offset:3072
	s_branch .LBB56_118
.LBB56_124:                             ;   in Loop: Header=BB56_121 Depth=2
	s_mov_b32 s27, -1
	s_mov_b32 s26, -1
                                        ; implicit-def: $vgpr6
                                        ; implicit-def: $vgpr1
	s_branch .LBB56_120
.LBB56_125:                             ;   in Loop: Header=BB56_7 Depth=1
	s_or_b32 exec_lo, exec_lo, s22
	v_lshrrev_b32_e32 v32, 16, v2
	s_wait_alu 0xfffe
	s_and_b32 s22, s25, exec_lo
.LBB56_126:                             ;   in Loop: Header=BB56_7 Depth=1
	s_wait_alu 0xfffe
	s_or_b32 exec_lo, exec_lo, s24
.LBB56_127:                             ;   in Loop: Header=BB56_7 Depth=1
	s_wait_alu 0xfffe
	s_and_b32 vcc_lo, exec_lo, s23
	s_wait_alu 0xfffe
	s_cbranch_vccz .LBB56_139
; %bb.128:                              ;   in Loop: Header=BB56_7 Depth=1
	s_add_co_i32 s23, s21, s53
                                        ; implicit-def: $vgpr32
	s_wait_alu 0xfffe
	s_abs_i32 s40, s23
	s_wait_alu 0xfffe
	s_mul_u64 s[14:15], s[40:41], s[46:47]
	s_wait_alu 0xfffe
	s_mul_i32 s14, s15, s50
	s_ashr_i32 s15, s23, 31
	s_wait_alu 0xfffe
	s_sub_co_i32 s14, s40, s14
	s_wait_alu 0xfffe
	s_sub_co_i32 s24, s14, s50
	s_cmp_ge_u32 s14, s50
	s_wait_alu 0xfffe
	s_cselect_b32 s14, s24, s14
	s_wait_alu 0xfffe
	s_sub_co_i32 s24, s14, s50
	s_cmp_ge_u32 s14, s50
	s_wait_alu 0xfffe
	s_cselect_b32 s14, s24, s14
	s_wait_alu 0xfffe
	s_xor_b32 s14, s14, s15
	s_wait_alu 0xfffe
	s_sub_co_i32 s14, s15, s14
	s_wait_alu 0xfffe
	s_add_co_i32 s15, s23, s14
	s_mov_b32 s14, exec_lo
	s_wait_alu 0xfffe
	v_cmpx_gt_i32_e64 s15, v0
	s_cbranch_execz .LBB56_138
; %bb.129:                              ;   in Loop: Header=BB56_7 Depth=1
	v_dual_mov_b32 v1, v17 :: v_dual_mov_b32 v2, v0
	s_mov_b32 s23, 0
                                        ; implicit-def: $sgpr24
	s_branch .LBB56_133
.LBB56_130:                             ;   in Loop: Header=BB56_133 Depth=2
	s_wait_alu 0xfffe
	s_or_b32 exec_lo, exec_lo, s25
	s_wait_loadcnt_dscnt 0x0
	s_barrier_signal -1
	s_barrier_wait -1
	global_inv scope:SCOPE_SE
	ds_load_b32 v6, v7 offset:3072
	s_wait_loadcnt_dscnt 0x0
	s_barrier_signal -1
	s_barrier_wait -1
	global_inv scope:SCOPE_SE
	v_cmp_eq_f16_e32 vcc_lo, 0, v6
	s_cbranch_vccz .LBB56_136
; %bb.131:                              ;   in Loop: Header=BB56_133 Depth=2
	v_add_nc_u32_e32 v2, s50, v2
	v_add_nc_u32_e32 v1, s65, v1
	s_mov_b32 s25, 0
	s_delay_alu instid0(VALU_DEP_2)
	v_cmp_le_i32_e32 vcc_lo, s15, v2
	s_or_not1_b32 s26, vcc_lo, exec_lo
.LBB56_132:                             ;   in Loop: Header=BB56_133 Depth=2
	s_wait_alu 0xfffe
	s_and_b32 s26, exec_lo, s26
	s_wait_alu 0xfffe
	s_or_b32 s23, s26, s23
	s_and_not1_b32 s24, s24, exec_lo
	s_and_b32 s25, s25, exec_lo
	s_wait_alu 0xfffe
	s_or_b32 s24, s24, s25
	s_and_not1_b32 exec_lo, exec_lo, s23
	s_cbranch_execz .LBB56_137
.LBB56_133:                             ;   Parent Loop BB56_7 Depth=1
                                        ; =>  This Inner Loop Header: Depth=2
	s_mov_b32 s25, exec_lo
	s_delay_alu instid0(VALU_DEP_1)
	v_cmpx_gt_i32_e64 s21, v2
	s_cbranch_execz .LBB56_130
; %bb.134:                              ;   in Loop: Header=BB56_133 Depth=2
	ds_load_u16 v6, v1
	s_wait_dscnt 0x0
	v_cmp_lt_i16_e32 vcc_lo, -1, v6
	s_wait_alu 0xfffd
	v_dual_cndmask_b32 v14, 0xffff, v29 :: v_dual_and_b32 v13, 0xffff, v6
	v_cmp_o_f16_e32 vcc_lo, v6, v6
	s_delay_alu instid0(VALU_DEP_2) | instskip(SKIP_1) | instid1(VALU_DEP_1)
	v_xor_b32_e32 v13, v14, v13
	s_wait_alu 0xfffd
	v_cndmask_b32_e32 v13, 0xffff, v13, vcc_lo
	s_delay_alu instid0(VALU_DEP_1) | instskip(NEXT) | instid1(VALU_DEP_1)
	v_and_b32_e32 v13, v13, v31
	v_cmp_eq_u32_e32 vcc_lo, v13, v22
	s_and_b32 exec_lo, exec_lo, vcc_lo
	s_cbranch_execz .LBB56_130
; %bb.135:                              ;   in Loop: Header=BB56_133 Depth=2
	v_perm_b32 v6, v6, s66, 0x5040100
	ds_store_b32 v7, v6 offset:3072
	s_branch .LBB56_130
.LBB56_136:                             ;   in Loop: Header=BB56_133 Depth=2
	s_mov_b32 s26, -1
	s_mov_b32 s25, -1
                                        ; implicit-def: $vgpr2
                                        ; implicit-def: $vgpr1
	s_branch .LBB56_132
.LBB56_137:                             ;   in Loop: Header=BB56_7 Depth=1
	s_or_b32 exec_lo, exec_lo, s23
	v_lshrrev_b32_e32 v32, 16, v6
	s_and_not1_b32 s15, s22, exec_lo
	s_wait_alu 0xfffe
	s_and_b32 s21, s24, exec_lo
	s_wait_alu 0xfffe
	s_or_b32 s22, s15, s21
.LBB56_138:                             ;   in Loop: Header=BB56_7 Depth=1
	s_or_b32 exec_lo, exec_lo, s14
	s_mov_b32 s14, 0
	s_mov_b32 s15, -1
.LBB56_139:                             ;   in Loop: Header=BB56_7 Depth=1
	s_wait_alu 0xfffe
	s_or_not1_b32 s21, s22, exec_lo
.LBB56_140:                             ;   in Loop: Header=BB56_7 Depth=1
	s_wait_alu 0xfffe
	s_or_b32 exec_lo, exec_lo, s18
	s_mov_b32 s22, 0
	s_and_saveexec_b32 s18, s21
	s_cbranch_execz .LBB56_233
; %bb.141:                              ;   in Loop: Header=BB56_7 Depth=1
	v_dual_mov_b32 v6, 1 :: v_dual_mov_b32 v3, 1
	s_xor_b32 s21, s20, -1
	s_mov_b32 s23, 0
	s_wait_alu 0xfffe
	s_and_saveexec_b32 s20, s21
	s_cbranch_execz .LBB56_150
; %bb.142:                              ;   in Loop: Header=BB56_7 Depth=1
	s_mov_b32 s21, exec_lo
	v_cmpx_ge_i32_e64 s19, v4
	s_wait_alu 0xfffe
	s_xor_b32 s21, exec_lo, s21
	s_cbranch_execz .LBB56_147
; %bb.143:                              ;   in Loop: Header=BB56_7 Depth=1
	ds_load_b32 v1, v7 offset:4096
	s_lshl_b32 s22, 1, s73
	v_or_b32_e32 v31, s10, v31
	s_wait_alu 0xfffe
	v_and_or_b32 v22, v22, s17, s22
	s_wait_dscnt 0x0
	v_cmp_ne_u32_e32 vcc_lo, 0, v1
	s_cbranch_vccnz .LBB56_147
; %bb.144:                              ;   in Loop: Header=BB56_7 Depth=1
	s_and_saveexec_b32 s22, s2
; %bb.145:                              ;   in Loop: Header=BB56_7 Depth=1
	v_mov_b32_e32 v1, s19
	ds_store_b32 v7, v1 offset:4100
; %bb.146:                              ;   in Loop: Header=BB56_7 Depth=1
	s_wait_alu 0xfffe
	s_or_b32 exec_lo, exec_lo, s22
	s_wait_loadcnt_dscnt 0x0
	s_barrier_signal -1
	s_barrier_wait -1
	global_inv scope:SCOPE_SE
.LBB56_147:                             ;   in Loop: Header=BB56_7 Depth=1
	s_wait_alu 0xfffe
	s_or_saveexec_b32 s21, s21
	v_mov_b32_e32 v3, 8
	s_mov_b32 s22, 0
	s_wait_alu 0xfffe
	s_xor_b32 exec_lo, exec_lo, s21
; %bb.148:                              ;   in Loop: Header=BB56_7 Depth=1
	v_subrev_nc_u32_e32 v4, s19, v4
	v_mov_b32_e32 v3, 0
	s_mov_b32 s22, exec_lo
; %bb.149:                              ;   in Loop: Header=BB56_7 Depth=1
	s_or_b32 exec_lo, exec_lo, s21
	s_delay_alu instid0(VALU_DEP_2)
	v_mov_b32_e32 v6, v4
	s_wait_alu 0xfffe
	s_and_b32 s23, s22, exec_lo
.LBB56_150:                             ;   in Loop: Header=BB56_7 Depth=1
	s_wait_alu 0xfffe
	s_or_b32 exec_lo, exec_lo, s20
	s_mov_b32 s22, -1
                                        ; implicit-def: $sgpr20
                                        ; implicit-def: $sgpr21
	s_and_saveexec_b32 s19, s23
	s_cbranch_execz .LBB56_232
; %bb.151:                              ;   in Loop: Header=BB56_7 Depth=1
	v_cmp_eq_u32_e32 vcc_lo, 1, v6
	s_cmp_eq_u32 s16, 1
	s_mov_b32 s24, -1
	s_cselect_b32 s20, -1, 0
                                        ; implicit-def: $sgpr21
	s_wait_alu 0xfffe
	s_and_b32 s23, s20, vcc_lo
                                        ; implicit-def: $sgpr20
	s_wait_alu 0xfffe
	s_and_saveexec_b32 s22, s23
	s_cbranch_execz .LBB56_179
; %bb.152:                              ;   in Loop: Header=BB56_7 Depth=1
	ds_load_b32 v1, v7 offset:4096
	s_wait_loadcnt_dscnt 0x0
	s_barrier_signal -1
	s_barrier_wait -1
	global_inv scope:SCOPE_SE
	v_readfirstlane_b32 s24, v1
	s_and_saveexec_b32 s20, s0
; %bb.153:                              ;   in Loop: Header=BB56_7 Depth=1
	ds_store_b16 v18, v7
; %bb.154:                              ;   in Loop: Header=BB56_7 Depth=1
	s_wait_alu 0xfffe
	s_or_b32 exec_lo, exec_lo, s20
	s_lshl_b32 s20, 2, s73
	v_or_b32_e32 v31, s10, v31
	s_wait_alu 0xfffe
	v_and_or_b32 v22, v22, s17, s20
	s_mov_b32 s20, -1
	s_mov_b32 s21, 0
	s_cmp_gt_i32 s24, 0
	s_mov_b32 s25, 0
	s_mov_b32 s26, -1
	s_wait_loadcnt_dscnt 0x0
	s_barrier_signal -1
	s_barrier_wait -1
	global_inv scope:SCOPE_SE
                                        ; implicit-def: $vgpr32
	s_cbranch_scc1 .LBB56_166
; %bb.155:                              ;   in Loop: Header=BB56_7 Depth=1
	s_mov_b32 s26, 0
                                        ; implicit-def: $vgpr32
	s_and_saveexec_b32 s27, s8
	s_cbranch_execz .LBB56_165
; %bb.156:                              ;   in Loop: Header=BB56_7 Depth=1
	v_dual_mov_b32 v1, v5 :: v_dual_mov_b32 v4, v0
                                        ; implicit-def: $sgpr28
	s_branch .LBB56_160
.LBB56_157:                             ;   in Loop: Header=BB56_160 Depth=2
	s_wait_alu 0xfffe
	s_or_b32 exec_lo, exec_lo, s40
	s_wait_loadcnt_dscnt 0x0
	s_barrier_signal -1
	s_barrier_wait -1
	global_inv scope:SCOPE_SE
	ds_load_b32 v2, v7 offset:3072
	s_wait_loadcnt_dscnt 0x0
	s_barrier_signal -1
	s_barrier_wait -1
	global_inv scope:SCOPE_SE
	v_cmp_neq_f16_e32 vcc_lo, 0, v2
	s_cbranch_vccnz .LBB56_163
; %bb.158:                              ;   in Loop: Header=BB56_160 Depth=2
	v_add_nc_u32_e32 v4, s50, v4
	v_add_nc_u32_e32 v1, s54, v1
	s_mov_b32 s40, 0
	s_delay_alu instid0(VALU_DEP_2)
	v_cmp_le_i32_e32 vcc_lo, s62, v4
	s_or_not1_b32 s74, vcc_lo, exec_lo
.LBB56_159:                             ;   in Loop: Header=BB56_160 Depth=2
	s_wait_alu 0xfffe
	s_and_b32 s74, exec_lo, s74
	s_wait_alu 0xfffe
	s_or_b32 s25, s74, s25
	s_and_not1_b32 s28, s28, exec_lo
	s_and_b32 s40, s40, exec_lo
	s_wait_alu 0xfffe
	s_or_b32 s28, s28, s40
	s_and_not1_b32 exec_lo, exec_lo, s25
	s_cbranch_execz .LBB56_164
.LBB56_160:                             ;   Parent Loop BB56_7 Depth=1
                                        ; =>  This Inner Loop Header: Depth=2
	s_mov_b32 s40, exec_lo
	s_delay_alu instid0(VALU_DEP_1)
	v_cmpx_gt_i32_e64 s36, v4
	s_cbranch_execz .LBB56_157
; %bb.161:                              ;   in Loop: Header=BB56_160 Depth=2
	v_ashrrev_i32_e32 v2, 31, v1
	s_delay_alu instid0(VALU_DEP_1) | instskip(NEXT) | instid1(VALU_DEP_1)
	v_lshlrev_b64_e32 v[13:14], 1, v[1:2]
	v_add_co_u32 v13, vcc_lo, s42, v13
	s_wait_alu 0xfffd
	s_delay_alu instid0(VALU_DEP_2)
	v_add_co_ci_u32_e64 v14, null, s43, v14, vcc_lo
	global_load_u16 v2, v[13:14], off
	s_wait_loadcnt 0x0
	v_cmp_lt_i16_e32 vcc_lo, -1, v2
	s_wait_alu 0xfffd
	v_dual_cndmask_b32 v14, 0xffff, v29 :: v_dual_and_b32 v13, 0xffff, v2
	v_cmp_o_f16_e32 vcc_lo, v2, v2
	s_delay_alu instid0(VALU_DEP_2) | instskip(SKIP_1) | instid1(VALU_DEP_1)
	v_xor_b32_e32 v13, v14, v13
	s_wait_alu 0xfffd
	v_cndmask_b32_e32 v13, 0xffff, v13, vcc_lo
	s_delay_alu instid0(VALU_DEP_1) | instskip(NEXT) | instid1(VALU_DEP_1)
	v_and_b32_e32 v13, v13, v31
	v_cmp_eq_u32_e32 vcc_lo, v13, v22
	s_and_b32 exec_lo, exec_lo, vcc_lo
	s_cbranch_execz .LBB56_157
; %bb.162:                              ;   in Loop: Header=BB56_160 Depth=2
	v_perm_b32 v2, v2, s66, 0x5040100
	ds_store_b32 v7, v2 offset:3072
	s_branch .LBB56_157
.LBB56_163:                             ;   in Loop: Header=BB56_160 Depth=2
	s_mov_b32 s74, -1
	s_mov_b32 s40, -1
                                        ; implicit-def: $vgpr4
                                        ; implicit-def: $vgpr1
	s_branch .LBB56_159
.LBB56_164:                             ;   in Loop: Header=BB56_7 Depth=1
	s_or_b32 exec_lo, exec_lo, s25
	v_lshrrev_b32_e32 v32, 16, v2
	s_wait_alu 0xfffe
	s_and_b32 s25, s28, exec_lo
.LBB56_165:                             ;   in Loop: Header=BB56_7 Depth=1
	s_wait_alu 0xfffe
	s_or_b32 exec_lo, exec_lo, s27
.LBB56_166:                             ;   in Loop: Header=BB56_7 Depth=1
	s_wait_alu 0xfffe
	s_and_b32 vcc_lo, exec_lo, s26
	s_wait_alu 0xfffe
	s_cbranch_vccz .LBB56_178
; %bb.167:                              ;   in Loop: Header=BB56_7 Depth=1
	s_add_co_i32 s26, s24, s53
                                        ; implicit-def: $vgpr32
	s_wait_alu 0xfffe
	s_abs_i32 s40, s26
	s_wait_alu 0xfffe
	s_mul_u64 s[20:21], s[40:41], s[46:47]
	s_wait_alu 0xfffe
	s_mul_i32 s20, s21, s50
	s_ashr_i32 s21, s26, 31
	s_wait_alu 0xfffe
	s_sub_co_i32 s20, s40, s20
	s_wait_alu 0xfffe
	s_sub_co_i32 s27, s20, s50
	s_cmp_ge_u32 s20, s50
	s_wait_alu 0xfffe
	s_cselect_b32 s20, s27, s20
	s_wait_alu 0xfffe
	s_sub_co_i32 s27, s20, s50
	s_cmp_ge_u32 s20, s50
	s_wait_alu 0xfffe
	s_cselect_b32 s20, s27, s20
	s_wait_alu 0xfffe
	s_xor_b32 s20, s20, s21
	s_wait_alu 0xfffe
	s_sub_co_i32 s20, s21, s20
	s_wait_alu 0xfffe
	s_add_co_i32 s21, s26, s20
	s_mov_b32 s20, exec_lo
	s_wait_alu 0xfffe
	v_cmpx_gt_i32_e64 s21, v0
	s_cbranch_execz .LBB56_177
; %bb.168:                              ;   in Loop: Header=BB56_7 Depth=1
	v_dual_mov_b32 v1, v17 :: v_dual_mov_b32 v2, v0
	s_mov_b32 s26, 0
                                        ; implicit-def: $sgpr27
	s_branch .LBB56_172
.LBB56_169:                             ;   in Loop: Header=BB56_172 Depth=2
	s_wait_alu 0xfffe
	s_or_b32 exec_lo, exec_lo, s28
	s_wait_loadcnt_dscnt 0x0
	s_barrier_signal -1
	s_barrier_wait -1
	global_inv scope:SCOPE_SE
	ds_load_b32 v4, v7 offset:3072
	s_wait_loadcnt_dscnt 0x0
	s_barrier_signal -1
	s_barrier_wait -1
	global_inv scope:SCOPE_SE
	v_cmp_eq_f16_e32 vcc_lo, 0, v4
	s_cbranch_vccz .LBB56_175
; %bb.170:                              ;   in Loop: Header=BB56_172 Depth=2
	v_add_nc_u32_e32 v2, s50, v2
	v_add_nc_u32_e32 v1, s65, v1
	s_mov_b32 s28, 0
	s_delay_alu instid0(VALU_DEP_2)
	v_cmp_le_i32_e32 vcc_lo, s21, v2
	s_or_not1_b32 s40, vcc_lo, exec_lo
.LBB56_171:                             ;   in Loop: Header=BB56_172 Depth=2
	s_wait_alu 0xfffe
	s_and_b32 s40, exec_lo, s40
	s_wait_alu 0xfffe
	s_or_b32 s26, s40, s26
	s_and_not1_b32 s27, s27, exec_lo
	s_and_b32 s28, s28, exec_lo
	s_wait_alu 0xfffe
	s_or_b32 s27, s27, s28
	s_and_not1_b32 exec_lo, exec_lo, s26
	s_cbranch_execz .LBB56_176
.LBB56_172:                             ;   Parent Loop BB56_7 Depth=1
                                        ; =>  This Inner Loop Header: Depth=2
	s_mov_b32 s28, exec_lo
	s_delay_alu instid0(VALU_DEP_1)
	v_cmpx_gt_i32_e64 s24, v2
	s_cbranch_execz .LBB56_169
; %bb.173:                              ;   in Loop: Header=BB56_172 Depth=2
	ds_load_u16 v4, v1
	s_wait_dscnt 0x0
	v_cmp_lt_i16_e32 vcc_lo, -1, v4
	s_wait_alu 0xfffd
	v_dual_cndmask_b32 v14, 0xffff, v29 :: v_dual_and_b32 v13, 0xffff, v4
	v_cmp_o_f16_e32 vcc_lo, v4, v4
	s_delay_alu instid0(VALU_DEP_2) | instskip(SKIP_1) | instid1(VALU_DEP_1)
	v_xor_b32_e32 v13, v14, v13
	s_wait_alu 0xfffd
	v_cndmask_b32_e32 v13, 0xffff, v13, vcc_lo
	s_delay_alu instid0(VALU_DEP_1) | instskip(NEXT) | instid1(VALU_DEP_1)
	v_and_b32_e32 v13, v13, v31
	v_cmp_eq_u32_e32 vcc_lo, v13, v22
	s_and_b32 exec_lo, exec_lo, vcc_lo
	s_cbranch_execz .LBB56_169
; %bb.174:                              ;   in Loop: Header=BB56_172 Depth=2
	v_perm_b32 v4, v4, s66, 0x5040100
	ds_store_b32 v7, v4 offset:3072
	s_branch .LBB56_169
.LBB56_175:                             ;   in Loop: Header=BB56_172 Depth=2
	s_mov_b32 s40, -1
	s_mov_b32 s28, -1
                                        ; implicit-def: $vgpr2
                                        ; implicit-def: $vgpr1
	s_branch .LBB56_171
.LBB56_176:                             ;   in Loop: Header=BB56_7 Depth=1
	s_or_b32 exec_lo, exec_lo, s26
	v_lshrrev_b32_e32 v32, 16, v4
	s_and_not1_b32 s21, s25, exec_lo
	s_wait_alu 0xfffe
	s_and_b32 s24, s27, exec_lo
	s_wait_alu 0xfffe
	s_or_b32 s25, s21, s24
.LBB56_177:                             ;   in Loop: Header=BB56_7 Depth=1
	s_or_b32 exec_lo, exec_lo, s20
	s_mov_b32 s20, 0
	s_mov_b32 s21, -1
.LBB56_178:                             ;   in Loop: Header=BB56_7 Depth=1
	s_wait_alu 0xfffe
	s_or_not1_b32 s24, s25, exec_lo
.LBB56_179:                             ;   in Loop: Header=BB56_7 Depth=1
	s_wait_alu 0xfffe
	s_or_b32 exec_lo, exec_lo, s22
	s_mov_b32 s25, 0
	s_and_saveexec_b32 s22, s24
	s_cbranch_execz .LBB56_231
; %bb.180:                              ;   in Loop: Header=BB56_7 Depth=1
	v_dual_mov_b32 v4, 1 :: v_dual_mov_b32 v3, 1
	s_xor_b32 s24, s23, -1
	s_wait_alu 0xfffe
	s_and_saveexec_b32 s23, s24
	s_cbranch_execz .LBB56_189
; %bb.181:                              ;   in Loop: Header=BB56_7 Depth=1
	s_mov_b32 s24, exec_lo
	v_cmpx_ge_i32_e64 s16, v6
	s_wait_alu 0xfffe
	s_xor_b32 s24, exec_lo, s24
	s_cbranch_execz .LBB56_186
; %bb.182:                              ;   in Loop: Header=BB56_7 Depth=1
	ds_load_b32 v1, v7 offset:4096
	s_lshl_b32 s25, 2, s73
	v_or_b32_e32 v31, s10, v31
	s_wait_alu 0xfffe
	v_and_or_b32 v22, v22, s17, s25
	s_wait_dscnt 0x0
	v_cmp_ne_u32_e32 vcc_lo, 0, v1
	s_cbranch_vccnz .LBB56_186
; %bb.183:                              ;   in Loop: Header=BB56_7 Depth=1
	s_and_saveexec_b32 s17, s2
; %bb.184:                              ;   in Loop: Header=BB56_7 Depth=1
	v_mov_b32_e32 v1, s16
	ds_store_b32 v7, v1 offset:4100
; %bb.185:                              ;   in Loop: Header=BB56_7 Depth=1
	s_wait_alu 0xfffe
	s_or_b32 exec_lo, exec_lo, s17
	s_wait_loadcnt_dscnt 0x0
	s_barrier_signal -1
	s_barrier_wait -1
	global_inv scope:SCOPE_SE
.LBB56_186:                             ;   in Loop: Header=BB56_7 Depth=1
	s_wait_alu 0xfffe
	s_or_saveexec_b32 s17, s24
	v_mov_b32_e32 v3, 8
	s_mov_b32 s24, 0
	s_wait_alu 0xfffe
	s_xor_b32 exec_lo, exec_lo, s17
; %bb.187:                              ;   in Loop: Header=BB56_7 Depth=1
	v_subrev_nc_u32_e32 v6, s16, v6
	v_mov_b32_e32 v3, 0
	s_mov_b32 s24, exec_lo
; %bb.188:                              ;   in Loop: Header=BB56_7 Depth=1
	s_or_b32 exec_lo, exec_lo, s17
	s_delay_alu instid0(VALU_DEP_2)
	v_mov_b32_e32 v4, v6
	s_wait_alu 0xfffe
	s_and_b32 s25, s24, exec_lo
.LBB56_189:                             ;   in Loop: Header=BB56_7 Depth=1
	s_wait_alu 0xfffe
	s_or_b32 exec_lo, exec_lo, s23
	s_mov_b32 s17, -1
                                        ; implicit-def: $sgpr24
                                        ; implicit-def: $sgpr23
	s_and_saveexec_b32 s16, s25
	s_cbranch_execz .LBB56_230
; %bb.190:                              ;   in Loop: Header=BB56_7 Depth=1
	v_cmp_eq_u32_e32 vcc_lo, 1, v4
	s_cmp_eq_u32 s9, 1
	s_mov_b32 s26, -1
	s_cselect_b32 s17, -1, 0
                                        ; implicit-def: $sgpr24
                                        ; implicit-def: $sgpr23
	s_wait_alu 0xfffe
	s_and_b32 s17, s17, vcc_lo
	s_wait_alu 0xfffe
	s_and_saveexec_b32 s25, s17
	s_cbranch_execz .LBB56_218
; %bb.191:                              ;   in Loop: Header=BB56_7 Depth=1
	ds_load_b32 v1, v7 offset:4096
	s_wait_loadcnt_dscnt 0x0
	s_barrier_signal -1
	s_barrier_wait -1
	global_inv scope:SCOPE_SE
	v_readfirstlane_b32 s26, v1
	s_and_saveexec_b32 s23, s0
; %bb.192:                              ;   in Loop: Header=BB56_7 Depth=1
	ds_store_b16 v18, v7
; %bb.193:                              ;   in Loop: Header=BB56_7 Depth=1
	s_wait_alu 0xfffe
	s_or_b32 exec_lo, exec_lo, s23
	v_or_b32_e32 v22, s10, v22
	v_or_b32_e32 v31, s10, v31
	s_mov_b32 s23, -1
	s_mov_b32 s24, 0
	s_cmp_gt_i32 s26, 0
	s_mov_b32 s27, 0
	s_mov_b32 s28, -1
	s_wait_loadcnt_dscnt 0x0
	s_barrier_signal -1
	s_barrier_wait -1
	global_inv scope:SCOPE_SE
                                        ; implicit-def: $vgpr32
	s_cbranch_scc1 .LBB56_205
; %bb.194:                              ;   in Loop: Header=BB56_7 Depth=1
	s_mov_b32 s28, 0
                                        ; implicit-def: $vgpr32
	s_and_saveexec_b32 s40, s8
	s_cbranch_execz .LBB56_204
; %bb.195:                              ;   in Loop: Header=BB56_7 Depth=1
	v_dual_mov_b32 v1, v5 :: v_dual_mov_b32 v6, v0
                                        ; implicit-def: $sgpr74
	s_branch .LBB56_199
.LBB56_196:                             ;   in Loop: Header=BB56_199 Depth=2
	s_wait_alu 0xfffe
	s_or_b32 exec_lo, exec_lo, s75
	s_wait_loadcnt_dscnt 0x0
	s_barrier_signal -1
	s_barrier_wait -1
	global_inv scope:SCOPE_SE
	ds_load_b32 v2, v7 offset:3072
	s_wait_loadcnt_dscnt 0x0
	s_barrier_signal -1
	s_barrier_wait -1
	global_inv scope:SCOPE_SE
	v_cmp_neq_f16_e32 vcc_lo, 0, v2
	s_cbranch_vccnz .LBB56_202
; %bb.197:                              ;   in Loop: Header=BB56_199 Depth=2
	v_add_nc_u32_e32 v6, s50, v6
	v_add_nc_u32_e32 v1, s54, v1
	s_mov_b32 s75, 0
	s_delay_alu instid0(VALU_DEP_2)
	v_cmp_le_i32_e32 vcc_lo, s62, v6
	s_or_not1_b32 s76, vcc_lo, exec_lo
.LBB56_198:                             ;   in Loop: Header=BB56_199 Depth=2
	s_wait_alu 0xfffe
	s_and_b32 s76, exec_lo, s76
	s_wait_alu 0xfffe
	s_or_b32 s27, s76, s27
	s_and_not1_b32 s74, s74, exec_lo
	s_and_b32 s75, s75, exec_lo
	s_wait_alu 0xfffe
	s_or_b32 s74, s74, s75
	s_and_not1_b32 exec_lo, exec_lo, s27
	s_cbranch_execz .LBB56_203
.LBB56_199:                             ;   Parent Loop BB56_7 Depth=1
                                        ; =>  This Inner Loop Header: Depth=2
	s_mov_b32 s75, exec_lo
	s_delay_alu instid0(VALU_DEP_1)
	v_cmpx_gt_i32_e64 s36, v6
	s_cbranch_execz .LBB56_196
; %bb.200:                              ;   in Loop: Header=BB56_199 Depth=2
	v_ashrrev_i32_e32 v2, 31, v1
	s_delay_alu instid0(VALU_DEP_1) | instskip(NEXT) | instid1(VALU_DEP_1)
	v_lshlrev_b64_e32 v[13:14], 1, v[1:2]
	v_add_co_u32 v13, vcc_lo, s42, v13
	s_wait_alu 0xfffd
	s_delay_alu instid0(VALU_DEP_2)
	v_add_co_ci_u32_e64 v14, null, s43, v14, vcc_lo
	global_load_u16 v2, v[13:14], off
	s_wait_loadcnt 0x0
	v_cmp_lt_i16_e32 vcc_lo, -1, v2
	s_wait_alu 0xfffd
	v_dual_cndmask_b32 v14, 0xffff, v29 :: v_dual_and_b32 v13, 0xffff, v2
	v_cmp_o_f16_e32 vcc_lo, v2, v2
	s_delay_alu instid0(VALU_DEP_2) | instskip(SKIP_1) | instid1(VALU_DEP_1)
	v_xor_b32_e32 v13, v14, v13
	s_wait_alu 0xfffd
	v_cndmask_b32_e32 v13, 0xffff, v13, vcc_lo
	s_delay_alu instid0(VALU_DEP_1) | instskip(NEXT) | instid1(VALU_DEP_1)
	v_and_b32_e32 v13, v13, v31
	v_cmp_eq_u32_e32 vcc_lo, v13, v22
	s_and_b32 exec_lo, exec_lo, vcc_lo
	s_cbranch_execz .LBB56_196
; %bb.201:                              ;   in Loop: Header=BB56_199 Depth=2
	v_perm_b32 v2, v2, s66, 0x5040100
	ds_store_b32 v7, v2 offset:3072
	s_branch .LBB56_196
.LBB56_202:                             ;   in Loop: Header=BB56_199 Depth=2
	s_mov_b32 s76, -1
	s_mov_b32 s75, -1
                                        ; implicit-def: $vgpr6
                                        ; implicit-def: $vgpr1
	s_branch .LBB56_198
.LBB56_203:                             ;   in Loop: Header=BB56_7 Depth=1
	s_or_b32 exec_lo, exec_lo, s27
	v_lshrrev_b32_e32 v32, 16, v2
	s_wait_alu 0xfffe
	s_and_b32 s27, s74, exec_lo
.LBB56_204:                             ;   in Loop: Header=BB56_7 Depth=1
	s_wait_alu 0xfffe
	s_or_b32 exec_lo, exec_lo, s40
.LBB56_205:                             ;   in Loop: Header=BB56_7 Depth=1
	s_wait_alu 0xfffe
	s_and_b32 vcc_lo, exec_lo, s28
	s_wait_alu 0xfffe
	s_cbranch_vccz .LBB56_217
; %bb.206:                              ;   in Loop: Header=BB56_7 Depth=1
	s_add_co_i32 s24, s26, s53
                                        ; implicit-def: $vgpr32
	s_wait_alu 0xfffe
	s_abs_i32 s40, s24
	s_ashr_i32 s28, s24, 31
	s_wait_alu 0xfffe
	s_mul_u64 s[74:75], s[40:41], s[46:47]
	s_wait_alu 0xfffe
	s_mul_i32 s23, s75, s50
	s_wait_alu 0xfffe
	s_sub_co_i32 s23, s40, s23
	s_wait_alu 0xfffe
	s_sub_co_i32 s40, s23, s50
	s_cmp_ge_u32 s23, s50
	s_wait_alu 0xfffe
	s_cselect_b32 s23, s40, s23
	s_wait_alu 0xfffe
	s_sub_co_i32 s40, s23, s50
	s_cmp_ge_u32 s23, s50
	s_wait_alu 0xfffe
	s_cselect_b32 s23, s40, s23
	s_wait_alu 0xfffe
	s_xor_b32 s23, s23, s28
	s_wait_alu 0xfffe
	s_sub_co_i32 s23, s28, s23
	s_wait_alu 0xfffe
	s_add_co_i32 s24, s24, s23
	s_mov_b32 s23, exec_lo
	s_wait_alu 0xfffe
	v_cmpx_gt_i32_e64 s24, v0
	s_cbranch_execz .LBB56_216
; %bb.207:                              ;   in Loop: Header=BB56_7 Depth=1
	v_dual_mov_b32 v1, v17 :: v_dual_mov_b32 v2, v0
	s_mov_b32 s28, 0
                                        ; implicit-def: $sgpr40
	s_branch .LBB56_211
.LBB56_208:                             ;   in Loop: Header=BB56_211 Depth=2
	s_wait_alu 0xfffe
	s_or_b32 exec_lo, exec_lo, s74
	s_wait_loadcnt_dscnt 0x0
	s_barrier_signal -1
	s_barrier_wait -1
	global_inv scope:SCOPE_SE
	ds_load_b32 v6, v7 offset:3072
	s_wait_loadcnt_dscnt 0x0
	s_barrier_signal -1
	s_barrier_wait -1
	global_inv scope:SCOPE_SE
	v_cmp_eq_f16_e32 vcc_lo, 0, v6
	s_cbranch_vccz .LBB56_214
; %bb.209:                              ;   in Loop: Header=BB56_211 Depth=2
	v_add_nc_u32_e32 v2, s50, v2
	v_add_nc_u32_e32 v1, s65, v1
	s_mov_b32 s74, 0
	s_delay_alu instid0(VALU_DEP_2)
	v_cmp_le_i32_e32 vcc_lo, s24, v2
	s_or_not1_b32 s75, vcc_lo, exec_lo
.LBB56_210:                             ;   in Loop: Header=BB56_211 Depth=2
	s_wait_alu 0xfffe
	s_and_b32 s75, exec_lo, s75
	s_wait_alu 0xfffe
	s_or_b32 s28, s75, s28
	s_and_not1_b32 s40, s40, exec_lo
	s_and_b32 s74, s74, exec_lo
	s_wait_alu 0xfffe
	s_or_b32 s40, s40, s74
	s_and_not1_b32 exec_lo, exec_lo, s28
	s_cbranch_execz .LBB56_215
.LBB56_211:                             ;   Parent Loop BB56_7 Depth=1
                                        ; =>  This Inner Loop Header: Depth=2
	s_mov_b32 s74, exec_lo
	s_delay_alu instid0(VALU_DEP_1)
	v_cmpx_gt_i32_e64 s26, v2
	s_cbranch_execz .LBB56_208
; %bb.212:                              ;   in Loop: Header=BB56_211 Depth=2
	ds_load_u16 v6, v1
	s_wait_dscnt 0x0
	v_cmp_lt_i16_e32 vcc_lo, -1, v6
	s_wait_alu 0xfffd
	v_dual_cndmask_b32 v14, 0xffff, v29 :: v_dual_and_b32 v13, 0xffff, v6
	v_cmp_o_f16_e32 vcc_lo, v6, v6
	s_delay_alu instid0(VALU_DEP_2) | instskip(SKIP_1) | instid1(VALU_DEP_1)
	v_xor_b32_e32 v13, v14, v13
	s_wait_alu 0xfffd
	v_cndmask_b32_e32 v13, 0xffff, v13, vcc_lo
	s_delay_alu instid0(VALU_DEP_1) | instskip(NEXT) | instid1(VALU_DEP_1)
	v_and_b32_e32 v13, v13, v31
	v_cmp_eq_u32_e32 vcc_lo, v13, v22
	s_and_b32 exec_lo, exec_lo, vcc_lo
	s_cbranch_execz .LBB56_208
; %bb.213:                              ;   in Loop: Header=BB56_211 Depth=2
	v_perm_b32 v6, v6, s66, 0x5040100
	ds_store_b32 v7, v6 offset:3072
	s_branch .LBB56_208
.LBB56_214:                             ;   in Loop: Header=BB56_211 Depth=2
	s_mov_b32 s75, -1
	s_mov_b32 s74, -1
                                        ; implicit-def: $vgpr2
                                        ; implicit-def: $vgpr1
	s_branch .LBB56_210
.LBB56_215:                             ;   in Loop: Header=BB56_7 Depth=1
	s_or_b32 exec_lo, exec_lo, s28
	v_lshrrev_b32_e32 v32, 16, v6
	s_and_not1_b32 s24, s27, exec_lo
	s_wait_alu 0xfffe
	s_and_b32 s26, s40, exec_lo
	s_wait_alu 0xfffe
	s_or_b32 s27, s24, s26
.LBB56_216:                             ;   in Loop: Header=BB56_7 Depth=1
	s_or_b32 exec_lo, exec_lo, s23
	s_mov_b32 s23, 0
	s_mov_b32 s24, -1
.LBB56_217:                             ;   in Loop: Header=BB56_7 Depth=1
	s_wait_alu 0xfffe
	s_or_not1_b32 s26, s27, exec_lo
.LBB56_218:                             ;   in Loop: Header=BB56_7 Depth=1
	s_wait_alu 0xfffe
	s_or_b32 exec_lo, exec_lo, s25
	s_mov_b32 s27, 0
	s_and_saveexec_b32 s25, s26
	s_cbranch_execz .LBB56_229
; %bb.219:                              ;   in Loop: Header=BB56_7 Depth=1
	v_mov_b32_e32 v3, 1
	v_mov_b32_e32 v1, 1
	s_xor_b32 s26, s17, -1
	s_wait_alu 0xfffe
	s_and_saveexec_b32 s17, s26
	s_cbranch_execz .LBB56_228
; %bb.220:                              ;   in Loop: Header=BB56_7 Depth=1
	s_mov_b32 s26, exec_lo
	v_cmpx_ge_i32_e64 s9, v4
	s_wait_alu 0xfffe
	s_xor_b32 s26, exec_lo, s26
	s_cbranch_execz .LBB56_225
; %bb.221:                              ;   in Loop: Header=BB56_7 Depth=1
	ds_load_b32 v1, v7 offset:4096
	v_or_b32_e32 v22, s10, v22
	v_or_b32_e32 v31, s10, v31
	s_wait_dscnt 0x0
	v_cmp_ne_u32_e32 vcc_lo, 0, v1
	s_cbranch_vccnz .LBB56_225
; %bb.222:                              ;   in Loop: Header=BB56_7 Depth=1
	s_and_saveexec_b32 s10, s2
; %bb.223:                              ;   in Loop: Header=BB56_7 Depth=1
	v_mov_b32_e32 v1, s9
	ds_store_b32 v7, v1 offset:4100
; %bb.224:                              ;   in Loop: Header=BB56_7 Depth=1
	s_wait_alu 0xfffe
	s_or_b32 exec_lo, exec_lo, s10
	s_wait_loadcnt_dscnt 0x0
	s_barrier_signal -1
	s_barrier_wait -1
	global_inv scope:SCOPE_SE
.LBB56_225:                             ;   in Loop: Header=BB56_7 Depth=1
	s_wait_alu 0xfffe
	s_and_not1_saveexec_b32 s10, s26
; %bb.226:                              ;   in Loop: Header=BB56_7 Depth=1
	v_subrev_nc_u32_e32 v4, s9, v4
; %bb.227:                              ;   in Loop: Header=BB56_7 Depth=1
	s_wait_alu 0xfffe
	s_or_b32 exec_lo, exec_lo, s10
	v_mov_b32_e32 v3, 8
	s_delay_alu instid0(VALU_DEP_2)
	v_mov_b32_e32 v1, v4
.LBB56_228:                             ;   in Loop: Header=BB56_7 Depth=1
	s_wait_alu 0xfffe
	s_or_b32 exec_lo, exec_lo, s17
	s_delay_alu instid0(VALU_DEP_1)
	v_mov_b32_e32 v4, v1
	s_mov_b32 s27, exec_lo
.LBB56_229:                             ;   in Loop: Header=BB56_7 Depth=1
	s_wait_alu 0xfffe
	s_or_b32 exec_lo, exec_lo, s25
	s_delay_alu instid0(SALU_CYCLE_1)
	s_or_not1_b32 s17, s27, exec_lo
.LBB56_230:                             ;   in Loop: Header=BB56_7 Depth=1
	s_wait_alu 0xfffe
	s_or_b32 exec_lo, exec_lo, s16
	v_mov_b32_e32 v6, v4
	s_and_not1_b32 s9, s21, exec_lo
	s_and_b32 s10, s24, exec_lo
	s_and_not1_b32 s16, s20, exec_lo
	s_and_b32 s20, s23, exec_lo
	s_wait_alu 0xfffe
	s_or_b32 s21, s9, s10
	s_or_b32 s20, s16, s20
	s_and_b32 s25, s17, exec_lo
.LBB56_231:                             ;   in Loop: Header=BB56_7 Depth=1
	s_wait_alu 0xfffe
	s_or_b32 exec_lo, exec_lo, s22
	s_delay_alu instid0(SALU_CYCLE_1)
	s_or_not1_b32 s22, s25, exec_lo
.LBB56_232:                             ;   in Loop: Header=BB56_7 Depth=1
	s_wait_alu 0xfffe
	s_or_b32 exec_lo, exec_lo, s19
	v_mov_b32_e32 v4, v6
	s_and_not1_b32 s9, s15, exec_lo
	s_and_b32 s10, s21, exec_lo
	s_and_not1_b32 s14, s14, exec_lo
	s_and_b32 s16, s20, exec_lo
	s_wait_alu 0xfffe
	s_or_b32 s15, s9, s10
	s_or_b32 s14, s14, s16
	s_and_b32 s22, s22, exec_lo
.LBB56_233:                             ;   in Loop: Header=BB56_7 Depth=1
	s_wait_alu 0xfffe
	s_or_b32 exec_lo, exec_lo, s18
	s_delay_alu instid0(SALU_CYCLE_1)
	s_or_not1_b32 s18, s22, exec_lo
.LBB56_234:                             ;   in Loop: Header=BB56_7 Depth=1
	s_wait_alu 0xfffe
	s_or_b32 exec_lo, exec_lo, s13
	s_mov_b32 s10, 0
                                        ; implicit-def: $sgpr21
	s_and_saveexec_b32 s9, s18
	s_wait_alu 0xfffe
	s_xor_b32 s9, exec_lo, s9
	s_cbranch_execz .LBB56_5
; %bb.235:                              ;   in Loop: Header=BB56_7 Depth=1
	v_and_b32_e32 v1, 7, v3
	s_mov_b32 s12, -1
	s_mov_b32 s10, -1
	s_mov_b32 s13, exec_lo
                                        ; implicit-def: $sgpr21
	s_delay_alu instid0(VALU_DEP_1)
	v_cmpx_eq_u32_e32 0, v1
	s_cbranch_execz .LBB56_4
; %bb.236:                              ;   in Loop: Header=BB56_7 Depth=1
	s_add_co_i32 s21, s73, -2
	s_cmp_eq_u32 s73, 0
	v_xor_b32_e32 v30, 1, v30
	s_cselect_b32 s12, -1, 0
	s_xor_b32 s10, exec_lo, -1
	s_wait_alu 0xfffe
	s_or_not1_b32 s12, s12, exec_lo
	s_branch .LBB56_4
.LBB56_237:
	s_or_b32 exec_lo, exec_lo, s37
	s_wait_alu 0xfffe
	s_xor_b32 s3, s72, -1
	s_xor_b32 s1, s70, -1
	;; [unrolled: 1-line block ×3, first 2 shown]
	s_mov_b32 s0, 0
	s_wait_alu 0xfffe
	s_and_saveexec_b32 s5, s1
	s_wait_alu 0xfffe
	s_xor_b32 s1, exec_lo, s5
	s_cbranch_execnz .LBB56_242
; %bb.238:
	s_wait_alu 0xfffe
	s_and_not1_saveexec_b32 s1, s1
	s_cbranch_execnz .LBB56_262
.LBB56_239:
	s_wait_alu 0xfffe
	s_or_b32 exec_lo, exec_lo, s1
	s_and_saveexec_b32 s1, s0
.LBB56_240:
	; divergent unreachable
.LBB56_241:
	s_endpgm
.LBB56_242:
	s_and_saveexec_b32 s0, s3
	s_wait_alu 0xfffe
	s_xor_b32 s3, exec_lo, s0
	s_cbranch_execz .LBB56_260
; %bb.243:
	s_and_saveexec_b32 s0, s4
	s_wait_alu 0xfffe
	s_xor_b32 s0, exec_lo, s0
; %bb.244:
	v_and_b32_e32 v1, 0x8000, v22
	v_mov_b32_e32 v2, 0xffff
	s_delay_alu instid0(VALU_DEP_2) | instskip(SKIP_1) | instid1(VALU_DEP_2)
	v_cmp_eq_u32_e32 vcc_lo, 0, v1
	s_wait_alu 0xfffd
	v_cndmask_b32_e32 v1, 0x8000, v2, vcc_lo
	s_delay_alu instid0(VALU_DEP_1)
	v_xor_b32_e32 v32, v1, v22
; %bb.245:
	s_wait_alu 0xfffe
	s_or_b32 exec_lo, exec_lo, s0
	s_and_saveexec_b32 s0, s2
; %bb.246:
	v_dual_mov_b32 v1, 0 :: v_dual_mov_b32 v2, s36
	ds_store_b32 v1, v2 offset:4108
; %bb.247:
	s_wait_alu 0xfffe
	s_or_b32 exec_lo, exec_lo, s0
	v_mov_b32_e32 v1, 0
	s_wait_loadcnt_dscnt 0x0
	s_barrier_signal -1
	s_barrier_wait -1
	global_inv scope:SCOPE_SE
	ds_load_b32 v1, v1 offset:4108
	s_mov_b32 s4, exec_lo
	s_wait_dscnt 0x0
	v_min_i32_e32 v1, s36, v1
	s_delay_alu instid0(VALU_DEP_1)
	v_cmpx_lt_i32_e64 v0, v1
	s_cbranch_execz .LBB56_257
; %bb.248:
	v_cmp_u_f16_e32 vcc_lo, v32, v32
	s_mov_b32 s5, 0
                                        ; implicit-def: $sgpr6
                                        ; implicit-def: $sgpr9
                                        ; implicit-def: $sgpr8
	s_xor_b32 s7, vcc_lo, -1
	s_branch .LBB56_250
.LBB56_249:                             ;   in Loop: Header=BB56_250 Depth=1
	s_wait_alu 0xfffe
	s_or_b32 exec_lo, exec_lo, s0
	s_delay_alu instid0(SALU_CYCLE_1)
	s_and_b32 s0, exec_lo, s9
	s_wait_alu 0xfffe
	s_or_b32 s5, s0, s5
	s_and_not1_b32 s0, s6, exec_lo
	s_and_b32 s6, s8, exec_lo
	s_wait_alu 0xfffe
	s_or_b32 s6, s0, s6
	s_and_not1_b32 exec_lo, exec_lo, s5
	s_cbranch_execz .LBB56_252
.LBB56_250:                             ; =>This Inner Loop Header: Depth=1
	v_ashrrev_i32_e32 v6, 31, v5
	s_or_b32 s8, s8, exec_lo
	s_or_b32 s9, s9, exec_lo
	s_delay_alu instid0(VALU_DEP_1) | instskip(NEXT) | instid1(VALU_DEP_1)
	v_lshlrev_b64_e32 v[2:3], 1, v[5:6]
	v_add_co_u32 v2, vcc_lo, s42, v2
	s_wait_alu 0xfffd
	s_delay_alu instid0(VALU_DEP_2)
	v_add_co_ci_u32_e64 v3, null, s43, v3, vcc_lo
	global_load_u16 v2, v[2:3], off
	s_wait_loadcnt 0x0
	v_cmp_o_f16_e32 vcc_lo, v2, v2
	v_cmp_neq_f16_e64 s0, v2, v32
	v_mov_b32_e32 v2, v0
                                        ; implicit-def: $vgpr0
	s_or_b32 s10, s7, vcc_lo
	s_wait_alu 0xfffe
	s_and_b32 s10, s0, s10
	s_wait_alu 0xfffe
	s_and_saveexec_b32 s0, s10
	s_cbranch_execz .LBB56_249
; %bb.251:                              ;   in Loop: Header=BB56_250 Depth=1
	v_add_nc_u32_e32 v0, s50, v2
	v_add_nc_u32_e32 v5, s54, v5
	s_and_not1_b32 s9, s9, exec_lo
	s_and_not1_b32 s8, s8, exec_lo
	s_delay_alu instid0(VALU_DEP_2)
	v_cmp_ge_i32_e32 vcc_lo, v0, v1
	s_and_b32 s10, vcc_lo, exec_lo
	s_wait_alu 0xfffe
	s_or_b32 s9, s9, s10
	s_branch .LBB56_249
.LBB56_252:
	s_or_b32 exec_lo, exec_lo, s5
	s_and_saveexec_b32 s0, s6
	s_wait_alu 0xfffe
	s_xor_b32 s0, exec_lo, s0
	s_cbranch_execz .LBB56_257
; %bb.253:
	s_mov_b32 s5, exec_lo
	s_brev_b32 s0, -2
.LBB56_254:                             ; =>This Inner Loop Header: Depth=1
	s_wait_alu 0xfffe
	s_ctz_i32_b32 s6, s5
	s_wait_alu 0xfffe
	v_readlane_b32 s7, v2, s6
	s_lshl_b32 s6, 1, s6
	s_wait_alu 0xfffe
	s_and_not1_b32 s5, s5, s6
	s_min_i32 s0, s0, s7
	s_wait_alu 0xfffe
	s_cmp_lg_u32 s5, 0
	s_cbranch_scc1 .LBB56_254
; %bb.255:
	v_mbcnt_lo_u32_b32 v0, exec_lo, 0
	s_mov_b32 s5, exec_lo
	s_delay_alu instid0(VALU_DEP_1)
	v_cmpx_eq_u32_e32 0, v0
	s_wait_alu 0xfffe
	s_xor_b32 s5, exec_lo, s5
; %bb.256:
	v_dual_mov_b32 v0, 0 :: v_dual_mov_b32 v1, s0
	ds_min_i32 v0, v1 offset:4108
.LBB56_257:
	s_wait_alu 0xfffe
	s_or_b32 exec_lo, exec_lo, s4
	s_wait_loadcnt_dscnt 0x0
	s_barrier_signal -1
	s_barrier_wait -1
	global_inv scope:SCOPE_SE
	s_and_saveexec_b32 s0, s2
	s_cbranch_execz .LBB56_259
; %bb.258:
	v_mov_b32_e32 v2, 0
	s_mul_i32 s6, s33, s29
	s_mul_i32 s4, s38, s29
	s_wait_alu 0xfffe
	s_ashr_i32 s7, s6, 31
	s_ashr_i32 s5, s4, 31
	ds_load_b32 v0, v2 offset:4108
	s_wait_alu 0xfffe
	s_lshl_b64 s[6:7], s[6:7], 3
	s_lshl_b64 s[4:5], s[4:5], 1
	s_wait_alu 0xfffe
	s_add_nc_u64 s[6:7], s[30:31], s[6:7]
	s_add_nc_u64 s[4:5], s[34:35], s[4:5]
	s_wait_dscnt 0x0
	v_ashrrev_i32_e32 v1, 31, v0
	s_clause 0x1
	global_store_b64 v2, v[0:1], s[6:7]
	global_store_b16 v2, v32, s[4:5]
.LBB56_259:
	s_wait_alu 0xfffe
	s_or_b32 exec_lo, exec_lo, s0
.LBB56_260:
	s_or_saveexec_b32 s0, s3
	s_mov_b32 s2, 0
	s_wait_alu 0xfffe
	s_xor_b32 exec_lo, exec_lo, s0
	s_cbranch_execnz .LBB56_263
.LBB56_261:
	s_or_b32 exec_lo, exec_lo, s0
	s_delay_alu instid0(SALU_CYCLE_1)
	s_and_b32 s0, s2, exec_lo
	s_and_not1_saveexec_b32 s1, s1
	s_cbranch_execz .LBB56_239
.LBB56_262:
	s_wait_alu 0xfffe
	s_or_b32 s0, s0, exec_lo
	s_trap 2
	s_or_b32 exec_lo, exec_lo, s1
	s_wait_alu 0xfffe
	s_and_saveexec_b32 s1, s0
	s_cbranch_execnz .LBB56_240
	s_branch .LBB56_241
.LBB56_263:
	s_mov_b32 s2, exec_lo
	s_trap 2
	s_branch .LBB56_261
	.section	.rodata,"a",@progbits
	.p2align	6, 0x0
	.amdhsa_kernel _ZN2at6native12_GLOBAL__N_114gatherKthValueIN3c104HalfEiLi1EEEvNS_4cuda6detail10TensorInfoIKT_T0_EESA_SA_SA_SA_NS7_IS8_SA_EENS7_IlSA_EE
		.amdhsa_group_segment_fixed_size 4112
		.amdhsa_private_segment_fixed_size 0
		.amdhsa_kernarg_size 920
		.amdhsa_user_sgpr_count 2
		.amdhsa_user_sgpr_dispatch_ptr 0
		.amdhsa_user_sgpr_queue_ptr 0
		.amdhsa_user_sgpr_kernarg_segment_ptr 1
		.amdhsa_user_sgpr_dispatch_id 0
		.amdhsa_user_sgpr_private_segment_size 0
		.amdhsa_wavefront_size32 1
		.amdhsa_uses_dynamic_stack 0
		.amdhsa_enable_private_segment 0
		.amdhsa_system_sgpr_workgroup_id_x 1
		.amdhsa_system_sgpr_workgroup_id_y 1
		.amdhsa_system_sgpr_workgroup_id_z 1
		.amdhsa_system_sgpr_workgroup_info 0
		.amdhsa_system_vgpr_workitem_id 0
		.amdhsa_next_free_vgpr 44
		.amdhsa_next_free_sgpr 81
		.amdhsa_reserve_vcc 1
		.amdhsa_float_round_mode_32 0
		.amdhsa_float_round_mode_16_64 0
		.amdhsa_float_denorm_mode_32 3
		.amdhsa_float_denorm_mode_16_64 3
		.amdhsa_fp16_overflow 0
		.amdhsa_workgroup_processor_mode 1
		.amdhsa_memory_ordered 1
		.amdhsa_forward_progress 1
		.amdhsa_inst_pref_size 91
		.amdhsa_round_robin_scheduling 0
		.amdhsa_exception_fp_ieee_invalid_op 0
		.amdhsa_exception_fp_denorm_src 0
		.amdhsa_exception_fp_ieee_div_zero 0
		.amdhsa_exception_fp_ieee_overflow 0
		.amdhsa_exception_fp_ieee_underflow 0
		.amdhsa_exception_fp_ieee_inexact 0
		.amdhsa_exception_int_div_zero 0
	.end_amdhsa_kernel
	.section	.text._ZN2at6native12_GLOBAL__N_114gatherKthValueIN3c104HalfEiLi1EEEvNS_4cuda6detail10TensorInfoIKT_T0_EESA_SA_SA_SA_NS7_IS8_SA_EENS7_IlSA_EE,"axG",@progbits,_ZN2at6native12_GLOBAL__N_114gatherKthValueIN3c104HalfEiLi1EEEvNS_4cuda6detail10TensorInfoIKT_T0_EESA_SA_SA_SA_NS7_IS8_SA_EENS7_IlSA_EE,comdat
.Lfunc_end56:
	.size	_ZN2at6native12_GLOBAL__N_114gatherKthValueIN3c104HalfEiLi1EEEvNS_4cuda6detail10TensorInfoIKT_T0_EESA_SA_SA_SA_NS7_IS8_SA_EENS7_IlSA_EE, .Lfunc_end56-_ZN2at6native12_GLOBAL__N_114gatherKthValueIN3c104HalfEiLi1EEEvNS_4cuda6detail10TensorInfoIKT_T0_EESA_SA_SA_SA_NS7_IS8_SA_EENS7_IlSA_EE
                                        ; -- End function
	.set _ZN2at6native12_GLOBAL__N_114gatherKthValueIN3c104HalfEiLi1EEEvNS_4cuda6detail10TensorInfoIKT_T0_EESA_SA_SA_SA_NS7_IS8_SA_EENS7_IlSA_EE.num_vgpr, 44
	.set _ZN2at6native12_GLOBAL__N_114gatherKthValueIN3c104HalfEiLi1EEEvNS_4cuda6detail10TensorInfoIKT_T0_EESA_SA_SA_SA_NS7_IS8_SA_EENS7_IlSA_EE.num_agpr, 0
	.set _ZN2at6native12_GLOBAL__N_114gatherKthValueIN3c104HalfEiLi1EEEvNS_4cuda6detail10TensorInfoIKT_T0_EESA_SA_SA_SA_NS7_IS8_SA_EENS7_IlSA_EE.numbered_sgpr, 81
	.set _ZN2at6native12_GLOBAL__N_114gatherKthValueIN3c104HalfEiLi1EEEvNS_4cuda6detail10TensorInfoIKT_T0_EESA_SA_SA_SA_NS7_IS8_SA_EENS7_IlSA_EE.num_named_barrier, 0
	.set _ZN2at6native12_GLOBAL__N_114gatherKthValueIN3c104HalfEiLi1EEEvNS_4cuda6detail10TensorInfoIKT_T0_EESA_SA_SA_SA_NS7_IS8_SA_EENS7_IlSA_EE.private_seg_size, 0
	.set _ZN2at6native12_GLOBAL__N_114gatherKthValueIN3c104HalfEiLi1EEEvNS_4cuda6detail10TensorInfoIKT_T0_EESA_SA_SA_SA_NS7_IS8_SA_EENS7_IlSA_EE.uses_vcc, 1
	.set _ZN2at6native12_GLOBAL__N_114gatherKthValueIN3c104HalfEiLi1EEEvNS_4cuda6detail10TensorInfoIKT_T0_EESA_SA_SA_SA_NS7_IS8_SA_EENS7_IlSA_EE.uses_flat_scratch, 0
	.set _ZN2at6native12_GLOBAL__N_114gatherKthValueIN3c104HalfEiLi1EEEvNS_4cuda6detail10TensorInfoIKT_T0_EESA_SA_SA_SA_NS7_IS8_SA_EENS7_IlSA_EE.has_dyn_sized_stack, 0
	.set _ZN2at6native12_GLOBAL__N_114gatherKthValueIN3c104HalfEiLi1EEEvNS_4cuda6detail10TensorInfoIKT_T0_EESA_SA_SA_SA_NS7_IS8_SA_EENS7_IlSA_EE.has_recursion, 0
	.set _ZN2at6native12_GLOBAL__N_114gatherKthValueIN3c104HalfEiLi1EEEvNS_4cuda6detail10TensorInfoIKT_T0_EESA_SA_SA_SA_NS7_IS8_SA_EENS7_IlSA_EE.has_indirect_call, 0
	.section	.AMDGPU.csdata,"",@progbits
; Kernel info:
; codeLenInByte = 11640
; TotalNumSgprs: 83
; NumVgprs: 44
; ScratchSize: 0
; MemoryBound: 0
; FloatMode: 240
; IeeeMode: 1
; LDSByteSize: 4112 bytes/workgroup (compile time only)
; SGPRBlocks: 0
; VGPRBlocks: 5
; NumSGPRsForWavesPerEU: 83
; NumVGPRsForWavesPerEU: 44
; Occupancy: 16
; WaveLimiterHint : 1
; COMPUTE_PGM_RSRC2:SCRATCH_EN: 0
; COMPUTE_PGM_RSRC2:USER_SGPR: 2
; COMPUTE_PGM_RSRC2:TRAP_HANDLER: 0
; COMPUTE_PGM_RSRC2:TGID_X_EN: 1
; COMPUTE_PGM_RSRC2:TGID_Y_EN: 1
; COMPUTE_PGM_RSRC2:TGID_Z_EN: 1
; COMPUTE_PGM_RSRC2:TIDIG_COMP_CNT: 0
	.section	.text._ZN2at6native12_GLOBAL__N_114gatherKthValueIN3c104HalfEiLi2EEEvNS_4cuda6detail10TensorInfoIKT_T0_EESA_SA_SA_SA_NS7_IS8_SA_EENS7_IlSA_EE,"axG",@progbits,_ZN2at6native12_GLOBAL__N_114gatherKthValueIN3c104HalfEiLi2EEEvNS_4cuda6detail10TensorInfoIKT_T0_EESA_SA_SA_SA_NS7_IS8_SA_EENS7_IlSA_EE,comdat
	.globl	_ZN2at6native12_GLOBAL__N_114gatherKthValueIN3c104HalfEiLi2EEEvNS_4cuda6detail10TensorInfoIKT_T0_EESA_SA_SA_SA_NS7_IS8_SA_EENS7_IlSA_EE ; -- Begin function _ZN2at6native12_GLOBAL__N_114gatherKthValueIN3c104HalfEiLi2EEEvNS_4cuda6detail10TensorInfoIKT_T0_EESA_SA_SA_SA_NS7_IS8_SA_EENS7_IlSA_EE
	.p2align	8
	.type	_ZN2at6native12_GLOBAL__N_114gatherKthValueIN3c104HalfEiLi2EEEvNS_4cuda6detail10TensorInfoIKT_T0_EESA_SA_SA_SA_NS7_IS8_SA_EENS7_IlSA_EE,@function
_ZN2at6native12_GLOBAL__N_114gatherKthValueIN3c104HalfEiLi2EEEvNS_4cuda6detail10TensorInfoIKT_T0_EESA_SA_SA_SA_NS7_IS8_SA_EENS7_IlSA_EE: ; @_ZN2at6native12_GLOBAL__N_114gatherKthValueIN3c104HalfEiLi2EEEvNS_4cuda6detail10TensorInfoIKT_T0_EESA_SA_SA_SA_NS7_IS8_SA_EENS7_IlSA_EE
; %bb.0:
	s_clause 0x1
	s_load_b64 s[4:5], s[0:1], 0x298
	s_load_b128 s[36:39], s[0:1], 0xd8
	s_lshr_b32 s2, ttmp7, 16
	s_and_b32 s3, ttmp7, 0xffff
	s_wait_kmcnt 0x0
	s_mul_i32 s2, s5, s2
	s_delay_alu instid0(SALU_CYCLE_1) | instskip(NEXT) | instid1(SALU_CYCLE_1)
	s_add_co_i32 s2, s2, s3
	s_mul_i32 s33, s2, s4
	s_delay_alu instid0(SALU_CYCLE_1) | instskip(NEXT) | instid1(SALU_CYCLE_1)
	s_add_co_i32 s33, s33, ttmp9
	s_cmp_ge_i32 s33, s38
	s_cbranch_scc1 .LBB57_241
; %bb.1:
	s_clause 0x4
	s_load_b32 s5, s[0:1], 0xc
	s_load_b32 s58, s[0:1], 0xf4
	;; [unrolled: 1-line block ×3, first 2 shown]
	s_load_b64 s[6:7], s[0:1], 0x6c
	s_load_b64 s[30:31], s[0:1], 0x154
	s_mov_b32 s51, 0
	s_abs_i32 s40, s33
	s_mov_b32 s41, s51
	s_add_nc_u64 s[10:11], s[0:1], 0x298
	s_ashr_i32 s61, s33, 31
	s_wait_kmcnt 0x0
	s_abs_i32 s14, s5
	s_abs_i32 s60, s58
	s_cvt_f32_u32 s2, s14
	s_abs_i32 s59, s38
	s_cvt_f32_u32 s3, s60
	s_cvt_f32_u32 s8, s59
	v_rcp_iflag_f32_e32 v1, s2
	s_sub_co_i32 s13, 0, s14
	v_rcp_iflag_f32_e32 v2, s3
	v_rcp_iflag_f32_e32 v3, s8
	s_clause 0x1
	s_load_b64 s[8:9], s[0:1], 0x0
	s_load_b64 s[34:35], s[0:1], 0x22c
	s_sub_co_i32 s16, 0, s60
	s_ashr_i32 s15, s5, 31
	s_delay_alu instid0(TRANS32_DEP_3) | instskip(NEXT) | instid1(TRANS32_DEP_2)
	v_readfirstlane_b32 s2, v1
	v_readfirstlane_b32 s3, v2
	s_delay_alu instid0(TRANS32_DEP_1)
	v_readfirstlane_b32 s12, v3
	s_mul_f32 s2, s2, 0x4f7ffffe
	s_mul_f32 s3, s3, 0x4f7ffffe
	;; [unrolled: 1-line block ×3, first 2 shown]
	s_wait_alu 0xfffe
	s_cvt_u32_f32 s2, s2
	s_cvt_u32_f32 s17, s3
	;; [unrolled: 1-line block ×3, first 2 shown]
	s_wait_alu 0xfffe
	s_mul_i32 s13, s13, s2
	s_sub_co_i32 s3, 0, s59
	s_mul_hi_u32 s13, s2, s13
	s_wait_alu 0xfffe
	s_mul_i32 s3, s3, s12
	s_add_co_i32 s50, s2, s13
	s_mul_i32 s16, s16, s17
	s_wait_alu 0xfffe
	s_mul_hi_u32 s13, s12, s3
	s_mul_u64 s[2:3], s[40:41], s[50:51]
	v_cmp_eq_u32_e64 s2, 0, v0
	s_mul_hi_u32 s16, s17, s16
	s_add_co_i32 s12, s12, s13
	s_add_co_i32 s50, s17, s16
	s_mov_b32 s13, s51
	s_wait_alu 0xfffe
	s_and_saveexec_b32 s16, s2
; %bb.2:
	v_dual_mov_b32 v1, 0 :: v_dual_mov_b32 v2, s36
	s_delay_alu instid0(VALU_DEP_1)
	v_mov_b32_e32 v3, v1
	ds_store_b96 v1, v[1:3] offset:4096
; %bb.3:
	s_or_b32 exec_lo, exec_lo, s16
	s_mul_i32 s16, s3, s14
	s_ashr_i32 s63, s58, 31
	s_sub_co_i32 s16, s40, s16
	s_ashr_i32 s62, s38, 31
	s_xor_b32 s15, s61, s15
	s_add_co_i32 s17, s3, 1
	s_sub_co_i32 s18, s16, s14
	s_cmp_ge_u32 s16, s14
	s_wait_dscnt 0x0
	s_cselect_b32 s3, s17, s3
	s_cselect_b32 s16, s18, s16
	s_wait_alu 0xfffe
	s_add_co_i32 s17, s3, 1
	s_cmp_ge_u32 s16, s14
	s_barrier_signal -1
	s_barrier_wait -1
	global_inv scope:SCOPE_SE
	s_load_b32 s14, s[10:11], 0xc
	s_cselect_b32 s3, s17, s3
	s_mul_u64 s[46:47], s[40:41], s[50:51]
	s_wait_alu 0xfffe
	s_xor_b32 s3, s3, s15
	s_mul_u64 s[28:29], s[40:41], s[12:13]
	s_wait_alu 0xfffe
	s_sub_co_i32 s3, s3, s15
	s_clause 0x1
	s_load_b64 s[42:43], s[0:1], 0x1c0
	s_load_b64 s[44:45], s[0:1], 0xe8
	s_mul_i32 s5, s3, s5
	s_mul_i32 s3, s3, s6
	s_sub_co_i32 s5, s33, s5
	v_mbcnt_lo_u32_b32 v15, -1, 0
	s_mul_i32 s5, s5, s7
	v_cmp_gt_u32_e32 vcc_lo, 32, v0
	s_wait_alu 0xfffe
	s_add_co_i32 s0, s3, s5
	v_dual_mov_b32 v7, 0 :: v_dual_lshlrev_b32 v16, 2, v0
	s_ashr_i32 s1, s0, 31
	v_mul_lo_u32 v5, s39, v0
	s_lshl_b64 s[0:1], s[0:1], 1
	s_delay_alu instid0(VALU_DEP_2)
	v_dual_mov_b32 v6, v7 :: v_dual_lshlrev_b32 v17, 1, v0
	s_wait_kmcnt 0x0
	s_and_b32 s41, s14, 0xffff
	s_add_nc_u64 s[48:49], s[8:9], s[0:1]
	s_lshl_b32 s46, s41, 2
	v_cmp_gt_i32_e64 s0, 4, v15
	s_cvt_f32_u32 s3, s46
	s_add_co_i32 s64, s41, -1
	s_bfe_u32 s1, s14, 0xb0005
	s_add_co_i32 s74, s64, s36
	s_wait_alu 0xfffe
	v_rcp_iflag_f32_e32 v1, s3
	s_and_b32 s66, vcc_lo, s0
	s_cmp_gt_i32 s36, 0x600
	s_mov_b32 s12, s39
	s_cselect_b32 s67, -1, 0
	s_cmp_gt_u32 s41, 31
	v_mad_co_u64_u32 v[12:13], null, s39, v16, s[12:13]
	s_cselect_b32 s68, -1, 0
	s_cmp_lt_u32 ttmp9, s4
	s_delay_alu instid0(TRANS32_DEP_1)
	v_readfirstlane_b32 s4, v1
	s_cselect_b32 s50, 12, 18
	s_add_co_i32 s3, s1, -1
	s_bfe_u32 s69, s41, 0x30005
	s_wait_alu 0xfffe
	s_and_b32 s3, s3, 0xffff
	v_lshlrev_b64_e32 v[1:2], 1, v[5:6]
	s_wait_alu 0xfffe
	s_cmp_gt_u32 s3, 6
	s_mul_f32 s3, s4, 0x4f7ffffe
	s_cselect_b32 s70, -1, 0
	s_and_b32 s71, s1, 0x7f8
	s_cmp_lg_u32 s69, 0
	s_wait_alu 0xfffe
	s_cvt_u32_f32 s3, s3
	s_cselect_b32 s72, -1, 0
	s_sub_co_i32 s4, 0, s46
	v_add_co_u32 v8, vcc_lo, s48, v1
	s_wait_alu 0xfffe
	s_mul_i32 s4, s4, s3
	v_add_co_ci_u32_e64 v9, null, s49, v2, vcc_lo
	s_mul_hi_u32 s4, s3, s4
	v_lshlrev_b64_e64 v[1:2], v15, -1
	s_add_co_i32 s52, s3, s4
	s_cvt_f32_u32 s3, s41
	s_mul_hi_u32 s4, s36, s52
	v_lshrrev_b32_e32 v2, 1, v0
	s_mul_i32 s4, s4, s46
	s_wait_alu 0xfffe
	v_rcp_iflag_f32_e32 v3, s3
	s_sub_co_i32 s4, s36, s4
	v_not_b32_e32 v20, v1
	s_sub_co_i32 s5, s4, s46
	s_cmp_ge_u32 s4, s46
	v_mov_b32_e32 v32, 0
	s_cselect_b32 s4, s5, s4
	v_cmp_eq_u32_e64 s0, 0, v15
	s_sub_co_i32 s6, s4, s46
	s_cmp_ge_u32 s4, s46
	v_readfirstlane_b32 s5, v3
	s_cselect_b32 s9, s6, s4
	s_sub_co_i32 s6, 0, s41
	s_wait_alu 0xfffe
	s_sub_co_i32 s73, s36, s9
	s_abs_i32 s7, s74
	s_mul_f32 s5, s5, 0x4f7ffffe
	v_add_nc_u32_e32 v19, s73, v0
	v_or_b32_e32 v3, 3, v16
	v_cmp_gt_u32_e64 s1, 2, v0
	s_cvt_u32_f32 s5, s5
	v_dual_mov_b32 v33, s37 :: v_dual_add_nc_u32 v18, 0xc00, v17
	v_mul_lo_u32 v1, v19, s39
	s_delay_alu instid0(SALU_CYCLE_1)
	s_mul_i32 s6, s6, s5
	v_mul_lo_u32 v24, s39, v3
	s_mul_hi_u32 s6, s5, s6
	v_cmp_gt_u32_e64 s3, s36, v0
	s_add_co_i32 s54, s5, s6
	s_movk_i32 s5, 0x1f0
	s_mul_hi_u32 s6, s7, s54
	v_and_or_b32 v21, v2, s5, 0xc00
	v_ashrrev_i32_e32 v2, 31, v1
	s_mul_i32 s6, s6, s41
	v_cmp_gt_i32_e64 s4, s36, v0
	s_sub_co_i32 s5, s7, s6
	s_ashr_i32 s7, s74, 31
	v_lshlrev_b64_e32 v[1:2], 1, v[1:2]
	s_wait_alu 0xfffe
	s_sub_co_i32 s6, s5, s41
	s_cmp_ge_u32 s5, s41
	v_dual_mov_b32 v30, 0 :: v_dual_lshlrev_b32 v25, 2, v5
	s_cselect_b32 s6, s6, s5
	v_add_co_u32 v10, vcc_lo, s48, v1
	v_add3_u32 v1, s41, s36, v0
	s_sub_co_i32 s8, s6, s41
	s_cmp_ge_u32 s6, s41
	s_wait_alu 0xfffd
	v_add_co_ci_u32_e64 v11, null, s49, v2, vcc_lo
	s_wait_alu 0xfffe
	s_cselect_b32 s8, s8, s6
	v_or_b32_e32 v2, 2, v16
	v_subrev_nc_u32_e32 v1, s9, v1
	s_wait_alu 0xfffe
	s_xor_b32 s8, s8, s7
	v_cmp_gt_i32_e64 s5, s73, v16
	s_wait_alu 0xfffe
	s_sub_co_i32 s8, s7, s8
	v_mul_lo_u32 v23, s39, v2
	v_mul_lo_u32 v26, s39, v1
	s_wait_alu 0xfffe
	s_add_co_i32 s74, s74, s8
	v_cmp_gt_u32_e64 s6, s36, v19
	v_cmp_gt_i32_e64 s7, s36, v19
	v_cmp_gt_i32_e64 s8, s74, v0
	v_dual_mov_b32 v22, 0 :: v_dual_lshlrev_b32 v27, 3, v0
	v_lshl_or_b32 v28, v15, 2, 0xc00
	v_mov_b32_e32 v29, 0x8000
	v_mov_b32_e32 v31, 0
	s_mul_i32 s65, s39, s41
	s_mov_b32 s53, s51
	s_mov_b32 s55, s51
	s_lshl_b32 s75, s65, 2
	s_lshl_b32 s76, s41, 3
	;; [unrolled: 1-line block ×3, first 2 shown]
	s_mov_b32 s85, 14
	s_add_nc_u64 s[56:57], s[10:11], s[50:51]
	s_movk_i32 s78, 0x3c00
	s_mov_b32 s37, s51
                                        ; implicit-def: $sgpr82
                                        ; implicit-def: $sgpr84
                                        ; implicit-def: $sgpr79
                                        ; implicit-def: $sgpr81
                                        ; implicit-def: $sgpr83
                                        ; implicit-def: $sgpr80
	s_branch .LBB57_7
.LBB57_4:                               ;   in Loop: Header=BB57_7 Depth=1
	s_wait_alu 0xfffe
	s_or_b32 exec_lo, exec_lo, s13
	s_delay_alu instid0(SALU_CYCLE_1)
	s_and_b32 s10, s10, exec_lo
	s_and_not1_b32 s15, s15, exec_lo
	s_and_not1_b32 s14, s14, exec_lo
	s_or_not1_b32 s12, s12, exec_lo
.LBB57_5:                               ;   in Loop: Header=BB57_7 Depth=1
	s_wait_alu 0xfffe
	s_or_b32 exec_lo, exec_lo, s9
	s_delay_alu instid0(SALU_CYCLE_1)
	s_and_not1_b32 s9, s80, exec_lo
	s_and_b32 s10, s10, exec_lo
	s_and_not1_b32 s13, s81, exec_lo
	s_wait_alu 0xfffe
	s_or_b32 s80, s9, s10
	s_and_not1_b32 s9, s83, exec_lo
	s_and_b32 s10, s15, exec_lo
	s_and_b32 s14, s14, exec_lo
	s_wait_alu 0xfffe
	s_or_b32 s83, s9, s10
	s_or_b32 s81, s13, s14
	s_or_not1_b32 s13, s12, exec_lo
.LBB57_6:                               ;   in Loop: Header=BB57_7 Depth=1
	s_wait_alu 0xfffe
	s_or_b32 exec_lo, exec_lo, s11
	s_delay_alu instid0(SALU_CYCLE_1)
	s_and_b32 s9, exec_lo, s13
	v_mov_b32_e32 v33, v4
	s_wait_alu 0xfffe
	s_or_b32 s37, s9, s37
	s_and_not1_b32 s9, s79, exec_lo
	s_and_b32 s10, s80, exec_lo
	s_and_not1_b32 s11, s84, exec_lo
	s_wait_alu 0xfffe
	s_or_b32 s79, s9, s10
	s_and_b32 s9, s83, exec_lo
	s_and_not1_b32 s10, s82, exec_lo
	s_and_b32 s12, s81, exec_lo
	s_wait_alu 0xfffe
	s_or_b32 s84, s11, s9
	s_or_b32 s82, s10, s12
	s_mov_b32 s85, s21
	s_and_not1_b32 exec_lo, exec_lo, s37
	s_cbranch_execz .LBB57_237
.LBB57_7:                               ; =>This Loop Header: Depth=1
                                        ;     Child Loop BB57_12 Depth 2
                                        ;     Child Loop BB57_27 Depth 2
	;; [unrolled: 1-line block ×16, first 2 shown]
	ds_load_b64 v[1:2], v7 offset:4096
	s_wait_dscnt 0x0
	v_readfirstlane_b32 s50, v1
	s_cmp_gt_i32 s50, 0
	s_cbranch_scc1 .LBB57_34
; %bb.8:                                ;   in Loop: Header=BB57_7 Depth=1
	s_and_b32 vcc_lo, exec_lo, s67
	s_wait_alu 0xfffe
	s_cbranch_vccz .LBB57_20
; %bb.9:                                ;   in Loop: Header=BB57_7 Depth=1
	v_cmp_gt_i32_e32 vcc_lo, 0x601, v2
	s_mov_b32 s10, 0
	s_mov_b32 s9, 0
	s_cbranch_vccz .LBB57_21
; %bb.10:                               ;   in Loop: Header=BB57_7 Depth=1
	global_load_u16 v2, v[8:9], off
	s_load_u16 s11, s[56:57], 0x0
	s_mov_b32 s12, 0
	s_wait_kmcnt 0x0
	v_add_nc_u32_e32 v1, s11, v0
	s_mul_i32 s13, s39, s11
	s_delay_alu instid0(VALU_DEP_1)
	v_mul_lo_u32 v6, s39, v1
	v_mov_b32_e32 v1, v0
	s_branch .LBB57_12
.LBB57_11:                              ;   in Loop: Header=BB57_12 Depth=2
	s_wait_alu 0xfffe
	s_or_b32 exec_lo, exec_lo, s9
	v_cmp_le_i32_e32 vcc_lo, s36, v1
	v_add_nc_u32_e32 v6, s13, v6
	v_mov_b32_e32 v2, v3
	s_or_b32 s12, vcc_lo, s12
	s_wait_alu 0xfffe
	s_and_not1_b32 exec_lo, exec_lo, s12
	s_cbranch_execz .LBB57_66
.LBB57_12:                              ;   Parent Loop BB57_7 Depth=1
                                        ; =>  This Inner Loop Header: Depth=2
	s_wait_dscnt 0x0
	s_delay_alu instid0(VALU_DEP_1) | instskip(SKIP_2) | instid1(VALU_DEP_2)
	v_dual_mov_b32 v4, 0 :: v_dual_add_nc_u32 v1, s11, v1
	v_mov_b32_e32 v3, 0
	s_mov_b32 s9, exec_lo
	v_cmpx_gt_u32_e64 s36, v1
	s_cbranch_execz .LBB57_14
; %bb.13:                               ;   in Loop: Header=BB57_12 Depth=2
	v_lshlrev_b64_e32 v[13:14], 1, v[6:7]
	s_delay_alu instid0(VALU_DEP_1) | instskip(SKIP_1) | instid1(VALU_DEP_2)
	v_add_co_u32 v13, vcc_lo, s48, v13
	s_wait_alu 0xfffd
	v_add_co_ci_u32_e64 v14, null, s49, v14, vcc_lo
	global_load_u16 v3, v[13:14], off
.LBB57_14:                              ;   in Loop: Header=BB57_12 Depth=2
	s_wait_alu 0xfffe
	s_or_b32 exec_lo, exec_lo, s9
	s_wait_loadcnt 0x0
	v_cmp_lt_i16_e32 vcc_lo, -1, v2
	s_wait_alu 0xfffd
	v_dual_cndmask_b32 v14, 0xffff, v29 :: v_dual_and_b32 v13, 0xffff, v2
	v_cmp_o_f16_e32 vcc_lo, v2, v2
	s_delay_alu instid0(VALU_DEP_2) | instskip(SKIP_1) | instid1(VALU_DEP_1)
	v_xor_b32_e32 v13, v14, v13
	s_wait_alu 0xfffd
	v_cndmask_b32_e32 v13, 0xffff, v13, vcc_lo
	s_delay_alu instid0(VALU_DEP_1) | instskip(NEXT) | instid1(VALU_DEP_1)
	v_and_b32_e32 v13, v13, v31
	v_cmp_eq_u32_e32 vcc_lo, v13, v22
	s_cmp_lg_u32 vcc_lo, 0
	s_cselect_b32 s9, -1, 0
	s_wait_alu 0xfffe
	s_and_b32 s9, s0, s9
	s_wait_alu 0xfffe
	s_and_saveexec_b32 s14, s9
	s_cbranch_execz .LBB57_18
; %bb.15:                               ;   in Loop: Header=BB57_12 Depth=2
	s_mov_b32 s17, exec_lo
	s_bcnt1_i32_b32 s15, vcc_lo
	s_wait_alu 0xfffe
	v_mbcnt_lo_u32_b32 v4, s17, 0
	s_mov_b32 s16, exec_lo
                                        ; implicit-def: $vgpr13
	s_delay_alu instid0(VALU_DEP_1)
	v_cmpx_eq_u32_e32 0, v4
; %bb.16:                               ;   in Loop: Header=BB57_12 Depth=2
	s_bcnt1_i32_b32 s9, s17
	s_wait_alu 0xfffe
	s_mul_i32 s9, s15, s9
	s_wait_alu 0xfffe
	v_mov_b32_e32 v13, s9
	ds_add_rtn_u32 v13, v7, v13 offset:4104
; %bb.17:                               ;   in Loop: Header=BB57_12 Depth=2
	s_or_b32 exec_lo, exec_lo, s16
	s_wait_dscnt 0x0
	v_readfirstlane_b32 s9, v13
	s_wait_alu 0xf1ff
	s_delay_alu instid0(VALU_DEP_1)
	v_mad_u32_u24 v4, s15, v4, s9
.LBB57_18:                              ;   in Loop: Header=BB57_12 Depth=2
	s_wait_alu 0xfffe
	s_or_b32 exec_lo, exec_lo, s14
	ds_bpermute_b32 v4, v7, v4
	s_and_saveexec_b32 s9, vcc_lo
	s_cbranch_execz .LBB57_11
; %bb.19:                               ;   in Loop: Header=BB57_12 Depth=2
	v_and_b32_e32 v13, vcc_lo, v20
	s_delay_alu instid0(VALU_DEP_1) | instskip(NEXT) | instid1(VALU_DEP_1)
	v_bcnt_u32_b32 v13, v13, 0
	v_lshlrev_b32_e32 v13, 1, v13
	s_wait_dscnt 0x0
	s_delay_alu instid0(VALU_DEP_1)
	v_lshl_add_u32 v4, v4, 1, v13
	ds_store_b16 v4, v2
	s_branch .LBB57_11
.LBB57_20:                              ;   in Loop: Header=BB57_7 Depth=1
	s_mov_b32 s10, -1
	s_mov_b32 s9, 0
.LBB57_21:                              ;   in Loop: Header=BB57_7 Depth=1
	s_wait_alu 0xfffe
	s_and_b32 vcc_lo, exec_lo, s10
	s_wait_alu 0xfffe
	s_cbranch_vccz .LBB57_32
.LBB57_22:                              ;   in Loop: Header=BB57_7 Depth=1
	v_mov_b32_e32 v1, 0
	s_and_saveexec_b32 s9, s3
	s_cbranch_execz .LBB57_24
; %bb.23:                               ;   in Loop: Header=BB57_7 Depth=1
	global_load_u16 v1, v[8:9], off
.LBB57_24:                              ;   in Loop: Header=BB57_7 Depth=1
	s_wait_alu 0xfffe
	s_or_b32 exec_lo, exec_lo, s9
	s_and_saveexec_b32 s9, s4
	s_cbranch_execz .LBB57_29
; %bb.25:                               ;   in Loop: Header=BB57_7 Depth=1
	s_load_u16 s10, s[56:57], 0x0
	s_mov_b32 s13, 0
	s_wait_kmcnt 0x0
	v_dual_mov_b32 v3, v0 :: v_dual_add_nc_u32 v2, s10, v0
	s_lshl_b32 s11, s10, 1
	s_mul_i32 s12, s39, s10
	s_delay_alu instid0(VALU_DEP_1)
	v_mul_lo_u32 v6, s39, v2
	v_mov_b32_e32 v2, v17
	s_branch .LBB57_27
.LBB57_26:                              ;   in Loop: Header=BB57_27 Depth=2
	s_wait_alu 0xfffe
	s_or_b32 exec_lo, exec_lo, s14
	v_cmp_le_i32_e32 vcc_lo, s36, v3
	s_wait_loadcnt 0x0
	ds_store_b16 v2, v1
	v_dual_mov_b32 v1, v4 :: v_dual_add_nc_u32 v2, s11, v2
	v_add_nc_u32_e32 v6, s12, v6
	s_or_b32 s13, vcc_lo, s13
	s_wait_alu 0xfffe
	s_and_not1_b32 exec_lo, exec_lo, s13
	s_cbranch_execz .LBB57_29
.LBB57_27:                              ;   Parent Loop BB57_7 Depth=1
                                        ; =>  This Inner Loop Header: Depth=2
	v_dual_mov_b32 v4, 0 :: v_dual_add_nc_u32 v3, s10, v3
	s_mov_b32 s14, exec_lo
	s_delay_alu instid0(VALU_DEP_1)
	v_cmpx_gt_u32_e64 s36, v3
	s_cbranch_execz .LBB57_26
; %bb.28:                               ;   in Loop: Header=BB57_27 Depth=2
	s_delay_alu instid0(VALU_DEP_4) | instskip(NEXT) | instid1(VALU_DEP_1)
	v_lshlrev_b64_e32 v[13:14], 1, v[6:7]
	v_add_co_u32 v13, vcc_lo, s48, v13
	s_wait_alu 0xfffd
	s_delay_alu instid0(VALU_DEP_2)
	v_add_co_ci_u32_e64 v14, null, s49, v14, vcc_lo
	global_load_u16 v4, v[13:14], off
	s_branch .LBB57_26
.LBB57_29:                              ;   in Loop: Header=BB57_7 Depth=1
	s_wait_alu 0xfffe
	s_or_b32 exec_lo, exec_lo, s9
	s_wait_loadcnt_dscnt 0x0
	s_barrier_signal -1
	s_barrier_wait -1
	global_inv scope:SCOPE_SE
	s_and_saveexec_b32 s9, s2
; %bb.30:                               ;   in Loop: Header=BB57_7 Depth=1
	v_mov_b32_e32 v1, s36
	ds_store_b32 v7, v1 offset:4096
; %bb.31:                               ;   in Loop: Header=BB57_7 Depth=1
	s_wait_alu 0xfffe
	s_or_b32 exec_lo, exec_lo, s9
	s_mov_b32 s9, -1
	s_wait_loadcnt_dscnt 0x0
	s_barrier_signal -1
	s_barrier_wait -1
.LBB57_32:                              ;   in Loop: Header=BB57_7 Depth=1
	s_wait_alu 0xfffe
	s_and_b32 vcc_lo, exec_lo, s9
	s_wait_alu 0xfffe
	s_cbranch_vccz .LBB57_34
; %bb.33:                               ;   in Loop: Header=BB57_7 Depth=1
	s_wait_loadcnt 0x0
	global_inv scope:SCOPE_SE
	ds_load_b32 v1, v7 offset:4096
	s_wait_dscnt 0x0
	v_readfirstlane_b32 s50, v1
.LBB57_34:                              ;   in Loop: Header=BB57_7 Depth=1
	s_delay_alu instid0(VALU_DEP_1)
	s_cmp_lt_i32 s50, 1
	s_mov_b32 s9, -1
                                        ; implicit-def: $vgpr1
	s_cbranch_scc1 .LBB57_44
; %bb.35:                               ;   in Loop: Header=BB57_7 Depth=1
	s_wait_alu 0xfffe
	s_and_b32 vcc_lo, exec_lo, s9
	s_wait_alu 0xfffe
	s_cbranch_vccnz .LBB57_57
.LBB57_36:                              ;   in Loop: Header=BB57_7 Depth=1
	v_lshlrev_b32_e32 v6, 7, v30
	s_and_saveexec_b32 s9, s0
.LBB57_37:                              ;   in Loop: Header=BB57_7 Depth=1
	s_delay_alu instid0(VALU_DEP_1)
	v_lshl_add_u32 v13, v6, 2, v21
	ds_store_b128 v13, v[1:4]
.LBB57_38:                              ;   in Loop: Header=BB57_7 Depth=1
	s_wait_alu 0xfffe
	s_or_b32 exec_lo, exec_lo, s9
	s_wait_loadcnt_dscnt 0x0
	s_barrier_signal -1
	s_barrier_wait -1
	global_inv scope:SCOPE_SE
	s_and_saveexec_b32 s9, s66
	s_cbranch_execz .LBB57_73
; %bb.39:                               ;   in Loop: Header=BB57_7 Depth=1
	v_mov_b32_e32 v1, 0
	s_and_not1_b32 vcc_lo, exec_lo, s68
	s_wait_alu 0xfffe
	s_cbranch_vccnz .LBB57_72
; %bb.40:                               ;   in Loop: Header=BB57_7 Depth=1
	s_and_not1_b32 vcc_lo, exec_lo, s70
	s_wait_alu 0xfffe
	s_cbranch_vccnz .LBB57_69
; %bb.41:                               ;   in Loop: Header=BB57_7 Depth=1
	v_lshl_add_u32 v2, v30, 9, v28
	v_mov_b32_e32 v1, 0
	s_mov_b32 s10, 0
.LBB57_42:                              ;   Parent Loop BB57_7 Depth=1
                                        ; =>  This Inner Loop Header: Depth=2
	ds_load_2addr_b32 v[3:4], v2 offset1:4
	ds_load_2addr_b32 v[13:14], v2 offset0:8 offset1:12
	ds_load_2addr_b32 v[34:35], v2 offset0:16 offset1:20
	;; [unrolled: 1-line block ×3, first 2 shown]
	v_add_nc_u32_e32 v2, 0x80, v2
	s_wait_alu 0xfffe
	s_add_co_i32 s10, s10, 8
	s_wait_alu 0xfffe
	s_cmp_eq_u32 s71, s10
	s_wait_dscnt 0x3
	v_add3_u32 v1, v3, v1, v4
	s_wait_dscnt 0x2
	s_delay_alu instid0(VALU_DEP_1) | instskip(SKIP_1) | instid1(VALU_DEP_1)
	v_add3_u32 v1, v13, v1, v14
	s_wait_dscnt 0x1
	v_add3_u32 v1, v34, v1, v35
	s_wait_dscnt 0x0
	s_delay_alu instid0(VALU_DEP_1)
	v_add3_u32 v1, v36, v1, v37
	s_cbranch_scc0 .LBB57_42
; %bb.43:                               ;   in Loop: Header=BB57_7 Depth=1
	s_mov_b32 s10, s71
	s_and_not1_b32 vcc_lo, exec_lo, s72
	s_wait_alu 0xfffe
	s_cbranch_vccz .LBB57_70
	s_branch .LBB57_72
.LBB57_44:                              ;   in Loop: Header=BB57_7 Depth=1
	v_dual_mov_b32 v1, 0 :: v_dual_mov_b32 v2, 0
	v_dual_mov_b32 v3, 0 :: v_dual_mov_b32 v4, 0
	s_and_saveexec_b32 s86, s5
	s_cbranch_execnz .LBB57_47
; %bb.45:                               ;   in Loop: Header=BB57_7 Depth=1
	s_wait_alu 0xfffe
	s_or_b32 exec_lo, exec_lo, s86
	v_mov_b32_e32 v34, 0
	s_and_saveexec_b32 s9, s6
	s_cbranch_execnz .LBB57_50
.LBB57_46:                              ;   in Loop: Header=BB57_7 Depth=1
	s_wait_alu 0xfffe
	s_or_b32 exec_lo, exec_lo, s9
	s_and_saveexec_b32 s13, s7
	s_cbranch_execnz .LBB57_51
	s_branch .LBB57_56
.LBB57_47:                              ;   in Loop: Header=BB57_7 Depth=1
	v_mov_b32_e32 v6, v16
	s_mov_b32 s87, 0
	s_mov_b32 s88, 0
	;; [unrolled: 1-line block ×6, first 2 shown]
.LBB57_48:                              ;   Parent Loop BB57_7 Depth=1
                                        ; =>  This Inner Loop Header: Depth=2
	s_wait_alu 0xfffe
	v_add_nc_u32_e32 v1, s88, v25
	v_add_nc_u32_e32 v3, s88, v12
	;; [unrolled: 1-line block ×4, first 2 shown]
	s_add_co_i32 s88, s88, s75
	v_ashrrev_i32_e32 v2, 31, v1
	v_ashrrev_i32_e32 v4, 31, v3
	;; [unrolled: 1-line block ×4, first 2 shown]
	s_delay_alu instid0(VALU_DEP_4) | instskip(NEXT) | instid1(VALU_DEP_4)
	v_lshlrev_b64_e32 v[1:2], 1, v[1:2]
	v_lshlrev_b64_e32 v[3:4], 1, v[3:4]
	s_delay_alu instid0(VALU_DEP_4) | instskip(NEXT) | instid1(VALU_DEP_4)
	v_lshlrev_b64_e32 v[13:14], 1, v[13:14]
	v_lshlrev_b64_e32 v[34:35], 1, v[34:35]
	s_delay_alu instid0(VALU_DEP_4)
	v_add_co_u32 v1, vcc_lo, s48, v1
	s_wait_alu 0xfffd
	v_add_co_ci_u32_e64 v2, null, s49, v2, vcc_lo
	v_add_co_u32 v3, vcc_lo, s48, v3
	s_wait_alu 0xfffd
	v_add_co_ci_u32_e64 v4, null, s49, v4, vcc_lo
	;; [unrolled: 3-line block ×4, first 2 shown]
	s_clause 0x3
	global_load_u16 v1, v[1:2], off
	global_load_u16 v2, v[3:4], off
	;; [unrolled: 1-line block ×4, first 2 shown]
	s_wait_loadcnt 0x3
	v_cmp_lt_i16_e64 s9, -1, v1
	v_and_b32_e32 v13, 0xffff, v1
	s_wait_loadcnt 0x2
	v_and_b32_e32 v34, 0xffff, v2
	s_wait_loadcnt 0x1
	v_and_b32_e32 v36, 0xffff, v3
	v_cmp_o_f16_e64 s12, v1, v1
	s_wait_alu 0xf1ff
	v_cndmask_b32_e64 v14, 0xffff, v29, s9
	v_cmp_lt_i16_e64 s9, -1, v2
	s_wait_loadcnt 0x0
	v_and_b32_e32 v38, 0xffff, v4
	v_cmp_o_f16_e64 s10, v3, v3
	v_cmp_o_f16_e64 s11, v4, v4
	v_xor_b32_e32 v13, v14, v13
	s_wait_alu 0xf1ff
	v_cndmask_b32_e64 v35, 0xffff, v29, s9
	v_cmp_lt_i16_e64 s9, -1, v3
	s_delay_alu instid0(VALU_DEP_3) | instskip(NEXT) | instid1(VALU_DEP_3)
	v_cndmask_b32_e64 v1, 0xffff, v13, s12
	v_xor_b32_e32 v14, v35, v34
	s_wait_alu 0xf1ff
	s_delay_alu instid0(VALU_DEP_3) | instskip(SKIP_4) | instid1(VALU_DEP_3)
	v_cndmask_b32_e64 v37, 0xffff, v29, s9
	v_cmp_lt_i16_e64 s9, -1, v4
	v_and_b32_e32 v13, v1, v31
	v_bfe_u32 v1, v1, s85, 2
	s_wait_alu 0xf1ff
	v_cndmask_b32_e64 v39, 0xffff, v29, s9
	v_cmp_o_f16_e64 s9, v2, v2
	v_xor_b32_e32 v2, v37, v36
	v_cmp_eq_u32_e64 s13, 0, v1
	v_cmp_eq_u32_e64 s17, 1, v1
	v_xor_b32_e32 v3, v39, v38
	s_wait_alu 0xf1ff
	v_cndmask_b32_e64 v4, 0xffff, v14, s9
	v_cndmask_b32_e64 v2, 0xffff, v2, s10
	v_cmp_eq_u32_e64 s9, v13, v22
	v_cmp_eq_u32_e64 s21, 2, v1
	v_cndmask_b32_e64 v3, 0xffff, v3, s11
	v_and_b32_e32 v14, v4, v31
	v_bfe_u32 v4, v4, s85, 2
	v_and_b32_e32 v34, v2, v31
	v_bfe_u32 v2, v2, s85, 2
	;; [unrolled: 2-line block ×3, first 2 shown]
	v_cmp_eq_u32_e64 s10, v14, v22
	v_cmp_eq_u32_e64 s14, 0, v4
	;; [unrolled: 1-line block ×4, first 2 shown]
	s_and_b32 s13, s9, s13
	v_cmp_eq_u32_e64 s12, v35, v22
	v_cmp_eq_u32_e64 s16, 0, v3
	;; [unrolled: 1-line block ×3, first 2 shown]
	s_wait_alu 0xfffe
	v_cndmask_b32_e64 v1, 0, 1, s13
	s_and_b32 s13, s10, s14
	v_cmp_eq_u32_e64 s19, 1, v2
	v_cmp_eq_u32_e64 s23, 2, v2
	;; [unrolled: 1-line block ×3, first 2 shown]
	s_wait_alu 0xfffe
	v_cndmask_b32_e64 v2, 0, 1, s13
	s_and_b32 s13, s11, s15
	v_cmp_eq_u32_e64 s18, 1, v4
	v_cmp_eq_u32_e64 s20, 1, v3
	;; [unrolled: 1-line block ×4, first 2 shown]
	s_wait_alu 0xfffe
	v_cndmask_b32_e64 v3, 0, 1, s13
	s_and_b32 s13, s12, s16
	v_cmp_eq_u32_e64 s22, 2, v4
	v_cmp_eq_u32_e64 s26, 3, v4
	s_wait_alu 0xfffe
	v_cndmask_b32_e64 v4, 0, 1, s13
	s_and_b32 s13, s9, s17
	s_wait_alu 0xfffe
	v_cndmask_b32_e64 v13, 0, 1, s13
	s_and_b32 s13, s10, s18
	;; [unrolled: 3-line block ×4, first 2 shown]
	v_cmp_ne_u32_e64 s14, 0, v14
	s_wait_alu 0xfffe
	v_cndmask_b32_e64 v35, 0, 1, s13
	s_and_b32 s13, s9, s21
	s_and_b32 s9, s9, s25
	s_wait_alu 0xfffe
	v_cndmask_b32_e64 v36, 0, 1, s13
	s_and_b32 s13, s10, s22
	v_cndmask_b32_e64 v40, 0, 1, s9
	s_and_b32 s9, s10, s26
	s_wait_alu 0xfffe
	v_cndmask_b32_e64 v37, 0, 1, s13
	s_and_b32 s13, s11, s23
	v_cndmask_b32_e64 v41, 0, 1, s9
	;; [unrolled: 5-line block ×3, first 2 shown]
	s_and_b32 s9, s12, s28
	s_wait_alu 0xfffe
	v_cndmask_b32_e64 v39, 0, 1, s13
	v_cndmask_b32_e64 v43, 0, 1, s9
	v_cmp_ne_u32_e64 s9, 0, v1
	v_cmp_ne_u32_e64 s13, 0, v13
	;; [unrolled: 1-line block ×8, first 2 shown]
	s_bcnt1_i32_b32 s9, s9
	s_bcnt1_i32_b32 s13, s13
	;; [unrolled: 1-line block ×3, first 2 shown]
	v_cmp_ne_u32_e64 s20, 0, v39
	v_cmp_ne_u32_e64 s22, 0, v41
	s_bcnt1_i32_b32 s10, s10
	s_bcnt1_i32_b32 s14, s14
	;; [unrolled: 1-line block ×3, first 2 shown]
	s_wait_alu 0xfffe
	s_add_co_i32 s9, s9, s92
	s_add_co_i32 s13, s13, s91
	;; [unrolled: 1-line block ×3, first 2 shown]
	v_cmp_ne_u32_e64 s15, 0, v34
	v_cmp_ne_u32_e64 s23, 0, v42
	s_bcnt1_i32_b32 s11, s11
	s_bcnt1_i32_b32 s19, s19
	s_wait_alu 0xfffe
	s_add_co_i32 s9, s9, s10
	s_add_co_i32 s10, s13, s14
	;; [unrolled: 1-line block ×3, first 2 shown]
	s_bcnt1_i32_b32 s21, s21
	v_cmp_ne_u32_e64 s12, 0, v4
	v_cmp_ne_u32_e64 s16, 0, v35
	;; [unrolled: 1-line block ×3, first 2 shown]
	s_bcnt1_i32_b32 s20, s20
	s_wait_alu 0xfffe
	s_add_co_i32 s9, s9, s11
	s_add_co_i32 s11, s13, s19
	s_bcnt1_i32_b32 s22, s22
	s_add_co_i32 s21, s21, s89
	s_wait_alu 0xfffe
	s_add_co_i32 s90, s11, s20
	s_wait_alu 0xfffe
	v_dual_mov_b32 v3, s90 :: v_dual_add_nc_u32 v6, s46, v6
	s_bcnt1_i32_b32 s15, s15
	s_bcnt1_i32_b32 s23, s23
	s_add_co_i32 s14, s21, s22
	s_bcnt1_i32_b32 s12, s12
	s_bcnt1_i32_b32 s16, s16
	;; [unrolled: 1-line block ×3, first 2 shown]
	s_wait_alu 0xfffe
	s_add_co_i32 s10, s10, s15
	s_add_co_i32 s13, s14, s23
	v_cmp_le_i32_e32 vcc_lo, s73, v6
	s_add_co_i32 s92, s9, s12
	s_wait_alu 0xfffe
	s_add_co_i32 s91, s10, s16
	s_add_co_i32 s89, s13, s24
	s_wait_alu 0xfffe
	v_dual_mov_b32 v1, s92 :: v_dual_mov_b32 v2, s91
	v_mov_b32_e32 v4, s89
	s_or_b32 s87, vcc_lo, s87
	s_wait_alu 0xfffe
	s_and_not1_b32 exec_lo, exec_lo, s87
	s_cbranch_execnz .LBB57_48
; %bb.49:                               ;   in Loop: Header=BB57_7 Depth=1
	s_or_b32 exec_lo, exec_lo, s87
	s_delay_alu instid0(SALU_CYCLE_1)
	s_or_b32 exec_lo, exec_lo, s86
	v_mov_b32_e32 v34, 0
	s_and_saveexec_b32 s9, s6
	s_cbranch_execz .LBB57_46
.LBB57_50:                              ;   in Loop: Header=BB57_7 Depth=1
	global_load_u16 v34, v[10:11], off
	s_wait_alu 0xfffe
	s_or_b32 exec_lo, exec_lo, s9
	s_and_saveexec_b32 s13, s7
	s_cbranch_execz .LBB57_56
.LBB57_51:                              ;   in Loop: Header=BB57_7 Depth=1
	v_dual_mov_b32 v13, v26 :: v_dual_mov_b32 v6, v19
	s_mov_b32 s14, 0
	s_branch .LBB57_53
.LBB57_52:                              ;   in Loop: Header=BB57_53 Depth=2
	s_wait_alu 0xfffe
	s_or_b32 exec_lo, exec_lo, s9
	s_wait_loadcnt 0x0
	v_cmp_lt_i16_e32 vcc_lo, -1, v34
	v_and_b32_e32 v35, 0xffff, v34
	v_add_nc_u32_e32 v13, s65, v13
	s_wait_alu 0xfffd
	v_cndmask_b32_e32 v36, 0xffff, v29, vcc_lo
	v_cmp_o_f16_e32 vcc_lo, v34, v34
	s_delay_alu instid0(VALU_DEP_2) | instskip(SKIP_1) | instid1(VALU_DEP_1)
	v_xor_b32_e32 v35, v36, v35
	s_wait_alu 0xfffd
	v_cndmask_b32_e32 v34, 0xffff, v35, vcc_lo
	s_delay_alu instid0(VALU_DEP_1) | instskip(SKIP_1) | instid1(VALU_DEP_2)
	v_and_b32_e32 v35, v34, v31
	v_bfe_u32 v34, v34, s85, 2
	v_cmp_eq_u32_e32 vcc_lo, v35, v22
	s_delay_alu instid0(VALU_DEP_2)
	v_cmp_eq_u32_e64 s9, 0, v34
	v_cmp_eq_u32_e64 s10, 1, v34
	;; [unrolled: 1-line block ×4, first 2 shown]
	s_and_b32 s9, vcc_lo, s9
	s_wait_alu 0xfffe
	v_cndmask_b32_e64 v34, 0, 1, s9
	s_and_b32 s9, vcc_lo, s10
	s_wait_alu 0xfffe
	v_cndmask_b32_e64 v35, 0, 1, s9
	;; [unrolled: 3-line block ×3, first 2 shown]
	s_and_b32 s9, vcc_lo, s12
	v_cmp_ne_u32_e32 vcc_lo, 0, v34
	s_wait_alu 0xfffe
	v_cndmask_b32_e64 v37, 0, 1, s9
	v_cmp_ne_u32_e64 s9, 0, v35
	v_cmp_ne_u32_e64 s10, 0, v36
	v_cmp_le_i32_e64 s12, s36, v6
	s_bcnt1_i32_b32 s15, vcc_lo
	v_cmp_ne_u32_e64 s11, 0, v37
	s_bcnt1_i32_b32 s9, s9
	s_bcnt1_i32_b32 s10, s10
	s_wait_alu 0xfffe
	v_add_nc_u32_e32 v1, s15, v1
	v_add_nc_u32_e32 v2, s9, v2
	s_bcnt1_i32_b32 s11, s11
	v_add_nc_u32_e32 v3, s10, v3
	s_wait_alu 0xfffe
	v_add_nc_u32_e32 v4, s11, v4
	v_mov_b32_e32 v34, v14
	s_or_b32 s14, s12, s14
	s_wait_alu 0xfffe
	s_and_not1_b32 exec_lo, exec_lo, s14
	s_cbranch_execz .LBB57_55
.LBB57_53:                              ;   Parent Loop BB57_7 Depth=1
                                        ; =>  This Inner Loop Header: Depth=2
	s_delay_alu instid0(VALU_DEP_1) | instskip(SKIP_2) | instid1(VALU_DEP_2)
	v_add_nc_u32_e32 v6, s41, v6
	v_mov_b32_e32 v14, 0
	s_mov_b32 s9, exec_lo
	v_cmpx_gt_u32_e64 s36, v6
	s_cbranch_execz .LBB57_52
; %bb.54:                               ;   in Loop: Header=BB57_53 Depth=2
	v_ashrrev_i32_e32 v14, 31, v13
	s_delay_alu instid0(VALU_DEP_1) | instskip(NEXT) | instid1(VALU_DEP_1)
	v_lshlrev_b64_e32 v[35:36], 1, v[13:14]
	v_add_co_u32 v35, vcc_lo, s48, v35
	s_wait_alu 0xfffd
	s_delay_alu instid0(VALU_DEP_2)
	v_add_co_ci_u32_e64 v36, null, s49, v36, vcc_lo
	global_load_u16 v14, v[35:36], off
	s_branch .LBB57_52
.LBB57_55:                              ;   in Loop: Header=BB57_7 Depth=1
	s_or_b32 exec_lo, exec_lo, s14
.LBB57_56:                              ;   in Loop: Header=BB57_7 Depth=1
	s_wait_alu 0xfffe
	s_or_b32 exec_lo, exec_lo, s13
	s_branch .LBB57_36
.LBB57_57:                              ;   in Loop: Header=BB57_7 Depth=1
	s_mul_u64 s[10:11], s[50:51], s[52:53]
	v_dual_mov_b32 v1, 0 :: v_dual_mov_b32 v2, 0
	s_wait_alu 0xfffe
	s_mul_i32 s9, s11, s46
	v_dual_mov_b32 v3, 0 :: v_dual_mov_b32 v4, 0
	s_wait_alu 0xfffe
	s_sub_co_i32 s9, s50, s9
	s_mov_b32 s24, exec_lo
	s_wait_alu 0xfffe
	s_sub_co_i32 s10, s9, s46
	s_cmp_ge_u32 s9, s46
	s_wait_alu 0xfffe
	s_cselect_b32 s9, s10, s9
	s_wait_alu 0xfffe
	s_sub_co_i32 s10, s9, s46
	s_cmp_ge_u32 s9, s46
	s_wait_alu 0xfffe
	s_cselect_b32 s9, s10, s9
	s_wait_alu 0xfffe
	s_sub_co_i32 s23, s50, s9
	s_wait_alu 0xfffe
	v_cmpx_gt_u32_e64 s23, v16
	s_cbranch_execz .LBB57_61
; %bb.58:                               ;   in Loop: Header=BB57_7 Depth=1
	v_dual_mov_b32 v6, v27 :: v_dual_mov_b32 v13, v16
	s_mov_b32 s25, 0
	s_mov_b32 s26, 0
	;; [unrolled: 1-line block ×5, first 2 shown]
.LBB57_59:                              ;   Parent Loop BB57_7 Depth=1
                                        ; =>  This Inner Loop Header: Depth=2
	ds_load_b64 v[1:2], v6
	s_wait_dscnt 0x0
	v_cmp_lt_i16_e64 s9, -1, v1
	v_lshrrev_b32_e32 v3, 16, v1
	v_lshrrev_b32_e32 v36, 16, v2
	v_and_b32_e32 v4, 0xffff, v1
	s_wait_loadcnt 0x0
	v_and_b32_e32 v34, 0xffff, v2
	s_wait_alu 0xf1ff
	v_cndmask_b32_e64 v14, 0xffff, v29, s9
	v_cmp_lt_i16_e64 s9, -1, v2
	v_cmp_lt_i16_e64 s10, -1, v36
	s_delay_alu instid0(VALU_DEP_3) | instskip(SKIP_1) | instid1(VALU_DEP_3)
	v_xor_b32_e32 v4, v14, v4
	s_wait_alu 0xf1ff
	v_cndmask_b32_e64 v35, 0xffff, v29, s9
	v_cmp_lt_i16_e64 s9, -1, v3
	s_delay_alu instid0(VALU_DEP_2) | instskip(SKIP_1) | instid1(VALU_DEP_2)
	v_xor_b32_e32 v34, v35, v34
	s_wait_alu 0xf1ff
	v_cndmask_b32_e64 v14, 0xffff, v29, s9
	v_cmp_o_f16_e64 s9, v2, v2
	v_cndmask_b32_e64 v2, 0xffff, v29, s10
	v_cmp_o_f16_e64 s10, v1, v1
	s_delay_alu instid0(VALU_DEP_2) | instskip(SKIP_1) | instid1(VALU_DEP_2)
	v_xor_b32_e32 v2, v2, v36
	s_wait_alu 0xf1ff
	v_cndmask_b32_e64 v1, 0xffff, v4, s10
	v_xor_b32_e32 v4, v14, v3
	v_cmp_o_f16_e64 s10, v3, v3
	v_cndmask_b32_e64 v14, 0xffff, v34, s9
	v_cmp_o_f16_e64 s9, v36, v36
	s_wait_alu 0xf1ff
	s_delay_alu instid0(VALU_DEP_3)
	v_cndmask_b32_e64 v3, 0xffff, v4, s10
	v_and_b32_e32 v4, v1, v31
	v_bfe_u32 v1, v1, s85, 2
	v_and_b32_e32 v34, v14, v31
	v_bfe_u32 v14, v14, s85, 2
	v_cndmask_b32_e64 v2, 0xffff, v2, s9
	v_cmp_eq_u32_e64 s9, v4, v22
	v_cmp_eq_u32_e64 s11, 0, v1
	;; [unrolled: 1-line block ×4, first 2 shown]
	v_and_b32_e32 v4, v3, v31
	v_and_b32_e32 v34, v2, v31
	v_bfe_u32 v3, v3, s85, 2
	v_bfe_u32 v2, v2, s85, 2
	v_cmp_eq_u32_e64 s13, 1, v1
	v_cmp_eq_u32_e64 s15, 2, v1
	s_and_b32 s11, s9, s11
	v_cmp_eq_u32_e64 s14, 1, v14
	v_cmp_eq_u32_e64 s16, 2, v14
	v_cmp_eq_u32_e64 s17, 3, v1
	s_wait_alu 0xfffe
	v_cndmask_b32_e64 v1, 0, 1, s11
	s_and_b32 s11, s10, s12
	v_cmp_eq_u32_e64 s18, 3, v14
	v_cmp_eq_u32_e64 s19, v4, v22
	;; [unrolled: 1-line block ×5, first 2 shown]
	s_wait_alu 0xfffe
	v_cndmask_b32_e64 v4, 0, 1, s11
	v_cmp_eq_u32_e64 s11, 1, v3
	s_and_b32 s13, s9, s13
	s_and_b32 s15, s9, s15
	s_wait_alu 0xfffe
	v_cndmask_b32_e64 v14, 0, 1, s13
	s_and_b32 s13, s10, s14
	v_cndmask_b32_e64 v35, 0, 1, s15
	s_and_b32 s15, s10, s16
	s_and_b32 s9, s9, s17
	v_cmp_eq_u32_e64 s12, 1, v2
	s_wait_alu 0xfffe
	v_cndmask_b32_e64 v34, 0, 1, s13
	v_cmp_eq_u32_e64 s13, 2, v3
	v_cmp_eq_u32_e64 s14, 2, v2
	v_cndmask_b32_e64 v36, 0, 1, s15
	v_cmp_eq_u32_e64 s15, 3, v3
	v_cmp_eq_u32_e64 s16, 3, v2
	v_cndmask_b32_e64 v2, 0, 1, s9
	s_and_b32 s9, s10, s18
	s_and_b32 s10, s19, s21
	;; [unrolled: 1-line block ×4, first 2 shown]
	s_wait_alu 0xfffe
	v_cndmask_b32_e64 v3, 0, 1, s9
	v_cmp_ne_u32_e64 s9, 0, v1
	v_cndmask_b32_e64 v1, 0, 1, s10
	v_cmp_ne_u32_e64 s10, 0, v4
	;; [unrolled: 2-line block ×3, first 2 shown]
	v_cndmask_b32_e64 v14, 0, 1, s11
	s_and_b32 s12, s20, s12
	s_and_b32 s13, s19, s13
	;; [unrolled: 1-line block ×5, first 2 shown]
	v_cmp_ne_u32_e64 s11, 0, v34
	s_wait_alu 0xfffe
	v_cndmask_b32_e64 v34, 0, 1, s12
	v_cmp_ne_u32_e64 s12, 0, v35
	v_cndmask_b32_e64 v35, 0, 1, s13
	v_cmp_ne_u32_e64 s13, 0, v36
	;; [unrolled: 2-line block ×5, first 2 shown]
	s_bcnt1_i32_b32 s17, s17
	s_bcnt1_i32_b32 s20, s11
	v_cmp_ne_u32_e64 s11, 0, v34
	s_bcnt1_i32_b32 s18, s9
	v_cmp_ne_u32_e64 s9, 0, v1
	;; [unrolled: 2-line block ×4, first 2 shown]
	s_wait_alu 0xfffe
	s_add_co_i32 s17, s17, s28
	s_bcnt1_i32_b32 s16, s16
	s_bcnt1_i32_b32 s19, s10
	s_wait_alu 0xfffe
	s_add_co_i32 s16, s17, s16
	v_cmp_ne_u32_e64 s10, 0, v4
	s_bcnt1_i32_b32 s22, s13
	v_cmp_ne_u32_e64 s13, 0, v36
	s_bcnt1_i32_b32 s88, s15
	;; [unrolled: 2-line block ×3, first 2 shown]
	s_wait_alu 0xfffe
	s_add_co_i32 s16, s16, s20
	s_add_co_i32 s18, s18, s86
	;; [unrolled: 1-line block ×4, first 2 shown]
	s_bcnt1_i32_b32 s9, s9
	s_bcnt1_i32_b32 s12, s12
	;; [unrolled: 1-line block ×3, first 2 shown]
	s_wait_alu 0xfffe
	s_add_co_i32 s28, s16, s11
	s_wait_alu 0xfffe
	v_dual_mov_b32 v2, s28 :: v_dual_add_nc_u32 v13, s46, v13
	s_add_co_i32 s9, s18, s9
	s_add_co_i32 s12, s21, s12
	s_add_co_i32 s14, s26, s14
	s_bcnt1_i32_b32 s10, s10
	s_bcnt1_i32_b32 s13, s13
	;; [unrolled: 1-line block ×3, first 2 shown]
	s_wait_alu 0xfffe
	s_add_co_i32 s9, s9, s19
	s_add_co_i32 s12, s12, s22
	s_add_co_i32 s14, s14, s88
	v_cmp_le_i32_e32 vcc_lo, s23, v13
	s_wait_alu 0xfffe
	s_add_co_i32 s86, s9, s10
	s_add_co_i32 s27, s12, s13
	;; [unrolled: 1-line block ×3, first 2 shown]
	s_wait_alu 0xfffe
	v_dual_mov_b32 v1, s86 :: v_dual_add_nc_u32 v6, s76, v6
	v_dual_mov_b32 v3, s27 :: v_dual_mov_b32 v4, s26
	s_or_b32 s25, vcc_lo, s25
	s_wait_alu 0xfffe
	s_and_not1_b32 exec_lo, exec_lo, s25
	s_cbranch_execnz .LBB57_59
; %bb.60:                               ;   in Loop: Header=BB57_7 Depth=1
	s_or_b32 exec_lo, exec_lo, s25
.LBB57_61:                              ;   in Loop: Header=BB57_7 Depth=1
	s_delay_alu instid0(SALU_CYCLE_1) | instskip(SKIP_2) | instid1(VALU_DEP_1)
	s_or_b32 exec_lo, exec_lo, s24
	v_add_nc_u32_e32 v6, s23, v0
	s_mov_b32 s14, exec_lo
	v_cmpx_gt_i32_e64 s50, v6
	s_cbranch_execz .LBB57_65
; %bb.62:                               ;   in Loop: Header=BB57_7 Depth=1
	v_lshlrev_b32_e32 v13, 1, v6
	s_mov_b32 s15, 0
.LBB57_63:                              ;   Parent Loop BB57_7 Depth=1
                                        ; =>  This Inner Loop Header: Depth=2
	ds_load_u16 v14, v13
	v_add_nc_u32_e32 v6, s41, v6
	v_add_nc_u32_e32 v13, s77, v13
	s_delay_alu instid0(VALU_DEP_2)
	v_cmp_le_i32_e32 vcc_lo, s50, v6
	s_wait_dscnt 0x0
	v_cmp_lt_i16_e64 s9, -1, v14
	s_wait_loadcnt 0x0
	v_and_b32_e32 v34, 0xffff, v14
	s_wait_alu 0xf1ff
	s_delay_alu instid0(VALU_DEP_2) | instskip(SKIP_1) | instid1(VALU_DEP_2)
	v_cndmask_b32_e64 v35, 0xffff, v29, s9
	v_cmp_o_f16_e64 s9, v14, v14
	v_xor_b32_e32 v34, v35, v34
	s_wait_alu 0xf1ff
	s_delay_alu instid0(VALU_DEP_1) | instskip(NEXT) | instid1(VALU_DEP_1)
	v_cndmask_b32_e64 v14, 0xffff, v34, s9
	v_and_b32_e32 v34, v14, v31
	v_bfe_u32 v14, v14, s85, 2
	s_delay_alu instid0(VALU_DEP_2) | instskip(NEXT) | instid1(VALU_DEP_2)
	v_cmp_eq_u32_e64 s9, v34, v22
	v_cmp_eq_u32_e64 s10, 0, v14
	;; [unrolled: 1-line block ×5, first 2 shown]
	s_and_b32 s10, s9, s10
	s_wait_alu 0xfffe
	v_cndmask_b32_e64 v14, 0, 1, s10
	s_and_b32 s10, s9, s11
	s_wait_alu 0xfffe
	v_cndmask_b32_e64 v34, 0, 1, s10
	s_and_b32 s10, s9, s12
	s_and_b32 s9, s9, s13
	s_wait_alu 0xfffe
	v_cndmask_b32_e64 v35, 0, 1, s10
	v_cndmask_b32_e64 v36, 0, 1, s9
	v_cmp_ne_u32_e64 s9, 0, v14
	v_cmp_ne_u32_e64 s10, 0, v34
	s_delay_alu instid0(VALU_DEP_4) | instskip(NEXT) | instid1(VALU_DEP_4)
	v_cmp_ne_u32_e64 s11, 0, v35
	v_cmp_ne_u32_e64 s12, 0, v36
	s_bcnt1_i32_b32 s9, s9
	s_bcnt1_i32_b32 s10, s10
	s_wait_alu 0xfffe
	v_add_nc_u32_e32 v1, s9, v1
	s_bcnt1_i32_b32 s11, s11
	s_bcnt1_i32_b32 s12, s12
	v_add_nc_u32_e32 v2, s10, v2
	s_wait_alu 0xfffe
	v_add_nc_u32_e32 v3, s11, v3
	v_add_nc_u32_e32 v4, s12, v4
	s_or_b32 s15, vcc_lo, s15
	s_wait_alu 0xfffe
	s_and_not1_b32 exec_lo, exec_lo, s15
	s_cbranch_execnz .LBB57_63
; %bb.64:                               ;   in Loop: Header=BB57_7 Depth=1
	s_or_b32 exec_lo, exec_lo, s15
.LBB57_65:                              ;   in Loop: Header=BB57_7 Depth=1
	s_wait_alu 0xfffe
	s_or_b32 exec_lo, exec_lo, s14
	v_lshlrev_b32_e32 v6, 7, v30
	s_and_saveexec_b32 s9, s0
	s_cbranch_execnz .LBB57_37
	s_branch .LBB57_38
.LBB57_66:                              ;   in Loop: Header=BB57_7 Depth=1
	s_or_b32 exec_lo, exec_lo, s12
	s_wait_dscnt 0x0
	s_barrier_signal -1
	s_barrier_wait -1
	global_inv scope:SCOPE_SE
	s_and_saveexec_b32 s9, s2
	s_cbranch_execz .LBB57_68
; %bb.67:                               ;   in Loop: Header=BB57_7 Depth=1
	ds_load_b32 v1, v7 offset:4104
	s_wait_dscnt 0x0
	ds_store_b32 v7, v1 offset:4096
.LBB57_68:                              ;   in Loop: Header=BB57_7 Depth=1
	s_wait_alu 0xfffe
	s_or_b32 exec_lo, exec_lo, s9
	s_wait_loadcnt_dscnt 0x0
	s_barrier_signal -1
	s_mov_b32 s9, -1
	s_barrier_wait -1
	s_and_b32 vcc_lo, exec_lo, s10
	s_wait_alu 0xfffe
	s_cbranch_vccnz .LBB57_22
	s_branch .LBB57_32
.LBB57_69:                              ;   in Loop: Header=BB57_7 Depth=1
	v_mov_b32_e32 v1, 0
	s_mov_b32 s10, 0
	s_and_not1_b32 vcc_lo, exec_lo, s72
	s_wait_alu 0xfffe
	s_cbranch_vccnz .LBB57_72
.LBB57_70:                              ;   in Loop: Header=BB57_7 Depth=1
	v_lshlrev_b32_e32 v2, 9, v30
	s_lshl_b32 s10, s10, 4
	s_wait_alu 0xfffe
	s_delay_alu instid0(VALU_DEP_1)
	v_add3_u32 v2, v2, s10, v28
	s_mov_b32 s10, s69
.LBB57_71:                              ;   Parent Loop BB57_7 Depth=1
                                        ; =>  This Inner Loop Header: Depth=2
	ds_load_b32 v3, v2
	v_add_nc_u32_e32 v2, 16, v2
	s_wait_alu 0xfffe
	s_add_co_i32 s10, s10, -1
	s_wait_alu 0xfffe
	s_cmp_lg_u32 s10, 0
	s_wait_dscnt 0x0
	v_add_nc_u32_e32 v1, v3, v1
	s_cbranch_scc1 .LBB57_71
.LBB57_72:                              ;   in Loop: Header=BB57_7 Depth=1
	v_add_lshl_u32 v2, v6, v15, 2
	ds_store_b32 v2, v1 offset:3072
.LBB57_73:                              ;   in Loop: Header=BB57_7 Depth=1
	s_wait_alu 0xfffe
	s_or_b32 exec_lo, exec_lo, s9
	v_lshlrev_b32_e32 v1, 2, v6
	s_wait_loadcnt_dscnt 0x0
	s_barrier_signal -1
	s_barrier_wait -1
	global_inv scope:SCOPE_SE
	ds_load_b128 v[1:4], v1 offset:3072
	s_lshl_b32 s10, 3, s85
	v_cmp_eq_u32_e32 vcc_lo, 1, v33
	s_wait_alu 0xfffe
	s_not_b32 s17, s10
	s_mov_b32 s13, -1
	s_mov_b32 s15, -1
                                        ; implicit-def: $sgpr20
                                        ; implicit-def: $sgpr18
	s_wait_dscnt 0x0
	v_readfirstlane_b32 s12, v1
	v_readfirstlane_b32 s19, v2
	;; [unrolled: 1-line block ×4, first 2 shown]
	s_cmp_eq_u32 s12, 1
	s_cselect_b32 s11, -1, 0
	s_wait_alu 0xfffe
	s_and_b32 s14, s11, vcc_lo
	s_wait_alu 0xfffe
	s_and_saveexec_b32 s11, s14
	s_cbranch_execz .LBB57_101
; %bb.74:                               ;   in Loop: Header=BB57_7 Depth=1
	ds_load_b32 v1, v7 offset:4096
	s_wait_loadcnt_dscnt 0x0
	s_barrier_signal -1
	s_barrier_wait -1
	global_inv scope:SCOPE_SE
	v_readfirstlane_b32 s15, v1
	s_and_saveexec_b32 s18, s1
; %bb.75:                               ;   in Loop: Header=BB57_7 Depth=1
	ds_store_b16 v18, v7
; %bb.76:                               ;   in Loop: Header=BB57_7 Depth=1
	s_wait_alu 0xfffe
	s_or_b32 exec_lo, exec_lo, s18
	v_and_b32_e32 v22, s17, v22
	v_or_b32_e32 v31, s10, v31
	s_mov_b32 s18, -1
	s_mov_b32 s20, 0
	s_cmp_lt_i32 s15, 1
	s_mov_b32 s21, 0
	s_mov_b32 s22, -1
	s_wait_loadcnt_dscnt 0x0
	s_barrier_signal -1
	s_barrier_wait -1
	global_inv scope:SCOPE_SE
                                        ; implicit-def: $vgpr32
	s_cbranch_scc0 .LBB57_88
; %bb.77:                               ;   in Loop: Header=BB57_7 Depth=1
	s_mov_b32 s22, 0
                                        ; implicit-def: $vgpr32
	s_and_saveexec_b32 s23, s8
	s_cbranch_execz .LBB57_87
; %bb.78:                               ;   in Loop: Header=BB57_7 Depth=1
	v_mov_b32_e32 v1, v5
	v_mov_b32_e32 v3, v0
                                        ; implicit-def: $sgpr24
	s_branch .LBB57_82
.LBB57_79:                              ;   in Loop: Header=BB57_82 Depth=2
	s_wait_alu 0xfffe
	s_or_b32 exec_lo, exec_lo, s25
	s_wait_loadcnt_dscnt 0x0
	s_barrier_signal -1
	s_barrier_wait -1
	global_inv scope:SCOPE_SE
	ds_load_b32 v2, v7 offset:3072
	s_wait_loadcnt_dscnt 0x0
	s_barrier_signal -1
	s_barrier_wait -1
	global_inv scope:SCOPE_SE
	v_cmp_neq_f16_e32 vcc_lo, 0, v2
	s_cbranch_vccnz .LBB57_85
; %bb.80:                               ;   in Loop: Header=BB57_82 Depth=2
	v_add_nc_u32_e32 v3, s41, v3
	v_add_nc_u32_e32 v1, s65, v1
	s_mov_b32 s25, 0
	s_delay_alu instid0(VALU_DEP_2)
	v_cmp_le_i32_e32 vcc_lo, s74, v3
	s_or_not1_b32 s26, vcc_lo, exec_lo
.LBB57_81:                              ;   in Loop: Header=BB57_82 Depth=2
	s_wait_alu 0xfffe
	s_and_b32 s26, exec_lo, s26
	s_wait_alu 0xfffe
	s_or_b32 s21, s26, s21
	s_and_not1_b32 s24, s24, exec_lo
	s_and_b32 s25, s25, exec_lo
	s_wait_alu 0xfffe
	s_or_b32 s24, s24, s25
	s_and_not1_b32 exec_lo, exec_lo, s21
	s_cbranch_execz .LBB57_86
.LBB57_82:                              ;   Parent Loop BB57_7 Depth=1
                                        ; =>  This Inner Loop Header: Depth=2
	s_mov_b32 s25, exec_lo
	s_delay_alu instid0(VALU_DEP_1)
	v_cmpx_gt_i32_e64 s36, v3
	s_cbranch_execz .LBB57_79
; %bb.83:                               ;   in Loop: Header=BB57_82 Depth=2
	v_ashrrev_i32_e32 v2, 31, v1
	s_delay_alu instid0(VALU_DEP_1) | instskip(NEXT) | instid1(VALU_DEP_1)
	v_lshlrev_b64_e32 v[13:14], 1, v[1:2]
	v_add_co_u32 v13, vcc_lo, s48, v13
	s_wait_alu 0xfffd
	s_delay_alu instid0(VALU_DEP_2)
	v_add_co_ci_u32_e64 v14, null, s49, v14, vcc_lo
	global_load_u16 v2, v[13:14], off
	s_wait_loadcnt 0x0
	v_cmp_lt_i16_e32 vcc_lo, -1, v2
	v_and_b32_e32 v4, 0xffff, v2
	s_wait_alu 0xfffd
	v_cndmask_b32_e32 v6, 0xffff, v29, vcc_lo
	v_cmp_o_f16_e32 vcc_lo, v2, v2
	s_delay_alu instid0(VALU_DEP_2) | instskip(SKIP_1) | instid1(VALU_DEP_1)
	v_xor_b32_e32 v4, v6, v4
	s_wait_alu 0xfffd
	v_cndmask_b32_e32 v4, 0xffff, v4, vcc_lo
	s_delay_alu instid0(VALU_DEP_1) | instskip(NEXT) | instid1(VALU_DEP_1)
	v_and_b32_e32 v4, v4, v31
	v_cmp_eq_u32_e32 vcc_lo, v4, v22
	s_and_b32 exec_lo, exec_lo, vcc_lo
	s_cbranch_execz .LBB57_79
; %bb.84:                               ;   in Loop: Header=BB57_82 Depth=2
	v_perm_b32 v2, v2, s78, 0x5040100
	ds_store_b32 v7, v2 offset:3072
	s_branch .LBB57_79
.LBB57_85:                              ;   in Loop: Header=BB57_82 Depth=2
	s_mov_b32 s26, -1
	s_mov_b32 s25, -1
                                        ; implicit-def: $vgpr3
                                        ; implicit-def: $vgpr1
	s_branch .LBB57_81
.LBB57_86:                              ;   in Loop: Header=BB57_7 Depth=1
	s_or_b32 exec_lo, exec_lo, s21
	v_lshrrev_b32_e32 v32, 16, v2
	s_wait_alu 0xfffe
	s_and_b32 s21, s24, exec_lo
.LBB57_87:                              ;   in Loop: Header=BB57_7 Depth=1
	s_wait_alu 0xfffe
	s_or_b32 exec_lo, exec_lo, s23
.LBB57_88:                              ;   in Loop: Header=BB57_7 Depth=1
	s_wait_alu 0xfffe
	s_and_b32 vcc_lo, exec_lo, s22
	s_wait_alu 0xfffe
	s_cbranch_vccz .LBB57_100
; %bb.89:                               ;   in Loop: Header=BB57_7 Depth=1
	s_add_co_i32 s20, s15, s64
                                        ; implicit-def: $vgpr32
	s_wait_alu 0xfffe
	s_abs_i32 s50, s20
	s_wait_alu 0xfffe
	s_mul_u64 s[22:23], s[50:51], s[54:55]
	s_ashr_i32 s22, s20, 31
	s_wait_alu 0xfffe
	s_mul_i32 s18, s23, s41
	s_wait_alu 0xfffe
	s_sub_co_i32 s18, s50, s18
	s_wait_alu 0xfffe
	s_sub_co_i32 s23, s18, s41
	s_cmp_ge_u32 s18, s41
	s_wait_alu 0xfffe
	s_cselect_b32 s18, s23, s18
	s_wait_alu 0xfffe
	s_sub_co_i32 s23, s18, s41
	s_cmp_ge_u32 s18, s41
	s_wait_alu 0xfffe
	s_cselect_b32 s18, s23, s18
	s_wait_alu 0xfffe
	s_xor_b32 s18, s18, s22
	s_wait_alu 0xfffe
	s_sub_co_i32 s18, s22, s18
	s_wait_alu 0xfffe
	s_add_co_i32 s20, s20, s18
	s_mov_b32 s18, exec_lo
	s_wait_alu 0xfffe
	v_cmpx_gt_i32_e64 s20, v0
	s_cbranch_execz .LBB57_99
; %bb.90:                               ;   in Loop: Header=BB57_7 Depth=1
	v_dual_mov_b32 v1, v17 :: v_dual_mov_b32 v2, v0
	s_mov_b32 s22, 0
                                        ; implicit-def: $sgpr23
	s_branch .LBB57_94
.LBB57_91:                              ;   in Loop: Header=BB57_94 Depth=2
	s_wait_alu 0xfffe
	s_or_b32 exec_lo, exec_lo, s24
	s_wait_loadcnt_dscnt 0x0
	s_barrier_signal -1
	s_barrier_wait -1
	global_inv scope:SCOPE_SE
	ds_load_b32 v3, v7 offset:3072
	s_wait_loadcnt_dscnt 0x0
	s_barrier_signal -1
	s_barrier_wait -1
	global_inv scope:SCOPE_SE
	v_cmp_neq_f16_e32 vcc_lo, 0, v3
	s_cbranch_vccnz .LBB57_97
; %bb.92:                               ;   in Loop: Header=BB57_94 Depth=2
	v_add_nc_u32_e32 v2, s41, v2
	v_add_nc_u32_e32 v1, s77, v1
	s_mov_b32 s24, 0
	s_delay_alu instid0(VALU_DEP_2)
	v_cmp_le_i32_e32 vcc_lo, s20, v2
	s_or_not1_b32 s25, vcc_lo, exec_lo
.LBB57_93:                              ;   in Loop: Header=BB57_94 Depth=2
	s_wait_alu 0xfffe
	s_and_b32 s25, exec_lo, s25
	s_wait_alu 0xfffe
	s_or_b32 s22, s25, s22
	s_and_not1_b32 s23, s23, exec_lo
	s_and_b32 s24, s24, exec_lo
	s_wait_alu 0xfffe
	s_or_b32 s23, s23, s24
	s_and_not1_b32 exec_lo, exec_lo, s22
	s_cbranch_execz .LBB57_98
.LBB57_94:                              ;   Parent Loop BB57_7 Depth=1
                                        ; =>  This Inner Loop Header: Depth=2
	s_mov_b32 s24, exec_lo
	s_delay_alu instid0(VALU_DEP_1)
	v_cmpx_gt_i32_e64 s15, v2
	s_cbranch_execz .LBB57_91
; %bb.95:                               ;   in Loop: Header=BB57_94 Depth=2
	ds_load_u16 v3, v1
	s_wait_dscnt 0x0
	v_cmp_lt_i16_e32 vcc_lo, -1, v3
	v_and_b32_e32 v4, 0xffff, v3
	s_wait_alu 0xfffd
	v_cndmask_b32_e32 v6, 0xffff, v29, vcc_lo
	v_cmp_o_f16_e32 vcc_lo, v3, v3
	s_delay_alu instid0(VALU_DEP_2) | instskip(SKIP_1) | instid1(VALU_DEP_1)
	v_xor_b32_e32 v4, v6, v4
	s_wait_alu 0xfffd
	v_cndmask_b32_e32 v4, 0xffff, v4, vcc_lo
	s_delay_alu instid0(VALU_DEP_1) | instskip(NEXT) | instid1(VALU_DEP_1)
	v_and_b32_e32 v4, v4, v31
	v_cmp_eq_u32_e32 vcc_lo, v4, v22
	s_and_b32 exec_lo, exec_lo, vcc_lo
	s_cbranch_execz .LBB57_91
; %bb.96:                               ;   in Loop: Header=BB57_94 Depth=2
	v_perm_b32 v3, v3, s78, 0x5040100
	ds_store_b32 v7, v3 offset:3072
	s_branch .LBB57_91
.LBB57_97:                              ;   in Loop: Header=BB57_94 Depth=2
	s_mov_b32 s25, -1
	s_mov_b32 s24, -1
                                        ; implicit-def: $vgpr2
                                        ; implicit-def: $vgpr1
	s_branch .LBB57_93
.LBB57_98:                              ;   in Loop: Header=BB57_7 Depth=1
	s_or_b32 exec_lo, exec_lo, s22
	s_delay_alu instid0(SALU_CYCLE_1)
	s_and_not1_b32 s15, s21, exec_lo
	s_wait_alu 0xfffe
	s_and_b32 s20, s23, exec_lo
	v_lshrrev_b32_e32 v32, 16, v3
	s_wait_alu 0xfffe
	s_or_b32 s21, s15, s20
.LBB57_99:                              ;   in Loop: Header=BB57_7 Depth=1
	s_or_b32 exec_lo, exec_lo, s18
	s_mov_b32 s18, 0
	s_mov_b32 s20, -1
.LBB57_100:                             ;   in Loop: Header=BB57_7 Depth=1
	s_wait_alu 0xfffe
	s_or_not1_b32 s15, s21, exec_lo
.LBB57_101:                             ;   in Loop: Header=BB57_7 Depth=1
	s_wait_alu 0xfffe
	s_or_b32 exec_lo, exec_lo, s11
	v_readfirstlane_b32 s21, v0
	s_and_not1_b32 s11, s83, exec_lo
	s_and_b32 s20, s20, exec_lo
	s_and_not1_b32 s22, s81, exec_lo
	s_and_b32 s18, s18, exec_lo
	s_and_not1_b32 s80, s80, exec_lo
	s_wait_alu 0xfffe
	s_or_b32 s83, s11, s20
	s_or_b32 s81, s22, s18
                                        ; implicit-def: $vgpr4
	s_and_saveexec_b32 s11, s15
	s_cbranch_execz .LBB57_6
; %bb.102:                              ;   in Loop: Header=BB57_7 Depth=1
	v_dual_mov_b32 v4, 1 :: v_dual_mov_b32 v3, 1
	s_xor_b32 s14, s14, -1
	s_mov_b32 s20, 0
	s_wait_alu 0xfffe
	s_and_saveexec_b32 s13, s14
	s_cbranch_execz .LBB57_111
; %bb.103:                              ;   in Loop: Header=BB57_7 Depth=1
	s_mov_b32 s14, exec_lo
	v_cmpx_ge_i32_e64 s12, v33
	s_wait_alu 0xfffe
	s_xor_b32 s14, exec_lo, s14
	s_cbranch_execz .LBB57_108
; %bb.104:                              ;   in Loop: Header=BB57_7 Depth=1
	ds_load_b32 v1, v7 offset:4096
	v_and_b32_e32 v22, s17, v22
	v_or_b32_e32 v31, s10, v31
	s_wait_dscnt 0x0
	v_cmp_ne_u32_e32 vcc_lo, 0, v1
	s_cbranch_vccnz .LBB57_108
; %bb.105:                              ;   in Loop: Header=BB57_7 Depth=1
	s_and_saveexec_b32 s15, s2
; %bb.106:                              ;   in Loop: Header=BB57_7 Depth=1
	v_mov_b32_e32 v1, s12
	ds_store_b32 v7, v1 offset:4100
; %bb.107:                              ;   in Loop: Header=BB57_7 Depth=1
	s_wait_alu 0xfffe
	s_or_b32 exec_lo, exec_lo, s15
	s_wait_loadcnt_dscnt 0x0
	s_barrier_signal -1
	s_barrier_wait -1
	global_inv scope:SCOPE_SE
.LBB57_108:                             ;   in Loop: Header=BB57_7 Depth=1
	s_wait_alu 0xfffe
	s_or_saveexec_b32 s14, s14
	v_mov_b32_e32 v3, 8
	s_mov_b32 s15, 0
	s_wait_alu 0xfffe
	s_xor_b32 exec_lo, exec_lo, s14
; %bb.109:                              ;   in Loop: Header=BB57_7 Depth=1
	v_subrev_nc_u32_e32 v33, s12, v33
	v_mov_b32_e32 v3, 0
	s_mov_b32 s15, exec_lo
; %bb.110:                              ;   in Loop: Header=BB57_7 Depth=1
	s_or_b32 exec_lo, exec_lo, s14
	s_delay_alu instid0(VALU_DEP_2)
	v_mov_b32_e32 v4, v33
	s_wait_alu 0xfffe
	s_and_b32 s20, s15, exec_lo
.LBB57_111:                             ;   in Loop: Header=BB57_7 Depth=1
	s_wait_alu 0xfffe
	s_or_b32 exec_lo, exec_lo, s13
	s_mov_b32 s12, -1
	s_mov_b32 s18, -1
                                        ; implicit-def: $sgpr14
                                        ; implicit-def: $sgpr15
	s_and_saveexec_b32 s13, s20
	s_wait_alu 0xfffe
	s_xor_b32 s13, exec_lo, s13
	s_cbranch_execz .LBB57_234
; %bb.112:                              ;   in Loop: Header=BB57_7 Depth=1
	v_cmp_eq_u32_e32 vcc_lo, 1, v4
	s_cmp_eq_u32 s19, 1
	s_mov_b32 s21, -1
	s_cselect_b32 s14, -1, 0
                                        ; implicit-def: $sgpr15
	s_wait_alu 0xfffe
	s_and_b32 s20, s14, vcc_lo
                                        ; implicit-def: $sgpr14
	s_wait_alu 0xfffe
	s_and_saveexec_b32 s18, s20
	s_cbranch_execz .LBB57_140
; %bb.113:                              ;   in Loop: Header=BB57_7 Depth=1
	ds_load_b32 v1, v7 offset:4096
	s_wait_loadcnt_dscnt 0x0
	s_barrier_signal -1
	s_barrier_wait -1
	global_inv scope:SCOPE_SE
	v_readfirstlane_b32 s21, v1
	s_and_saveexec_b32 s14, s1
; %bb.114:                              ;   in Loop: Header=BB57_7 Depth=1
	ds_store_b16 v18, v7
; %bb.115:                              ;   in Loop: Header=BB57_7 Depth=1
	s_wait_alu 0xfffe
	s_or_b32 exec_lo, exec_lo, s14
	s_lshl_b32 s14, 1, s85
	v_or_b32_e32 v31, s10, v31
	s_wait_alu 0xfffe
	v_and_or_b32 v22, v22, s17, s14
	s_mov_b32 s14, -1
	s_mov_b32 s15, 0
	s_cmp_gt_i32 s21, 0
	s_mov_b32 s22, 0
	s_mov_b32 s23, -1
	s_wait_loadcnt_dscnt 0x0
	s_barrier_signal -1
	s_barrier_wait -1
	global_inv scope:SCOPE_SE
                                        ; implicit-def: $vgpr32
	s_cbranch_scc1 .LBB57_127
; %bb.116:                              ;   in Loop: Header=BB57_7 Depth=1
	s_mov_b32 s23, 0
                                        ; implicit-def: $vgpr32
	s_and_saveexec_b32 s24, s8
	s_cbranch_execz .LBB57_126
; %bb.117:                              ;   in Loop: Header=BB57_7 Depth=1
	v_dual_mov_b32 v1, v5 :: v_dual_mov_b32 v6, v0
                                        ; implicit-def: $sgpr25
	s_branch .LBB57_121
.LBB57_118:                             ;   in Loop: Header=BB57_121 Depth=2
	s_wait_alu 0xfffe
	s_or_b32 exec_lo, exec_lo, s26
	s_wait_loadcnt_dscnt 0x0
	s_barrier_signal -1
	s_barrier_wait -1
	global_inv scope:SCOPE_SE
	ds_load_b32 v2, v7 offset:3072
	s_wait_loadcnt_dscnt 0x0
	s_barrier_signal -1
	s_barrier_wait -1
	global_inv scope:SCOPE_SE
	v_cmp_neq_f16_e32 vcc_lo, 0, v2
	s_cbranch_vccnz .LBB57_124
; %bb.119:                              ;   in Loop: Header=BB57_121 Depth=2
	v_add_nc_u32_e32 v6, s41, v6
	v_add_nc_u32_e32 v1, s65, v1
	s_mov_b32 s26, 0
	s_delay_alu instid0(VALU_DEP_2)
	v_cmp_le_i32_e32 vcc_lo, s74, v6
	s_or_not1_b32 s27, vcc_lo, exec_lo
.LBB57_120:                             ;   in Loop: Header=BB57_121 Depth=2
	s_wait_alu 0xfffe
	s_and_b32 s27, exec_lo, s27
	s_wait_alu 0xfffe
	s_or_b32 s22, s27, s22
	s_and_not1_b32 s25, s25, exec_lo
	s_and_b32 s26, s26, exec_lo
	s_wait_alu 0xfffe
	s_or_b32 s25, s25, s26
	s_and_not1_b32 exec_lo, exec_lo, s22
	s_cbranch_execz .LBB57_125
.LBB57_121:                             ;   Parent Loop BB57_7 Depth=1
                                        ; =>  This Inner Loop Header: Depth=2
	s_mov_b32 s26, exec_lo
	s_delay_alu instid0(VALU_DEP_1)
	v_cmpx_gt_i32_e64 s36, v6
	s_cbranch_execz .LBB57_118
; %bb.122:                              ;   in Loop: Header=BB57_121 Depth=2
	v_ashrrev_i32_e32 v2, 31, v1
	s_delay_alu instid0(VALU_DEP_1) | instskip(NEXT) | instid1(VALU_DEP_1)
	v_lshlrev_b64_e32 v[13:14], 1, v[1:2]
	v_add_co_u32 v13, vcc_lo, s48, v13
	s_wait_alu 0xfffd
	s_delay_alu instid0(VALU_DEP_2)
	v_add_co_ci_u32_e64 v14, null, s49, v14, vcc_lo
	global_load_u16 v2, v[13:14], off
	s_wait_loadcnt 0x0
	v_cmp_lt_i16_e32 vcc_lo, -1, v2
	s_wait_alu 0xfffd
	v_dual_cndmask_b32 v14, 0xffff, v29 :: v_dual_and_b32 v13, 0xffff, v2
	v_cmp_o_f16_e32 vcc_lo, v2, v2
	s_delay_alu instid0(VALU_DEP_2) | instskip(SKIP_1) | instid1(VALU_DEP_1)
	v_xor_b32_e32 v13, v14, v13
	s_wait_alu 0xfffd
	v_cndmask_b32_e32 v13, 0xffff, v13, vcc_lo
	s_delay_alu instid0(VALU_DEP_1) | instskip(NEXT) | instid1(VALU_DEP_1)
	v_and_b32_e32 v13, v13, v31
	v_cmp_eq_u32_e32 vcc_lo, v13, v22
	s_and_b32 exec_lo, exec_lo, vcc_lo
	s_cbranch_execz .LBB57_118
; %bb.123:                              ;   in Loop: Header=BB57_121 Depth=2
	v_perm_b32 v2, v2, s78, 0x5040100
	ds_store_b32 v7, v2 offset:3072
	s_branch .LBB57_118
.LBB57_124:                             ;   in Loop: Header=BB57_121 Depth=2
	s_mov_b32 s27, -1
	s_mov_b32 s26, -1
                                        ; implicit-def: $vgpr6
                                        ; implicit-def: $vgpr1
	s_branch .LBB57_120
.LBB57_125:                             ;   in Loop: Header=BB57_7 Depth=1
	s_or_b32 exec_lo, exec_lo, s22
	v_lshrrev_b32_e32 v32, 16, v2
	s_wait_alu 0xfffe
	s_and_b32 s22, s25, exec_lo
.LBB57_126:                             ;   in Loop: Header=BB57_7 Depth=1
	s_wait_alu 0xfffe
	s_or_b32 exec_lo, exec_lo, s24
.LBB57_127:                             ;   in Loop: Header=BB57_7 Depth=1
	s_wait_alu 0xfffe
	s_and_b32 vcc_lo, exec_lo, s23
	s_wait_alu 0xfffe
	s_cbranch_vccz .LBB57_139
; %bb.128:                              ;   in Loop: Header=BB57_7 Depth=1
	s_add_co_i32 s23, s21, s64
                                        ; implicit-def: $vgpr32
	s_wait_alu 0xfffe
	s_abs_i32 s50, s23
	s_wait_alu 0xfffe
	s_mul_u64 s[14:15], s[50:51], s[54:55]
	s_wait_alu 0xfffe
	s_mul_i32 s14, s15, s41
	s_ashr_i32 s15, s23, 31
	s_wait_alu 0xfffe
	s_sub_co_i32 s14, s50, s14
	s_wait_alu 0xfffe
	s_sub_co_i32 s24, s14, s41
	s_cmp_ge_u32 s14, s41
	s_wait_alu 0xfffe
	s_cselect_b32 s14, s24, s14
	s_wait_alu 0xfffe
	s_sub_co_i32 s24, s14, s41
	s_cmp_ge_u32 s14, s41
	s_wait_alu 0xfffe
	s_cselect_b32 s14, s24, s14
	s_wait_alu 0xfffe
	s_xor_b32 s14, s14, s15
	s_wait_alu 0xfffe
	s_sub_co_i32 s14, s15, s14
	s_wait_alu 0xfffe
	s_add_co_i32 s15, s23, s14
	s_mov_b32 s14, exec_lo
	s_wait_alu 0xfffe
	v_cmpx_gt_i32_e64 s15, v0
	s_cbranch_execz .LBB57_138
; %bb.129:                              ;   in Loop: Header=BB57_7 Depth=1
	v_dual_mov_b32 v1, v17 :: v_dual_mov_b32 v2, v0
	s_mov_b32 s23, 0
                                        ; implicit-def: $sgpr24
	s_branch .LBB57_133
.LBB57_130:                             ;   in Loop: Header=BB57_133 Depth=2
	s_wait_alu 0xfffe
	s_or_b32 exec_lo, exec_lo, s25
	s_wait_loadcnt_dscnt 0x0
	s_barrier_signal -1
	s_barrier_wait -1
	global_inv scope:SCOPE_SE
	ds_load_b32 v6, v7 offset:3072
	s_wait_loadcnt_dscnt 0x0
	s_barrier_signal -1
	s_barrier_wait -1
	global_inv scope:SCOPE_SE
	v_cmp_eq_f16_e32 vcc_lo, 0, v6
	s_cbranch_vccz .LBB57_136
; %bb.131:                              ;   in Loop: Header=BB57_133 Depth=2
	v_add_nc_u32_e32 v2, s41, v2
	v_add_nc_u32_e32 v1, s77, v1
	s_mov_b32 s25, 0
	s_delay_alu instid0(VALU_DEP_2)
	v_cmp_le_i32_e32 vcc_lo, s15, v2
	s_or_not1_b32 s26, vcc_lo, exec_lo
.LBB57_132:                             ;   in Loop: Header=BB57_133 Depth=2
	s_wait_alu 0xfffe
	s_and_b32 s26, exec_lo, s26
	s_wait_alu 0xfffe
	s_or_b32 s23, s26, s23
	s_and_not1_b32 s24, s24, exec_lo
	s_and_b32 s25, s25, exec_lo
	s_wait_alu 0xfffe
	s_or_b32 s24, s24, s25
	s_and_not1_b32 exec_lo, exec_lo, s23
	s_cbranch_execz .LBB57_137
.LBB57_133:                             ;   Parent Loop BB57_7 Depth=1
                                        ; =>  This Inner Loop Header: Depth=2
	s_mov_b32 s25, exec_lo
	s_delay_alu instid0(VALU_DEP_1)
	v_cmpx_gt_i32_e64 s21, v2
	s_cbranch_execz .LBB57_130
; %bb.134:                              ;   in Loop: Header=BB57_133 Depth=2
	ds_load_u16 v6, v1
	s_wait_dscnt 0x0
	v_cmp_lt_i16_e32 vcc_lo, -1, v6
	s_wait_alu 0xfffd
	v_dual_cndmask_b32 v14, 0xffff, v29 :: v_dual_and_b32 v13, 0xffff, v6
	v_cmp_o_f16_e32 vcc_lo, v6, v6
	s_delay_alu instid0(VALU_DEP_2) | instskip(SKIP_1) | instid1(VALU_DEP_1)
	v_xor_b32_e32 v13, v14, v13
	s_wait_alu 0xfffd
	v_cndmask_b32_e32 v13, 0xffff, v13, vcc_lo
	s_delay_alu instid0(VALU_DEP_1) | instskip(NEXT) | instid1(VALU_DEP_1)
	v_and_b32_e32 v13, v13, v31
	v_cmp_eq_u32_e32 vcc_lo, v13, v22
	s_and_b32 exec_lo, exec_lo, vcc_lo
	s_cbranch_execz .LBB57_130
; %bb.135:                              ;   in Loop: Header=BB57_133 Depth=2
	v_perm_b32 v6, v6, s78, 0x5040100
	ds_store_b32 v7, v6 offset:3072
	s_branch .LBB57_130
.LBB57_136:                             ;   in Loop: Header=BB57_133 Depth=2
	s_mov_b32 s26, -1
	s_mov_b32 s25, -1
                                        ; implicit-def: $vgpr2
                                        ; implicit-def: $vgpr1
	s_branch .LBB57_132
.LBB57_137:                             ;   in Loop: Header=BB57_7 Depth=1
	s_or_b32 exec_lo, exec_lo, s23
	v_lshrrev_b32_e32 v32, 16, v6
	s_and_not1_b32 s15, s22, exec_lo
	s_wait_alu 0xfffe
	s_and_b32 s21, s24, exec_lo
	s_wait_alu 0xfffe
	s_or_b32 s22, s15, s21
.LBB57_138:                             ;   in Loop: Header=BB57_7 Depth=1
	s_or_b32 exec_lo, exec_lo, s14
	s_mov_b32 s14, 0
	s_mov_b32 s15, -1
.LBB57_139:                             ;   in Loop: Header=BB57_7 Depth=1
	s_wait_alu 0xfffe
	s_or_not1_b32 s21, s22, exec_lo
.LBB57_140:                             ;   in Loop: Header=BB57_7 Depth=1
	s_wait_alu 0xfffe
	s_or_b32 exec_lo, exec_lo, s18
	s_mov_b32 s22, 0
	s_and_saveexec_b32 s18, s21
	s_cbranch_execz .LBB57_233
; %bb.141:                              ;   in Loop: Header=BB57_7 Depth=1
	v_dual_mov_b32 v6, 1 :: v_dual_mov_b32 v3, 1
	s_xor_b32 s21, s20, -1
	s_mov_b32 s23, 0
	s_wait_alu 0xfffe
	s_and_saveexec_b32 s20, s21
	s_cbranch_execz .LBB57_150
; %bb.142:                              ;   in Loop: Header=BB57_7 Depth=1
	s_mov_b32 s21, exec_lo
	v_cmpx_ge_i32_e64 s19, v4
	s_wait_alu 0xfffe
	s_xor_b32 s21, exec_lo, s21
	s_cbranch_execz .LBB57_147
; %bb.143:                              ;   in Loop: Header=BB57_7 Depth=1
	ds_load_b32 v1, v7 offset:4096
	s_lshl_b32 s22, 1, s85
	v_or_b32_e32 v31, s10, v31
	s_wait_alu 0xfffe
	v_and_or_b32 v22, v22, s17, s22
	s_wait_dscnt 0x0
	v_cmp_ne_u32_e32 vcc_lo, 0, v1
	s_cbranch_vccnz .LBB57_147
; %bb.144:                              ;   in Loop: Header=BB57_7 Depth=1
	s_and_saveexec_b32 s22, s2
; %bb.145:                              ;   in Loop: Header=BB57_7 Depth=1
	v_mov_b32_e32 v1, s19
	ds_store_b32 v7, v1 offset:4100
; %bb.146:                              ;   in Loop: Header=BB57_7 Depth=1
	s_wait_alu 0xfffe
	s_or_b32 exec_lo, exec_lo, s22
	s_wait_loadcnt_dscnt 0x0
	s_barrier_signal -1
	s_barrier_wait -1
	global_inv scope:SCOPE_SE
.LBB57_147:                             ;   in Loop: Header=BB57_7 Depth=1
	s_wait_alu 0xfffe
	s_or_saveexec_b32 s21, s21
	v_mov_b32_e32 v3, 8
	s_mov_b32 s22, 0
	s_wait_alu 0xfffe
	s_xor_b32 exec_lo, exec_lo, s21
; %bb.148:                              ;   in Loop: Header=BB57_7 Depth=1
	v_subrev_nc_u32_e32 v4, s19, v4
	v_mov_b32_e32 v3, 0
	s_mov_b32 s22, exec_lo
; %bb.149:                              ;   in Loop: Header=BB57_7 Depth=1
	s_or_b32 exec_lo, exec_lo, s21
	s_delay_alu instid0(VALU_DEP_2)
	v_mov_b32_e32 v6, v4
	s_wait_alu 0xfffe
	s_and_b32 s23, s22, exec_lo
.LBB57_150:                             ;   in Loop: Header=BB57_7 Depth=1
	s_wait_alu 0xfffe
	s_or_b32 exec_lo, exec_lo, s20
	s_mov_b32 s22, -1
                                        ; implicit-def: $sgpr20
                                        ; implicit-def: $sgpr21
	s_and_saveexec_b32 s19, s23
	s_cbranch_execz .LBB57_232
; %bb.151:                              ;   in Loop: Header=BB57_7 Depth=1
	v_cmp_eq_u32_e32 vcc_lo, 1, v6
	s_cmp_eq_u32 s16, 1
	s_mov_b32 s24, -1
	s_cselect_b32 s20, -1, 0
                                        ; implicit-def: $sgpr21
	s_wait_alu 0xfffe
	s_and_b32 s23, s20, vcc_lo
                                        ; implicit-def: $sgpr20
	s_wait_alu 0xfffe
	s_and_saveexec_b32 s22, s23
	s_cbranch_execz .LBB57_179
; %bb.152:                              ;   in Loop: Header=BB57_7 Depth=1
	ds_load_b32 v1, v7 offset:4096
	s_wait_loadcnt_dscnt 0x0
	s_barrier_signal -1
	s_barrier_wait -1
	global_inv scope:SCOPE_SE
	v_readfirstlane_b32 s24, v1
	s_and_saveexec_b32 s20, s1
; %bb.153:                              ;   in Loop: Header=BB57_7 Depth=1
	ds_store_b16 v18, v7
; %bb.154:                              ;   in Loop: Header=BB57_7 Depth=1
	s_wait_alu 0xfffe
	s_or_b32 exec_lo, exec_lo, s20
	s_lshl_b32 s20, 2, s85
	v_or_b32_e32 v31, s10, v31
	s_wait_alu 0xfffe
	v_and_or_b32 v22, v22, s17, s20
	s_mov_b32 s20, -1
	s_mov_b32 s21, 0
	s_cmp_gt_i32 s24, 0
	s_mov_b32 s25, 0
	s_mov_b32 s26, -1
	s_wait_loadcnt_dscnt 0x0
	s_barrier_signal -1
	s_barrier_wait -1
	global_inv scope:SCOPE_SE
                                        ; implicit-def: $vgpr32
	s_cbranch_scc1 .LBB57_166
; %bb.155:                              ;   in Loop: Header=BB57_7 Depth=1
	s_mov_b32 s26, 0
                                        ; implicit-def: $vgpr32
	s_and_saveexec_b32 s27, s8
	s_cbranch_execz .LBB57_165
; %bb.156:                              ;   in Loop: Header=BB57_7 Depth=1
	v_dual_mov_b32 v1, v5 :: v_dual_mov_b32 v4, v0
                                        ; implicit-def: $sgpr28
	s_branch .LBB57_160
.LBB57_157:                             ;   in Loop: Header=BB57_160 Depth=2
	s_wait_alu 0xfffe
	s_or_b32 exec_lo, exec_lo, s50
	s_wait_loadcnt_dscnt 0x0
	s_barrier_signal -1
	s_barrier_wait -1
	global_inv scope:SCOPE_SE
	ds_load_b32 v2, v7 offset:3072
	s_wait_loadcnt_dscnt 0x0
	s_barrier_signal -1
	s_barrier_wait -1
	global_inv scope:SCOPE_SE
	v_cmp_neq_f16_e32 vcc_lo, 0, v2
	s_cbranch_vccnz .LBB57_163
; %bb.158:                              ;   in Loop: Header=BB57_160 Depth=2
	v_add_nc_u32_e32 v4, s41, v4
	v_add_nc_u32_e32 v1, s65, v1
	s_mov_b32 s50, 0
	s_delay_alu instid0(VALU_DEP_2)
	v_cmp_le_i32_e32 vcc_lo, s74, v4
	s_or_not1_b32 s86, vcc_lo, exec_lo
.LBB57_159:                             ;   in Loop: Header=BB57_160 Depth=2
	s_wait_alu 0xfffe
	s_and_b32 s86, exec_lo, s86
	s_wait_alu 0xfffe
	s_or_b32 s25, s86, s25
	s_and_not1_b32 s28, s28, exec_lo
	s_and_b32 s50, s50, exec_lo
	s_wait_alu 0xfffe
	s_or_b32 s28, s28, s50
	s_and_not1_b32 exec_lo, exec_lo, s25
	s_cbranch_execz .LBB57_164
.LBB57_160:                             ;   Parent Loop BB57_7 Depth=1
                                        ; =>  This Inner Loop Header: Depth=2
	s_mov_b32 s50, exec_lo
	s_delay_alu instid0(VALU_DEP_1)
	v_cmpx_gt_i32_e64 s36, v4
	s_cbranch_execz .LBB57_157
; %bb.161:                              ;   in Loop: Header=BB57_160 Depth=2
	v_ashrrev_i32_e32 v2, 31, v1
	s_delay_alu instid0(VALU_DEP_1) | instskip(NEXT) | instid1(VALU_DEP_1)
	v_lshlrev_b64_e32 v[13:14], 1, v[1:2]
	v_add_co_u32 v13, vcc_lo, s48, v13
	s_wait_alu 0xfffd
	s_delay_alu instid0(VALU_DEP_2)
	v_add_co_ci_u32_e64 v14, null, s49, v14, vcc_lo
	global_load_u16 v2, v[13:14], off
	s_wait_loadcnt 0x0
	v_cmp_lt_i16_e32 vcc_lo, -1, v2
	s_wait_alu 0xfffd
	v_dual_cndmask_b32 v14, 0xffff, v29 :: v_dual_and_b32 v13, 0xffff, v2
	v_cmp_o_f16_e32 vcc_lo, v2, v2
	s_delay_alu instid0(VALU_DEP_2) | instskip(SKIP_1) | instid1(VALU_DEP_1)
	v_xor_b32_e32 v13, v14, v13
	s_wait_alu 0xfffd
	v_cndmask_b32_e32 v13, 0xffff, v13, vcc_lo
	s_delay_alu instid0(VALU_DEP_1) | instskip(NEXT) | instid1(VALU_DEP_1)
	v_and_b32_e32 v13, v13, v31
	v_cmp_eq_u32_e32 vcc_lo, v13, v22
	s_and_b32 exec_lo, exec_lo, vcc_lo
	s_cbranch_execz .LBB57_157
; %bb.162:                              ;   in Loop: Header=BB57_160 Depth=2
	v_perm_b32 v2, v2, s78, 0x5040100
	ds_store_b32 v7, v2 offset:3072
	s_branch .LBB57_157
.LBB57_163:                             ;   in Loop: Header=BB57_160 Depth=2
	s_mov_b32 s86, -1
	s_mov_b32 s50, -1
                                        ; implicit-def: $vgpr4
                                        ; implicit-def: $vgpr1
	s_branch .LBB57_159
.LBB57_164:                             ;   in Loop: Header=BB57_7 Depth=1
	s_or_b32 exec_lo, exec_lo, s25
	v_lshrrev_b32_e32 v32, 16, v2
	s_wait_alu 0xfffe
	s_and_b32 s25, s28, exec_lo
.LBB57_165:                             ;   in Loop: Header=BB57_7 Depth=1
	s_wait_alu 0xfffe
	s_or_b32 exec_lo, exec_lo, s27
.LBB57_166:                             ;   in Loop: Header=BB57_7 Depth=1
	s_wait_alu 0xfffe
	s_and_b32 vcc_lo, exec_lo, s26
	s_wait_alu 0xfffe
	s_cbranch_vccz .LBB57_178
; %bb.167:                              ;   in Loop: Header=BB57_7 Depth=1
	s_add_co_i32 s26, s24, s64
                                        ; implicit-def: $vgpr32
	s_wait_alu 0xfffe
	s_abs_i32 s50, s26
	s_wait_alu 0xfffe
	s_mul_u64 s[20:21], s[50:51], s[54:55]
	s_wait_alu 0xfffe
	s_mul_i32 s20, s21, s41
	s_ashr_i32 s21, s26, 31
	s_wait_alu 0xfffe
	s_sub_co_i32 s20, s50, s20
	s_wait_alu 0xfffe
	s_sub_co_i32 s27, s20, s41
	s_cmp_ge_u32 s20, s41
	s_wait_alu 0xfffe
	s_cselect_b32 s20, s27, s20
	s_wait_alu 0xfffe
	s_sub_co_i32 s27, s20, s41
	s_cmp_ge_u32 s20, s41
	s_wait_alu 0xfffe
	s_cselect_b32 s20, s27, s20
	s_wait_alu 0xfffe
	s_xor_b32 s20, s20, s21
	s_wait_alu 0xfffe
	s_sub_co_i32 s20, s21, s20
	s_wait_alu 0xfffe
	s_add_co_i32 s21, s26, s20
	s_mov_b32 s20, exec_lo
	s_wait_alu 0xfffe
	v_cmpx_gt_i32_e64 s21, v0
	s_cbranch_execz .LBB57_177
; %bb.168:                              ;   in Loop: Header=BB57_7 Depth=1
	v_dual_mov_b32 v1, v17 :: v_dual_mov_b32 v2, v0
	s_mov_b32 s26, 0
                                        ; implicit-def: $sgpr27
	s_branch .LBB57_172
.LBB57_169:                             ;   in Loop: Header=BB57_172 Depth=2
	s_wait_alu 0xfffe
	s_or_b32 exec_lo, exec_lo, s28
	s_wait_loadcnt_dscnt 0x0
	s_barrier_signal -1
	s_barrier_wait -1
	global_inv scope:SCOPE_SE
	ds_load_b32 v4, v7 offset:3072
	s_wait_loadcnt_dscnt 0x0
	s_barrier_signal -1
	s_barrier_wait -1
	global_inv scope:SCOPE_SE
	v_cmp_eq_f16_e32 vcc_lo, 0, v4
	s_cbranch_vccz .LBB57_175
; %bb.170:                              ;   in Loop: Header=BB57_172 Depth=2
	v_add_nc_u32_e32 v2, s41, v2
	v_add_nc_u32_e32 v1, s77, v1
	s_mov_b32 s28, 0
	s_delay_alu instid0(VALU_DEP_2)
	v_cmp_le_i32_e32 vcc_lo, s21, v2
	s_or_not1_b32 s50, vcc_lo, exec_lo
.LBB57_171:                             ;   in Loop: Header=BB57_172 Depth=2
	s_wait_alu 0xfffe
	s_and_b32 s50, exec_lo, s50
	s_wait_alu 0xfffe
	s_or_b32 s26, s50, s26
	s_and_not1_b32 s27, s27, exec_lo
	s_and_b32 s28, s28, exec_lo
	s_wait_alu 0xfffe
	s_or_b32 s27, s27, s28
	s_and_not1_b32 exec_lo, exec_lo, s26
	s_cbranch_execz .LBB57_176
.LBB57_172:                             ;   Parent Loop BB57_7 Depth=1
                                        ; =>  This Inner Loop Header: Depth=2
	s_mov_b32 s28, exec_lo
	s_delay_alu instid0(VALU_DEP_1)
	v_cmpx_gt_i32_e64 s24, v2
	s_cbranch_execz .LBB57_169
; %bb.173:                              ;   in Loop: Header=BB57_172 Depth=2
	ds_load_u16 v4, v1
	s_wait_dscnt 0x0
	v_cmp_lt_i16_e32 vcc_lo, -1, v4
	s_wait_alu 0xfffd
	v_dual_cndmask_b32 v14, 0xffff, v29 :: v_dual_and_b32 v13, 0xffff, v4
	v_cmp_o_f16_e32 vcc_lo, v4, v4
	s_delay_alu instid0(VALU_DEP_2) | instskip(SKIP_1) | instid1(VALU_DEP_1)
	v_xor_b32_e32 v13, v14, v13
	s_wait_alu 0xfffd
	v_cndmask_b32_e32 v13, 0xffff, v13, vcc_lo
	s_delay_alu instid0(VALU_DEP_1) | instskip(NEXT) | instid1(VALU_DEP_1)
	v_and_b32_e32 v13, v13, v31
	v_cmp_eq_u32_e32 vcc_lo, v13, v22
	s_and_b32 exec_lo, exec_lo, vcc_lo
	s_cbranch_execz .LBB57_169
; %bb.174:                              ;   in Loop: Header=BB57_172 Depth=2
	v_perm_b32 v4, v4, s78, 0x5040100
	ds_store_b32 v7, v4 offset:3072
	s_branch .LBB57_169
.LBB57_175:                             ;   in Loop: Header=BB57_172 Depth=2
	s_mov_b32 s50, -1
	s_mov_b32 s28, -1
                                        ; implicit-def: $vgpr2
                                        ; implicit-def: $vgpr1
	s_branch .LBB57_171
.LBB57_176:                             ;   in Loop: Header=BB57_7 Depth=1
	s_or_b32 exec_lo, exec_lo, s26
	v_lshrrev_b32_e32 v32, 16, v4
	s_and_not1_b32 s21, s25, exec_lo
	s_wait_alu 0xfffe
	s_and_b32 s24, s27, exec_lo
	s_wait_alu 0xfffe
	s_or_b32 s25, s21, s24
.LBB57_177:                             ;   in Loop: Header=BB57_7 Depth=1
	s_or_b32 exec_lo, exec_lo, s20
	s_mov_b32 s20, 0
	s_mov_b32 s21, -1
.LBB57_178:                             ;   in Loop: Header=BB57_7 Depth=1
	s_wait_alu 0xfffe
	s_or_not1_b32 s24, s25, exec_lo
.LBB57_179:                             ;   in Loop: Header=BB57_7 Depth=1
	s_wait_alu 0xfffe
	s_or_b32 exec_lo, exec_lo, s22
	s_mov_b32 s25, 0
	s_and_saveexec_b32 s22, s24
	s_cbranch_execz .LBB57_231
; %bb.180:                              ;   in Loop: Header=BB57_7 Depth=1
	v_dual_mov_b32 v4, 1 :: v_dual_mov_b32 v3, 1
	s_xor_b32 s24, s23, -1
	s_wait_alu 0xfffe
	s_and_saveexec_b32 s23, s24
	s_cbranch_execz .LBB57_189
; %bb.181:                              ;   in Loop: Header=BB57_7 Depth=1
	s_mov_b32 s24, exec_lo
	v_cmpx_ge_i32_e64 s16, v6
	s_wait_alu 0xfffe
	s_xor_b32 s24, exec_lo, s24
	s_cbranch_execz .LBB57_186
; %bb.182:                              ;   in Loop: Header=BB57_7 Depth=1
	ds_load_b32 v1, v7 offset:4096
	s_lshl_b32 s25, 2, s85
	v_or_b32_e32 v31, s10, v31
	s_wait_alu 0xfffe
	v_and_or_b32 v22, v22, s17, s25
	s_wait_dscnt 0x0
	v_cmp_ne_u32_e32 vcc_lo, 0, v1
	s_cbranch_vccnz .LBB57_186
; %bb.183:                              ;   in Loop: Header=BB57_7 Depth=1
	s_and_saveexec_b32 s17, s2
; %bb.184:                              ;   in Loop: Header=BB57_7 Depth=1
	v_mov_b32_e32 v1, s16
	ds_store_b32 v7, v1 offset:4100
; %bb.185:                              ;   in Loop: Header=BB57_7 Depth=1
	s_wait_alu 0xfffe
	s_or_b32 exec_lo, exec_lo, s17
	s_wait_loadcnt_dscnt 0x0
	s_barrier_signal -1
	s_barrier_wait -1
	global_inv scope:SCOPE_SE
.LBB57_186:                             ;   in Loop: Header=BB57_7 Depth=1
	s_wait_alu 0xfffe
	s_or_saveexec_b32 s17, s24
	v_mov_b32_e32 v3, 8
	s_mov_b32 s24, 0
	s_wait_alu 0xfffe
	s_xor_b32 exec_lo, exec_lo, s17
; %bb.187:                              ;   in Loop: Header=BB57_7 Depth=1
	v_subrev_nc_u32_e32 v6, s16, v6
	v_mov_b32_e32 v3, 0
	s_mov_b32 s24, exec_lo
; %bb.188:                              ;   in Loop: Header=BB57_7 Depth=1
	s_or_b32 exec_lo, exec_lo, s17
	s_delay_alu instid0(VALU_DEP_2)
	v_mov_b32_e32 v4, v6
	s_wait_alu 0xfffe
	s_and_b32 s25, s24, exec_lo
.LBB57_189:                             ;   in Loop: Header=BB57_7 Depth=1
	s_wait_alu 0xfffe
	s_or_b32 exec_lo, exec_lo, s23
	s_mov_b32 s17, -1
                                        ; implicit-def: $sgpr24
                                        ; implicit-def: $sgpr23
	s_and_saveexec_b32 s16, s25
	s_cbranch_execz .LBB57_230
; %bb.190:                              ;   in Loop: Header=BB57_7 Depth=1
	v_cmp_eq_u32_e32 vcc_lo, 1, v4
	s_cmp_eq_u32 s9, 1
	s_mov_b32 s26, -1
	s_cselect_b32 s17, -1, 0
                                        ; implicit-def: $sgpr24
                                        ; implicit-def: $sgpr23
	s_wait_alu 0xfffe
	s_and_b32 s17, s17, vcc_lo
	s_wait_alu 0xfffe
	s_and_saveexec_b32 s25, s17
	s_cbranch_execz .LBB57_218
; %bb.191:                              ;   in Loop: Header=BB57_7 Depth=1
	ds_load_b32 v1, v7 offset:4096
	s_wait_loadcnt_dscnt 0x0
	s_barrier_signal -1
	s_barrier_wait -1
	global_inv scope:SCOPE_SE
	v_readfirstlane_b32 s26, v1
	s_and_saveexec_b32 s23, s1
; %bb.192:                              ;   in Loop: Header=BB57_7 Depth=1
	ds_store_b16 v18, v7
; %bb.193:                              ;   in Loop: Header=BB57_7 Depth=1
	s_wait_alu 0xfffe
	s_or_b32 exec_lo, exec_lo, s23
	v_or_b32_e32 v22, s10, v22
	v_or_b32_e32 v31, s10, v31
	s_mov_b32 s23, -1
	s_mov_b32 s24, 0
	s_cmp_gt_i32 s26, 0
	s_mov_b32 s27, 0
	s_mov_b32 s28, -1
	s_wait_loadcnt_dscnt 0x0
	s_barrier_signal -1
	s_barrier_wait -1
	global_inv scope:SCOPE_SE
                                        ; implicit-def: $vgpr32
	s_cbranch_scc1 .LBB57_205
; %bb.194:                              ;   in Loop: Header=BB57_7 Depth=1
	s_mov_b32 s28, 0
                                        ; implicit-def: $vgpr32
	s_and_saveexec_b32 s50, s8
	s_cbranch_execz .LBB57_204
; %bb.195:                              ;   in Loop: Header=BB57_7 Depth=1
	v_dual_mov_b32 v1, v5 :: v_dual_mov_b32 v6, v0
                                        ; implicit-def: $sgpr86
	s_branch .LBB57_199
.LBB57_196:                             ;   in Loop: Header=BB57_199 Depth=2
	s_wait_alu 0xfffe
	s_or_b32 exec_lo, exec_lo, s87
	s_wait_loadcnt_dscnt 0x0
	s_barrier_signal -1
	s_barrier_wait -1
	global_inv scope:SCOPE_SE
	ds_load_b32 v2, v7 offset:3072
	s_wait_loadcnt_dscnt 0x0
	s_barrier_signal -1
	s_barrier_wait -1
	global_inv scope:SCOPE_SE
	v_cmp_neq_f16_e32 vcc_lo, 0, v2
	s_cbranch_vccnz .LBB57_202
; %bb.197:                              ;   in Loop: Header=BB57_199 Depth=2
	v_add_nc_u32_e32 v6, s41, v6
	v_add_nc_u32_e32 v1, s65, v1
	s_mov_b32 s87, 0
	s_delay_alu instid0(VALU_DEP_2)
	v_cmp_le_i32_e32 vcc_lo, s74, v6
	s_or_not1_b32 s88, vcc_lo, exec_lo
.LBB57_198:                             ;   in Loop: Header=BB57_199 Depth=2
	s_wait_alu 0xfffe
	s_and_b32 s88, exec_lo, s88
	s_wait_alu 0xfffe
	s_or_b32 s27, s88, s27
	s_and_not1_b32 s86, s86, exec_lo
	s_and_b32 s87, s87, exec_lo
	s_wait_alu 0xfffe
	s_or_b32 s86, s86, s87
	s_and_not1_b32 exec_lo, exec_lo, s27
	s_cbranch_execz .LBB57_203
.LBB57_199:                             ;   Parent Loop BB57_7 Depth=1
                                        ; =>  This Inner Loop Header: Depth=2
	s_mov_b32 s87, exec_lo
	s_delay_alu instid0(VALU_DEP_1)
	v_cmpx_gt_i32_e64 s36, v6
	s_cbranch_execz .LBB57_196
; %bb.200:                              ;   in Loop: Header=BB57_199 Depth=2
	v_ashrrev_i32_e32 v2, 31, v1
	s_delay_alu instid0(VALU_DEP_1) | instskip(NEXT) | instid1(VALU_DEP_1)
	v_lshlrev_b64_e32 v[13:14], 1, v[1:2]
	v_add_co_u32 v13, vcc_lo, s48, v13
	s_wait_alu 0xfffd
	s_delay_alu instid0(VALU_DEP_2)
	v_add_co_ci_u32_e64 v14, null, s49, v14, vcc_lo
	global_load_u16 v2, v[13:14], off
	s_wait_loadcnt 0x0
	v_cmp_lt_i16_e32 vcc_lo, -1, v2
	s_wait_alu 0xfffd
	v_dual_cndmask_b32 v14, 0xffff, v29 :: v_dual_and_b32 v13, 0xffff, v2
	v_cmp_o_f16_e32 vcc_lo, v2, v2
	s_delay_alu instid0(VALU_DEP_2) | instskip(SKIP_1) | instid1(VALU_DEP_1)
	v_xor_b32_e32 v13, v14, v13
	s_wait_alu 0xfffd
	v_cndmask_b32_e32 v13, 0xffff, v13, vcc_lo
	s_delay_alu instid0(VALU_DEP_1) | instskip(NEXT) | instid1(VALU_DEP_1)
	v_and_b32_e32 v13, v13, v31
	v_cmp_eq_u32_e32 vcc_lo, v13, v22
	s_and_b32 exec_lo, exec_lo, vcc_lo
	s_cbranch_execz .LBB57_196
; %bb.201:                              ;   in Loop: Header=BB57_199 Depth=2
	v_perm_b32 v2, v2, s78, 0x5040100
	ds_store_b32 v7, v2 offset:3072
	s_branch .LBB57_196
.LBB57_202:                             ;   in Loop: Header=BB57_199 Depth=2
	s_mov_b32 s88, -1
	s_mov_b32 s87, -1
                                        ; implicit-def: $vgpr6
                                        ; implicit-def: $vgpr1
	s_branch .LBB57_198
.LBB57_203:                             ;   in Loop: Header=BB57_7 Depth=1
	s_or_b32 exec_lo, exec_lo, s27
	v_lshrrev_b32_e32 v32, 16, v2
	s_wait_alu 0xfffe
	s_and_b32 s27, s86, exec_lo
.LBB57_204:                             ;   in Loop: Header=BB57_7 Depth=1
	s_wait_alu 0xfffe
	s_or_b32 exec_lo, exec_lo, s50
.LBB57_205:                             ;   in Loop: Header=BB57_7 Depth=1
	s_wait_alu 0xfffe
	s_and_b32 vcc_lo, exec_lo, s28
	s_wait_alu 0xfffe
	s_cbranch_vccz .LBB57_217
; %bb.206:                              ;   in Loop: Header=BB57_7 Depth=1
	s_add_co_i32 s24, s26, s64
                                        ; implicit-def: $vgpr32
	s_wait_alu 0xfffe
	s_abs_i32 s50, s24
	s_ashr_i32 s28, s24, 31
	s_wait_alu 0xfffe
	s_mul_u64 s[86:87], s[50:51], s[54:55]
	s_wait_alu 0xfffe
	s_mul_i32 s23, s87, s41
	s_wait_alu 0xfffe
	s_sub_co_i32 s23, s50, s23
	s_wait_alu 0xfffe
	s_sub_co_i32 s50, s23, s41
	s_cmp_ge_u32 s23, s41
	s_wait_alu 0xfffe
	s_cselect_b32 s23, s50, s23
	s_wait_alu 0xfffe
	s_sub_co_i32 s50, s23, s41
	s_cmp_ge_u32 s23, s41
	s_wait_alu 0xfffe
	s_cselect_b32 s23, s50, s23
	s_wait_alu 0xfffe
	s_xor_b32 s23, s23, s28
	s_wait_alu 0xfffe
	s_sub_co_i32 s23, s28, s23
	s_wait_alu 0xfffe
	s_add_co_i32 s24, s24, s23
	s_mov_b32 s23, exec_lo
	s_wait_alu 0xfffe
	v_cmpx_gt_i32_e64 s24, v0
	s_cbranch_execz .LBB57_216
; %bb.207:                              ;   in Loop: Header=BB57_7 Depth=1
	v_dual_mov_b32 v1, v17 :: v_dual_mov_b32 v2, v0
	s_mov_b32 s28, 0
                                        ; implicit-def: $sgpr50
	s_branch .LBB57_211
.LBB57_208:                             ;   in Loop: Header=BB57_211 Depth=2
	s_wait_alu 0xfffe
	s_or_b32 exec_lo, exec_lo, s86
	s_wait_loadcnt_dscnt 0x0
	s_barrier_signal -1
	s_barrier_wait -1
	global_inv scope:SCOPE_SE
	ds_load_b32 v6, v7 offset:3072
	s_wait_loadcnt_dscnt 0x0
	s_barrier_signal -1
	s_barrier_wait -1
	global_inv scope:SCOPE_SE
	v_cmp_eq_f16_e32 vcc_lo, 0, v6
	s_cbranch_vccz .LBB57_214
; %bb.209:                              ;   in Loop: Header=BB57_211 Depth=2
	v_add_nc_u32_e32 v2, s41, v2
	v_add_nc_u32_e32 v1, s77, v1
	s_mov_b32 s86, 0
	s_delay_alu instid0(VALU_DEP_2)
	v_cmp_le_i32_e32 vcc_lo, s24, v2
	s_or_not1_b32 s87, vcc_lo, exec_lo
.LBB57_210:                             ;   in Loop: Header=BB57_211 Depth=2
	s_wait_alu 0xfffe
	s_and_b32 s87, exec_lo, s87
	s_wait_alu 0xfffe
	s_or_b32 s28, s87, s28
	s_and_not1_b32 s50, s50, exec_lo
	s_and_b32 s86, s86, exec_lo
	s_wait_alu 0xfffe
	s_or_b32 s50, s50, s86
	s_and_not1_b32 exec_lo, exec_lo, s28
	s_cbranch_execz .LBB57_215
.LBB57_211:                             ;   Parent Loop BB57_7 Depth=1
                                        ; =>  This Inner Loop Header: Depth=2
	s_mov_b32 s86, exec_lo
	s_delay_alu instid0(VALU_DEP_1)
	v_cmpx_gt_i32_e64 s26, v2
	s_cbranch_execz .LBB57_208
; %bb.212:                              ;   in Loop: Header=BB57_211 Depth=2
	ds_load_u16 v6, v1
	s_wait_dscnt 0x0
	v_cmp_lt_i16_e32 vcc_lo, -1, v6
	s_wait_alu 0xfffd
	v_dual_cndmask_b32 v14, 0xffff, v29 :: v_dual_and_b32 v13, 0xffff, v6
	v_cmp_o_f16_e32 vcc_lo, v6, v6
	s_delay_alu instid0(VALU_DEP_2) | instskip(SKIP_1) | instid1(VALU_DEP_1)
	v_xor_b32_e32 v13, v14, v13
	s_wait_alu 0xfffd
	v_cndmask_b32_e32 v13, 0xffff, v13, vcc_lo
	s_delay_alu instid0(VALU_DEP_1) | instskip(NEXT) | instid1(VALU_DEP_1)
	v_and_b32_e32 v13, v13, v31
	v_cmp_eq_u32_e32 vcc_lo, v13, v22
	s_and_b32 exec_lo, exec_lo, vcc_lo
	s_cbranch_execz .LBB57_208
; %bb.213:                              ;   in Loop: Header=BB57_211 Depth=2
	v_perm_b32 v6, v6, s78, 0x5040100
	ds_store_b32 v7, v6 offset:3072
	s_branch .LBB57_208
.LBB57_214:                             ;   in Loop: Header=BB57_211 Depth=2
	s_mov_b32 s87, -1
	s_mov_b32 s86, -1
                                        ; implicit-def: $vgpr2
                                        ; implicit-def: $vgpr1
	s_branch .LBB57_210
.LBB57_215:                             ;   in Loop: Header=BB57_7 Depth=1
	s_or_b32 exec_lo, exec_lo, s28
	v_lshrrev_b32_e32 v32, 16, v6
	s_and_not1_b32 s24, s27, exec_lo
	s_wait_alu 0xfffe
	s_and_b32 s26, s50, exec_lo
	s_wait_alu 0xfffe
	s_or_b32 s27, s24, s26
.LBB57_216:                             ;   in Loop: Header=BB57_7 Depth=1
	s_or_b32 exec_lo, exec_lo, s23
	s_mov_b32 s23, 0
	s_mov_b32 s24, -1
.LBB57_217:                             ;   in Loop: Header=BB57_7 Depth=1
	s_wait_alu 0xfffe
	s_or_not1_b32 s26, s27, exec_lo
.LBB57_218:                             ;   in Loop: Header=BB57_7 Depth=1
	s_wait_alu 0xfffe
	s_or_b32 exec_lo, exec_lo, s25
	s_mov_b32 s27, 0
	s_and_saveexec_b32 s25, s26
	s_cbranch_execz .LBB57_229
; %bb.219:                              ;   in Loop: Header=BB57_7 Depth=1
	v_mov_b32_e32 v3, 1
	v_mov_b32_e32 v1, 1
	s_xor_b32 s26, s17, -1
	s_wait_alu 0xfffe
	s_and_saveexec_b32 s17, s26
	s_cbranch_execz .LBB57_228
; %bb.220:                              ;   in Loop: Header=BB57_7 Depth=1
	s_mov_b32 s26, exec_lo
	v_cmpx_ge_i32_e64 s9, v4
	s_wait_alu 0xfffe
	s_xor_b32 s26, exec_lo, s26
	s_cbranch_execz .LBB57_225
; %bb.221:                              ;   in Loop: Header=BB57_7 Depth=1
	ds_load_b32 v1, v7 offset:4096
	v_or_b32_e32 v22, s10, v22
	v_or_b32_e32 v31, s10, v31
	s_wait_dscnt 0x0
	v_cmp_ne_u32_e32 vcc_lo, 0, v1
	s_cbranch_vccnz .LBB57_225
; %bb.222:                              ;   in Loop: Header=BB57_7 Depth=1
	s_and_saveexec_b32 s10, s2
; %bb.223:                              ;   in Loop: Header=BB57_7 Depth=1
	v_mov_b32_e32 v1, s9
	ds_store_b32 v7, v1 offset:4100
; %bb.224:                              ;   in Loop: Header=BB57_7 Depth=1
	s_wait_alu 0xfffe
	s_or_b32 exec_lo, exec_lo, s10
	s_wait_loadcnt_dscnt 0x0
	s_barrier_signal -1
	s_barrier_wait -1
	global_inv scope:SCOPE_SE
.LBB57_225:                             ;   in Loop: Header=BB57_7 Depth=1
	s_wait_alu 0xfffe
	s_and_not1_saveexec_b32 s10, s26
; %bb.226:                              ;   in Loop: Header=BB57_7 Depth=1
	v_subrev_nc_u32_e32 v4, s9, v4
; %bb.227:                              ;   in Loop: Header=BB57_7 Depth=1
	s_wait_alu 0xfffe
	s_or_b32 exec_lo, exec_lo, s10
	v_mov_b32_e32 v3, 8
	s_delay_alu instid0(VALU_DEP_2)
	v_mov_b32_e32 v1, v4
.LBB57_228:                             ;   in Loop: Header=BB57_7 Depth=1
	s_wait_alu 0xfffe
	s_or_b32 exec_lo, exec_lo, s17
	s_delay_alu instid0(VALU_DEP_1)
	v_mov_b32_e32 v4, v1
	s_mov_b32 s27, exec_lo
.LBB57_229:                             ;   in Loop: Header=BB57_7 Depth=1
	s_wait_alu 0xfffe
	s_or_b32 exec_lo, exec_lo, s25
	s_delay_alu instid0(SALU_CYCLE_1)
	s_or_not1_b32 s17, s27, exec_lo
.LBB57_230:                             ;   in Loop: Header=BB57_7 Depth=1
	s_wait_alu 0xfffe
	s_or_b32 exec_lo, exec_lo, s16
	v_mov_b32_e32 v6, v4
	s_and_not1_b32 s9, s21, exec_lo
	s_and_b32 s10, s24, exec_lo
	s_and_not1_b32 s16, s20, exec_lo
	s_and_b32 s20, s23, exec_lo
	s_wait_alu 0xfffe
	s_or_b32 s21, s9, s10
	s_or_b32 s20, s16, s20
	s_and_b32 s25, s17, exec_lo
.LBB57_231:                             ;   in Loop: Header=BB57_7 Depth=1
	s_wait_alu 0xfffe
	s_or_b32 exec_lo, exec_lo, s22
	s_delay_alu instid0(SALU_CYCLE_1)
	s_or_not1_b32 s22, s25, exec_lo
.LBB57_232:                             ;   in Loop: Header=BB57_7 Depth=1
	s_wait_alu 0xfffe
	s_or_b32 exec_lo, exec_lo, s19
	v_mov_b32_e32 v4, v6
	s_and_not1_b32 s9, s15, exec_lo
	s_and_b32 s10, s21, exec_lo
	s_and_not1_b32 s14, s14, exec_lo
	s_and_b32 s16, s20, exec_lo
	s_wait_alu 0xfffe
	s_or_b32 s15, s9, s10
	s_or_b32 s14, s14, s16
	s_and_b32 s22, s22, exec_lo
.LBB57_233:                             ;   in Loop: Header=BB57_7 Depth=1
	s_wait_alu 0xfffe
	s_or_b32 exec_lo, exec_lo, s18
	s_delay_alu instid0(SALU_CYCLE_1)
	s_or_not1_b32 s18, s22, exec_lo
.LBB57_234:                             ;   in Loop: Header=BB57_7 Depth=1
	s_wait_alu 0xfffe
	s_or_b32 exec_lo, exec_lo, s13
	s_mov_b32 s10, 0
                                        ; implicit-def: $sgpr21
	s_and_saveexec_b32 s9, s18
	s_wait_alu 0xfffe
	s_xor_b32 s9, exec_lo, s9
	s_cbranch_execz .LBB57_5
; %bb.235:                              ;   in Loop: Header=BB57_7 Depth=1
	v_and_b32_e32 v1, 7, v3
	s_mov_b32 s12, -1
	s_mov_b32 s10, -1
	s_mov_b32 s13, exec_lo
                                        ; implicit-def: $sgpr21
	s_delay_alu instid0(VALU_DEP_1)
	v_cmpx_eq_u32_e32 0, v1
	s_cbranch_execz .LBB57_4
; %bb.236:                              ;   in Loop: Header=BB57_7 Depth=1
	s_add_co_i32 s21, s85, -2
	s_cmp_eq_u32 s85, 0
	v_xor_b32_e32 v30, 1, v30
	s_cselect_b32 s12, -1, 0
	s_xor_b32 s10, exec_lo, -1
	s_wait_alu 0xfffe
	s_or_not1_b32 s12, s12, exec_lo
	s_branch .LBB57_4
.LBB57_237:
	s_or_b32 exec_lo, exec_lo, s37
	s_wait_alu 0xfffe
	s_xor_b32 s3, s84, -1
	s_xor_b32 s1, s82, -1
	;; [unrolled: 1-line block ×3, first 2 shown]
	s_mov_b32 s0, 0
	s_and_saveexec_b32 s5, s1
	s_wait_alu 0xfffe
	s_xor_b32 s1, exec_lo, s5
	s_cbranch_execnz .LBB57_242
; %bb.238:
	s_and_not1_saveexec_b32 s1, s1
	s_cbranch_execnz .LBB57_262
.LBB57_239:
	s_wait_alu 0xfffe
	s_or_b32 exec_lo, exec_lo, s1
	s_and_saveexec_b32 s1, s0
.LBB57_240:
	; divergent unreachable
.LBB57_241:
	s_endpgm
.LBB57_242:
	s_and_saveexec_b32 s0, s3
	s_delay_alu instid0(SALU_CYCLE_1)
	s_xor_b32 s3, exec_lo, s0
	s_cbranch_execz .LBB57_260
; %bb.243:
	s_and_saveexec_b32 s0, s4
	s_delay_alu instid0(SALU_CYCLE_1)
	s_xor_b32 s0, exec_lo, s0
; %bb.244:
	v_and_b32_e32 v1, 0x8000, v22
	v_mov_b32_e32 v2, 0xffff
	s_delay_alu instid0(VALU_DEP_2) | instskip(SKIP_1) | instid1(VALU_DEP_2)
	v_cmp_eq_u32_e32 vcc_lo, 0, v1
	s_wait_alu 0xfffd
	v_cndmask_b32_e32 v1, 0x8000, v2, vcc_lo
	s_delay_alu instid0(VALU_DEP_1)
	v_xor_b32_e32 v32, v1, v22
; %bb.245:
	s_or_b32 exec_lo, exec_lo, s0
	s_and_saveexec_b32 s0, s2
; %bb.246:
	v_dual_mov_b32 v1, 0 :: v_dual_mov_b32 v2, s36
	ds_store_b32 v1, v2 offset:4108
; %bb.247:
	s_or_b32 exec_lo, exec_lo, s0
	v_mov_b32_e32 v1, 0
	s_wait_loadcnt_dscnt 0x0
	s_barrier_signal -1
	s_barrier_wait -1
	global_inv scope:SCOPE_SE
	ds_load_b32 v1, v1 offset:4108
	s_mov_b32 s4, exec_lo
	s_wait_dscnt 0x0
	v_min_i32_e32 v1, s36, v1
	s_delay_alu instid0(VALU_DEP_1)
	v_cmpx_lt_i32_e64 v0, v1
	s_cbranch_execz .LBB57_257
; %bb.248:
	v_cmp_u_f16_e32 vcc_lo, v32, v32
	s_mov_b32 s5, 0
                                        ; implicit-def: $sgpr6
                                        ; implicit-def: $sgpr9
                                        ; implicit-def: $sgpr8
	s_xor_b32 s7, vcc_lo, -1
	s_branch .LBB57_250
.LBB57_249:                             ;   in Loop: Header=BB57_250 Depth=1
	s_or_b32 exec_lo, exec_lo, s0
	s_wait_alu 0xfffe
	s_and_b32 s0, exec_lo, s9
	s_delay_alu instid0(SALU_CYCLE_1) | instskip(SKIP_2) | instid1(SALU_CYCLE_1)
	s_or_b32 s5, s0, s5
	s_and_not1_b32 s0, s6, exec_lo
	s_and_b32 s6, s8, exec_lo
	s_or_b32 s6, s0, s6
	s_wait_alu 0xfffe
	s_and_not1_b32 exec_lo, exec_lo, s5
	s_cbranch_execz .LBB57_252
.LBB57_250:                             ; =>This Inner Loop Header: Depth=1
	v_ashrrev_i32_e32 v6, 31, v5
	s_or_b32 s8, s8, exec_lo
	s_or_b32 s9, s9, exec_lo
	s_delay_alu instid0(VALU_DEP_1) | instskip(NEXT) | instid1(VALU_DEP_1)
	v_lshlrev_b64_e32 v[2:3], 1, v[5:6]
	v_add_co_u32 v2, vcc_lo, s48, v2
	s_wait_alu 0xfffd
	s_delay_alu instid0(VALU_DEP_2)
	v_add_co_ci_u32_e64 v3, null, s49, v3, vcc_lo
	global_load_u16 v2, v[2:3], off
	s_wait_loadcnt 0x0
	v_cmp_o_f16_e32 vcc_lo, v2, v2
	v_cmp_neq_f16_e64 s0, v2, v32
	v_mov_b32_e32 v2, v0
                                        ; implicit-def: $vgpr0
	s_or_b32 s10, s7, vcc_lo
	s_wait_alu 0xfffe
	s_and_b32 s10, s0, s10
	s_wait_alu 0xfffe
	s_and_saveexec_b32 s0, s10
	s_cbranch_execz .LBB57_249
; %bb.251:                              ;   in Loop: Header=BB57_250 Depth=1
	v_add_nc_u32_e32 v0, s41, v2
	v_add_nc_u32_e32 v5, s65, v5
	s_and_not1_b32 s9, s9, exec_lo
	s_and_not1_b32 s8, s8, exec_lo
	s_delay_alu instid0(VALU_DEP_2)
	v_cmp_ge_i32_e32 vcc_lo, v0, v1
	s_and_b32 s10, vcc_lo, exec_lo
	s_wait_alu 0xfffe
	s_or_b32 s9, s9, s10
	s_branch .LBB57_249
.LBB57_252:
	s_or_b32 exec_lo, exec_lo, s5
	s_and_saveexec_b32 s0, s6
	s_delay_alu instid0(SALU_CYCLE_1)
	s_xor_b32 s0, exec_lo, s0
	s_cbranch_execz .LBB57_257
; %bb.253:
	s_mov_b32 s5, exec_lo
	s_brev_b32 s0, -2
.LBB57_254:                             ; =>This Inner Loop Header: Depth=1
	s_wait_alu 0xfffe
	s_ctz_i32_b32 s6, s5
	s_wait_alu 0xfffe
	v_readlane_b32 s7, v2, s6
	s_lshl_b32 s6, 1, s6
	s_wait_alu 0xfffe
	s_and_not1_b32 s5, s5, s6
	s_min_i32 s0, s0, s7
	s_wait_alu 0xfffe
	s_cmp_lg_u32 s5, 0
	s_cbranch_scc1 .LBB57_254
; %bb.255:
	v_mbcnt_lo_u32_b32 v0, exec_lo, 0
	s_mov_b32 s5, exec_lo
	s_delay_alu instid0(VALU_DEP_1)
	v_cmpx_eq_u32_e32 0, v0
	s_wait_alu 0xfffe
	s_xor_b32 s5, exec_lo, s5
; %bb.256:
	v_dual_mov_b32 v0, 0 :: v_dual_mov_b32 v1, s0
	ds_min_i32 v0, v1 offset:4108
.LBB57_257:
	s_wait_alu 0xfffe
	s_or_b32 exec_lo, exec_lo, s4
	s_wait_loadcnt_dscnt 0x0
	s_barrier_signal -1
	s_barrier_wait -1
	global_inv scope:SCOPE_SE
	s_and_saveexec_b32 s0, s2
	s_cbranch_execz .LBB57_259
; %bb.258:
	s_mul_i32 s2, s47, s60
	s_xor_b32 s4, s61, s63
	s_wait_alu 0xfffe
	s_sub_co_i32 s2, s40, s2
	s_add_co_i32 s5, s47, 1
	s_wait_alu 0xfffe
	s_sub_co_i32 s6, s2, s60
	s_cmp_ge_u32 s2, s60
	v_mov_b32_e32 v2, 0
	s_cselect_b32 s5, s5, s47
	s_wait_alu 0xfffe
	s_cselect_b32 s2, s6, s2
	s_add_co_i32 s6, s5, 1
	s_wait_alu 0xfffe
	s_cmp_ge_u32 s2, s60
	s_mul_i32 s2, s29, s59
	s_cselect_b32 s5, s6, s5
	s_wait_alu 0xfffe
	s_sub_co_i32 s2, s40, s2
	s_xor_b32 s5, s5, s4
	s_xor_b32 s6, s61, s62
	s_wait_alu 0xfffe
	s_sub_co_i32 s4, s5, s4
	s_add_co_i32 s7, s29, 1
	s_wait_alu 0xfffe
	s_mul_i32 s5, s4, s58
	s_mul_i32 s4, s4, s30
	s_wait_alu 0xfffe
	s_sub_co_i32 s5, s33, s5
	s_sub_co_i32 s8, s2, s59
	s_wait_alu 0xfffe
	s_mul_i32 s5, s5, s31
	ds_load_b32 v0, v2 offset:4108
	s_wait_alu 0xfffe
	s_add_co_i32 s4, s4, s5
	s_cmp_ge_u32 s2, s59
	s_cselect_b32 s5, s7, s29
	s_cselect_b32 s2, s8, s2
	s_wait_alu 0xfffe
	s_add_co_i32 s7, s5, 1
	s_cmp_ge_u32 s2, s59
	s_wait_alu 0xfffe
	s_cselect_b32 s2, s7, s5
	s_wait_alu 0xfffe
	s_xor_b32 s2, s2, s6
	s_wait_alu 0xfffe
	s_sub_co_i32 s2, s2, s6
	s_wait_alu 0xfffe
	s_mul_i32 s5, s2, s38
	s_mul_i32 s2, s2, s34
	s_wait_alu 0xfffe
	s_sub_co_i32 s5, s33, s5
	s_wait_alu 0xfffe
	s_mul_i32 s5, s5, s35
	s_wait_dscnt 0x0
	v_ashrrev_i32_e32 v1, 31, v0
	s_wait_alu 0xfffe
	s_add_co_i32 s6, s2, s5
	s_ashr_i32 s5, s4, 31
	s_wait_alu 0xfffe
	s_ashr_i32 s7, s6, 31
	s_lshl_b64 s[4:5], s[4:5], 1
	s_wait_alu 0xfffe
	s_lshl_b64 s[6:7], s[6:7], 3
	s_add_nc_u64 s[4:5], s[44:45], s[4:5]
	s_wait_alu 0xfffe
	s_add_nc_u64 s[6:7], s[42:43], s[6:7]
	s_clause 0x1
	global_store_b64 v2, v[0:1], s[6:7]
	global_store_b16 v2, v32, s[4:5]
.LBB57_259:
	s_wait_alu 0xfffe
	s_or_b32 exec_lo, exec_lo, s0
.LBB57_260:
	s_wait_alu 0xfffe
	s_or_saveexec_b32 s0, s3
	s_mov_b32 s2, 0
	s_wait_alu 0xfffe
	s_xor_b32 exec_lo, exec_lo, s0
	s_cbranch_execnz .LBB57_263
.LBB57_261:
	s_or_b32 exec_lo, exec_lo, s0
	s_wait_alu 0xfffe
	s_and_b32 s0, s2, exec_lo
	s_and_not1_saveexec_b32 s1, s1
	s_cbranch_execz .LBB57_239
.LBB57_262:
	s_wait_alu 0xfffe
	s_or_b32 s0, s0, exec_lo
	s_trap 2
	s_or_b32 exec_lo, exec_lo, s1
	s_wait_alu 0xfffe
	s_and_saveexec_b32 s1, s0
	s_cbranch_execnz .LBB57_240
	s_branch .LBB57_241
.LBB57_263:
	s_mov_b32 s2, exec_lo
	s_trap 2
	s_branch .LBB57_261
	.section	.rodata,"a",@progbits
	.p2align	6, 0x0
	.amdhsa_kernel _ZN2at6native12_GLOBAL__N_114gatherKthValueIN3c104HalfEiLi2EEEvNS_4cuda6detail10TensorInfoIKT_T0_EESA_SA_SA_SA_NS7_IS8_SA_EENS7_IlSA_EE
		.amdhsa_group_segment_fixed_size 4112
		.amdhsa_private_segment_fixed_size 0
		.amdhsa_kernarg_size 920
		.amdhsa_user_sgpr_count 2
		.amdhsa_user_sgpr_dispatch_ptr 0
		.amdhsa_user_sgpr_queue_ptr 0
		.amdhsa_user_sgpr_kernarg_segment_ptr 1
		.amdhsa_user_sgpr_dispatch_id 0
		.amdhsa_user_sgpr_private_segment_size 0
		.amdhsa_wavefront_size32 1
		.amdhsa_uses_dynamic_stack 0
		.amdhsa_enable_private_segment 0
		.amdhsa_system_sgpr_workgroup_id_x 1
		.amdhsa_system_sgpr_workgroup_id_y 1
		.amdhsa_system_sgpr_workgroup_id_z 1
		.amdhsa_system_sgpr_workgroup_info 0
		.amdhsa_system_vgpr_workitem_id 0
		.amdhsa_next_free_vgpr 44
		.amdhsa_next_free_sgpr 93
		.amdhsa_reserve_vcc 1
		.amdhsa_float_round_mode_32 0
		.amdhsa_float_round_mode_16_64 0
		.amdhsa_float_denorm_mode_32 3
		.amdhsa_float_denorm_mode_16_64 3
		.amdhsa_fp16_overflow 0
		.amdhsa_workgroup_processor_mode 1
		.amdhsa_memory_ordered 1
		.amdhsa_forward_progress 1
		.amdhsa_inst_pref_size 96
		.amdhsa_round_robin_scheduling 0
		.amdhsa_exception_fp_ieee_invalid_op 0
		.amdhsa_exception_fp_denorm_src 0
		.amdhsa_exception_fp_ieee_div_zero 0
		.amdhsa_exception_fp_ieee_overflow 0
		.amdhsa_exception_fp_ieee_underflow 0
		.amdhsa_exception_fp_ieee_inexact 0
		.amdhsa_exception_int_div_zero 0
	.end_amdhsa_kernel
	.section	.text._ZN2at6native12_GLOBAL__N_114gatherKthValueIN3c104HalfEiLi2EEEvNS_4cuda6detail10TensorInfoIKT_T0_EESA_SA_SA_SA_NS7_IS8_SA_EENS7_IlSA_EE,"axG",@progbits,_ZN2at6native12_GLOBAL__N_114gatherKthValueIN3c104HalfEiLi2EEEvNS_4cuda6detail10TensorInfoIKT_T0_EESA_SA_SA_SA_NS7_IS8_SA_EENS7_IlSA_EE,comdat
.Lfunc_end57:
	.size	_ZN2at6native12_GLOBAL__N_114gatherKthValueIN3c104HalfEiLi2EEEvNS_4cuda6detail10TensorInfoIKT_T0_EESA_SA_SA_SA_NS7_IS8_SA_EENS7_IlSA_EE, .Lfunc_end57-_ZN2at6native12_GLOBAL__N_114gatherKthValueIN3c104HalfEiLi2EEEvNS_4cuda6detail10TensorInfoIKT_T0_EESA_SA_SA_SA_NS7_IS8_SA_EENS7_IlSA_EE
                                        ; -- End function
	.set _ZN2at6native12_GLOBAL__N_114gatherKthValueIN3c104HalfEiLi2EEEvNS_4cuda6detail10TensorInfoIKT_T0_EESA_SA_SA_SA_NS7_IS8_SA_EENS7_IlSA_EE.num_vgpr, 44
	.set _ZN2at6native12_GLOBAL__N_114gatherKthValueIN3c104HalfEiLi2EEEvNS_4cuda6detail10TensorInfoIKT_T0_EESA_SA_SA_SA_NS7_IS8_SA_EENS7_IlSA_EE.num_agpr, 0
	.set _ZN2at6native12_GLOBAL__N_114gatherKthValueIN3c104HalfEiLi2EEEvNS_4cuda6detail10TensorInfoIKT_T0_EESA_SA_SA_SA_NS7_IS8_SA_EENS7_IlSA_EE.numbered_sgpr, 93
	.set _ZN2at6native12_GLOBAL__N_114gatherKthValueIN3c104HalfEiLi2EEEvNS_4cuda6detail10TensorInfoIKT_T0_EESA_SA_SA_SA_NS7_IS8_SA_EENS7_IlSA_EE.num_named_barrier, 0
	.set _ZN2at6native12_GLOBAL__N_114gatherKthValueIN3c104HalfEiLi2EEEvNS_4cuda6detail10TensorInfoIKT_T0_EESA_SA_SA_SA_NS7_IS8_SA_EENS7_IlSA_EE.private_seg_size, 0
	.set _ZN2at6native12_GLOBAL__N_114gatherKthValueIN3c104HalfEiLi2EEEvNS_4cuda6detail10TensorInfoIKT_T0_EESA_SA_SA_SA_NS7_IS8_SA_EENS7_IlSA_EE.uses_vcc, 1
	.set _ZN2at6native12_GLOBAL__N_114gatherKthValueIN3c104HalfEiLi2EEEvNS_4cuda6detail10TensorInfoIKT_T0_EESA_SA_SA_SA_NS7_IS8_SA_EENS7_IlSA_EE.uses_flat_scratch, 0
	.set _ZN2at6native12_GLOBAL__N_114gatherKthValueIN3c104HalfEiLi2EEEvNS_4cuda6detail10TensorInfoIKT_T0_EESA_SA_SA_SA_NS7_IS8_SA_EENS7_IlSA_EE.has_dyn_sized_stack, 0
	.set _ZN2at6native12_GLOBAL__N_114gatherKthValueIN3c104HalfEiLi2EEEvNS_4cuda6detail10TensorInfoIKT_T0_EESA_SA_SA_SA_NS7_IS8_SA_EENS7_IlSA_EE.has_recursion, 0
	.set _ZN2at6native12_GLOBAL__N_114gatherKthValueIN3c104HalfEiLi2EEEvNS_4cuda6detail10TensorInfoIKT_T0_EESA_SA_SA_SA_NS7_IS8_SA_EENS7_IlSA_EE.has_indirect_call, 0
	.section	.AMDGPU.csdata,"",@progbits
; Kernel info:
; codeLenInByte = 12176
; TotalNumSgprs: 95
; NumVgprs: 44
; ScratchSize: 0
; MemoryBound: 0
; FloatMode: 240
; IeeeMode: 1
; LDSByteSize: 4112 bytes/workgroup (compile time only)
; SGPRBlocks: 0
; VGPRBlocks: 5
; NumSGPRsForWavesPerEU: 95
; NumVGPRsForWavesPerEU: 44
; Occupancy: 16
; WaveLimiterHint : 1
; COMPUTE_PGM_RSRC2:SCRATCH_EN: 0
; COMPUTE_PGM_RSRC2:USER_SGPR: 2
; COMPUTE_PGM_RSRC2:TRAP_HANDLER: 0
; COMPUTE_PGM_RSRC2:TGID_X_EN: 1
; COMPUTE_PGM_RSRC2:TGID_Y_EN: 1
; COMPUTE_PGM_RSRC2:TGID_Z_EN: 1
; COMPUTE_PGM_RSRC2:TIDIG_COMP_CNT: 0
	.section	.text._ZN2at6native12_GLOBAL__N_114gatherKthValueIN3c104HalfEiLi3EEEvNS_4cuda6detail10TensorInfoIKT_T0_EESA_SA_SA_SA_NS7_IS8_SA_EENS7_IlSA_EE,"axG",@progbits,_ZN2at6native12_GLOBAL__N_114gatherKthValueIN3c104HalfEiLi3EEEvNS_4cuda6detail10TensorInfoIKT_T0_EESA_SA_SA_SA_NS7_IS8_SA_EENS7_IlSA_EE,comdat
	.globl	_ZN2at6native12_GLOBAL__N_114gatherKthValueIN3c104HalfEiLi3EEEvNS_4cuda6detail10TensorInfoIKT_T0_EESA_SA_SA_SA_NS7_IS8_SA_EENS7_IlSA_EE ; -- Begin function _ZN2at6native12_GLOBAL__N_114gatherKthValueIN3c104HalfEiLi3EEEvNS_4cuda6detail10TensorInfoIKT_T0_EESA_SA_SA_SA_NS7_IS8_SA_EENS7_IlSA_EE
	.p2align	8
	.type	_ZN2at6native12_GLOBAL__N_114gatherKthValueIN3c104HalfEiLi3EEEvNS_4cuda6detail10TensorInfoIKT_T0_EESA_SA_SA_SA_NS7_IS8_SA_EENS7_IlSA_EE,@function
_ZN2at6native12_GLOBAL__N_114gatherKthValueIN3c104HalfEiLi3EEEvNS_4cuda6detail10TensorInfoIKT_T0_EESA_SA_SA_SA_NS7_IS8_SA_EENS7_IlSA_EE: ; @_ZN2at6native12_GLOBAL__N_114gatherKthValueIN3c104HalfEiLi3EEEvNS_4cuda6detail10TensorInfoIKT_T0_EESA_SA_SA_SA_NS7_IS8_SA_EENS7_IlSA_EE
; %bb.0:
	s_clause 0x1
	s_load_b64 s[8:9], s[0:1], 0x298
	s_load_b128 s[36:39], s[0:1], 0xd8
	s_lshr_b32 s2, ttmp7, 16
	s_and_b32 s3, ttmp7, 0xffff
	s_wait_kmcnt 0x0
	s_mul_i32 s2, s9, s2
	s_delay_alu instid0(SALU_CYCLE_1) | instskip(NEXT) | instid1(SALU_CYCLE_1)
	s_add_co_i32 s2, s2, s3
	s_mul_i32 s33, s2, s8
	s_delay_alu instid0(SALU_CYCLE_1) | instskip(NEXT) | instid1(SALU_CYCLE_1)
	s_add_co_i32 s33, s33, ttmp9
	s_cmp_ge_i32 s33, s38
	s_cbranch_scc1 .LBB58_241
; %bb.1:
	s_clause 0x2
	s_load_b64 s[12:13], s[0:1], 0xc
	s_load_b64 s[30:31], s[0:1], 0xf4
	;; [unrolled: 1-line block ×3, first 2 shown]
	s_abs_i32 s10, s33
	s_ashr_i32 s11, s33, 31
	s_mov_b32 s59, 0
	s_delay_alu instid0(SALU_CYCLE_1) | instskip(SKIP_3) | instid1(SALU_CYCLE_1)
	s_mov_b32 s49, s59
	s_mov_b32 s51, s59
	s_wait_kmcnt 0x0
	s_abs_i32 s2, s13
	s_cvt_f32_u32 s3, s2
	s_sub_co_i32 s4, 0, s2
	s_delay_alu instid0(SALU_CYCLE_2) | instskip(NEXT) | instid1(TRANS32_DEP_1)
	v_rcp_iflag_f32_e32 v1, s3
	v_readfirstlane_b32 s3, v1
	s_mul_f32 s3, s3, 0x4f7ffffe
	s_wait_alu 0xfffe
	s_delay_alu instid0(SALU_CYCLE_2) | instskip(SKIP_1) | instid1(SALU_CYCLE_2)
	s_cvt_u32_f32 s3, s3
	s_wait_alu 0xfffe
	s_mul_i32 s4, s4, s3
	s_delay_alu instid0(SALU_CYCLE_1) | instskip(NEXT) | instid1(SALU_CYCLE_1)
	s_mul_hi_u32 s4, s3, s4
	s_add_co_i32 s3, s3, s4
	s_ashr_i32 s4, s13, 31
	s_wait_alu 0xfffe
	s_mul_hi_u32 s3, s10, s3
	s_xor_b32 s7, s11, s4
	s_wait_alu 0xfffe
	s_mul_i32 s5, s3, s2
	s_delay_alu instid0(SALU_CYCLE_1)
	s_sub_co_i32 s4, s10, s5
	s_add_co_i32 s5, s3, 1
	s_sub_co_i32 s6, s4, s2
	s_cmp_ge_u32 s4, s2
	s_cselect_b32 s3, s5, s3
	s_cselect_b32 s4, s6, s4
	s_wait_alu 0xfffe
	s_add_co_i32 s9, s3, 1
	s_cmp_ge_u32 s4, s2
	s_load_b96 s[4:6], s[0:1], 0x6c
	s_cselect_b32 s2, s9, s3
	s_abs_i32 s3, s31
	s_abs_i32 s9, s12
	s_wait_alu 0xfffe
	s_cvt_f32_u32 s14, s3
	s_cvt_f32_u32 s15, s9
	s_xor_b32 s2, s2, s7
	s_sub_co_i32 s17, 0, s9
	v_rcp_iflag_f32_e32 v1, s14
	v_rcp_iflag_f32_e32 v2, s15
	s_ashr_i32 s15, s31, 31
	s_wait_alu 0xfffe
	s_sub_co_i32 s7, s2, s7
	s_xor_b32 s18, s11, s15
	s_sub_co_i32 s15, 0, s3
	s_ashr_i32 s20, s12, 31
	s_ashr_i32 s21, s7, 31
	s_delay_alu instid0(TRANS32_DEP_2) | instskip(NEXT) | instid1(TRANS32_DEP_1)
	v_readfirstlane_b32 s14, v1
	v_readfirstlane_b32 s16, v2
	s_mul_f32 s14, s14, 0x4f7ffffe
	s_wait_alu 0xfffe
	s_delay_alu instid0(SALU_CYCLE_2) | instskip(SKIP_2) | instid1(SALU_CYCLE_1)
	s_cvt_u32_f32 s2, s14
	s_mul_f32 s14, s16, 0x4f7ffffe
	s_wait_alu 0xfffe
	s_mul_i32 s15, s15, s2
	s_delay_alu instid0(SALU_CYCLE_1)
	s_cvt_u32_f32 s16, s14
	s_wait_alu 0xfffe
	s_mul_hi_u32 s15, s2, s15
	s_abs_i32 s14, s7
	s_wait_alu 0xfffe
	s_add_co_i32 s2, s2, s15
	s_mul_i32 s17, s17, s16
	s_wait_alu 0xfffe
	s_mul_hi_u32 s2, s10, s2
	s_mul_hi_u32 s15, s16, s17
	s_wait_alu 0xfffe
	s_mul_i32 s17, s2, s3
	s_add_co_i32 s58, s16, s15
	s_sub_co_i32 s15, s10, s17
	s_add_co_i32 s16, s2, 1
	s_wait_alu 0xfffe
	s_sub_co_i32 s17, s15, s3
	s_cmp_ge_u32 s15, s3
	s_cselect_b32 s2, s16, s2
	s_cselect_b32 s15, s17, s15
	s_wait_alu 0xfffe
	s_add_co_i32 s16, s2, 1
	s_cmp_ge_u32 s15, s3
	s_mov_b32 s15, s59
	s_cselect_b32 s16, s16, s2
	s_abs_i32 s17, s35
	s_abs_i32 s68, s30
	s_cvt_f32_u32 s2, s17
	s_cvt_f32_u32 s3, s68
	s_xor_b32 s16, s16, s18
	s_sub_co_i32 s22, 0, s68
	s_wait_alu 0xfffe
	v_rcp_iflag_f32_e32 v1, s2
	v_rcp_iflag_f32_e32 v2, s3
	s_mul_u64 s[2:3], s[14:15], s[58:59]
	s_ashr_i32 s2, s35, 31
	s_sub_co_i32 s43, s16, s18
	s_wait_alu 0xfffe
	s_xor_b32 s23, s11, s2
	s_abs_i32 s48, s43
	s_delay_alu instid0(TRANS32_DEP_2) | instskip(NEXT) | instid1(TRANS32_DEP_1)
	v_readfirstlane_b32 s19, v1
	v_readfirstlane_b32 s15, v2
	s_mul_f32 s19, s19, 0x4f7ffffe
	s_mul_f32 s11, s15, 0x4f7ffffe
	s_sub_co_i32 s15, 0, s17
	s_delay_alu instid0(SALU_CYCLE_1) | instskip(NEXT) | instid1(SALU_CYCLE_1)
	s_cvt_u32_f32 s2, s19
	s_cvt_u32_f32 s11, s11
	s_wait_alu 0xfffe
	s_delay_alu instid0(SALU_CYCLE_1) | instskip(NEXT) | instid1(SALU_CYCLE_1)
	s_mul_i32 s15, s15, s2
	s_mul_i32 s22, s22, s11
	s_wait_alu 0xfffe
	s_mul_hi_u32 s15, s2, s15
	s_wait_alu 0xfffe
	s_add_co_i32 s2, s2, s15
	s_mul_hi_u32 s15, s11, s22
	s_wait_alu 0xfffe
	s_mul_hi_u32 s2, s10, s2
	s_add_co_i32 s58, s11, s15
	s_wait_alu 0xfffe
	s_mul_i32 s16, s2, s17
	s_add_co_i32 s11, s2, 1
	s_sub_co_i32 s10, s10, s16
	s_delay_alu instid0(SALU_CYCLE_1)
	s_sub_co_i32 s15, s10, s17
	s_cmp_ge_u32 s10, s17
	s_cselect_b32 s2, s11, s2
	s_wait_alu 0xfffe
	s_cselect_b32 s10, s15, s10
	s_add_co_i32 s11, s2, 1
	s_cmp_ge_u32 s10, s17
	s_load_b64 s[16:17], s[0:1], 0x0
	s_cselect_b32 s15, s11, s2
	s_abs_i32 s38, s34
	s_wait_alu 0xfffe
	s_xor_b32 s15, s15, s23
	s_cvt_f32_u32 s2, s38
	s_sub_co_i32 s19, 0, s38
	s_wait_alu 0xfffe
	s_sub_co_i32 s47, s15, s23
	s_add_nc_u64 s[10:11], s[0:1], 0x298
	v_rcp_iflag_f32_e32 v1, s2
	s_abs_i32 s50, s47
	s_delay_alu instid0(TRANS32_DEP_1) | instskip(SKIP_2) | instid1(SALU_CYCLE_2)
	v_readfirstlane_b32 s2, v1
	s_mul_f32 s18, s2, 0x4f7ffffe
	v_cmp_eq_u32_e64 s2, 0, v0
	s_cvt_u32_f32 s18, s18
	s_delay_alu instid0(SALU_CYCLE_3) | instskip(NEXT) | instid1(SALU_CYCLE_1)
	s_mul_i32 s19, s19, s18
	s_mul_hi_u32 s15, s18, s19
	s_mov_b32 s19, s59
	s_wait_alu 0xfffe
	s_add_co_i32 s18, s18, s15
	s_and_saveexec_b32 s15, s2
; %bb.2:
	v_dual_mov_b32 v1, 0 :: v_dual_mov_b32 v2, s36
	s_delay_alu instid0(VALU_DEP_1)
	v_mov_b32_e32 v3, v1
	ds_store_b96 v1, v[1:3] offset:4096
; %bb.3:
	s_wait_alu 0xfffe
	s_or_b32 exec_lo, exec_lo, s15
	s_mul_i32 s15, s3, s9
	s_mul_i32 s13, s7, s13
	s_wait_alu 0xfffe
	s_sub_co_i32 s14, s14, s15
	s_ashr_i32 s71, s43, 31
	s_ashr_i32 s72, s30, 31
	;; [unrolled: 1-line block ×4, first 2 shown]
	s_sub_co_i32 s13, s33, s13
	s_xor_b32 s20, s21, s20
	s_add_co_i32 s15, s3, 1
	s_wait_alu 0xfffe
	s_sub_co_i32 s21, s14, s9
	s_cmp_ge_u32 s14, s9
	s_wait_dscnt 0x0
	s_cselect_b32 s3, s15, s3
	s_cselect_b32 s14, s21, s14
	s_wait_alu 0xfffe
	s_add_co_i32 s15, s3, 1
	s_cmp_ge_u32 s14, s9
	s_barrier_signal -1
	s_barrier_wait -1
	global_inv scope:SCOPE_SE
	s_load_b32 s9, s[10:11], 0xc
	s_cselect_b32 s3, s15, s3
	s_wait_kmcnt 0x0
	s_mul_i32 s13, s13, s6
	s_wait_alu 0xfffe
	s_xor_b32 s3, s3, s20
	s_mul_u64 s[56:57], s[48:49], s[58:59]
	s_wait_alu 0xfffe
	s_sub_co_i32 s3, s3, s20
	s_clause 0x1
	s_load_b96 s[40:42], s[0:1], 0x22c
	s_load_b64 s[52:53], s[0:1], 0x1c0
	s_mul_i32 s12, s3, s12
	s_mul_i32 s3, s3, s4
	s_sub_co_i32 s7, s7, s12
	s_clause 0x1
	s_load_b96 s[44:46], s[0:1], 0x154
	s_load_b64 s[54:55], s[0:1], 0xe8
	s_mul_i32 s5, s7, s5
	s_mul_u64 s[28:29], s[50:51], s[18:19]
	s_add_co_i32 s5, s5, s13
	v_mbcnt_lo_u32_b32 v15, -1, 0
	s_add_co_i32 s0, s5, s3
	v_cmp_gt_u32_e32 vcc_lo, 32, v0
	s_ashr_i32 s1, s0, 31
	v_dual_mov_b32 v7, 0 :: v_dual_lshlrev_b32 v16, 2, v0
	s_and_b32 s49, s9, 0xffff
	s_lshl_b64 s[0:1], s[0:1], 1
	s_lshl_b32 s51, s49, 2
	s_add_nc_u64 s[60:61], s[16:17], s[0:1]
	s_cvt_f32_u32 s3, s51
	v_cmp_gt_i32_e64 s0, 4, v15
	s_add_co_i32 s56, s49, -1
	s_bfe_u32 s1, s9, 0xb0005
	s_wait_alu 0xfffe
	v_rcp_iflag_f32_e32 v1, s3
	s_add_co_i32 s82, s56, s36
	s_and_b32 s74, vcc_lo, s0
	s_cmp_gt_i32 s36, 0x600
	v_mul_lo_u32 v5, s39, v0
	s_cselect_b32 s75, -1, 0
	s_cmp_gt_u32 s49, 31
	v_dual_mov_b32 v6, v7 :: v_dual_lshlrev_b32 v17, 1, v0
	s_cselect_b32 s76, -1, 0
	s_cmp_lt_u32 ttmp9, s8
	v_readfirstlane_b32 s4, v1
	s_cselect_b32 s58, 12, 18
	s_add_co_i32 s3, s1, -1
	s_bfe_u32 s77, s49, 0x30005
	s_wait_alu 0xfffe
	s_and_b32 s3, s3, 0xffff
	v_lshlrev_b64_e32 v[1:2], 1, v[5:6]
	s_wait_alu 0xfffe
	s_cmp_gt_u32 s3, 6
	s_mul_f32 s3, s4, 0x4f7ffffe
	s_cselect_b32 s78, -1, 0
	s_and_b32 s79, s1, 0x7f8
	s_cmp_lg_u32 s77, 0
	s_wait_alu 0xfffe
	s_cvt_u32_f32 s3, s3
	s_cselect_b32 s80, -1, 0
	s_sub_co_i32 s4, 0, s51
	v_add_co_u32 v8, vcc_lo, s60, v1
	s_wait_alu 0xfffe
	s_mul_i32 s4, s4, s3
	v_add_co_ci_u32_e64 v9, null, s61, v2, vcc_lo
	s_mul_hi_u32 s4, s3, s4
	v_lshlrev_b64_e64 v[1:2], v15, -1
	s_add_co_i32 s62, s3, s4
	s_cvt_f32_u32 s3, s49
	s_mul_hi_u32 s4, s36, s62
	v_lshrrev_b32_e32 v2, 1, v0
	s_mul_i32 s4, s4, s51
	s_wait_alu 0xfffe
	v_rcp_iflag_f32_e32 v3, s3
	s_sub_co_i32 s4, s36, s4
	v_not_b32_e32 v20, v1
	s_sub_co_i32 s5, s4, s51
	s_cmp_ge_u32 s4, s51
	v_mov_b32_e32 v32, 0
	s_cselect_b32 s4, s5, s4
	s_mov_b32 s12, s39
	s_sub_co_i32 s6, s4, s51
	s_cmp_ge_u32 s4, s51
	v_readfirstlane_b32 s5, v3
	s_cselect_b32 s9, s6, s4
	s_sub_co_i32 s6, 0, s49
	s_sub_co_i32 s81, s36, s9
	s_abs_i32 s7, s82
	s_mul_f32 s5, s5, 0x4f7ffffe
	v_add_nc_u32_e32 v19, s81, v0
	v_or_b32_e32 v3, 3, v16
	v_mad_co_u64_u32 v[12:13], null, s39, v16, s[12:13]
	s_cvt_u32_f32 s5, s5
	v_mul_lo_u32 v1, v19, s39
	v_mul_lo_u32 v24, s39, v3
	v_cmp_eq_u32_e64 s0, 0, v15
	s_mul_i32 s6, s6, s5
	v_cmp_gt_u32_e64 s1, 2, v0
	s_mul_hi_u32 s6, s5, s6
	v_dual_mov_b32 v33, s37 :: v_dual_add_nc_u32 v18, 0xc00, v17
	s_add_co_i32 s64, s5, s6
	s_movk_i32 s5, 0x1f0
	s_mul_hi_u32 s6, s7, s64
	v_and_or_b32 v21, v2, s5, 0xc00
	v_ashrrev_i32_e32 v2, 31, v1
	s_mul_i32 s6, s6, s49
	v_cmp_gt_u32_e64 s3, s36, v0
	s_sub_co_i32 s5, s7, s6
	s_ashr_i32 s7, s82, 31
	v_lshlrev_b64_e32 v[1:2], 1, v[1:2]
	s_wait_alu 0xfffe
	s_sub_co_i32 s6, s5, s49
	s_cmp_ge_u32 s5, s49
	v_cmp_gt_i32_e64 s4, s36, v0
	s_cselect_b32 s6, s6, s5
	v_cmp_gt_i32_e64 s5, s81, v16
	v_add_co_u32 v10, vcc_lo, s60, v1
	v_add3_u32 v1, s49, s36, v0
	s_sub_co_i32 s8, s6, s49
	s_cmp_ge_u32 s6, s49
	s_wait_alu 0xfffd
	v_add_co_ci_u32_e64 v11, null, s61, v2, vcc_lo
	s_cselect_b32 s8, s8, s6
	v_or_b32_e32 v2, 2, v16
	v_subrev_nc_u32_e32 v1, s9, v1
	s_xor_b32 s8, s8, s7
	v_cmp_gt_u32_e64 s6, s36, v19
	s_wait_alu 0xfffe
	s_sub_co_i32 s8, s7, s8
	v_mul_lo_u32 v23, s39, v2
	v_mul_lo_u32 v26, s39, v1
	s_wait_alu 0xfffe
	s_add_co_i32 s82, s82, s8
	v_cmp_gt_i32_e64 s7, s36, v19
	v_cmp_gt_i32_e64 s8, s82, v0
	v_dual_mov_b32 v30, 0 :: v_dual_lshlrev_b32 v25, 2, v5
	v_dual_mov_b32 v22, 0 :: v_dual_lshlrev_b32 v27, 3, v0
	v_lshl_or_b32 v28, v15, 2, 0xc00
	v_mov_b32_e32 v29, 0x8000
	v_mov_b32_e32 v31, 0
	s_mul_i32 s73, s39, s49
	s_mov_b32 s63, s59
	s_mov_b32 s65, s59
	s_lshl_b32 s83, s73, 2
	s_lshl_b32 s84, s49, 3
	;; [unrolled: 1-line block ×3, first 2 shown]
	s_mov_b32 s93, 14
	s_add_nc_u64 s[66:67], s[10:11], s[58:59]
	s_movk_i32 s86, 0x3c00
	s_mov_b32 s37, s59
                                        ; implicit-def: $sgpr90
                                        ; implicit-def: $sgpr92
                                        ; implicit-def: $sgpr87
                                        ; implicit-def: $sgpr89
                                        ; implicit-def: $sgpr91
                                        ; implicit-def: $sgpr88
	s_branch .LBB58_7
.LBB58_4:                               ;   in Loop: Header=BB58_7 Depth=1
	s_wait_alu 0xfffe
	s_or_b32 exec_lo, exec_lo, s13
	s_delay_alu instid0(SALU_CYCLE_1)
	s_and_b32 s10, s10, exec_lo
	s_and_not1_b32 s15, s15, exec_lo
	s_and_not1_b32 s14, s14, exec_lo
	s_or_not1_b32 s12, s12, exec_lo
.LBB58_5:                               ;   in Loop: Header=BB58_7 Depth=1
	s_wait_alu 0xfffe
	s_or_b32 exec_lo, exec_lo, s9
	s_delay_alu instid0(SALU_CYCLE_1)
	s_and_not1_b32 s9, s88, exec_lo
	s_and_b32 s10, s10, exec_lo
	s_and_not1_b32 s13, s89, exec_lo
	s_wait_alu 0xfffe
	s_or_b32 s88, s9, s10
	s_and_not1_b32 s9, s91, exec_lo
	s_and_b32 s10, s15, exec_lo
	s_and_b32 s14, s14, exec_lo
	s_wait_alu 0xfffe
	s_or_b32 s91, s9, s10
	s_or_b32 s89, s13, s14
	s_or_not1_b32 s13, s12, exec_lo
.LBB58_6:                               ;   in Loop: Header=BB58_7 Depth=1
	s_wait_alu 0xfffe
	s_or_b32 exec_lo, exec_lo, s11
	s_delay_alu instid0(SALU_CYCLE_1)
	s_and_b32 s9, exec_lo, s13
	v_mov_b32_e32 v33, v4
	s_wait_alu 0xfffe
	s_or_b32 s37, s9, s37
	s_and_not1_b32 s9, s87, exec_lo
	s_and_b32 s10, s88, exec_lo
	s_and_not1_b32 s11, s92, exec_lo
	s_wait_alu 0xfffe
	s_or_b32 s87, s9, s10
	s_and_b32 s9, s91, exec_lo
	s_and_not1_b32 s10, s90, exec_lo
	s_and_b32 s12, s89, exec_lo
	s_wait_alu 0xfffe
	s_or_b32 s92, s11, s9
	s_or_b32 s90, s10, s12
	s_mov_b32 s93, s21
	s_and_not1_b32 exec_lo, exec_lo, s37
	s_cbranch_execz .LBB58_237
.LBB58_7:                               ; =>This Loop Header: Depth=1
                                        ;     Child Loop BB58_12 Depth 2
                                        ;     Child Loop BB58_27 Depth 2
	;; [unrolled: 1-line block ×16, first 2 shown]
	ds_load_b64 v[1:2], v7 offset:4096
	s_wait_dscnt 0x0
	v_readfirstlane_b32 s58, v1
	s_cmp_gt_i32 s58, 0
	s_cbranch_scc1 .LBB58_34
; %bb.8:                                ;   in Loop: Header=BB58_7 Depth=1
	s_and_b32 vcc_lo, exec_lo, s75
	s_wait_alu 0xfffe
	s_cbranch_vccz .LBB58_20
; %bb.9:                                ;   in Loop: Header=BB58_7 Depth=1
	v_cmp_gt_i32_e32 vcc_lo, 0x601, v2
	s_mov_b32 s10, 0
	s_mov_b32 s9, 0
	s_cbranch_vccz .LBB58_21
; %bb.10:                               ;   in Loop: Header=BB58_7 Depth=1
	global_load_u16 v2, v[8:9], off
	s_load_u16 s11, s[66:67], 0x0
	s_mov_b32 s12, 0
	s_wait_kmcnt 0x0
	v_add_nc_u32_e32 v1, s11, v0
	s_mul_i32 s13, s39, s11
	s_delay_alu instid0(VALU_DEP_1)
	v_mul_lo_u32 v6, s39, v1
	v_mov_b32_e32 v1, v0
	s_branch .LBB58_12
.LBB58_11:                              ;   in Loop: Header=BB58_12 Depth=2
	s_wait_alu 0xfffe
	s_or_b32 exec_lo, exec_lo, s9
	v_cmp_le_i32_e32 vcc_lo, s36, v1
	v_add_nc_u32_e32 v6, s13, v6
	v_mov_b32_e32 v2, v3
	s_or_b32 s12, vcc_lo, s12
	s_wait_alu 0xfffe
	s_and_not1_b32 exec_lo, exec_lo, s12
	s_cbranch_execz .LBB58_66
.LBB58_12:                              ;   Parent Loop BB58_7 Depth=1
                                        ; =>  This Inner Loop Header: Depth=2
	s_wait_dscnt 0x0
	s_delay_alu instid0(VALU_DEP_1) | instskip(SKIP_2) | instid1(VALU_DEP_2)
	v_dual_mov_b32 v4, 0 :: v_dual_add_nc_u32 v1, s11, v1
	v_mov_b32_e32 v3, 0
	s_mov_b32 s9, exec_lo
	v_cmpx_gt_u32_e64 s36, v1
	s_cbranch_execz .LBB58_14
; %bb.13:                               ;   in Loop: Header=BB58_12 Depth=2
	v_lshlrev_b64_e32 v[13:14], 1, v[6:7]
	s_delay_alu instid0(VALU_DEP_1) | instskip(SKIP_1) | instid1(VALU_DEP_2)
	v_add_co_u32 v13, vcc_lo, s60, v13
	s_wait_alu 0xfffd
	v_add_co_ci_u32_e64 v14, null, s61, v14, vcc_lo
	global_load_u16 v3, v[13:14], off
.LBB58_14:                              ;   in Loop: Header=BB58_12 Depth=2
	s_wait_alu 0xfffe
	s_or_b32 exec_lo, exec_lo, s9
	s_wait_loadcnt 0x0
	v_cmp_lt_i16_e32 vcc_lo, -1, v2
	s_wait_alu 0xfffd
	v_dual_cndmask_b32 v14, 0xffff, v29 :: v_dual_and_b32 v13, 0xffff, v2
	v_cmp_o_f16_e32 vcc_lo, v2, v2
	s_delay_alu instid0(VALU_DEP_2) | instskip(SKIP_1) | instid1(VALU_DEP_1)
	v_xor_b32_e32 v13, v14, v13
	s_wait_alu 0xfffd
	v_cndmask_b32_e32 v13, 0xffff, v13, vcc_lo
	s_delay_alu instid0(VALU_DEP_1) | instskip(NEXT) | instid1(VALU_DEP_1)
	v_and_b32_e32 v13, v13, v31
	v_cmp_eq_u32_e32 vcc_lo, v13, v22
	s_cmp_lg_u32 vcc_lo, 0
	s_cselect_b32 s9, -1, 0
	s_wait_alu 0xfffe
	s_and_b32 s9, s0, s9
	s_wait_alu 0xfffe
	s_and_saveexec_b32 s14, s9
	s_cbranch_execz .LBB58_18
; %bb.15:                               ;   in Loop: Header=BB58_12 Depth=2
	s_mov_b32 s17, exec_lo
	s_bcnt1_i32_b32 s15, vcc_lo
	s_wait_alu 0xfffe
	v_mbcnt_lo_u32_b32 v4, s17, 0
	s_mov_b32 s16, exec_lo
                                        ; implicit-def: $vgpr13
	s_delay_alu instid0(VALU_DEP_1)
	v_cmpx_eq_u32_e32 0, v4
; %bb.16:                               ;   in Loop: Header=BB58_12 Depth=2
	s_bcnt1_i32_b32 s9, s17
	s_wait_alu 0xfffe
	s_mul_i32 s9, s15, s9
	s_wait_alu 0xfffe
	v_mov_b32_e32 v13, s9
	ds_add_rtn_u32 v13, v7, v13 offset:4104
; %bb.17:                               ;   in Loop: Header=BB58_12 Depth=2
	s_or_b32 exec_lo, exec_lo, s16
	s_wait_dscnt 0x0
	v_readfirstlane_b32 s9, v13
	s_wait_alu 0xf1ff
	s_delay_alu instid0(VALU_DEP_1)
	v_mad_u32_u24 v4, s15, v4, s9
.LBB58_18:                              ;   in Loop: Header=BB58_12 Depth=2
	s_wait_alu 0xfffe
	s_or_b32 exec_lo, exec_lo, s14
	ds_bpermute_b32 v4, v7, v4
	s_and_saveexec_b32 s9, vcc_lo
	s_cbranch_execz .LBB58_11
; %bb.19:                               ;   in Loop: Header=BB58_12 Depth=2
	v_and_b32_e32 v13, vcc_lo, v20
	s_delay_alu instid0(VALU_DEP_1) | instskip(NEXT) | instid1(VALU_DEP_1)
	v_bcnt_u32_b32 v13, v13, 0
	v_lshlrev_b32_e32 v13, 1, v13
	s_wait_dscnt 0x0
	s_delay_alu instid0(VALU_DEP_1)
	v_lshl_add_u32 v4, v4, 1, v13
	ds_store_b16 v4, v2
	s_branch .LBB58_11
.LBB58_20:                              ;   in Loop: Header=BB58_7 Depth=1
	s_mov_b32 s10, -1
	s_mov_b32 s9, 0
.LBB58_21:                              ;   in Loop: Header=BB58_7 Depth=1
	s_wait_alu 0xfffe
	s_and_b32 vcc_lo, exec_lo, s10
	s_wait_alu 0xfffe
	s_cbranch_vccz .LBB58_32
.LBB58_22:                              ;   in Loop: Header=BB58_7 Depth=1
	v_mov_b32_e32 v1, 0
	s_and_saveexec_b32 s9, s3
	s_cbranch_execz .LBB58_24
; %bb.23:                               ;   in Loop: Header=BB58_7 Depth=1
	global_load_u16 v1, v[8:9], off
.LBB58_24:                              ;   in Loop: Header=BB58_7 Depth=1
	s_wait_alu 0xfffe
	s_or_b32 exec_lo, exec_lo, s9
	s_and_saveexec_b32 s9, s4
	s_cbranch_execz .LBB58_29
; %bb.25:                               ;   in Loop: Header=BB58_7 Depth=1
	s_load_u16 s10, s[66:67], 0x0
	s_mov_b32 s13, 0
	s_wait_kmcnt 0x0
	v_dual_mov_b32 v3, v0 :: v_dual_add_nc_u32 v2, s10, v0
	s_lshl_b32 s11, s10, 1
	s_mul_i32 s12, s39, s10
	s_delay_alu instid0(VALU_DEP_1)
	v_mul_lo_u32 v6, s39, v2
	v_mov_b32_e32 v2, v17
	s_branch .LBB58_27
.LBB58_26:                              ;   in Loop: Header=BB58_27 Depth=2
	s_wait_alu 0xfffe
	s_or_b32 exec_lo, exec_lo, s14
	v_cmp_le_i32_e32 vcc_lo, s36, v3
	s_wait_loadcnt 0x0
	ds_store_b16 v2, v1
	v_dual_mov_b32 v1, v4 :: v_dual_add_nc_u32 v2, s11, v2
	v_add_nc_u32_e32 v6, s12, v6
	s_or_b32 s13, vcc_lo, s13
	s_wait_alu 0xfffe
	s_and_not1_b32 exec_lo, exec_lo, s13
	s_cbranch_execz .LBB58_29
.LBB58_27:                              ;   Parent Loop BB58_7 Depth=1
                                        ; =>  This Inner Loop Header: Depth=2
	v_dual_mov_b32 v4, 0 :: v_dual_add_nc_u32 v3, s10, v3
	s_mov_b32 s14, exec_lo
	s_delay_alu instid0(VALU_DEP_1)
	v_cmpx_gt_u32_e64 s36, v3
	s_cbranch_execz .LBB58_26
; %bb.28:                               ;   in Loop: Header=BB58_27 Depth=2
	s_delay_alu instid0(VALU_DEP_4) | instskip(NEXT) | instid1(VALU_DEP_1)
	v_lshlrev_b64_e32 v[13:14], 1, v[6:7]
	v_add_co_u32 v13, vcc_lo, s60, v13
	s_wait_alu 0xfffd
	s_delay_alu instid0(VALU_DEP_2)
	v_add_co_ci_u32_e64 v14, null, s61, v14, vcc_lo
	global_load_u16 v4, v[13:14], off
	s_branch .LBB58_26
.LBB58_29:                              ;   in Loop: Header=BB58_7 Depth=1
	s_wait_alu 0xfffe
	s_or_b32 exec_lo, exec_lo, s9
	s_wait_loadcnt_dscnt 0x0
	s_barrier_signal -1
	s_barrier_wait -1
	global_inv scope:SCOPE_SE
	s_and_saveexec_b32 s9, s2
; %bb.30:                               ;   in Loop: Header=BB58_7 Depth=1
	v_mov_b32_e32 v1, s36
	ds_store_b32 v7, v1 offset:4096
; %bb.31:                               ;   in Loop: Header=BB58_7 Depth=1
	s_wait_alu 0xfffe
	s_or_b32 exec_lo, exec_lo, s9
	s_mov_b32 s9, -1
	s_wait_loadcnt_dscnt 0x0
	s_barrier_signal -1
	s_barrier_wait -1
.LBB58_32:                              ;   in Loop: Header=BB58_7 Depth=1
	s_wait_alu 0xfffe
	s_and_b32 vcc_lo, exec_lo, s9
	s_wait_alu 0xfffe
	s_cbranch_vccz .LBB58_34
; %bb.33:                               ;   in Loop: Header=BB58_7 Depth=1
	s_wait_loadcnt 0x0
	global_inv scope:SCOPE_SE
	ds_load_b32 v1, v7 offset:4096
	s_wait_dscnt 0x0
	v_readfirstlane_b32 s58, v1
.LBB58_34:                              ;   in Loop: Header=BB58_7 Depth=1
	s_delay_alu instid0(VALU_DEP_1)
	s_cmp_lt_i32 s58, 1
	s_mov_b32 s9, -1
                                        ; implicit-def: $vgpr1
	s_cbranch_scc1 .LBB58_44
; %bb.35:                               ;   in Loop: Header=BB58_7 Depth=1
	s_wait_alu 0xfffe
	s_and_b32 vcc_lo, exec_lo, s9
	s_wait_alu 0xfffe
	s_cbranch_vccnz .LBB58_57
.LBB58_36:                              ;   in Loop: Header=BB58_7 Depth=1
	v_lshlrev_b32_e32 v6, 7, v30
	s_and_saveexec_b32 s9, s0
.LBB58_37:                              ;   in Loop: Header=BB58_7 Depth=1
	s_delay_alu instid0(VALU_DEP_1)
	v_lshl_add_u32 v13, v6, 2, v21
	ds_store_b128 v13, v[1:4]
.LBB58_38:                              ;   in Loop: Header=BB58_7 Depth=1
	s_wait_alu 0xfffe
	s_or_b32 exec_lo, exec_lo, s9
	s_wait_loadcnt_dscnt 0x0
	s_barrier_signal -1
	s_barrier_wait -1
	global_inv scope:SCOPE_SE
	s_and_saveexec_b32 s9, s74
	s_cbranch_execz .LBB58_73
; %bb.39:                               ;   in Loop: Header=BB58_7 Depth=1
	v_mov_b32_e32 v1, 0
	s_and_not1_b32 vcc_lo, exec_lo, s76
	s_wait_alu 0xfffe
	s_cbranch_vccnz .LBB58_72
; %bb.40:                               ;   in Loop: Header=BB58_7 Depth=1
	s_and_not1_b32 vcc_lo, exec_lo, s78
	s_wait_alu 0xfffe
	s_cbranch_vccnz .LBB58_69
; %bb.41:                               ;   in Loop: Header=BB58_7 Depth=1
	v_lshl_add_u32 v2, v30, 9, v28
	v_mov_b32_e32 v1, 0
	s_mov_b32 s10, 0
.LBB58_42:                              ;   Parent Loop BB58_7 Depth=1
                                        ; =>  This Inner Loop Header: Depth=2
	ds_load_2addr_b32 v[3:4], v2 offset1:4
	ds_load_2addr_b32 v[13:14], v2 offset0:8 offset1:12
	ds_load_2addr_b32 v[34:35], v2 offset0:16 offset1:20
	;; [unrolled: 1-line block ×3, first 2 shown]
	v_add_nc_u32_e32 v2, 0x80, v2
	s_wait_alu 0xfffe
	s_add_co_i32 s10, s10, 8
	s_wait_alu 0xfffe
	s_cmp_eq_u32 s79, s10
	s_wait_dscnt 0x3
	v_add3_u32 v1, v3, v1, v4
	s_wait_dscnt 0x2
	s_delay_alu instid0(VALU_DEP_1) | instskip(SKIP_1) | instid1(VALU_DEP_1)
	v_add3_u32 v1, v13, v1, v14
	s_wait_dscnt 0x1
	v_add3_u32 v1, v34, v1, v35
	s_wait_dscnt 0x0
	s_delay_alu instid0(VALU_DEP_1)
	v_add3_u32 v1, v36, v1, v37
	s_cbranch_scc0 .LBB58_42
; %bb.43:                               ;   in Loop: Header=BB58_7 Depth=1
	s_mov_b32 s10, s79
	s_and_not1_b32 vcc_lo, exec_lo, s80
	s_wait_alu 0xfffe
	s_cbranch_vccz .LBB58_70
	s_branch .LBB58_72
.LBB58_44:                              ;   in Loop: Header=BB58_7 Depth=1
	v_dual_mov_b32 v1, 0 :: v_dual_mov_b32 v2, 0
	v_dual_mov_b32 v3, 0 :: v_dual_mov_b32 v4, 0
	s_and_saveexec_b32 s94, s5
	s_cbranch_execnz .LBB58_47
; %bb.45:                               ;   in Loop: Header=BB58_7 Depth=1
	s_wait_alu 0xfffe
	s_or_b32 exec_lo, exec_lo, s94
	v_mov_b32_e32 v34, 0
	s_and_saveexec_b32 s9, s6
	s_cbranch_execnz .LBB58_50
.LBB58_46:                              ;   in Loop: Header=BB58_7 Depth=1
	s_wait_alu 0xfffe
	s_or_b32 exec_lo, exec_lo, s9
	s_and_saveexec_b32 s13, s7
	s_cbranch_execnz .LBB58_51
	s_branch .LBB58_56
.LBB58_47:                              ;   in Loop: Header=BB58_7 Depth=1
	v_mov_b32_e32 v6, v16
	s_mov_b32 s95, 0
	s_mov_b32 s96, 0
	;; [unrolled: 1-line block ×6, first 2 shown]
.LBB58_48:                              ;   Parent Loop BB58_7 Depth=1
                                        ; =>  This Inner Loop Header: Depth=2
	s_wait_alu 0xfffe
	v_add_nc_u32_e32 v1, s96, v25
	v_add_nc_u32_e32 v3, s96, v12
	;; [unrolled: 1-line block ×4, first 2 shown]
	s_add_co_i32 s96, s96, s83
	v_ashrrev_i32_e32 v2, 31, v1
	v_ashrrev_i32_e32 v4, 31, v3
	;; [unrolled: 1-line block ×4, first 2 shown]
	s_delay_alu instid0(VALU_DEP_4) | instskip(NEXT) | instid1(VALU_DEP_4)
	v_lshlrev_b64_e32 v[1:2], 1, v[1:2]
	v_lshlrev_b64_e32 v[3:4], 1, v[3:4]
	s_delay_alu instid0(VALU_DEP_4) | instskip(NEXT) | instid1(VALU_DEP_4)
	v_lshlrev_b64_e32 v[13:14], 1, v[13:14]
	v_lshlrev_b64_e32 v[34:35], 1, v[34:35]
	s_delay_alu instid0(VALU_DEP_4)
	v_add_co_u32 v1, vcc_lo, s60, v1
	s_wait_alu 0xfffd
	v_add_co_ci_u32_e64 v2, null, s61, v2, vcc_lo
	v_add_co_u32 v3, vcc_lo, s60, v3
	s_wait_alu 0xfffd
	v_add_co_ci_u32_e64 v4, null, s61, v4, vcc_lo
	;; [unrolled: 3-line block ×4, first 2 shown]
	s_clause 0x3
	global_load_u16 v1, v[1:2], off
	global_load_u16 v2, v[3:4], off
	;; [unrolled: 1-line block ×4, first 2 shown]
	s_wait_loadcnt 0x3
	v_cmp_lt_i16_e64 s9, -1, v1
	v_and_b32_e32 v13, 0xffff, v1
	s_wait_loadcnt 0x2
	v_and_b32_e32 v34, 0xffff, v2
	s_wait_loadcnt 0x1
	v_and_b32_e32 v36, 0xffff, v3
	v_cmp_o_f16_e64 s12, v1, v1
	s_wait_alu 0xf1ff
	v_cndmask_b32_e64 v14, 0xffff, v29, s9
	v_cmp_lt_i16_e64 s9, -1, v2
	s_wait_loadcnt 0x0
	v_and_b32_e32 v38, 0xffff, v4
	v_cmp_o_f16_e64 s10, v3, v3
	v_cmp_o_f16_e64 s11, v4, v4
	v_xor_b32_e32 v13, v14, v13
	s_wait_alu 0xf1ff
	v_cndmask_b32_e64 v35, 0xffff, v29, s9
	v_cmp_lt_i16_e64 s9, -1, v3
	s_delay_alu instid0(VALU_DEP_3) | instskip(NEXT) | instid1(VALU_DEP_3)
	v_cndmask_b32_e64 v1, 0xffff, v13, s12
	v_xor_b32_e32 v14, v35, v34
	s_wait_alu 0xf1ff
	s_delay_alu instid0(VALU_DEP_3) | instskip(SKIP_4) | instid1(VALU_DEP_3)
	v_cndmask_b32_e64 v37, 0xffff, v29, s9
	v_cmp_lt_i16_e64 s9, -1, v4
	v_and_b32_e32 v13, v1, v31
	v_bfe_u32 v1, v1, s93, 2
	s_wait_alu 0xf1ff
	v_cndmask_b32_e64 v39, 0xffff, v29, s9
	v_cmp_o_f16_e64 s9, v2, v2
	v_xor_b32_e32 v2, v37, v36
	v_cmp_eq_u32_e64 s13, 0, v1
	v_cmp_eq_u32_e64 s17, 1, v1
	v_xor_b32_e32 v3, v39, v38
	s_wait_alu 0xf1ff
	v_cndmask_b32_e64 v4, 0xffff, v14, s9
	v_cndmask_b32_e64 v2, 0xffff, v2, s10
	v_cmp_eq_u32_e64 s9, v13, v22
	v_cmp_eq_u32_e64 s21, 2, v1
	v_cndmask_b32_e64 v3, 0xffff, v3, s11
	v_and_b32_e32 v14, v4, v31
	v_bfe_u32 v4, v4, s93, 2
	v_and_b32_e32 v34, v2, v31
	v_bfe_u32 v2, v2, s93, 2
	;; [unrolled: 2-line block ×3, first 2 shown]
	v_cmp_eq_u32_e64 s10, v14, v22
	v_cmp_eq_u32_e64 s14, 0, v4
	;; [unrolled: 1-line block ×4, first 2 shown]
	s_and_b32 s13, s9, s13
	v_cmp_eq_u32_e64 s12, v35, v22
	v_cmp_eq_u32_e64 s16, 0, v3
	;; [unrolled: 1-line block ×3, first 2 shown]
	s_wait_alu 0xfffe
	v_cndmask_b32_e64 v1, 0, 1, s13
	s_and_b32 s13, s10, s14
	v_cmp_eq_u32_e64 s19, 1, v2
	v_cmp_eq_u32_e64 s23, 2, v2
	v_cmp_eq_u32_e64 s27, 3, v2
	s_wait_alu 0xfffe
	v_cndmask_b32_e64 v2, 0, 1, s13
	s_and_b32 s13, s11, s15
	v_cmp_eq_u32_e64 s18, 1, v4
	v_cmp_eq_u32_e64 s20, 1, v3
	;; [unrolled: 1-line block ×4, first 2 shown]
	s_wait_alu 0xfffe
	v_cndmask_b32_e64 v3, 0, 1, s13
	s_and_b32 s13, s12, s16
	v_cmp_eq_u32_e64 s22, 2, v4
	v_cmp_eq_u32_e64 s26, 3, v4
	s_wait_alu 0xfffe
	v_cndmask_b32_e64 v4, 0, 1, s13
	s_and_b32 s13, s9, s17
	s_wait_alu 0xfffe
	v_cndmask_b32_e64 v13, 0, 1, s13
	s_and_b32 s13, s10, s18
	;; [unrolled: 3-line block ×4, first 2 shown]
	v_cmp_ne_u32_e64 s14, 0, v14
	s_wait_alu 0xfffe
	v_cndmask_b32_e64 v35, 0, 1, s13
	s_and_b32 s13, s9, s21
	s_and_b32 s9, s9, s25
	s_wait_alu 0xfffe
	v_cndmask_b32_e64 v36, 0, 1, s13
	s_and_b32 s13, s10, s22
	v_cndmask_b32_e64 v40, 0, 1, s9
	s_and_b32 s9, s10, s26
	s_wait_alu 0xfffe
	v_cndmask_b32_e64 v37, 0, 1, s13
	s_and_b32 s13, s11, s23
	v_cndmask_b32_e64 v41, 0, 1, s9
	;; [unrolled: 5-line block ×3, first 2 shown]
	s_and_b32 s9, s12, s28
	s_wait_alu 0xfffe
	v_cndmask_b32_e64 v39, 0, 1, s13
	v_cndmask_b32_e64 v43, 0, 1, s9
	v_cmp_ne_u32_e64 s9, 0, v1
	v_cmp_ne_u32_e64 s13, 0, v13
	;; [unrolled: 1-line block ×8, first 2 shown]
	s_bcnt1_i32_b32 s9, s9
	s_bcnt1_i32_b32 s13, s13
	;; [unrolled: 1-line block ×3, first 2 shown]
	v_cmp_ne_u32_e64 s20, 0, v39
	v_cmp_ne_u32_e64 s22, 0, v41
	s_bcnt1_i32_b32 s10, s10
	s_bcnt1_i32_b32 s14, s14
	s_bcnt1_i32_b32 s18, s18
	s_wait_alu 0xfffe
	s_add_co_i32 s9, s9, s100
	s_add_co_i32 s13, s13, s99
	;; [unrolled: 1-line block ×3, first 2 shown]
	v_cmp_ne_u32_e64 s15, 0, v34
	v_cmp_ne_u32_e64 s23, 0, v42
	s_bcnt1_i32_b32 s11, s11
	s_bcnt1_i32_b32 s19, s19
	s_wait_alu 0xfffe
	s_add_co_i32 s9, s9, s10
	s_add_co_i32 s10, s13, s14
	;; [unrolled: 1-line block ×3, first 2 shown]
	s_bcnt1_i32_b32 s21, s21
	v_cmp_ne_u32_e64 s12, 0, v4
	v_cmp_ne_u32_e64 s16, 0, v35
	;; [unrolled: 1-line block ×3, first 2 shown]
	s_bcnt1_i32_b32 s20, s20
	s_wait_alu 0xfffe
	s_add_co_i32 s9, s9, s11
	s_add_co_i32 s11, s13, s19
	s_bcnt1_i32_b32 s22, s22
	s_add_co_i32 s21, s21, s97
	s_wait_alu 0xfffe
	s_add_co_i32 s98, s11, s20
	s_wait_alu 0xfffe
	v_dual_mov_b32 v3, s98 :: v_dual_add_nc_u32 v6, s51, v6
	s_bcnt1_i32_b32 s15, s15
	s_bcnt1_i32_b32 s23, s23
	s_add_co_i32 s14, s21, s22
	s_bcnt1_i32_b32 s12, s12
	s_bcnt1_i32_b32 s16, s16
	;; [unrolled: 1-line block ×3, first 2 shown]
	s_wait_alu 0xfffe
	s_add_co_i32 s10, s10, s15
	s_add_co_i32 s13, s14, s23
	v_cmp_le_i32_e32 vcc_lo, s81, v6
	s_add_co_i32 s100, s9, s12
	s_wait_alu 0xfffe
	s_add_co_i32 s99, s10, s16
	s_add_co_i32 s97, s13, s24
	s_wait_alu 0xfffe
	v_dual_mov_b32 v1, s100 :: v_dual_mov_b32 v2, s99
	v_mov_b32_e32 v4, s97
	s_or_b32 s95, vcc_lo, s95
	s_wait_alu 0xfffe
	s_and_not1_b32 exec_lo, exec_lo, s95
	s_cbranch_execnz .LBB58_48
; %bb.49:                               ;   in Loop: Header=BB58_7 Depth=1
	s_or_b32 exec_lo, exec_lo, s95
	s_delay_alu instid0(SALU_CYCLE_1)
	s_or_b32 exec_lo, exec_lo, s94
	v_mov_b32_e32 v34, 0
	s_and_saveexec_b32 s9, s6
	s_cbranch_execz .LBB58_46
.LBB58_50:                              ;   in Loop: Header=BB58_7 Depth=1
	global_load_u16 v34, v[10:11], off
	s_wait_alu 0xfffe
	s_or_b32 exec_lo, exec_lo, s9
	s_and_saveexec_b32 s13, s7
	s_cbranch_execz .LBB58_56
.LBB58_51:                              ;   in Loop: Header=BB58_7 Depth=1
	v_dual_mov_b32 v13, v26 :: v_dual_mov_b32 v6, v19
	s_mov_b32 s14, 0
	s_branch .LBB58_53
.LBB58_52:                              ;   in Loop: Header=BB58_53 Depth=2
	s_wait_alu 0xfffe
	s_or_b32 exec_lo, exec_lo, s9
	s_wait_loadcnt 0x0
	v_cmp_lt_i16_e32 vcc_lo, -1, v34
	v_and_b32_e32 v35, 0xffff, v34
	v_add_nc_u32_e32 v13, s73, v13
	s_wait_alu 0xfffd
	v_cndmask_b32_e32 v36, 0xffff, v29, vcc_lo
	v_cmp_o_f16_e32 vcc_lo, v34, v34
	s_delay_alu instid0(VALU_DEP_2) | instskip(SKIP_1) | instid1(VALU_DEP_1)
	v_xor_b32_e32 v35, v36, v35
	s_wait_alu 0xfffd
	v_cndmask_b32_e32 v34, 0xffff, v35, vcc_lo
	s_delay_alu instid0(VALU_DEP_1) | instskip(SKIP_1) | instid1(VALU_DEP_2)
	v_and_b32_e32 v35, v34, v31
	v_bfe_u32 v34, v34, s93, 2
	v_cmp_eq_u32_e32 vcc_lo, v35, v22
	s_delay_alu instid0(VALU_DEP_2)
	v_cmp_eq_u32_e64 s9, 0, v34
	v_cmp_eq_u32_e64 s10, 1, v34
	v_cmp_eq_u32_e64 s11, 2, v34
	v_cmp_eq_u32_e64 s12, 3, v34
	s_and_b32 s9, vcc_lo, s9
	s_wait_alu 0xfffe
	v_cndmask_b32_e64 v34, 0, 1, s9
	s_and_b32 s9, vcc_lo, s10
	s_wait_alu 0xfffe
	v_cndmask_b32_e64 v35, 0, 1, s9
	;; [unrolled: 3-line block ×3, first 2 shown]
	s_and_b32 s9, vcc_lo, s12
	v_cmp_ne_u32_e32 vcc_lo, 0, v34
	s_wait_alu 0xfffe
	v_cndmask_b32_e64 v37, 0, 1, s9
	v_cmp_ne_u32_e64 s9, 0, v35
	v_cmp_ne_u32_e64 s10, 0, v36
	v_cmp_le_i32_e64 s12, s36, v6
	s_bcnt1_i32_b32 s15, vcc_lo
	v_cmp_ne_u32_e64 s11, 0, v37
	s_bcnt1_i32_b32 s9, s9
	s_bcnt1_i32_b32 s10, s10
	s_wait_alu 0xfffe
	v_add_nc_u32_e32 v1, s15, v1
	v_add_nc_u32_e32 v2, s9, v2
	s_bcnt1_i32_b32 s11, s11
	v_add_nc_u32_e32 v3, s10, v3
	s_wait_alu 0xfffe
	v_add_nc_u32_e32 v4, s11, v4
	v_mov_b32_e32 v34, v14
	s_or_b32 s14, s12, s14
	s_wait_alu 0xfffe
	s_and_not1_b32 exec_lo, exec_lo, s14
	s_cbranch_execz .LBB58_55
.LBB58_53:                              ;   Parent Loop BB58_7 Depth=1
                                        ; =>  This Inner Loop Header: Depth=2
	s_delay_alu instid0(VALU_DEP_1) | instskip(SKIP_2) | instid1(VALU_DEP_2)
	v_add_nc_u32_e32 v6, s49, v6
	v_mov_b32_e32 v14, 0
	s_mov_b32 s9, exec_lo
	v_cmpx_gt_u32_e64 s36, v6
	s_cbranch_execz .LBB58_52
; %bb.54:                               ;   in Loop: Header=BB58_53 Depth=2
	v_ashrrev_i32_e32 v14, 31, v13
	s_delay_alu instid0(VALU_DEP_1) | instskip(NEXT) | instid1(VALU_DEP_1)
	v_lshlrev_b64_e32 v[35:36], 1, v[13:14]
	v_add_co_u32 v35, vcc_lo, s60, v35
	s_wait_alu 0xfffd
	s_delay_alu instid0(VALU_DEP_2)
	v_add_co_ci_u32_e64 v36, null, s61, v36, vcc_lo
	global_load_u16 v14, v[35:36], off
	s_branch .LBB58_52
.LBB58_55:                              ;   in Loop: Header=BB58_7 Depth=1
	s_or_b32 exec_lo, exec_lo, s14
.LBB58_56:                              ;   in Loop: Header=BB58_7 Depth=1
	s_wait_alu 0xfffe
	s_or_b32 exec_lo, exec_lo, s13
	s_branch .LBB58_36
.LBB58_57:                              ;   in Loop: Header=BB58_7 Depth=1
	s_mul_u64 s[10:11], s[58:59], s[62:63]
	v_dual_mov_b32 v1, 0 :: v_dual_mov_b32 v2, 0
	s_wait_alu 0xfffe
	s_mul_i32 s9, s11, s51
	v_dual_mov_b32 v3, 0 :: v_dual_mov_b32 v4, 0
	s_wait_alu 0xfffe
	s_sub_co_i32 s9, s58, s9
	s_mov_b32 s24, exec_lo
	s_wait_alu 0xfffe
	s_sub_co_i32 s10, s9, s51
	s_cmp_ge_u32 s9, s51
	s_wait_alu 0xfffe
	s_cselect_b32 s9, s10, s9
	s_wait_alu 0xfffe
	s_sub_co_i32 s10, s9, s51
	s_cmp_ge_u32 s9, s51
	s_wait_alu 0xfffe
	s_cselect_b32 s9, s10, s9
	s_wait_alu 0xfffe
	s_sub_co_i32 s23, s58, s9
	s_wait_alu 0xfffe
	v_cmpx_gt_u32_e64 s23, v16
	s_cbranch_execz .LBB58_61
; %bb.58:                               ;   in Loop: Header=BB58_7 Depth=1
	v_dual_mov_b32 v6, v27 :: v_dual_mov_b32 v13, v16
	s_mov_b32 s25, 0
	s_mov_b32 s26, 0
	;; [unrolled: 1-line block ×5, first 2 shown]
.LBB58_59:                              ;   Parent Loop BB58_7 Depth=1
                                        ; =>  This Inner Loop Header: Depth=2
	ds_load_b64 v[1:2], v6
	s_wait_dscnt 0x0
	v_cmp_lt_i16_e64 s9, -1, v1
	v_lshrrev_b32_e32 v3, 16, v1
	v_lshrrev_b32_e32 v36, 16, v2
	v_and_b32_e32 v4, 0xffff, v1
	s_wait_loadcnt 0x0
	v_and_b32_e32 v34, 0xffff, v2
	s_wait_alu 0xf1ff
	v_cndmask_b32_e64 v14, 0xffff, v29, s9
	v_cmp_lt_i16_e64 s9, -1, v2
	v_cmp_lt_i16_e64 s10, -1, v36
	s_delay_alu instid0(VALU_DEP_3) | instskip(SKIP_1) | instid1(VALU_DEP_3)
	v_xor_b32_e32 v4, v14, v4
	s_wait_alu 0xf1ff
	v_cndmask_b32_e64 v35, 0xffff, v29, s9
	v_cmp_lt_i16_e64 s9, -1, v3
	s_delay_alu instid0(VALU_DEP_2) | instskip(SKIP_1) | instid1(VALU_DEP_2)
	v_xor_b32_e32 v34, v35, v34
	s_wait_alu 0xf1ff
	v_cndmask_b32_e64 v14, 0xffff, v29, s9
	v_cmp_o_f16_e64 s9, v2, v2
	v_cndmask_b32_e64 v2, 0xffff, v29, s10
	v_cmp_o_f16_e64 s10, v1, v1
	s_delay_alu instid0(VALU_DEP_2) | instskip(SKIP_1) | instid1(VALU_DEP_2)
	v_xor_b32_e32 v2, v2, v36
	s_wait_alu 0xf1ff
	v_cndmask_b32_e64 v1, 0xffff, v4, s10
	v_xor_b32_e32 v4, v14, v3
	v_cmp_o_f16_e64 s10, v3, v3
	v_cndmask_b32_e64 v14, 0xffff, v34, s9
	v_cmp_o_f16_e64 s9, v36, v36
	s_wait_alu 0xf1ff
	s_delay_alu instid0(VALU_DEP_3)
	v_cndmask_b32_e64 v3, 0xffff, v4, s10
	v_and_b32_e32 v4, v1, v31
	v_bfe_u32 v1, v1, s93, 2
	v_and_b32_e32 v34, v14, v31
	v_bfe_u32 v14, v14, s93, 2
	v_cndmask_b32_e64 v2, 0xffff, v2, s9
	v_cmp_eq_u32_e64 s9, v4, v22
	v_cmp_eq_u32_e64 s11, 0, v1
	v_cmp_eq_u32_e64 s10, v34, v22
	v_cmp_eq_u32_e64 s12, 0, v14
	v_and_b32_e32 v4, v3, v31
	v_and_b32_e32 v34, v2, v31
	v_bfe_u32 v3, v3, s93, 2
	v_bfe_u32 v2, v2, s93, 2
	v_cmp_eq_u32_e64 s13, 1, v1
	v_cmp_eq_u32_e64 s15, 2, v1
	s_and_b32 s11, s9, s11
	v_cmp_eq_u32_e64 s14, 1, v14
	v_cmp_eq_u32_e64 s16, 2, v14
	;; [unrolled: 1-line block ×3, first 2 shown]
	s_wait_alu 0xfffe
	v_cndmask_b32_e64 v1, 0, 1, s11
	s_and_b32 s11, s10, s12
	v_cmp_eq_u32_e64 s18, 3, v14
	v_cmp_eq_u32_e64 s19, v4, v22
	;; [unrolled: 1-line block ×5, first 2 shown]
	s_wait_alu 0xfffe
	v_cndmask_b32_e64 v4, 0, 1, s11
	v_cmp_eq_u32_e64 s11, 1, v3
	s_and_b32 s13, s9, s13
	s_and_b32 s15, s9, s15
	s_wait_alu 0xfffe
	v_cndmask_b32_e64 v14, 0, 1, s13
	s_and_b32 s13, s10, s14
	v_cndmask_b32_e64 v35, 0, 1, s15
	s_and_b32 s15, s10, s16
	s_and_b32 s9, s9, s17
	v_cmp_eq_u32_e64 s12, 1, v2
	s_wait_alu 0xfffe
	v_cndmask_b32_e64 v34, 0, 1, s13
	v_cmp_eq_u32_e64 s13, 2, v3
	v_cmp_eq_u32_e64 s14, 2, v2
	v_cndmask_b32_e64 v36, 0, 1, s15
	v_cmp_eq_u32_e64 s15, 3, v3
	v_cmp_eq_u32_e64 s16, 3, v2
	v_cndmask_b32_e64 v2, 0, 1, s9
	s_and_b32 s9, s10, s18
	s_and_b32 s10, s19, s21
	s_and_b32 s17, s20, s22
	s_and_b32 s11, s19, s11
	s_wait_alu 0xfffe
	v_cndmask_b32_e64 v3, 0, 1, s9
	v_cmp_ne_u32_e64 s9, 0, v1
	v_cndmask_b32_e64 v1, 0, 1, s10
	v_cmp_ne_u32_e64 s10, 0, v4
	;; [unrolled: 2-line block ×3, first 2 shown]
	v_cndmask_b32_e64 v14, 0, 1, s11
	s_and_b32 s12, s20, s12
	s_and_b32 s13, s19, s13
	;; [unrolled: 1-line block ×5, first 2 shown]
	v_cmp_ne_u32_e64 s11, 0, v34
	s_wait_alu 0xfffe
	v_cndmask_b32_e64 v34, 0, 1, s12
	v_cmp_ne_u32_e64 s12, 0, v35
	v_cndmask_b32_e64 v35, 0, 1, s13
	v_cmp_ne_u32_e64 s13, 0, v36
	;; [unrolled: 2-line block ×5, first 2 shown]
	s_bcnt1_i32_b32 s17, s17
	s_bcnt1_i32_b32 s20, s11
	v_cmp_ne_u32_e64 s11, 0, v34
	s_bcnt1_i32_b32 s18, s9
	v_cmp_ne_u32_e64 s9, 0, v1
	;; [unrolled: 2-line block ×4, first 2 shown]
	s_wait_alu 0xfffe
	s_add_co_i32 s17, s17, s28
	s_bcnt1_i32_b32 s16, s16
	s_bcnt1_i32_b32 s19, s10
	s_wait_alu 0xfffe
	s_add_co_i32 s16, s17, s16
	v_cmp_ne_u32_e64 s10, 0, v4
	s_bcnt1_i32_b32 s22, s13
	v_cmp_ne_u32_e64 s13, 0, v36
	s_bcnt1_i32_b32 s96, s15
	;; [unrolled: 2-line block ×3, first 2 shown]
	s_wait_alu 0xfffe
	s_add_co_i32 s16, s16, s20
	s_add_co_i32 s18, s18, s94
	;; [unrolled: 1-line block ×4, first 2 shown]
	s_bcnt1_i32_b32 s9, s9
	s_bcnt1_i32_b32 s12, s12
	;; [unrolled: 1-line block ×3, first 2 shown]
	s_wait_alu 0xfffe
	s_add_co_i32 s28, s16, s11
	s_wait_alu 0xfffe
	v_dual_mov_b32 v2, s28 :: v_dual_add_nc_u32 v13, s51, v13
	s_add_co_i32 s9, s18, s9
	s_add_co_i32 s12, s21, s12
	;; [unrolled: 1-line block ×3, first 2 shown]
	s_bcnt1_i32_b32 s10, s10
	s_bcnt1_i32_b32 s13, s13
	;; [unrolled: 1-line block ×3, first 2 shown]
	s_wait_alu 0xfffe
	s_add_co_i32 s9, s9, s19
	s_add_co_i32 s12, s12, s22
	;; [unrolled: 1-line block ×3, first 2 shown]
	v_cmp_le_i32_e32 vcc_lo, s23, v13
	s_wait_alu 0xfffe
	s_add_co_i32 s94, s9, s10
	s_add_co_i32 s27, s12, s13
	;; [unrolled: 1-line block ×3, first 2 shown]
	s_wait_alu 0xfffe
	v_dual_mov_b32 v1, s94 :: v_dual_add_nc_u32 v6, s84, v6
	v_dual_mov_b32 v3, s27 :: v_dual_mov_b32 v4, s26
	s_or_b32 s25, vcc_lo, s25
	s_wait_alu 0xfffe
	s_and_not1_b32 exec_lo, exec_lo, s25
	s_cbranch_execnz .LBB58_59
; %bb.60:                               ;   in Loop: Header=BB58_7 Depth=1
	s_or_b32 exec_lo, exec_lo, s25
.LBB58_61:                              ;   in Loop: Header=BB58_7 Depth=1
	s_delay_alu instid0(SALU_CYCLE_1) | instskip(SKIP_2) | instid1(VALU_DEP_1)
	s_or_b32 exec_lo, exec_lo, s24
	v_add_nc_u32_e32 v6, s23, v0
	s_mov_b32 s14, exec_lo
	v_cmpx_gt_i32_e64 s58, v6
	s_cbranch_execz .LBB58_65
; %bb.62:                               ;   in Loop: Header=BB58_7 Depth=1
	v_lshlrev_b32_e32 v13, 1, v6
	s_mov_b32 s15, 0
.LBB58_63:                              ;   Parent Loop BB58_7 Depth=1
                                        ; =>  This Inner Loop Header: Depth=2
	ds_load_u16 v14, v13
	v_add_nc_u32_e32 v6, s49, v6
	v_add_nc_u32_e32 v13, s85, v13
	s_delay_alu instid0(VALU_DEP_2)
	v_cmp_le_i32_e32 vcc_lo, s58, v6
	s_wait_dscnt 0x0
	v_cmp_lt_i16_e64 s9, -1, v14
	s_wait_loadcnt 0x0
	v_and_b32_e32 v34, 0xffff, v14
	s_wait_alu 0xf1ff
	s_delay_alu instid0(VALU_DEP_2) | instskip(SKIP_1) | instid1(VALU_DEP_2)
	v_cndmask_b32_e64 v35, 0xffff, v29, s9
	v_cmp_o_f16_e64 s9, v14, v14
	v_xor_b32_e32 v34, v35, v34
	s_wait_alu 0xf1ff
	s_delay_alu instid0(VALU_DEP_1) | instskip(NEXT) | instid1(VALU_DEP_1)
	v_cndmask_b32_e64 v14, 0xffff, v34, s9
	v_and_b32_e32 v34, v14, v31
	v_bfe_u32 v14, v14, s93, 2
	s_delay_alu instid0(VALU_DEP_2) | instskip(NEXT) | instid1(VALU_DEP_2)
	v_cmp_eq_u32_e64 s9, v34, v22
	v_cmp_eq_u32_e64 s10, 0, v14
	;; [unrolled: 1-line block ×5, first 2 shown]
	s_and_b32 s10, s9, s10
	s_wait_alu 0xfffe
	v_cndmask_b32_e64 v14, 0, 1, s10
	s_and_b32 s10, s9, s11
	s_wait_alu 0xfffe
	v_cndmask_b32_e64 v34, 0, 1, s10
	s_and_b32 s10, s9, s12
	s_and_b32 s9, s9, s13
	s_wait_alu 0xfffe
	v_cndmask_b32_e64 v35, 0, 1, s10
	v_cndmask_b32_e64 v36, 0, 1, s9
	v_cmp_ne_u32_e64 s9, 0, v14
	v_cmp_ne_u32_e64 s10, 0, v34
	s_delay_alu instid0(VALU_DEP_4) | instskip(NEXT) | instid1(VALU_DEP_4)
	v_cmp_ne_u32_e64 s11, 0, v35
	v_cmp_ne_u32_e64 s12, 0, v36
	s_bcnt1_i32_b32 s9, s9
	s_bcnt1_i32_b32 s10, s10
	s_wait_alu 0xfffe
	v_add_nc_u32_e32 v1, s9, v1
	s_bcnt1_i32_b32 s11, s11
	s_bcnt1_i32_b32 s12, s12
	v_add_nc_u32_e32 v2, s10, v2
	s_wait_alu 0xfffe
	v_add_nc_u32_e32 v3, s11, v3
	v_add_nc_u32_e32 v4, s12, v4
	s_or_b32 s15, vcc_lo, s15
	s_wait_alu 0xfffe
	s_and_not1_b32 exec_lo, exec_lo, s15
	s_cbranch_execnz .LBB58_63
; %bb.64:                               ;   in Loop: Header=BB58_7 Depth=1
	s_or_b32 exec_lo, exec_lo, s15
.LBB58_65:                              ;   in Loop: Header=BB58_7 Depth=1
	s_wait_alu 0xfffe
	s_or_b32 exec_lo, exec_lo, s14
	v_lshlrev_b32_e32 v6, 7, v30
	s_and_saveexec_b32 s9, s0
	s_cbranch_execnz .LBB58_37
	s_branch .LBB58_38
.LBB58_66:                              ;   in Loop: Header=BB58_7 Depth=1
	s_or_b32 exec_lo, exec_lo, s12
	s_wait_dscnt 0x0
	s_barrier_signal -1
	s_barrier_wait -1
	global_inv scope:SCOPE_SE
	s_and_saveexec_b32 s9, s2
	s_cbranch_execz .LBB58_68
; %bb.67:                               ;   in Loop: Header=BB58_7 Depth=1
	ds_load_b32 v1, v7 offset:4104
	s_wait_dscnt 0x0
	ds_store_b32 v7, v1 offset:4096
.LBB58_68:                              ;   in Loop: Header=BB58_7 Depth=1
	s_wait_alu 0xfffe
	s_or_b32 exec_lo, exec_lo, s9
	s_wait_loadcnt_dscnt 0x0
	s_barrier_signal -1
	s_mov_b32 s9, -1
	s_barrier_wait -1
	s_and_b32 vcc_lo, exec_lo, s10
	s_wait_alu 0xfffe
	s_cbranch_vccnz .LBB58_22
	s_branch .LBB58_32
.LBB58_69:                              ;   in Loop: Header=BB58_7 Depth=1
	v_mov_b32_e32 v1, 0
	s_mov_b32 s10, 0
	s_and_not1_b32 vcc_lo, exec_lo, s80
	s_wait_alu 0xfffe
	s_cbranch_vccnz .LBB58_72
.LBB58_70:                              ;   in Loop: Header=BB58_7 Depth=1
	v_lshlrev_b32_e32 v2, 9, v30
	s_lshl_b32 s10, s10, 4
	s_wait_alu 0xfffe
	s_delay_alu instid0(VALU_DEP_1)
	v_add3_u32 v2, v2, s10, v28
	s_mov_b32 s10, s77
.LBB58_71:                              ;   Parent Loop BB58_7 Depth=1
                                        ; =>  This Inner Loop Header: Depth=2
	ds_load_b32 v3, v2
	v_add_nc_u32_e32 v2, 16, v2
	s_wait_alu 0xfffe
	s_add_co_i32 s10, s10, -1
	s_wait_alu 0xfffe
	s_cmp_lg_u32 s10, 0
	s_wait_dscnt 0x0
	v_add_nc_u32_e32 v1, v3, v1
	s_cbranch_scc1 .LBB58_71
.LBB58_72:                              ;   in Loop: Header=BB58_7 Depth=1
	v_add_lshl_u32 v2, v6, v15, 2
	ds_store_b32 v2, v1 offset:3072
.LBB58_73:                              ;   in Loop: Header=BB58_7 Depth=1
	s_wait_alu 0xfffe
	s_or_b32 exec_lo, exec_lo, s9
	v_lshlrev_b32_e32 v1, 2, v6
	s_wait_loadcnt_dscnt 0x0
	s_barrier_signal -1
	s_barrier_wait -1
	global_inv scope:SCOPE_SE
	ds_load_b128 v[1:4], v1 offset:3072
	s_lshl_b32 s10, 3, s93
	v_cmp_eq_u32_e32 vcc_lo, 1, v33
	s_wait_alu 0xfffe
	s_not_b32 s17, s10
	s_mov_b32 s13, -1
	s_mov_b32 s15, -1
                                        ; implicit-def: $sgpr20
                                        ; implicit-def: $sgpr18
	s_wait_dscnt 0x0
	v_readfirstlane_b32 s12, v1
	v_readfirstlane_b32 s19, v2
	;; [unrolled: 1-line block ×4, first 2 shown]
	s_cmp_eq_u32 s12, 1
	s_cselect_b32 s11, -1, 0
	s_wait_alu 0xfffe
	s_and_b32 s14, s11, vcc_lo
	s_wait_alu 0xfffe
	s_and_saveexec_b32 s11, s14
	s_cbranch_execz .LBB58_101
; %bb.74:                               ;   in Loop: Header=BB58_7 Depth=1
	ds_load_b32 v1, v7 offset:4096
	s_wait_loadcnt_dscnt 0x0
	s_barrier_signal -1
	s_barrier_wait -1
	global_inv scope:SCOPE_SE
	v_readfirstlane_b32 s15, v1
	s_and_saveexec_b32 s18, s1
; %bb.75:                               ;   in Loop: Header=BB58_7 Depth=1
	ds_store_b16 v18, v7
; %bb.76:                               ;   in Loop: Header=BB58_7 Depth=1
	s_wait_alu 0xfffe
	s_or_b32 exec_lo, exec_lo, s18
	v_and_b32_e32 v22, s17, v22
	v_or_b32_e32 v31, s10, v31
	s_mov_b32 s18, -1
	s_mov_b32 s20, 0
	s_cmp_lt_i32 s15, 1
	s_mov_b32 s21, 0
	s_mov_b32 s22, -1
	s_wait_loadcnt_dscnt 0x0
	s_barrier_signal -1
	s_barrier_wait -1
	global_inv scope:SCOPE_SE
                                        ; implicit-def: $vgpr32
	s_cbranch_scc0 .LBB58_88
; %bb.77:                               ;   in Loop: Header=BB58_7 Depth=1
	s_mov_b32 s22, 0
                                        ; implicit-def: $vgpr32
	s_and_saveexec_b32 s23, s8
	s_cbranch_execz .LBB58_87
; %bb.78:                               ;   in Loop: Header=BB58_7 Depth=1
	v_mov_b32_e32 v1, v5
	v_mov_b32_e32 v3, v0
                                        ; implicit-def: $sgpr24
	s_branch .LBB58_82
.LBB58_79:                              ;   in Loop: Header=BB58_82 Depth=2
	s_wait_alu 0xfffe
	s_or_b32 exec_lo, exec_lo, s25
	s_wait_loadcnt_dscnt 0x0
	s_barrier_signal -1
	s_barrier_wait -1
	global_inv scope:SCOPE_SE
	ds_load_b32 v2, v7 offset:3072
	s_wait_loadcnt_dscnt 0x0
	s_barrier_signal -1
	s_barrier_wait -1
	global_inv scope:SCOPE_SE
	v_cmp_neq_f16_e32 vcc_lo, 0, v2
	s_cbranch_vccnz .LBB58_85
; %bb.80:                               ;   in Loop: Header=BB58_82 Depth=2
	v_add_nc_u32_e32 v3, s49, v3
	v_add_nc_u32_e32 v1, s73, v1
	s_mov_b32 s25, 0
	s_delay_alu instid0(VALU_DEP_2)
	v_cmp_le_i32_e32 vcc_lo, s82, v3
	s_or_not1_b32 s26, vcc_lo, exec_lo
.LBB58_81:                              ;   in Loop: Header=BB58_82 Depth=2
	s_wait_alu 0xfffe
	s_and_b32 s26, exec_lo, s26
	s_wait_alu 0xfffe
	s_or_b32 s21, s26, s21
	s_and_not1_b32 s24, s24, exec_lo
	s_and_b32 s25, s25, exec_lo
	s_wait_alu 0xfffe
	s_or_b32 s24, s24, s25
	s_and_not1_b32 exec_lo, exec_lo, s21
	s_cbranch_execz .LBB58_86
.LBB58_82:                              ;   Parent Loop BB58_7 Depth=1
                                        ; =>  This Inner Loop Header: Depth=2
	s_mov_b32 s25, exec_lo
	s_delay_alu instid0(VALU_DEP_1)
	v_cmpx_gt_i32_e64 s36, v3
	s_cbranch_execz .LBB58_79
; %bb.83:                               ;   in Loop: Header=BB58_82 Depth=2
	v_ashrrev_i32_e32 v2, 31, v1
	s_delay_alu instid0(VALU_DEP_1) | instskip(NEXT) | instid1(VALU_DEP_1)
	v_lshlrev_b64_e32 v[13:14], 1, v[1:2]
	v_add_co_u32 v13, vcc_lo, s60, v13
	s_wait_alu 0xfffd
	s_delay_alu instid0(VALU_DEP_2)
	v_add_co_ci_u32_e64 v14, null, s61, v14, vcc_lo
	global_load_u16 v2, v[13:14], off
	s_wait_loadcnt 0x0
	v_cmp_lt_i16_e32 vcc_lo, -1, v2
	v_and_b32_e32 v4, 0xffff, v2
	s_wait_alu 0xfffd
	v_cndmask_b32_e32 v6, 0xffff, v29, vcc_lo
	v_cmp_o_f16_e32 vcc_lo, v2, v2
	s_delay_alu instid0(VALU_DEP_2) | instskip(SKIP_1) | instid1(VALU_DEP_1)
	v_xor_b32_e32 v4, v6, v4
	s_wait_alu 0xfffd
	v_cndmask_b32_e32 v4, 0xffff, v4, vcc_lo
	s_delay_alu instid0(VALU_DEP_1) | instskip(NEXT) | instid1(VALU_DEP_1)
	v_and_b32_e32 v4, v4, v31
	v_cmp_eq_u32_e32 vcc_lo, v4, v22
	s_and_b32 exec_lo, exec_lo, vcc_lo
	s_cbranch_execz .LBB58_79
; %bb.84:                               ;   in Loop: Header=BB58_82 Depth=2
	v_perm_b32 v2, v2, s86, 0x5040100
	ds_store_b32 v7, v2 offset:3072
	s_branch .LBB58_79
.LBB58_85:                              ;   in Loop: Header=BB58_82 Depth=2
	s_mov_b32 s26, -1
	s_mov_b32 s25, -1
                                        ; implicit-def: $vgpr3
                                        ; implicit-def: $vgpr1
	s_branch .LBB58_81
.LBB58_86:                              ;   in Loop: Header=BB58_7 Depth=1
	s_or_b32 exec_lo, exec_lo, s21
	v_lshrrev_b32_e32 v32, 16, v2
	s_wait_alu 0xfffe
	s_and_b32 s21, s24, exec_lo
.LBB58_87:                              ;   in Loop: Header=BB58_7 Depth=1
	s_wait_alu 0xfffe
	s_or_b32 exec_lo, exec_lo, s23
.LBB58_88:                              ;   in Loop: Header=BB58_7 Depth=1
	s_wait_alu 0xfffe
	s_and_b32 vcc_lo, exec_lo, s22
	s_wait_alu 0xfffe
	s_cbranch_vccz .LBB58_100
; %bb.89:                               ;   in Loop: Header=BB58_7 Depth=1
	s_add_co_i32 s20, s15, s56
                                        ; implicit-def: $vgpr32
	s_wait_alu 0xfffe
	s_abs_i32 s58, s20
	s_wait_alu 0xfffe
	s_mul_u64 s[22:23], s[58:59], s[64:65]
	s_ashr_i32 s22, s20, 31
	s_wait_alu 0xfffe
	s_mul_i32 s18, s23, s49
	s_wait_alu 0xfffe
	s_sub_co_i32 s18, s58, s18
	s_wait_alu 0xfffe
	s_sub_co_i32 s23, s18, s49
	s_cmp_ge_u32 s18, s49
	s_wait_alu 0xfffe
	s_cselect_b32 s18, s23, s18
	s_wait_alu 0xfffe
	s_sub_co_i32 s23, s18, s49
	s_cmp_ge_u32 s18, s49
	s_wait_alu 0xfffe
	s_cselect_b32 s18, s23, s18
	s_wait_alu 0xfffe
	s_xor_b32 s18, s18, s22
	s_wait_alu 0xfffe
	s_sub_co_i32 s18, s22, s18
	s_wait_alu 0xfffe
	s_add_co_i32 s20, s20, s18
	s_mov_b32 s18, exec_lo
	s_wait_alu 0xfffe
	v_cmpx_gt_i32_e64 s20, v0
	s_cbranch_execz .LBB58_99
; %bb.90:                               ;   in Loop: Header=BB58_7 Depth=1
	v_dual_mov_b32 v1, v17 :: v_dual_mov_b32 v2, v0
	s_mov_b32 s22, 0
                                        ; implicit-def: $sgpr23
	s_branch .LBB58_94
.LBB58_91:                              ;   in Loop: Header=BB58_94 Depth=2
	s_wait_alu 0xfffe
	s_or_b32 exec_lo, exec_lo, s24
	s_wait_loadcnt_dscnt 0x0
	s_barrier_signal -1
	s_barrier_wait -1
	global_inv scope:SCOPE_SE
	ds_load_b32 v3, v7 offset:3072
	s_wait_loadcnt_dscnt 0x0
	s_barrier_signal -1
	s_barrier_wait -1
	global_inv scope:SCOPE_SE
	v_cmp_neq_f16_e32 vcc_lo, 0, v3
	s_cbranch_vccnz .LBB58_97
; %bb.92:                               ;   in Loop: Header=BB58_94 Depth=2
	v_add_nc_u32_e32 v2, s49, v2
	v_add_nc_u32_e32 v1, s85, v1
	s_mov_b32 s24, 0
	s_delay_alu instid0(VALU_DEP_2)
	v_cmp_le_i32_e32 vcc_lo, s20, v2
	s_or_not1_b32 s25, vcc_lo, exec_lo
.LBB58_93:                              ;   in Loop: Header=BB58_94 Depth=2
	s_wait_alu 0xfffe
	s_and_b32 s25, exec_lo, s25
	s_wait_alu 0xfffe
	s_or_b32 s22, s25, s22
	s_and_not1_b32 s23, s23, exec_lo
	s_and_b32 s24, s24, exec_lo
	s_wait_alu 0xfffe
	s_or_b32 s23, s23, s24
	s_and_not1_b32 exec_lo, exec_lo, s22
	s_cbranch_execz .LBB58_98
.LBB58_94:                              ;   Parent Loop BB58_7 Depth=1
                                        ; =>  This Inner Loop Header: Depth=2
	s_mov_b32 s24, exec_lo
	s_delay_alu instid0(VALU_DEP_1)
	v_cmpx_gt_i32_e64 s15, v2
	s_cbranch_execz .LBB58_91
; %bb.95:                               ;   in Loop: Header=BB58_94 Depth=2
	ds_load_u16 v3, v1
	s_wait_dscnt 0x0
	v_cmp_lt_i16_e32 vcc_lo, -1, v3
	v_and_b32_e32 v4, 0xffff, v3
	s_wait_alu 0xfffd
	v_cndmask_b32_e32 v6, 0xffff, v29, vcc_lo
	v_cmp_o_f16_e32 vcc_lo, v3, v3
	s_delay_alu instid0(VALU_DEP_2) | instskip(SKIP_1) | instid1(VALU_DEP_1)
	v_xor_b32_e32 v4, v6, v4
	s_wait_alu 0xfffd
	v_cndmask_b32_e32 v4, 0xffff, v4, vcc_lo
	s_delay_alu instid0(VALU_DEP_1) | instskip(NEXT) | instid1(VALU_DEP_1)
	v_and_b32_e32 v4, v4, v31
	v_cmp_eq_u32_e32 vcc_lo, v4, v22
	s_and_b32 exec_lo, exec_lo, vcc_lo
	s_cbranch_execz .LBB58_91
; %bb.96:                               ;   in Loop: Header=BB58_94 Depth=2
	v_perm_b32 v3, v3, s86, 0x5040100
	ds_store_b32 v7, v3 offset:3072
	s_branch .LBB58_91
.LBB58_97:                              ;   in Loop: Header=BB58_94 Depth=2
	s_mov_b32 s25, -1
	s_mov_b32 s24, -1
                                        ; implicit-def: $vgpr2
                                        ; implicit-def: $vgpr1
	s_branch .LBB58_93
.LBB58_98:                              ;   in Loop: Header=BB58_7 Depth=1
	s_or_b32 exec_lo, exec_lo, s22
	s_delay_alu instid0(SALU_CYCLE_1)
	s_and_not1_b32 s15, s21, exec_lo
	s_wait_alu 0xfffe
	s_and_b32 s20, s23, exec_lo
	v_lshrrev_b32_e32 v32, 16, v3
	s_wait_alu 0xfffe
	s_or_b32 s21, s15, s20
.LBB58_99:                              ;   in Loop: Header=BB58_7 Depth=1
	s_or_b32 exec_lo, exec_lo, s18
	s_mov_b32 s18, 0
	s_mov_b32 s20, -1
.LBB58_100:                             ;   in Loop: Header=BB58_7 Depth=1
	s_wait_alu 0xfffe
	s_or_not1_b32 s15, s21, exec_lo
.LBB58_101:                             ;   in Loop: Header=BB58_7 Depth=1
	s_wait_alu 0xfffe
	s_or_b32 exec_lo, exec_lo, s11
	v_readfirstlane_b32 s21, v0
	s_and_not1_b32 s11, s91, exec_lo
	s_and_b32 s20, s20, exec_lo
	s_and_not1_b32 s22, s89, exec_lo
	s_and_b32 s18, s18, exec_lo
	s_and_not1_b32 s88, s88, exec_lo
	s_wait_alu 0xfffe
	s_or_b32 s91, s11, s20
	s_or_b32 s89, s22, s18
                                        ; implicit-def: $vgpr4
	s_and_saveexec_b32 s11, s15
	s_cbranch_execz .LBB58_6
; %bb.102:                              ;   in Loop: Header=BB58_7 Depth=1
	v_dual_mov_b32 v4, 1 :: v_dual_mov_b32 v3, 1
	s_xor_b32 s14, s14, -1
	s_mov_b32 s20, 0
	s_wait_alu 0xfffe
	s_and_saveexec_b32 s13, s14
	s_cbranch_execz .LBB58_111
; %bb.103:                              ;   in Loop: Header=BB58_7 Depth=1
	s_mov_b32 s14, exec_lo
	v_cmpx_ge_i32_e64 s12, v33
	s_wait_alu 0xfffe
	s_xor_b32 s14, exec_lo, s14
	s_cbranch_execz .LBB58_108
; %bb.104:                              ;   in Loop: Header=BB58_7 Depth=1
	ds_load_b32 v1, v7 offset:4096
	v_and_b32_e32 v22, s17, v22
	v_or_b32_e32 v31, s10, v31
	s_wait_dscnt 0x0
	v_cmp_ne_u32_e32 vcc_lo, 0, v1
	s_cbranch_vccnz .LBB58_108
; %bb.105:                              ;   in Loop: Header=BB58_7 Depth=1
	s_and_saveexec_b32 s15, s2
; %bb.106:                              ;   in Loop: Header=BB58_7 Depth=1
	v_mov_b32_e32 v1, s12
	ds_store_b32 v7, v1 offset:4100
; %bb.107:                              ;   in Loop: Header=BB58_7 Depth=1
	s_wait_alu 0xfffe
	s_or_b32 exec_lo, exec_lo, s15
	s_wait_loadcnt_dscnt 0x0
	s_barrier_signal -1
	s_barrier_wait -1
	global_inv scope:SCOPE_SE
.LBB58_108:                             ;   in Loop: Header=BB58_7 Depth=1
	s_wait_alu 0xfffe
	s_or_saveexec_b32 s14, s14
	v_mov_b32_e32 v3, 8
	s_mov_b32 s15, 0
	s_wait_alu 0xfffe
	s_xor_b32 exec_lo, exec_lo, s14
; %bb.109:                              ;   in Loop: Header=BB58_7 Depth=1
	v_subrev_nc_u32_e32 v33, s12, v33
	v_mov_b32_e32 v3, 0
	s_mov_b32 s15, exec_lo
; %bb.110:                              ;   in Loop: Header=BB58_7 Depth=1
	s_or_b32 exec_lo, exec_lo, s14
	s_delay_alu instid0(VALU_DEP_2)
	v_mov_b32_e32 v4, v33
	s_wait_alu 0xfffe
	s_and_b32 s20, s15, exec_lo
.LBB58_111:                             ;   in Loop: Header=BB58_7 Depth=1
	s_wait_alu 0xfffe
	s_or_b32 exec_lo, exec_lo, s13
	s_mov_b32 s12, -1
	s_mov_b32 s18, -1
                                        ; implicit-def: $sgpr14
                                        ; implicit-def: $sgpr15
	s_and_saveexec_b32 s13, s20
	s_wait_alu 0xfffe
	s_xor_b32 s13, exec_lo, s13
	s_cbranch_execz .LBB58_234
; %bb.112:                              ;   in Loop: Header=BB58_7 Depth=1
	v_cmp_eq_u32_e32 vcc_lo, 1, v4
	s_cmp_eq_u32 s19, 1
	s_mov_b32 s21, -1
	s_cselect_b32 s14, -1, 0
                                        ; implicit-def: $sgpr15
	s_wait_alu 0xfffe
	s_and_b32 s20, s14, vcc_lo
                                        ; implicit-def: $sgpr14
	s_wait_alu 0xfffe
	s_and_saveexec_b32 s18, s20
	s_cbranch_execz .LBB58_140
; %bb.113:                              ;   in Loop: Header=BB58_7 Depth=1
	ds_load_b32 v1, v7 offset:4096
	s_wait_loadcnt_dscnt 0x0
	s_barrier_signal -1
	s_barrier_wait -1
	global_inv scope:SCOPE_SE
	v_readfirstlane_b32 s21, v1
	s_and_saveexec_b32 s14, s1
; %bb.114:                              ;   in Loop: Header=BB58_7 Depth=1
	ds_store_b16 v18, v7
; %bb.115:                              ;   in Loop: Header=BB58_7 Depth=1
	s_wait_alu 0xfffe
	s_or_b32 exec_lo, exec_lo, s14
	s_lshl_b32 s14, 1, s93
	v_or_b32_e32 v31, s10, v31
	s_wait_alu 0xfffe
	v_and_or_b32 v22, v22, s17, s14
	s_mov_b32 s14, -1
	s_mov_b32 s15, 0
	s_cmp_gt_i32 s21, 0
	s_mov_b32 s22, 0
	s_mov_b32 s23, -1
	s_wait_loadcnt_dscnt 0x0
	s_barrier_signal -1
	s_barrier_wait -1
	global_inv scope:SCOPE_SE
                                        ; implicit-def: $vgpr32
	s_cbranch_scc1 .LBB58_127
; %bb.116:                              ;   in Loop: Header=BB58_7 Depth=1
	s_mov_b32 s23, 0
                                        ; implicit-def: $vgpr32
	s_and_saveexec_b32 s24, s8
	s_cbranch_execz .LBB58_126
; %bb.117:                              ;   in Loop: Header=BB58_7 Depth=1
	v_dual_mov_b32 v1, v5 :: v_dual_mov_b32 v6, v0
                                        ; implicit-def: $sgpr25
	s_branch .LBB58_121
.LBB58_118:                             ;   in Loop: Header=BB58_121 Depth=2
	s_wait_alu 0xfffe
	s_or_b32 exec_lo, exec_lo, s26
	s_wait_loadcnt_dscnt 0x0
	s_barrier_signal -1
	s_barrier_wait -1
	global_inv scope:SCOPE_SE
	ds_load_b32 v2, v7 offset:3072
	s_wait_loadcnt_dscnt 0x0
	s_barrier_signal -1
	s_barrier_wait -1
	global_inv scope:SCOPE_SE
	v_cmp_neq_f16_e32 vcc_lo, 0, v2
	s_cbranch_vccnz .LBB58_124
; %bb.119:                              ;   in Loop: Header=BB58_121 Depth=2
	v_add_nc_u32_e32 v6, s49, v6
	v_add_nc_u32_e32 v1, s73, v1
	s_mov_b32 s26, 0
	s_delay_alu instid0(VALU_DEP_2)
	v_cmp_le_i32_e32 vcc_lo, s82, v6
	s_or_not1_b32 s27, vcc_lo, exec_lo
.LBB58_120:                             ;   in Loop: Header=BB58_121 Depth=2
	s_wait_alu 0xfffe
	s_and_b32 s27, exec_lo, s27
	s_wait_alu 0xfffe
	s_or_b32 s22, s27, s22
	s_and_not1_b32 s25, s25, exec_lo
	s_and_b32 s26, s26, exec_lo
	s_wait_alu 0xfffe
	s_or_b32 s25, s25, s26
	s_and_not1_b32 exec_lo, exec_lo, s22
	s_cbranch_execz .LBB58_125
.LBB58_121:                             ;   Parent Loop BB58_7 Depth=1
                                        ; =>  This Inner Loop Header: Depth=2
	s_mov_b32 s26, exec_lo
	s_delay_alu instid0(VALU_DEP_1)
	v_cmpx_gt_i32_e64 s36, v6
	s_cbranch_execz .LBB58_118
; %bb.122:                              ;   in Loop: Header=BB58_121 Depth=2
	v_ashrrev_i32_e32 v2, 31, v1
	s_delay_alu instid0(VALU_DEP_1) | instskip(NEXT) | instid1(VALU_DEP_1)
	v_lshlrev_b64_e32 v[13:14], 1, v[1:2]
	v_add_co_u32 v13, vcc_lo, s60, v13
	s_wait_alu 0xfffd
	s_delay_alu instid0(VALU_DEP_2)
	v_add_co_ci_u32_e64 v14, null, s61, v14, vcc_lo
	global_load_u16 v2, v[13:14], off
	s_wait_loadcnt 0x0
	v_cmp_lt_i16_e32 vcc_lo, -1, v2
	s_wait_alu 0xfffd
	v_dual_cndmask_b32 v14, 0xffff, v29 :: v_dual_and_b32 v13, 0xffff, v2
	v_cmp_o_f16_e32 vcc_lo, v2, v2
	s_delay_alu instid0(VALU_DEP_2) | instskip(SKIP_1) | instid1(VALU_DEP_1)
	v_xor_b32_e32 v13, v14, v13
	s_wait_alu 0xfffd
	v_cndmask_b32_e32 v13, 0xffff, v13, vcc_lo
	s_delay_alu instid0(VALU_DEP_1) | instskip(NEXT) | instid1(VALU_DEP_1)
	v_and_b32_e32 v13, v13, v31
	v_cmp_eq_u32_e32 vcc_lo, v13, v22
	s_and_b32 exec_lo, exec_lo, vcc_lo
	s_cbranch_execz .LBB58_118
; %bb.123:                              ;   in Loop: Header=BB58_121 Depth=2
	v_perm_b32 v2, v2, s86, 0x5040100
	ds_store_b32 v7, v2 offset:3072
	s_branch .LBB58_118
.LBB58_124:                             ;   in Loop: Header=BB58_121 Depth=2
	s_mov_b32 s27, -1
	s_mov_b32 s26, -1
                                        ; implicit-def: $vgpr6
                                        ; implicit-def: $vgpr1
	s_branch .LBB58_120
.LBB58_125:                             ;   in Loop: Header=BB58_7 Depth=1
	s_or_b32 exec_lo, exec_lo, s22
	v_lshrrev_b32_e32 v32, 16, v2
	s_wait_alu 0xfffe
	s_and_b32 s22, s25, exec_lo
.LBB58_126:                             ;   in Loop: Header=BB58_7 Depth=1
	s_wait_alu 0xfffe
	s_or_b32 exec_lo, exec_lo, s24
.LBB58_127:                             ;   in Loop: Header=BB58_7 Depth=1
	s_wait_alu 0xfffe
	s_and_b32 vcc_lo, exec_lo, s23
	s_wait_alu 0xfffe
	s_cbranch_vccz .LBB58_139
; %bb.128:                              ;   in Loop: Header=BB58_7 Depth=1
	s_add_co_i32 s23, s21, s56
                                        ; implicit-def: $vgpr32
	s_wait_alu 0xfffe
	s_abs_i32 s58, s23
	s_wait_alu 0xfffe
	s_mul_u64 s[14:15], s[58:59], s[64:65]
	s_wait_alu 0xfffe
	s_mul_i32 s14, s15, s49
	s_ashr_i32 s15, s23, 31
	s_wait_alu 0xfffe
	s_sub_co_i32 s14, s58, s14
	s_wait_alu 0xfffe
	s_sub_co_i32 s24, s14, s49
	s_cmp_ge_u32 s14, s49
	s_wait_alu 0xfffe
	s_cselect_b32 s14, s24, s14
	s_wait_alu 0xfffe
	s_sub_co_i32 s24, s14, s49
	s_cmp_ge_u32 s14, s49
	s_wait_alu 0xfffe
	s_cselect_b32 s14, s24, s14
	s_wait_alu 0xfffe
	s_xor_b32 s14, s14, s15
	s_wait_alu 0xfffe
	s_sub_co_i32 s14, s15, s14
	s_wait_alu 0xfffe
	s_add_co_i32 s15, s23, s14
	s_mov_b32 s14, exec_lo
	s_wait_alu 0xfffe
	v_cmpx_gt_i32_e64 s15, v0
	s_cbranch_execz .LBB58_138
; %bb.129:                              ;   in Loop: Header=BB58_7 Depth=1
	v_dual_mov_b32 v1, v17 :: v_dual_mov_b32 v2, v0
	s_mov_b32 s23, 0
                                        ; implicit-def: $sgpr24
	s_branch .LBB58_133
.LBB58_130:                             ;   in Loop: Header=BB58_133 Depth=2
	s_wait_alu 0xfffe
	s_or_b32 exec_lo, exec_lo, s25
	s_wait_loadcnt_dscnt 0x0
	s_barrier_signal -1
	s_barrier_wait -1
	global_inv scope:SCOPE_SE
	ds_load_b32 v6, v7 offset:3072
	s_wait_loadcnt_dscnt 0x0
	s_barrier_signal -1
	s_barrier_wait -1
	global_inv scope:SCOPE_SE
	v_cmp_eq_f16_e32 vcc_lo, 0, v6
	s_cbranch_vccz .LBB58_136
; %bb.131:                              ;   in Loop: Header=BB58_133 Depth=2
	v_add_nc_u32_e32 v2, s49, v2
	v_add_nc_u32_e32 v1, s85, v1
	s_mov_b32 s25, 0
	s_delay_alu instid0(VALU_DEP_2)
	v_cmp_le_i32_e32 vcc_lo, s15, v2
	s_or_not1_b32 s26, vcc_lo, exec_lo
.LBB58_132:                             ;   in Loop: Header=BB58_133 Depth=2
	s_wait_alu 0xfffe
	s_and_b32 s26, exec_lo, s26
	s_wait_alu 0xfffe
	s_or_b32 s23, s26, s23
	s_and_not1_b32 s24, s24, exec_lo
	s_and_b32 s25, s25, exec_lo
	s_wait_alu 0xfffe
	s_or_b32 s24, s24, s25
	s_and_not1_b32 exec_lo, exec_lo, s23
	s_cbranch_execz .LBB58_137
.LBB58_133:                             ;   Parent Loop BB58_7 Depth=1
                                        ; =>  This Inner Loop Header: Depth=2
	s_mov_b32 s25, exec_lo
	s_delay_alu instid0(VALU_DEP_1)
	v_cmpx_gt_i32_e64 s21, v2
	s_cbranch_execz .LBB58_130
; %bb.134:                              ;   in Loop: Header=BB58_133 Depth=2
	ds_load_u16 v6, v1
	s_wait_dscnt 0x0
	v_cmp_lt_i16_e32 vcc_lo, -1, v6
	s_wait_alu 0xfffd
	v_dual_cndmask_b32 v14, 0xffff, v29 :: v_dual_and_b32 v13, 0xffff, v6
	v_cmp_o_f16_e32 vcc_lo, v6, v6
	s_delay_alu instid0(VALU_DEP_2) | instskip(SKIP_1) | instid1(VALU_DEP_1)
	v_xor_b32_e32 v13, v14, v13
	s_wait_alu 0xfffd
	v_cndmask_b32_e32 v13, 0xffff, v13, vcc_lo
	s_delay_alu instid0(VALU_DEP_1) | instskip(NEXT) | instid1(VALU_DEP_1)
	v_and_b32_e32 v13, v13, v31
	v_cmp_eq_u32_e32 vcc_lo, v13, v22
	s_and_b32 exec_lo, exec_lo, vcc_lo
	s_cbranch_execz .LBB58_130
; %bb.135:                              ;   in Loop: Header=BB58_133 Depth=2
	v_perm_b32 v6, v6, s86, 0x5040100
	ds_store_b32 v7, v6 offset:3072
	s_branch .LBB58_130
.LBB58_136:                             ;   in Loop: Header=BB58_133 Depth=2
	s_mov_b32 s26, -1
	s_mov_b32 s25, -1
                                        ; implicit-def: $vgpr2
                                        ; implicit-def: $vgpr1
	s_branch .LBB58_132
.LBB58_137:                             ;   in Loop: Header=BB58_7 Depth=1
	s_or_b32 exec_lo, exec_lo, s23
	v_lshrrev_b32_e32 v32, 16, v6
	s_and_not1_b32 s15, s22, exec_lo
	s_wait_alu 0xfffe
	s_and_b32 s21, s24, exec_lo
	s_wait_alu 0xfffe
	s_or_b32 s22, s15, s21
.LBB58_138:                             ;   in Loop: Header=BB58_7 Depth=1
	s_or_b32 exec_lo, exec_lo, s14
	s_mov_b32 s14, 0
	s_mov_b32 s15, -1
.LBB58_139:                             ;   in Loop: Header=BB58_7 Depth=1
	s_wait_alu 0xfffe
	s_or_not1_b32 s21, s22, exec_lo
.LBB58_140:                             ;   in Loop: Header=BB58_7 Depth=1
	s_wait_alu 0xfffe
	s_or_b32 exec_lo, exec_lo, s18
	s_mov_b32 s22, 0
	s_and_saveexec_b32 s18, s21
	s_cbranch_execz .LBB58_233
; %bb.141:                              ;   in Loop: Header=BB58_7 Depth=1
	v_dual_mov_b32 v6, 1 :: v_dual_mov_b32 v3, 1
	s_xor_b32 s21, s20, -1
	s_mov_b32 s23, 0
	s_wait_alu 0xfffe
	s_and_saveexec_b32 s20, s21
	s_cbranch_execz .LBB58_150
; %bb.142:                              ;   in Loop: Header=BB58_7 Depth=1
	s_mov_b32 s21, exec_lo
	v_cmpx_ge_i32_e64 s19, v4
	s_wait_alu 0xfffe
	s_xor_b32 s21, exec_lo, s21
	s_cbranch_execz .LBB58_147
; %bb.143:                              ;   in Loop: Header=BB58_7 Depth=1
	ds_load_b32 v1, v7 offset:4096
	s_lshl_b32 s22, 1, s93
	v_or_b32_e32 v31, s10, v31
	s_wait_alu 0xfffe
	v_and_or_b32 v22, v22, s17, s22
	s_wait_dscnt 0x0
	v_cmp_ne_u32_e32 vcc_lo, 0, v1
	s_cbranch_vccnz .LBB58_147
; %bb.144:                              ;   in Loop: Header=BB58_7 Depth=1
	s_and_saveexec_b32 s22, s2
; %bb.145:                              ;   in Loop: Header=BB58_7 Depth=1
	v_mov_b32_e32 v1, s19
	ds_store_b32 v7, v1 offset:4100
; %bb.146:                              ;   in Loop: Header=BB58_7 Depth=1
	s_wait_alu 0xfffe
	s_or_b32 exec_lo, exec_lo, s22
	s_wait_loadcnt_dscnt 0x0
	s_barrier_signal -1
	s_barrier_wait -1
	global_inv scope:SCOPE_SE
.LBB58_147:                             ;   in Loop: Header=BB58_7 Depth=1
	s_wait_alu 0xfffe
	s_or_saveexec_b32 s21, s21
	v_mov_b32_e32 v3, 8
	s_mov_b32 s22, 0
	s_wait_alu 0xfffe
	s_xor_b32 exec_lo, exec_lo, s21
; %bb.148:                              ;   in Loop: Header=BB58_7 Depth=1
	v_subrev_nc_u32_e32 v4, s19, v4
	v_mov_b32_e32 v3, 0
	s_mov_b32 s22, exec_lo
; %bb.149:                              ;   in Loop: Header=BB58_7 Depth=1
	s_or_b32 exec_lo, exec_lo, s21
	s_delay_alu instid0(VALU_DEP_2)
	v_mov_b32_e32 v6, v4
	s_wait_alu 0xfffe
	s_and_b32 s23, s22, exec_lo
.LBB58_150:                             ;   in Loop: Header=BB58_7 Depth=1
	s_wait_alu 0xfffe
	s_or_b32 exec_lo, exec_lo, s20
	s_mov_b32 s22, -1
                                        ; implicit-def: $sgpr20
                                        ; implicit-def: $sgpr21
	s_and_saveexec_b32 s19, s23
	s_cbranch_execz .LBB58_232
; %bb.151:                              ;   in Loop: Header=BB58_7 Depth=1
	v_cmp_eq_u32_e32 vcc_lo, 1, v6
	s_cmp_eq_u32 s16, 1
	s_mov_b32 s24, -1
	s_cselect_b32 s20, -1, 0
                                        ; implicit-def: $sgpr21
	s_wait_alu 0xfffe
	s_and_b32 s23, s20, vcc_lo
                                        ; implicit-def: $sgpr20
	s_wait_alu 0xfffe
	s_and_saveexec_b32 s22, s23
	s_cbranch_execz .LBB58_179
; %bb.152:                              ;   in Loop: Header=BB58_7 Depth=1
	ds_load_b32 v1, v7 offset:4096
	s_wait_loadcnt_dscnt 0x0
	s_barrier_signal -1
	s_barrier_wait -1
	global_inv scope:SCOPE_SE
	v_readfirstlane_b32 s24, v1
	s_and_saveexec_b32 s20, s1
; %bb.153:                              ;   in Loop: Header=BB58_7 Depth=1
	ds_store_b16 v18, v7
; %bb.154:                              ;   in Loop: Header=BB58_7 Depth=1
	s_wait_alu 0xfffe
	s_or_b32 exec_lo, exec_lo, s20
	s_lshl_b32 s20, 2, s93
	v_or_b32_e32 v31, s10, v31
	s_wait_alu 0xfffe
	v_and_or_b32 v22, v22, s17, s20
	s_mov_b32 s20, -1
	s_mov_b32 s21, 0
	s_cmp_gt_i32 s24, 0
	s_mov_b32 s25, 0
	s_mov_b32 s26, -1
	s_wait_loadcnt_dscnt 0x0
	s_barrier_signal -1
	s_barrier_wait -1
	global_inv scope:SCOPE_SE
                                        ; implicit-def: $vgpr32
	s_cbranch_scc1 .LBB58_166
; %bb.155:                              ;   in Loop: Header=BB58_7 Depth=1
	s_mov_b32 s26, 0
                                        ; implicit-def: $vgpr32
	s_and_saveexec_b32 s27, s8
	s_cbranch_execz .LBB58_165
; %bb.156:                              ;   in Loop: Header=BB58_7 Depth=1
	v_dual_mov_b32 v1, v5 :: v_dual_mov_b32 v4, v0
                                        ; implicit-def: $sgpr28
	s_branch .LBB58_160
.LBB58_157:                             ;   in Loop: Header=BB58_160 Depth=2
	s_wait_alu 0xfffe
	s_or_b32 exec_lo, exec_lo, s58
	s_wait_loadcnt_dscnt 0x0
	s_barrier_signal -1
	s_barrier_wait -1
	global_inv scope:SCOPE_SE
	ds_load_b32 v2, v7 offset:3072
	s_wait_loadcnt_dscnt 0x0
	s_barrier_signal -1
	s_barrier_wait -1
	global_inv scope:SCOPE_SE
	v_cmp_neq_f16_e32 vcc_lo, 0, v2
	s_cbranch_vccnz .LBB58_163
; %bb.158:                              ;   in Loop: Header=BB58_160 Depth=2
	v_add_nc_u32_e32 v4, s49, v4
	v_add_nc_u32_e32 v1, s73, v1
	s_mov_b32 s58, 0
	s_delay_alu instid0(VALU_DEP_2)
	v_cmp_le_i32_e32 vcc_lo, s82, v4
	s_or_not1_b32 s94, vcc_lo, exec_lo
.LBB58_159:                             ;   in Loop: Header=BB58_160 Depth=2
	s_wait_alu 0xfffe
	s_and_b32 s94, exec_lo, s94
	s_wait_alu 0xfffe
	s_or_b32 s25, s94, s25
	s_and_not1_b32 s28, s28, exec_lo
	s_and_b32 s58, s58, exec_lo
	s_wait_alu 0xfffe
	s_or_b32 s28, s28, s58
	s_and_not1_b32 exec_lo, exec_lo, s25
	s_cbranch_execz .LBB58_164
.LBB58_160:                             ;   Parent Loop BB58_7 Depth=1
                                        ; =>  This Inner Loop Header: Depth=2
	s_mov_b32 s58, exec_lo
	s_delay_alu instid0(VALU_DEP_1)
	v_cmpx_gt_i32_e64 s36, v4
	s_cbranch_execz .LBB58_157
; %bb.161:                              ;   in Loop: Header=BB58_160 Depth=2
	v_ashrrev_i32_e32 v2, 31, v1
	s_delay_alu instid0(VALU_DEP_1) | instskip(NEXT) | instid1(VALU_DEP_1)
	v_lshlrev_b64_e32 v[13:14], 1, v[1:2]
	v_add_co_u32 v13, vcc_lo, s60, v13
	s_wait_alu 0xfffd
	s_delay_alu instid0(VALU_DEP_2)
	v_add_co_ci_u32_e64 v14, null, s61, v14, vcc_lo
	global_load_u16 v2, v[13:14], off
	s_wait_loadcnt 0x0
	v_cmp_lt_i16_e32 vcc_lo, -1, v2
	s_wait_alu 0xfffd
	v_dual_cndmask_b32 v14, 0xffff, v29 :: v_dual_and_b32 v13, 0xffff, v2
	v_cmp_o_f16_e32 vcc_lo, v2, v2
	s_delay_alu instid0(VALU_DEP_2) | instskip(SKIP_1) | instid1(VALU_DEP_1)
	v_xor_b32_e32 v13, v14, v13
	s_wait_alu 0xfffd
	v_cndmask_b32_e32 v13, 0xffff, v13, vcc_lo
	s_delay_alu instid0(VALU_DEP_1) | instskip(NEXT) | instid1(VALU_DEP_1)
	v_and_b32_e32 v13, v13, v31
	v_cmp_eq_u32_e32 vcc_lo, v13, v22
	s_and_b32 exec_lo, exec_lo, vcc_lo
	s_cbranch_execz .LBB58_157
; %bb.162:                              ;   in Loop: Header=BB58_160 Depth=2
	v_perm_b32 v2, v2, s86, 0x5040100
	ds_store_b32 v7, v2 offset:3072
	s_branch .LBB58_157
.LBB58_163:                             ;   in Loop: Header=BB58_160 Depth=2
	s_mov_b32 s94, -1
	s_mov_b32 s58, -1
                                        ; implicit-def: $vgpr4
                                        ; implicit-def: $vgpr1
	s_branch .LBB58_159
.LBB58_164:                             ;   in Loop: Header=BB58_7 Depth=1
	s_or_b32 exec_lo, exec_lo, s25
	v_lshrrev_b32_e32 v32, 16, v2
	s_wait_alu 0xfffe
	s_and_b32 s25, s28, exec_lo
.LBB58_165:                             ;   in Loop: Header=BB58_7 Depth=1
	s_wait_alu 0xfffe
	s_or_b32 exec_lo, exec_lo, s27
.LBB58_166:                             ;   in Loop: Header=BB58_7 Depth=1
	s_wait_alu 0xfffe
	s_and_b32 vcc_lo, exec_lo, s26
	s_wait_alu 0xfffe
	s_cbranch_vccz .LBB58_178
; %bb.167:                              ;   in Loop: Header=BB58_7 Depth=1
	s_add_co_i32 s26, s24, s56
                                        ; implicit-def: $vgpr32
	s_wait_alu 0xfffe
	s_abs_i32 s58, s26
	s_wait_alu 0xfffe
	s_mul_u64 s[20:21], s[58:59], s[64:65]
	s_wait_alu 0xfffe
	s_mul_i32 s20, s21, s49
	s_ashr_i32 s21, s26, 31
	s_wait_alu 0xfffe
	s_sub_co_i32 s20, s58, s20
	s_wait_alu 0xfffe
	s_sub_co_i32 s27, s20, s49
	s_cmp_ge_u32 s20, s49
	s_wait_alu 0xfffe
	s_cselect_b32 s20, s27, s20
	s_wait_alu 0xfffe
	s_sub_co_i32 s27, s20, s49
	s_cmp_ge_u32 s20, s49
	s_wait_alu 0xfffe
	s_cselect_b32 s20, s27, s20
	s_wait_alu 0xfffe
	s_xor_b32 s20, s20, s21
	s_wait_alu 0xfffe
	s_sub_co_i32 s20, s21, s20
	s_wait_alu 0xfffe
	s_add_co_i32 s21, s26, s20
	s_mov_b32 s20, exec_lo
	s_wait_alu 0xfffe
	v_cmpx_gt_i32_e64 s21, v0
	s_cbranch_execz .LBB58_177
; %bb.168:                              ;   in Loop: Header=BB58_7 Depth=1
	v_dual_mov_b32 v1, v17 :: v_dual_mov_b32 v2, v0
	s_mov_b32 s26, 0
                                        ; implicit-def: $sgpr27
	s_branch .LBB58_172
.LBB58_169:                             ;   in Loop: Header=BB58_172 Depth=2
	s_wait_alu 0xfffe
	s_or_b32 exec_lo, exec_lo, s28
	s_wait_loadcnt_dscnt 0x0
	s_barrier_signal -1
	s_barrier_wait -1
	global_inv scope:SCOPE_SE
	ds_load_b32 v4, v7 offset:3072
	s_wait_loadcnt_dscnt 0x0
	s_barrier_signal -1
	s_barrier_wait -1
	global_inv scope:SCOPE_SE
	v_cmp_eq_f16_e32 vcc_lo, 0, v4
	s_cbranch_vccz .LBB58_175
; %bb.170:                              ;   in Loop: Header=BB58_172 Depth=2
	v_add_nc_u32_e32 v2, s49, v2
	v_add_nc_u32_e32 v1, s85, v1
	s_mov_b32 s28, 0
	s_delay_alu instid0(VALU_DEP_2)
	v_cmp_le_i32_e32 vcc_lo, s21, v2
	s_or_not1_b32 s58, vcc_lo, exec_lo
.LBB58_171:                             ;   in Loop: Header=BB58_172 Depth=2
	s_wait_alu 0xfffe
	s_and_b32 s58, exec_lo, s58
	s_wait_alu 0xfffe
	s_or_b32 s26, s58, s26
	s_and_not1_b32 s27, s27, exec_lo
	s_and_b32 s28, s28, exec_lo
	s_wait_alu 0xfffe
	s_or_b32 s27, s27, s28
	s_and_not1_b32 exec_lo, exec_lo, s26
	s_cbranch_execz .LBB58_176
.LBB58_172:                             ;   Parent Loop BB58_7 Depth=1
                                        ; =>  This Inner Loop Header: Depth=2
	s_mov_b32 s28, exec_lo
	s_delay_alu instid0(VALU_DEP_1)
	v_cmpx_gt_i32_e64 s24, v2
	s_cbranch_execz .LBB58_169
; %bb.173:                              ;   in Loop: Header=BB58_172 Depth=2
	ds_load_u16 v4, v1
	s_wait_dscnt 0x0
	v_cmp_lt_i16_e32 vcc_lo, -1, v4
	s_wait_alu 0xfffd
	v_dual_cndmask_b32 v14, 0xffff, v29 :: v_dual_and_b32 v13, 0xffff, v4
	v_cmp_o_f16_e32 vcc_lo, v4, v4
	s_delay_alu instid0(VALU_DEP_2) | instskip(SKIP_1) | instid1(VALU_DEP_1)
	v_xor_b32_e32 v13, v14, v13
	s_wait_alu 0xfffd
	v_cndmask_b32_e32 v13, 0xffff, v13, vcc_lo
	s_delay_alu instid0(VALU_DEP_1) | instskip(NEXT) | instid1(VALU_DEP_1)
	v_and_b32_e32 v13, v13, v31
	v_cmp_eq_u32_e32 vcc_lo, v13, v22
	s_and_b32 exec_lo, exec_lo, vcc_lo
	s_cbranch_execz .LBB58_169
; %bb.174:                              ;   in Loop: Header=BB58_172 Depth=2
	v_perm_b32 v4, v4, s86, 0x5040100
	ds_store_b32 v7, v4 offset:3072
	s_branch .LBB58_169
.LBB58_175:                             ;   in Loop: Header=BB58_172 Depth=2
	s_mov_b32 s58, -1
	s_mov_b32 s28, -1
                                        ; implicit-def: $vgpr2
                                        ; implicit-def: $vgpr1
	s_branch .LBB58_171
.LBB58_176:                             ;   in Loop: Header=BB58_7 Depth=1
	s_or_b32 exec_lo, exec_lo, s26
	v_lshrrev_b32_e32 v32, 16, v4
	s_and_not1_b32 s21, s25, exec_lo
	s_wait_alu 0xfffe
	s_and_b32 s24, s27, exec_lo
	s_wait_alu 0xfffe
	s_or_b32 s25, s21, s24
.LBB58_177:                             ;   in Loop: Header=BB58_7 Depth=1
	s_or_b32 exec_lo, exec_lo, s20
	s_mov_b32 s20, 0
	s_mov_b32 s21, -1
.LBB58_178:                             ;   in Loop: Header=BB58_7 Depth=1
	s_wait_alu 0xfffe
	s_or_not1_b32 s24, s25, exec_lo
.LBB58_179:                             ;   in Loop: Header=BB58_7 Depth=1
	s_wait_alu 0xfffe
	s_or_b32 exec_lo, exec_lo, s22
	s_mov_b32 s25, 0
	s_and_saveexec_b32 s22, s24
	s_cbranch_execz .LBB58_231
; %bb.180:                              ;   in Loop: Header=BB58_7 Depth=1
	v_dual_mov_b32 v4, 1 :: v_dual_mov_b32 v3, 1
	s_xor_b32 s24, s23, -1
	s_wait_alu 0xfffe
	s_and_saveexec_b32 s23, s24
	s_cbranch_execz .LBB58_189
; %bb.181:                              ;   in Loop: Header=BB58_7 Depth=1
	s_mov_b32 s24, exec_lo
	v_cmpx_ge_i32_e64 s16, v6
	s_wait_alu 0xfffe
	s_xor_b32 s24, exec_lo, s24
	s_cbranch_execz .LBB58_186
; %bb.182:                              ;   in Loop: Header=BB58_7 Depth=1
	ds_load_b32 v1, v7 offset:4096
	s_lshl_b32 s25, 2, s93
	v_or_b32_e32 v31, s10, v31
	s_wait_alu 0xfffe
	v_and_or_b32 v22, v22, s17, s25
	s_wait_dscnt 0x0
	v_cmp_ne_u32_e32 vcc_lo, 0, v1
	s_cbranch_vccnz .LBB58_186
; %bb.183:                              ;   in Loop: Header=BB58_7 Depth=1
	s_and_saveexec_b32 s17, s2
; %bb.184:                              ;   in Loop: Header=BB58_7 Depth=1
	v_mov_b32_e32 v1, s16
	ds_store_b32 v7, v1 offset:4100
; %bb.185:                              ;   in Loop: Header=BB58_7 Depth=1
	s_wait_alu 0xfffe
	s_or_b32 exec_lo, exec_lo, s17
	s_wait_loadcnt_dscnt 0x0
	s_barrier_signal -1
	s_barrier_wait -1
	global_inv scope:SCOPE_SE
.LBB58_186:                             ;   in Loop: Header=BB58_7 Depth=1
	s_wait_alu 0xfffe
	s_or_saveexec_b32 s17, s24
	v_mov_b32_e32 v3, 8
	s_mov_b32 s24, 0
	s_wait_alu 0xfffe
	s_xor_b32 exec_lo, exec_lo, s17
; %bb.187:                              ;   in Loop: Header=BB58_7 Depth=1
	v_subrev_nc_u32_e32 v6, s16, v6
	v_mov_b32_e32 v3, 0
	s_mov_b32 s24, exec_lo
; %bb.188:                              ;   in Loop: Header=BB58_7 Depth=1
	s_or_b32 exec_lo, exec_lo, s17
	s_delay_alu instid0(VALU_DEP_2)
	v_mov_b32_e32 v4, v6
	s_wait_alu 0xfffe
	s_and_b32 s25, s24, exec_lo
.LBB58_189:                             ;   in Loop: Header=BB58_7 Depth=1
	s_wait_alu 0xfffe
	s_or_b32 exec_lo, exec_lo, s23
	s_mov_b32 s17, -1
                                        ; implicit-def: $sgpr24
                                        ; implicit-def: $sgpr23
	s_and_saveexec_b32 s16, s25
	s_cbranch_execz .LBB58_230
; %bb.190:                              ;   in Loop: Header=BB58_7 Depth=1
	v_cmp_eq_u32_e32 vcc_lo, 1, v4
	s_cmp_eq_u32 s9, 1
	s_mov_b32 s26, -1
	s_cselect_b32 s17, -1, 0
                                        ; implicit-def: $sgpr24
                                        ; implicit-def: $sgpr23
	s_wait_alu 0xfffe
	s_and_b32 s17, s17, vcc_lo
	s_wait_alu 0xfffe
	s_and_saveexec_b32 s25, s17
	s_cbranch_execz .LBB58_218
; %bb.191:                              ;   in Loop: Header=BB58_7 Depth=1
	ds_load_b32 v1, v7 offset:4096
	s_wait_loadcnt_dscnt 0x0
	s_barrier_signal -1
	s_barrier_wait -1
	global_inv scope:SCOPE_SE
	v_readfirstlane_b32 s26, v1
	s_and_saveexec_b32 s23, s1
; %bb.192:                              ;   in Loop: Header=BB58_7 Depth=1
	ds_store_b16 v18, v7
; %bb.193:                              ;   in Loop: Header=BB58_7 Depth=1
	s_wait_alu 0xfffe
	s_or_b32 exec_lo, exec_lo, s23
	v_or_b32_e32 v22, s10, v22
	v_or_b32_e32 v31, s10, v31
	s_mov_b32 s23, -1
	s_mov_b32 s24, 0
	s_cmp_gt_i32 s26, 0
	s_mov_b32 s27, 0
	s_mov_b32 s28, -1
	s_wait_loadcnt_dscnt 0x0
	s_barrier_signal -1
	s_barrier_wait -1
	global_inv scope:SCOPE_SE
                                        ; implicit-def: $vgpr32
	s_cbranch_scc1 .LBB58_205
; %bb.194:                              ;   in Loop: Header=BB58_7 Depth=1
	s_mov_b32 s28, 0
                                        ; implicit-def: $vgpr32
	s_and_saveexec_b32 s58, s8
	s_cbranch_execz .LBB58_204
; %bb.195:                              ;   in Loop: Header=BB58_7 Depth=1
	v_dual_mov_b32 v1, v5 :: v_dual_mov_b32 v6, v0
                                        ; implicit-def: $sgpr94
	s_branch .LBB58_199
.LBB58_196:                             ;   in Loop: Header=BB58_199 Depth=2
	s_wait_alu 0xfffe
	s_or_b32 exec_lo, exec_lo, s95
	s_wait_loadcnt_dscnt 0x0
	s_barrier_signal -1
	s_barrier_wait -1
	global_inv scope:SCOPE_SE
	ds_load_b32 v2, v7 offset:3072
	s_wait_loadcnt_dscnt 0x0
	s_barrier_signal -1
	s_barrier_wait -1
	global_inv scope:SCOPE_SE
	v_cmp_neq_f16_e32 vcc_lo, 0, v2
	s_cbranch_vccnz .LBB58_202
; %bb.197:                              ;   in Loop: Header=BB58_199 Depth=2
	v_add_nc_u32_e32 v6, s49, v6
	v_add_nc_u32_e32 v1, s73, v1
	s_mov_b32 s95, 0
	s_delay_alu instid0(VALU_DEP_2)
	v_cmp_le_i32_e32 vcc_lo, s82, v6
	s_or_not1_b32 s96, vcc_lo, exec_lo
.LBB58_198:                             ;   in Loop: Header=BB58_199 Depth=2
	s_wait_alu 0xfffe
	s_and_b32 s96, exec_lo, s96
	s_wait_alu 0xfffe
	s_or_b32 s27, s96, s27
	s_and_not1_b32 s94, s94, exec_lo
	s_and_b32 s95, s95, exec_lo
	s_wait_alu 0xfffe
	s_or_b32 s94, s94, s95
	s_and_not1_b32 exec_lo, exec_lo, s27
	s_cbranch_execz .LBB58_203
.LBB58_199:                             ;   Parent Loop BB58_7 Depth=1
                                        ; =>  This Inner Loop Header: Depth=2
	s_mov_b32 s95, exec_lo
	s_delay_alu instid0(VALU_DEP_1)
	v_cmpx_gt_i32_e64 s36, v6
	s_cbranch_execz .LBB58_196
; %bb.200:                              ;   in Loop: Header=BB58_199 Depth=2
	v_ashrrev_i32_e32 v2, 31, v1
	s_delay_alu instid0(VALU_DEP_1) | instskip(NEXT) | instid1(VALU_DEP_1)
	v_lshlrev_b64_e32 v[13:14], 1, v[1:2]
	v_add_co_u32 v13, vcc_lo, s60, v13
	s_wait_alu 0xfffd
	s_delay_alu instid0(VALU_DEP_2)
	v_add_co_ci_u32_e64 v14, null, s61, v14, vcc_lo
	global_load_u16 v2, v[13:14], off
	s_wait_loadcnt 0x0
	v_cmp_lt_i16_e32 vcc_lo, -1, v2
	s_wait_alu 0xfffd
	v_dual_cndmask_b32 v14, 0xffff, v29 :: v_dual_and_b32 v13, 0xffff, v2
	v_cmp_o_f16_e32 vcc_lo, v2, v2
	s_delay_alu instid0(VALU_DEP_2) | instskip(SKIP_1) | instid1(VALU_DEP_1)
	v_xor_b32_e32 v13, v14, v13
	s_wait_alu 0xfffd
	v_cndmask_b32_e32 v13, 0xffff, v13, vcc_lo
	s_delay_alu instid0(VALU_DEP_1) | instskip(NEXT) | instid1(VALU_DEP_1)
	v_and_b32_e32 v13, v13, v31
	v_cmp_eq_u32_e32 vcc_lo, v13, v22
	s_and_b32 exec_lo, exec_lo, vcc_lo
	s_cbranch_execz .LBB58_196
; %bb.201:                              ;   in Loop: Header=BB58_199 Depth=2
	v_perm_b32 v2, v2, s86, 0x5040100
	ds_store_b32 v7, v2 offset:3072
	s_branch .LBB58_196
.LBB58_202:                             ;   in Loop: Header=BB58_199 Depth=2
	s_mov_b32 s96, -1
	s_mov_b32 s95, -1
                                        ; implicit-def: $vgpr6
                                        ; implicit-def: $vgpr1
	s_branch .LBB58_198
.LBB58_203:                             ;   in Loop: Header=BB58_7 Depth=1
	s_or_b32 exec_lo, exec_lo, s27
	v_lshrrev_b32_e32 v32, 16, v2
	s_wait_alu 0xfffe
	s_and_b32 s27, s94, exec_lo
.LBB58_204:                             ;   in Loop: Header=BB58_7 Depth=1
	s_wait_alu 0xfffe
	s_or_b32 exec_lo, exec_lo, s58
.LBB58_205:                             ;   in Loop: Header=BB58_7 Depth=1
	s_wait_alu 0xfffe
	s_and_b32 vcc_lo, exec_lo, s28
	s_wait_alu 0xfffe
	s_cbranch_vccz .LBB58_217
; %bb.206:                              ;   in Loop: Header=BB58_7 Depth=1
	s_add_co_i32 s24, s26, s56
                                        ; implicit-def: $vgpr32
	s_wait_alu 0xfffe
	s_abs_i32 s58, s24
	s_ashr_i32 s28, s24, 31
	s_wait_alu 0xfffe
	s_mul_u64 s[94:95], s[58:59], s[64:65]
	s_wait_alu 0xfffe
	s_mul_i32 s23, s95, s49
	s_wait_alu 0xfffe
	s_sub_co_i32 s23, s58, s23
	s_wait_alu 0xfffe
	s_sub_co_i32 s58, s23, s49
	s_cmp_ge_u32 s23, s49
	s_wait_alu 0xfffe
	s_cselect_b32 s23, s58, s23
	s_wait_alu 0xfffe
	s_sub_co_i32 s58, s23, s49
	s_cmp_ge_u32 s23, s49
	s_wait_alu 0xfffe
	s_cselect_b32 s23, s58, s23
	s_wait_alu 0xfffe
	s_xor_b32 s23, s23, s28
	s_wait_alu 0xfffe
	s_sub_co_i32 s23, s28, s23
	s_wait_alu 0xfffe
	s_add_co_i32 s24, s24, s23
	s_mov_b32 s23, exec_lo
	s_wait_alu 0xfffe
	v_cmpx_gt_i32_e64 s24, v0
	s_cbranch_execz .LBB58_216
; %bb.207:                              ;   in Loop: Header=BB58_7 Depth=1
	v_dual_mov_b32 v1, v17 :: v_dual_mov_b32 v2, v0
	s_mov_b32 s28, 0
                                        ; implicit-def: $sgpr58
	s_branch .LBB58_211
.LBB58_208:                             ;   in Loop: Header=BB58_211 Depth=2
	s_wait_alu 0xfffe
	s_or_b32 exec_lo, exec_lo, s94
	s_wait_loadcnt_dscnt 0x0
	s_barrier_signal -1
	s_barrier_wait -1
	global_inv scope:SCOPE_SE
	ds_load_b32 v6, v7 offset:3072
	s_wait_loadcnt_dscnt 0x0
	s_barrier_signal -1
	s_barrier_wait -1
	global_inv scope:SCOPE_SE
	v_cmp_eq_f16_e32 vcc_lo, 0, v6
	s_cbranch_vccz .LBB58_214
; %bb.209:                              ;   in Loop: Header=BB58_211 Depth=2
	v_add_nc_u32_e32 v2, s49, v2
	v_add_nc_u32_e32 v1, s85, v1
	s_mov_b32 s94, 0
	s_delay_alu instid0(VALU_DEP_2)
	v_cmp_le_i32_e32 vcc_lo, s24, v2
	s_or_not1_b32 s95, vcc_lo, exec_lo
.LBB58_210:                             ;   in Loop: Header=BB58_211 Depth=2
	s_wait_alu 0xfffe
	s_and_b32 s95, exec_lo, s95
	s_wait_alu 0xfffe
	s_or_b32 s28, s95, s28
	s_and_not1_b32 s58, s58, exec_lo
	s_and_b32 s94, s94, exec_lo
	s_wait_alu 0xfffe
	s_or_b32 s58, s58, s94
	s_and_not1_b32 exec_lo, exec_lo, s28
	s_cbranch_execz .LBB58_215
.LBB58_211:                             ;   Parent Loop BB58_7 Depth=1
                                        ; =>  This Inner Loop Header: Depth=2
	s_mov_b32 s94, exec_lo
	s_delay_alu instid0(VALU_DEP_1)
	v_cmpx_gt_i32_e64 s26, v2
	s_cbranch_execz .LBB58_208
; %bb.212:                              ;   in Loop: Header=BB58_211 Depth=2
	ds_load_u16 v6, v1
	s_wait_dscnt 0x0
	v_cmp_lt_i16_e32 vcc_lo, -1, v6
	s_wait_alu 0xfffd
	v_dual_cndmask_b32 v14, 0xffff, v29 :: v_dual_and_b32 v13, 0xffff, v6
	v_cmp_o_f16_e32 vcc_lo, v6, v6
	s_delay_alu instid0(VALU_DEP_2) | instskip(SKIP_1) | instid1(VALU_DEP_1)
	v_xor_b32_e32 v13, v14, v13
	s_wait_alu 0xfffd
	v_cndmask_b32_e32 v13, 0xffff, v13, vcc_lo
	s_delay_alu instid0(VALU_DEP_1) | instskip(NEXT) | instid1(VALU_DEP_1)
	v_and_b32_e32 v13, v13, v31
	v_cmp_eq_u32_e32 vcc_lo, v13, v22
	s_and_b32 exec_lo, exec_lo, vcc_lo
	s_cbranch_execz .LBB58_208
; %bb.213:                              ;   in Loop: Header=BB58_211 Depth=2
	v_perm_b32 v6, v6, s86, 0x5040100
	ds_store_b32 v7, v6 offset:3072
	s_branch .LBB58_208
.LBB58_214:                             ;   in Loop: Header=BB58_211 Depth=2
	s_mov_b32 s95, -1
	s_mov_b32 s94, -1
                                        ; implicit-def: $vgpr2
                                        ; implicit-def: $vgpr1
	s_branch .LBB58_210
.LBB58_215:                             ;   in Loop: Header=BB58_7 Depth=1
	s_or_b32 exec_lo, exec_lo, s28
	v_lshrrev_b32_e32 v32, 16, v6
	s_and_not1_b32 s24, s27, exec_lo
	s_wait_alu 0xfffe
	s_and_b32 s26, s58, exec_lo
	s_wait_alu 0xfffe
	s_or_b32 s27, s24, s26
.LBB58_216:                             ;   in Loop: Header=BB58_7 Depth=1
	s_or_b32 exec_lo, exec_lo, s23
	s_mov_b32 s23, 0
	s_mov_b32 s24, -1
.LBB58_217:                             ;   in Loop: Header=BB58_7 Depth=1
	s_wait_alu 0xfffe
	s_or_not1_b32 s26, s27, exec_lo
.LBB58_218:                             ;   in Loop: Header=BB58_7 Depth=1
	s_wait_alu 0xfffe
	s_or_b32 exec_lo, exec_lo, s25
	s_mov_b32 s27, 0
	s_and_saveexec_b32 s25, s26
	s_cbranch_execz .LBB58_229
; %bb.219:                              ;   in Loop: Header=BB58_7 Depth=1
	v_mov_b32_e32 v3, 1
	v_mov_b32_e32 v1, 1
	s_xor_b32 s26, s17, -1
	s_wait_alu 0xfffe
	s_and_saveexec_b32 s17, s26
	s_cbranch_execz .LBB58_228
; %bb.220:                              ;   in Loop: Header=BB58_7 Depth=1
	s_mov_b32 s26, exec_lo
	v_cmpx_ge_i32_e64 s9, v4
	s_wait_alu 0xfffe
	s_xor_b32 s26, exec_lo, s26
	s_cbranch_execz .LBB58_225
; %bb.221:                              ;   in Loop: Header=BB58_7 Depth=1
	ds_load_b32 v1, v7 offset:4096
	v_or_b32_e32 v22, s10, v22
	v_or_b32_e32 v31, s10, v31
	s_wait_dscnt 0x0
	v_cmp_ne_u32_e32 vcc_lo, 0, v1
	s_cbranch_vccnz .LBB58_225
; %bb.222:                              ;   in Loop: Header=BB58_7 Depth=1
	s_and_saveexec_b32 s10, s2
; %bb.223:                              ;   in Loop: Header=BB58_7 Depth=1
	v_mov_b32_e32 v1, s9
	ds_store_b32 v7, v1 offset:4100
; %bb.224:                              ;   in Loop: Header=BB58_7 Depth=1
	s_wait_alu 0xfffe
	s_or_b32 exec_lo, exec_lo, s10
	s_wait_loadcnt_dscnt 0x0
	s_barrier_signal -1
	s_barrier_wait -1
	global_inv scope:SCOPE_SE
.LBB58_225:                             ;   in Loop: Header=BB58_7 Depth=1
	s_wait_alu 0xfffe
	s_and_not1_saveexec_b32 s10, s26
; %bb.226:                              ;   in Loop: Header=BB58_7 Depth=1
	v_subrev_nc_u32_e32 v4, s9, v4
; %bb.227:                              ;   in Loop: Header=BB58_7 Depth=1
	s_wait_alu 0xfffe
	s_or_b32 exec_lo, exec_lo, s10
	v_mov_b32_e32 v3, 8
	s_delay_alu instid0(VALU_DEP_2)
	v_mov_b32_e32 v1, v4
.LBB58_228:                             ;   in Loop: Header=BB58_7 Depth=1
	s_wait_alu 0xfffe
	s_or_b32 exec_lo, exec_lo, s17
	s_delay_alu instid0(VALU_DEP_1)
	v_mov_b32_e32 v4, v1
	s_mov_b32 s27, exec_lo
.LBB58_229:                             ;   in Loop: Header=BB58_7 Depth=1
	s_wait_alu 0xfffe
	s_or_b32 exec_lo, exec_lo, s25
	s_delay_alu instid0(SALU_CYCLE_1)
	s_or_not1_b32 s17, s27, exec_lo
.LBB58_230:                             ;   in Loop: Header=BB58_7 Depth=1
	s_wait_alu 0xfffe
	s_or_b32 exec_lo, exec_lo, s16
	v_mov_b32_e32 v6, v4
	s_and_not1_b32 s9, s21, exec_lo
	s_and_b32 s10, s24, exec_lo
	s_and_not1_b32 s16, s20, exec_lo
	s_and_b32 s20, s23, exec_lo
	s_wait_alu 0xfffe
	s_or_b32 s21, s9, s10
	s_or_b32 s20, s16, s20
	s_and_b32 s25, s17, exec_lo
.LBB58_231:                             ;   in Loop: Header=BB58_7 Depth=1
	s_wait_alu 0xfffe
	s_or_b32 exec_lo, exec_lo, s22
	s_delay_alu instid0(SALU_CYCLE_1)
	s_or_not1_b32 s22, s25, exec_lo
.LBB58_232:                             ;   in Loop: Header=BB58_7 Depth=1
	s_wait_alu 0xfffe
	s_or_b32 exec_lo, exec_lo, s19
	v_mov_b32_e32 v4, v6
	s_and_not1_b32 s9, s15, exec_lo
	s_and_b32 s10, s21, exec_lo
	s_and_not1_b32 s14, s14, exec_lo
	s_and_b32 s16, s20, exec_lo
	s_wait_alu 0xfffe
	s_or_b32 s15, s9, s10
	s_or_b32 s14, s14, s16
	s_and_b32 s22, s22, exec_lo
.LBB58_233:                             ;   in Loop: Header=BB58_7 Depth=1
	s_wait_alu 0xfffe
	s_or_b32 exec_lo, exec_lo, s18
	s_delay_alu instid0(SALU_CYCLE_1)
	s_or_not1_b32 s18, s22, exec_lo
.LBB58_234:                             ;   in Loop: Header=BB58_7 Depth=1
	s_wait_alu 0xfffe
	s_or_b32 exec_lo, exec_lo, s13
	s_mov_b32 s10, 0
                                        ; implicit-def: $sgpr21
	s_and_saveexec_b32 s9, s18
	s_wait_alu 0xfffe
	s_xor_b32 s9, exec_lo, s9
	s_cbranch_execz .LBB58_5
; %bb.235:                              ;   in Loop: Header=BB58_7 Depth=1
	v_and_b32_e32 v1, 7, v3
	s_mov_b32 s12, -1
	s_mov_b32 s10, -1
	s_mov_b32 s13, exec_lo
                                        ; implicit-def: $sgpr21
	s_delay_alu instid0(VALU_DEP_1)
	v_cmpx_eq_u32_e32 0, v1
	s_cbranch_execz .LBB58_4
; %bb.236:                              ;   in Loop: Header=BB58_7 Depth=1
	s_add_co_i32 s21, s93, -2
	s_cmp_eq_u32 s93, 0
	v_xor_b32_e32 v30, 1, v30
	s_cselect_b32 s12, -1, 0
	s_xor_b32 s10, exec_lo, -1
	s_wait_alu 0xfffe
	s_or_not1_b32 s12, s12, exec_lo
	s_branch .LBB58_4
.LBB58_237:
	s_or_b32 exec_lo, exec_lo, s37
	s_wait_alu 0xfffe
	s_xor_b32 s3, s92, -1
	s_xor_b32 s1, s90, -1
	;; [unrolled: 1-line block ×3, first 2 shown]
	s_mov_b32 s0, 0
	s_and_saveexec_b32 s5, s1
	s_wait_alu 0xfffe
	s_xor_b32 s1, exec_lo, s5
	s_cbranch_execnz .LBB58_242
; %bb.238:
	s_and_not1_saveexec_b32 s1, s1
	s_cbranch_execnz .LBB58_262
.LBB58_239:
	s_wait_alu 0xfffe
	s_or_b32 exec_lo, exec_lo, s1
	s_and_saveexec_b32 s1, s0
.LBB58_240:
	; divergent unreachable
.LBB58_241:
	s_endpgm
.LBB58_242:
	s_and_saveexec_b32 s0, s3
	s_delay_alu instid0(SALU_CYCLE_1)
	s_xor_b32 s3, exec_lo, s0
	s_cbranch_execz .LBB58_260
; %bb.243:
	s_and_saveexec_b32 s0, s4
	s_delay_alu instid0(SALU_CYCLE_1)
	s_xor_b32 s0, exec_lo, s0
; %bb.244:
	v_and_b32_e32 v1, 0x8000, v22
	v_mov_b32_e32 v2, 0xffff
	s_delay_alu instid0(VALU_DEP_2) | instskip(SKIP_1) | instid1(VALU_DEP_2)
	v_cmp_eq_u32_e32 vcc_lo, 0, v1
	s_wait_alu 0xfffd
	v_cndmask_b32_e32 v1, 0x8000, v2, vcc_lo
	s_delay_alu instid0(VALU_DEP_1)
	v_xor_b32_e32 v32, v1, v22
; %bb.245:
	s_or_b32 exec_lo, exec_lo, s0
	s_and_saveexec_b32 s0, s2
; %bb.246:
	v_dual_mov_b32 v1, 0 :: v_dual_mov_b32 v2, s36
	ds_store_b32 v1, v2 offset:4108
; %bb.247:
	s_or_b32 exec_lo, exec_lo, s0
	v_mov_b32_e32 v1, 0
	s_wait_loadcnt_dscnt 0x0
	s_barrier_signal -1
	s_barrier_wait -1
	global_inv scope:SCOPE_SE
	ds_load_b32 v1, v1 offset:4108
	s_mov_b32 s4, exec_lo
	s_wait_dscnt 0x0
	v_min_i32_e32 v1, s36, v1
	s_delay_alu instid0(VALU_DEP_1)
	v_cmpx_lt_i32_e64 v0, v1
	s_cbranch_execz .LBB58_257
; %bb.248:
	v_cmp_u_f16_e32 vcc_lo, v32, v32
	s_mov_b32 s5, 0
                                        ; implicit-def: $sgpr6
                                        ; implicit-def: $sgpr9
                                        ; implicit-def: $sgpr8
	s_xor_b32 s7, vcc_lo, -1
	s_branch .LBB58_250
.LBB58_249:                             ;   in Loop: Header=BB58_250 Depth=1
	s_or_b32 exec_lo, exec_lo, s0
	s_wait_alu 0xfffe
	s_and_b32 s0, exec_lo, s9
	s_delay_alu instid0(SALU_CYCLE_1) | instskip(SKIP_2) | instid1(SALU_CYCLE_1)
	s_or_b32 s5, s0, s5
	s_and_not1_b32 s0, s6, exec_lo
	s_and_b32 s6, s8, exec_lo
	s_or_b32 s6, s0, s6
	s_wait_alu 0xfffe
	s_and_not1_b32 exec_lo, exec_lo, s5
	s_cbranch_execz .LBB58_252
.LBB58_250:                             ; =>This Inner Loop Header: Depth=1
	v_ashrrev_i32_e32 v6, 31, v5
	s_or_b32 s8, s8, exec_lo
	s_or_b32 s9, s9, exec_lo
	s_delay_alu instid0(VALU_DEP_1) | instskip(NEXT) | instid1(VALU_DEP_1)
	v_lshlrev_b64_e32 v[2:3], 1, v[5:6]
	v_add_co_u32 v2, vcc_lo, s60, v2
	s_wait_alu 0xfffd
	s_delay_alu instid0(VALU_DEP_2)
	v_add_co_ci_u32_e64 v3, null, s61, v3, vcc_lo
	global_load_u16 v2, v[2:3], off
	s_wait_loadcnt 0x0
	v_cmp_o_f16_e32 vcc_lo, v2, v2
	v_cmp_neq_f16_e64 s0, v2, v32
	v_mov_b32_e32 v2, v0
                                        ; implicit-def: $vgpr0
	s_or_b32 s10, s7, vcc_lo
	s_wait_alu 0xfffe
	s_and_b32 s10, s0, s10
	s_wait_alu 0xfffe
	s_and_saveexec_b32 s0, s10
	s_cbranch_execz .LBB58_249
; %bb.251:                              ;   in Loop: Header=BB58_250 Depth=1
	v_add_nc_u32_e32 v0, s49, v2
	v_add_nc_u32_e32 v5, s73, v5
	s_and_not1_b32 s9, s9, exec_lo
	s_and_not1_b32 s8, s8, exec_lo
	s_delay_alu instid0(VALU_DEP_2)
	v_cmp_ge_i32_e32 vcc_lo, v0, v1
	s_and_b32 s10, vcc_lo, exec_lo
	s_wait_alu 0xfffe
	s_or_b32 s9, s9, s10
	s_branch .LBB58_249
.LBB58_252:
	s_or_b32 exec_lo, exec_lo, s5
	s_and_saveexec_b32 s0, s6
	s_delay_alu instid0(SALU_CYCLE_1)
	s_xor_b32 s0, exec_lo, s0
	s_cbranch_execz .LBB58_257
; %bb.253:
	s_mov_b32 s5, exec_lo
	s_brev_b32 s0, -2
.LBB58_254:                             ; =>This Inner Loop Header: Depth=1
	s_wait_alu 0xfffe
	s_ctz_i32_b32 s6, s5
	s_wait_alu 0xfffe
	v_readlane_b32 s7, v2, s6
	s_lshl_b32 s6, 1, s6
	s_wait_alu 0xfffe
	s_and_not1_b32 s5, s5, s6
	s_min_i32 s0, s0, s7
	s_wait_alu 0xfffe
	s_cmp_lg_u32 s5, 0
	s_cbranch_scc1 .LBB58_254
; %bb.255:
	v_mbcnt_lo_u32_b32 v0, exec_lo, 0
	s_mov_b32 s5, exec_lo
	s_delay_alu instid0(VALU_DEP_1)
	v_cmpx_eq_u32_e32 0, v0
	s_wait_alu 0xfffe
	s_xor_b32 s5, exec_lo, s5
; %bb.256:
	v_dual_mov_b32 v0, 0 :: v_dual_mov_b32 v1, s0
	ds_min_i32 v0, v1 offset:4108
.LBB58_257:
	s_wait_alu 0xfffe
	s_or_b32 exec_lo, exec_lo, s4
	s_wait_loadcnt_dscnt 0x0
	s_barrier_signal -1
	s_barrier_wait -1
	global_inv scope:SCOPE_SE
	s_and_saveexec_b32 s0, s2
	s_cbranch_execz .LBB58_259
; %bb.258:
	s_mul_i32 s4, s57, s68
	s_mul_i32 s2, s43, s31
	s_wait_alu 0xfffe
	s_sub_co_i32 s4, s48, s4
	s_sub_co_i32 s2, s33, s2
	s_xor_b32 s5, s71, s72
	s_add_co_i32 s6, s57, 1
	s_wait_alu 0xfffe
	s_sub_co_i32 s7, s4, s68
	s_cmp_ge_u32 s4, s68
	s_wait_kmcnt 0x0
	s_mul_i32 s2, s2, s46
	s_cselect_b32 s6, s6, s57
	s_wait_alu 0xfffe
	s_cselect_b32 s4, s7, s4
	s_add_co_i32 s7, s6, 1
	s_wait_alu 0xfffe
	s_cmp_ge_u32 s4, s68
	v_mov_b32_e32 v2, 0
	s_cselect_b32 s4, s7, s6
	s_mul_i32 s7, s29, s38
	s_wait_alu 0xfffe
	s_xor_b32 s4, s4, s5
	s_mul_i32 s6, s47, s35
	s_wait_alu 0xfffe
	s_sub_co_i32 s4, s4, s5
	s_sub_co_i32 s6, s33, s6
	s_wait_alu 0xfffe
	s_mul_i32 s5, s4, s30
	s_mul_i32 s4, s4, s44
	s_wait_alu 0xfffe
	s_sub_co_i32 s5, s43, s5
	s_xor_b32 s8, s69, s70
	s_wait_alu 0xfffe
	s_mul_i32 s5, s5, s45
	ds_load_b32 v0, v2 offset:4108
	s_wait_alu 0xfffe
	s_add_co_i32 s2, s5, s2
	s_sub_co_i32 s5, s50, s7
	s_wait_alu 0xfffe
	s_add_co_i32 s4, s2, s4
	s_add_co_i32 s2, s29, 1
	s_sub_co_i32 s7, s5, s38
	s_cmp_ge_u32 s5, s38
	s_mul_i32 s6, s6, s42
	s_wait_alu 0xfffe
	s_cselect_b32 s2, s2, s29
	s_cselect_b32 s5, s7, s5
	s_wait_alu 0xfffe
	s_add_co_i32 s7, s2, 1
	s_cmp_ge_u32 s5, s38
	s_wait_alu 0xfffe
	s_cselect_b32 s2, s7, s2
	s_wait_alu 0xfffe
	s_xor_b32 s2, s2, s8
	s_wait_alu 0xfffe
	s_sub_co_i32 s2, s2, s8
	s_wait_alu 0xfffe
	s_mul_i32 s5, s2, s34
	s_mul_i32 s2, s2, s40
	s_wait_alu 0xfffe
	s_sub_co_i32 s5, s47, s5
	s_wait_dscnt 0x0
	v_ashrrev_i32_e32 v1, 31, v0
	s_wait_alu 0xfffe
	s_mul_i32 s5, s5, s41
	s_wait_alu 0xfffe
	s_add_co_i32 s5, s5, s6
	s_wait_alu 0xfffe
	s_add_co_i32 s6, s5, s2
	s_ashr_i32 s5, s4, 31
	s_wait_alu 0xfffe
	s_ashr_i32 s7, s6, 31
	s_lshl_b64 s[4:5], s[4:5], 1
	s_wait_alu 0xfffe
	s_lshl_b64 s[6:7], s[6:7], 3
	s_add_nc_u64 s[4:5], s[54:55], s[4:5]
	s_wait_alu 0xfffe
	s_add_nc_u64 s[6:7], s[52:53], s[6:7]
	s_clause 0x1
	global_store_b64 v2, v[0:1], s[6:7]
	global_store_b16 v2, v32, s[4:5]
.LBB58_259:
	s_wait_alu 0xfffe
	s_or_b32 exec_lo, exec_lo, s0
.LBB58_260:
	s_wait_alu 0xfffe
	s_or_saveexec_b32 s0, s3
	s_mov_b32 s2, 0
	s_wait_alu 0xfffe
	s_xor_b32 exec_lo, exec_lo, s0
	s_cbranch_execnz .LBB58_263
.LBB58_261:
	s_or_b32 exec_lo, exec_lo, s0
	s_wait_alu 0xfffe
	s_and_b32 s0, s2, exec_lo
	s_and_not1_saveexec_b32 s1, s1
	s_cbranch_execz .LBB58_239
.LBB58_262:
	s_wait_alu 0xfffe
	s_or_b32 s0, s0, exec_lo
	s_trap 2
	s_or_b32 exec_lo, exec_lo, s1
	s_wait_alu 0xfffe
	s_and_saveexec_b32 s1, s0
	s_cbranch_execnz .LBB58_240
	s_branch .LBB58_241
.LBB58_263:
	s_mov_b32 s2, exec_lo
	s_trap 2
	s_branch .LBB58_261
	.section	.rodata,"a",@progbits
	.p2align	6, 0x0
	.amdhsa_kernel _ZN2at6native12_GLOBAL__N_114gatherKthValueIN3c104HalfEiLi3EEEvNS_4cuda6detail10TensorInfoIKT_T0_EESA_SA_SA_SA_NS7_IS8_SA_EENS7_IlSA_EE
		.amdhsa_group_segment_fixed_size 4112
		.amdhsa_private_segment_fixed_size 0
		.amdhsa_kernarg_size 920
		.amdhsa_user_sgpr_count 2
		.amdhsa_user_sgpr_dispatch_ptr 0
		.amdhsa_user_sgpr_queue_ptr 0
		.amdhsa_user_sgpr_kernarg_segment_ptr 1
		.amdhsa_user_sgpr_dispatch_id 0
		.amdhsa_user_sgpr_private_segment_size 0
		.amdhsa_wavefront_size32 1
		.amdhsa_uses_dynamic_stack 0
		.amdhsa_enable_private_segment 0
		.amdhsa_system_sgpr_workgroup_id_x 1
		.amdhsa_system_sgpr_workgroup_id_y 1
		.amdhsa_system_sgpr_workgroup_id_z 1
		.amdhsa_system_sgpr_workgroup_info 0
		.amdhsa_system_vgpr_workitem_id 0
		.amdhsa_next_free_vgpr 44
		.amdhsa_next_free_sgpr 101
		.amdhsa_reserve_vcc 1
		.amdhsa_float_round_mode_32 0
		.amdhsa_float_round_mode_16_64 0
		.amdhsa_float_denorm_mode_32 3
		.amdhsa_float_denorm_mode_16_64 3
		.amdhsa_fp16_overflow 0
		.amdhsa_workgroup_processor_mode 1
		.amdhsa_memory_ordered 1
		.amdhsa_forward_progress 1
		.amdhsa_inst_pref_size 100
		.amdhsa_round_robin_scheduling 0
		.amdhsa_exception_fp_ieee_invalid_op 0
		.amdhsa_exception_fp_denorm_src 0
		.amdhsa_exception_fp_ieee_div_zero 0
		.amdhsa_exception_fp_ieee_overflow 0
		.amdhsa_exception_fp_ieee_underflow 0
		.amdhsa_exception_fp_ieee_inexact 0
		.amdhsa_exception_int_div_zero 0
	.end_amdhsa_kernel
	.section	.text._ZN2at6native12_GLOBAL__N_114gatherKthValueIN3c104HalfEiLi3EEEvNS_4cuda6detail10TensorInfoIKT_T0_EESA_SA_SA_SA_NS7_IS8_SA_EENS7_IlSA_EE,"axG",@progbits,_ZN2at6native12_GLOBAL__N_114gatherKthValueIN3c104HalfEiLi3EEEvNS_4cuda6detail10TensorInfoIKT_T0_EESA_SA_SA_SA_NS7_IS8_SA_EENS7_IlSA_EE,comdat
.Lfunc_end58:
	.size	_ZN2at6native12_GLOBAL__N_114gatherKthValueIN3c104HalfEiLi3EEEvNS_4cuda6detail10TensorInfoIKT_T0_EESA_SA_SA_SA_NS7_IS8_SA_EENS7_IlSA_EE, .Lfunc_end58-_ZN2at6native12_GLOBAL__N_114gatherKthValueIN3c104HalfEiLi3EEEvNS_4cuda6detail10TensorInfoIKT_T0_EESA_SA_SA_SA_NS7_IS8_SA_EENS7_IlSA_EE
                                        ; -- End function
	.set _ZN2at6native12_GLOBAL__N_114gatherKthValueIN3c104HalfEiLi3EEEvNS_4cuda6detail10TensorInfoIKT_T0_EESA_SA_SA_SA_NS7_IS8_SA_EENS7_IlSA_EE.num_vgpr, 44
	.set _ZN2at6native12_GLOBAL__N_114gatherKthValueIN3c104HalfEiLi3EEEvNS_4cuda6detail10TensorInfoIKT_T0_EESA_SA_SA_SA_NS7_IS8_SA_EENS7_IlSA_EE.num_agpr, 0
	.set _ZN2at6native12_GLOBAL__N_114gatherKthValueIN3c104HalfEiLi3EEEvNS_4cuda6detail10TensorInfoIKT_T0_EESA_SA_SA_SA_NS7_IS8_SA_EENS7_IlSA_EE.numbered_sgpr, 101
	.set _ZN2at6native12_GLOBAL__N_114gatherKthValueIN3c104HalfEiLi3EEEvNS_4cuda6detail10TensorInfoIKT_T0_EESA_SA_SA_SA_NS7_IS8_SA_EENS7_IlSA_EE.num_named_barrier, 0
	.set _ZN2at6native12_GLOBAL__N_114gatherKthValueIN3c104HalfEiLi3EEEvNS_4cuda6detail10TensorInfoIKT_T0_EESA_SA_SA_SA_NS7_IS8_SA_EENS7_IlSA_EE.private_seg_size, 0
	.set _ZN2at6native12_GLOBAL__N_114gatherKthValueIN3c104HalfEiLi3EEEvNS_4cuda6detail10TensorInfoIKT_T0_EESA_SA_SA_SA_NS7_IS8_SA_EENS7_IlSA_EE.uses_vcc, 1
	.set _ZN2at6native12_GLOBAL__N_114gatherKthValueIN3c104HalfEiLi3EEEvNS_4cuda6detail10TensorInfoIKT_T0_EESA_SA_SA_SA_NS7_IS8_SA_EENS7_IlSA_EE.uses_flat_scratch, 0
	.set _ZN2at6native12_GLOBAL__N_114gatherKthValueIN3c104HalfEiLi3EEEvNS_4cuda6detail10TensorInfoIKT_T0_EESA_SA_SA_SA_NS7_IS8_SA_EENS7_IlSA_EE.has_dyn_sized_stack, 0
	.set _ZN2at6native12_GLOBAL__N_114gatherKthValueIN3c104HalfEiLi3EEEvNS_4cuda6detail10TensorInfoIKT_T0_EESA_SA_SA_SA_NS7_IS8_SA_EENS7_IlSA_EE.has_recursion, 0
	.set _ZN2at6native12_GLOBAL__N_114gatherKthValueIN3c104HalfEiLi3EEEvNS_4cuda6detail10TensorInfoIKT_T0_EESA_SA_SA_SA_NS7_IS8_SA_EENS7_IlSA_EE.has_indirect_call, 0
	.section	.AMDGPU.csdata,"",@progbits
; Kernel info:
; codeLenInByte = 12700
; TotalNumSgprs: 103
; NumVgprs: 44
; ScratchSize: 0
; MemoryBound: 0
; FloatMode: 240
; IeeeMode: 1
; LDSByteSize: 4112 bytes/workgroup (compile time only)
; SGPRBlocks: 0
; VGPRBlocks: 5
; NumSGPRsForWavesPerEU: 103
; NumVGPRsForWavesPerEU: 44
; Occupancy: 16
; WaveLimiterHint : 1
; COMPUTE_PGM_RSRC2:SCRATCH_EN: 0
; COMPUTE_PGM_RSRC2:USER_SGPR: 2
; COMPUTE_PGM_RSRC2:TRAP_HANDLER: 0
; COMPUTE_PGM_RSRC2:TGID_X_EN: 1
; COMPUTE_PGM_RSRC2:TGID_Y_EN: 1
; COMPUTE_PGM_RSRC2:TGID_Z_EN: 1
; COMPUTE_PGM_RSRC2:TIDIG_COMP_CNT: 0
	.section	.text._ZN2at6native12_GLOBAL__N_114gatherKthValueIN3c104HalfEiLin1EEEvNS_4cuda6detail10TensorInfoIKT_T0_EESA_SA_SA_SA_NS7_IS8_SA_EENS7_IlSA_EE,"axG",@progbits,_ZN2at6native12_GLOBAL__N_114gatherKthValueIN3c104HalfEiLin1EEEvNS_4cuda6detail10TensorInfoIKT_T0_EESA_SA_SA_SA_NS7_IS8_SA_EENS7_IlSA_EE,comdat
	.globl	_ZN2at6native12_GLOBAL__N_114gatherKthValueIN3c104HalfEiLin1EEEvNS_4cuda6detail10TensorInfoIKT_T0_EESA_SA_SA_SA_NS7_IS8_SA_EENS7_IlSA_EE ; -- Begin function _ZN2at6native12_GLOBAL__N_114gatherKthValueIN3c104HalfEiLin1EEEvNS_4cuda6detail10TensorInfoIKT_T0_EESA_SA_SA_SA_NS7_IS8_SA_EENS7_IlSA_EE
	.p2align	8
	.type	_ZN2at6native12_GLOBAL__N_114gatherKthValueIN3c104HalfEiLin1EEEvNS_4cuda6detail10TensorInfoIKT_T0_EESA_SA_SA_SA_NS7_IS8_SA_EENS7_IlSA_EE,@function
_ZN2at6native12_GLOBAL__N_114gatherKthValueIN3c104HalfEiLin1EEEvNS_4cuda6detail10TensorInfoIKT_T0_EESA_SA_SA_SA_NS7_IS8_SA_EENS7_IlSA_EE: ; @_ZN2at6native12_GLOBAL__N_114gatherKthValueIN3c104HalfEiLin1EEEvNS_4cuda6detail10TensorInfoIKT_T0_EESA_SA_SA_SA_NS7_IS8_SA_EENS7_IlSA_EE
; %bb.0:
	s_clause 0x1
	s_load_b64 s[4:5], s[0:1], 0x298
	s_load_b128 s[36:39], s[0:1], 0xd8
	s_lshr_b32 s2, ttmp7, 16
	s_and_b32 s3, ttmp7, 0xffff
	s_wait_kmcnt 0x0
	s_mul_i32 s2, s5, s2
	s_delay_alu instid0(SALU_CYCLE_1) | instskip(NEXT) | instid1(SALU_CYCLE_1)
	s_add_co_i32 s2, s2, s3
	s_mul_i32 s2, s2, s4
	s_delay_alu instid0(SALU_CYCLE_1) | instskip(NEXT) | instid1(SALU_CYCLE_1)
	s_add_co_i32 s33, s2, ttmp9
	s_cmp_ge_i32 s33, s38
	s_cbranch_scc1 .LBB59_250
; %bb.1:
	s_load_b32 s6, s[0:1], 0xd0
	s_mov_b32 s3, 0
	s_mov_b32 s5, s33
	s_wait_kmcnt 0x0
	s_cmp_lt_i32 s6, 2
	s_cbranch_scc1 .LBB59_4
; %bb.2:
	s_add_co_i32 s2, s6, -1
	s_mov_b32 s5, s33
	s_lshl_b64 s[8:9], s[2:3], 2
	s_add_co_i32 s2, s6, 1
	s_add_nc_u64 s[8:9], s[0:1], s[8:9]
	s_delay_alu instid0(SALU_CYCLE_1)
	s_add_nc_u64 s[6:7], s[8:9], 8
.LBB59_3:                               ; =>This Inner Loop Header: Depth=1
	s_clause 0x1
	s_load_b32 s8, s[6:7], 0x0
	s_load_b32 s9, s[6:7], 0x64
	s_mov_b32 s13, s5
	s_add_nc_u64 s[6:7], s[6:7], -4
	s_wait_kmcnt 0x0
	s_abs_i32 s10, s8
	s_wait_alu 0xfffe
	s_cvt_f32_u32 s11, s10
	s_sub_co_i32 s12, 0, s10
	s_wait_alu 0xfffe
	s_delay_alu instid0(SALU_CYCLE_1) | instskip(NEXT) | instid1(TRANS32_DEP_1)
	v_rcp_iflag_f32_e32 v1, s11
	v_readfirstlane_b32 s11, v1
	s_mul_f32 s11, s11, 0x4f7ffffe
	s_wait_alu 0xfffe
	s_delay_alu instid0(SALU_CYCLE_2) | instskip(SKIP_1) | instid1(SALU_CYCLE_2)
	s_cvt_u32_f32 s11, s11
	s_wait_alu 0xfffe
	s_mul_i32 s12, s12, s11
	s_delay_alu instid0(SALU_CYCLE_1)
	s_mul_hi_u32 s5, s11, s12
	s_abs_i32 s12, s13
	s_add_co_i32 s11, s11, s5
	s_wait_alu 0xfffe
	s_mul_hi_u32 s5, s12, s11
	s_xor_b32 s11, s13, s8
	s_mul_i32 s14, s5, s10
	s_wait_alu 0xfffe
	s_ashr_i32 s11, s11, 31
	s_sub_co_i32 s12, s12, s14
	s_add_co_i32 s14, s5, 1
	s_sub_co_i32 s15, s12, s10
	s_cmp_ge_u32 s12, s10
	s_cselect_b32 s5, s14, s5
	s_cselect_b32 s12, s15, s12
	s_add_co_i32 s14, s5, 1
	s_cmp_ge_u32 s12, s10
	s_cselect_b32 s5, s14, s5
	s_add_co_i32 s2, s2, -1
	s_wait_alu 0xfffe
	s_xor_b32 s5, s5, s11
	s_delay_alu instid0(SALU_CYCLE_1) | instskip(NEXT) | instid1(SALU_CYCLE_1)
	s_sub_co_i32 s5, s5, s11
	s_mul_i32 s8, s5, s8
	s_delay_alu instid0(SALU_CYCLE_1) | instskip(NEXT) | instid1(SALU_CYCLE_1)
	s_sub_co_i32 s8, s13, s8
	s_mul_i32 s8, s9, s8
	s_delay_alu instid0(SALU_CYCLE_1)
	s_add_co_i32 s3, s8, s3
	s_cmp_gt_u32 s2, 2
	s_cbranch_scc1 .LBB59_3
.LBB59_4:
	s_load_b32 s2, s[0:1], 0x1b8
	s_add_nc_u64 s[10:11], s[0:1], 0x298
	s_add_nc_u64 s[6:7], s[0:1], 0xe8
	s_mov_b32 s29, 0
	s_mov_b32 s38, s33
	s_wait_kmcnt 0x0
	s_cmp_lt_i32 s2, 2
	s_cbranch_scc1 .LBB59_7
; %bb.5:
	s_add_co_i32 s28, s2, -1
	s_add_co_i32 s2, s2, 1
	s_lshl_b64 s[8:9], s[28:29], 2
	s_mov_b32 s38, s33
	s_add_nc_u64 s[8:9], s[6:7], s[8:9]
	s_delay_alu instid0(SALU_CYCLE_1)
	s_add_nc_u64 s[8:9], s[8:9], 8
.LBB59_6:                               ; =>This Inner Loop Header: Depth=1
	s_clause 0x1
	s_load_b32 s12, s[8:9], 0x0
	s_load_b32 s13, s[8:9], 0x64
	s_abs_i32 s18, s38
	s_mov_b32 s17, s38
	s_add_nc_u64 s[8:9], s[8:9], -4
	s_wait_kmcnt 0x0
	s_abs_i32 s14, s12
	s_wait_alu 0xfffe
	s_cvt_f32_u32 s15, s14
	s_sub_co_i32 s16, 0, s14
	s_wait_alu 0xfffe
	s_delay_alu instid0(SALU_CYCLE_1) | instskip(NEXT) | instid1(TRANS32_DEP_1)
	v_rcp_iflag_f32_e32 v1, s15
	v_readfirstlane_b32 s15, v1
	s_mul_f32 s15, s15, 0x4f7ffffe
	s_wait_alu 0xfffe
	s_delay_alu instid0(SALU_CYCLE_2) | instskip(SKIP_1) | instid1(SALU_CYCLE_2)
	s_cvt_u32_f32 s15, s15
	s_wait_alu 0xfffe
	s_mul_i32 s16, s16, s15
	s_delay_alu instid0(SALU_CYCLE_1) | instskip(NEXT) | instid1(SALU_CYCLE_1)
	s_mul_hi_u32 s16, s15, s16
	s_add_co_i32 s15, s15, s16
	s_xor_b32 s16, s38, s12
	s_wait_alu 0xfffe
	s_mul_hi_u32 s15, s18, s15
	s_ashr_i32 s16, s16, 31
	s_wait_alu 0xfffe
	s_mul_i32 s19, s15, s14
	s_delay_alu instid0(SALU_CYCLE_1)
	s_sub_co_i32 s18, s18, s19
	s_add_co_i32 s19, s15, 1
	s_sub_co_i32 s20, s18, s14
	s_cmp_ge_u32 s18, s14
	s_cselect_b32 s15, s19, s15
	s_cselect_b32 s18, s20, s18
	s_wait_alu 0xfffe
	s_add_co_i32 s19, s15, 1
	s_cmp_ge_u32 s18, s14
	s_cselect_b32 s14, s19, s15
	s_add_co_i32 s2, s2, -1
	s_wait_alu 0xfffe
	s_xor_b32 s14, s14, s16
	s_wait_alu 0xfffe
	s_sub_co_i32 s38, s14, s16
	s_delay_alu instid0(SALU_CYCLE_1) | instskip(NEXT) | instid1(SALU_CYCLE_1)
	s_mul_i32 s12, s38, s12
	s_sub_co_i32 s12, s17, s12
	s_delay_alu instid0(SALU_CYCLE_1) | instskip(NEXT) | instid1(SALU_CYCLE_1)
	s_mul_i32 s12, s13, s12
	s_add_co_i32 s29, s12, s29
	s_cmp_gt_u32 s2, 2
	s_cbranch_scc1 .LBB59_6
.LBB59_7:
	s_clause 0x1
	s_load_b32 s12, s[0:1], 0x6c
	s_load_b32 s2, s[0:1], 0x290
	s_mov_b32 s31, 0
	s_wait_kmcnt 0x0
	s_cmp_lt_i32 s2, 2
	s_cbranch_scc1 .LBB59_10
; %bb.8:
	s_add_co_i32 s30, s2, -1
	s_add_nc_u64 s[8:9], s[0:1], 0x1c0
	s_lshl_b64 s[14:15], s[30:31], 2
	s_add_co_i32 s2, s2, 1
	s_wait_alu 0xfffe
	s_add_nc_u64 s[8:9], s[8:9], s[14:15]
	s_delay_alu instid0(SALU_CYCLE_1)
	s_add_nc_u64 s[8:9], s[8:9], 8
.LBB59_9:                               ; =>This Inner Loop Header: Depth=1
	s_clause 0x1
	s_load_b32 s13, s[8:9], 0x0
	s_load_b32 s14, s[8:9], 0x64
	s_abs_i32 s19, s33
	s_mov_b32 s18, s33
	s_add_nc_u64 s[8:9], s[8:9], -4
	s_wait_kmcnt 0x0
	s_abs_i32 s15, s13
	s_wait_alu 0xfffe
	s_cvt_f32_u32 s16, s15
	s_sub_co_i32 s17, 0, s15
	s_wait_alu 0xfffe
	s_delay_alu instid0(SALU_CYCLE_1) | instskip(NEXT) | instid1(TRANS32_DEP_1)
	v_rcp_iflag_f32_e32 v1, s16
	v_readfirstlane_b32 s16, v1
	s_mul_f32 s16, s16, 0x4f7ffffe
	s_wait_alu 0xfffe
	s_delay_alu instid0(SALU_CYCLE_2) | instskip(SKIP_1) | instid1(SALU_CYCLE_2)
	s_cvt_u32_f32 s16, s16
	s_wait_alu 0xfffe
	s_mul_i32 s17, s17, s16
	s_wait_alu 0xfffe
	s_mul_hi_u32 s17, s16, s17
	s_wait_alu 0xfffe
	s_add_co_i32 s16, s16, s17
	s_xor_b32 s17, s33, s13
	s_wait_alu 0xfffe
	s_mul_hi_u32 s16, s19, s16
	s_ashr_i32 s17, s17, 31
	s_wait_alu 0xfffe
	s_mul_i32 s20, s16, s15
	s_delay_alu instid0(SALU_CYCLE_1)
	s_sub_co_i32 s19, s19, s20
	s_add_co_i32 s20, s16, 1
	s_sub_co_i32 s21, s19, s15
	s_cmp_ge_u32 s19, s15
	s_cselect_b32 s16, s20, s16
	s_cselect_b32 s19, s21, s19
	s_wait_alu 0xfffe
	s_add_co_i32 s20, s16, 1
	s_cmp_ge_u32 s19, s15
	s_cselect_b32 s15, s20, s16
	s_add_co_i32 s2, s2, -1
	s_wait_alu 0xfffe
	s_xor_b32 s15, s15, s17
	s_wait_alu 0xfffe
	s_sub_co_i32 s33, s15, s17
	s_delay_alu instid0(SALU_CYCLE_1) | instskip(NEXT) | instid1(SALU_CYCLE_1)
	s_mul_i32 s13, s33, s13
	s_sub_co_i32 s13, s18, s13
	s_delay_alu instid0(SALU_CYCLE_1) | instskip(NEXT) | instid1(SALU_CYCLE_1)
	s_mul_i32 s13, s14, s13
	s_add_co_i32 s31, s13, s31
	s_cmp_gt_u32 s2, 2
	s_cbranch_scc1 .LBB59_9
.LBB59_10:
	s_clause 0x1
	s_load_b32 s30, s[6:7], 0x6c
	s_load_b64 s[6:7], s[0:1], 0x0
	v_cmp_eq_u32_e64 s2, 0, v0
	s_mov_b32 s43, 0
	s_and_saveexec_b32 s8, s2
; %bb.11:
	v_dual_mov_b32 v1, 0 :: v_dual_mov_b32 v2, s36
	s_delay_alu instid0(VALU_DEP_1)
	v_mov_b32_e32 v3, v1
	ds_store_b96 v1, v[1:3] offset:4096
; %bb.12:
	s_or_b32 exec_lo, exec_lo, s8
	s_wait_dscnt 0x0
	s_barrier_signal -1
	s_barrier_wait -1
	global_inv scope:SCOPE_SE
	s_load_b32 s13, s[10:11], 0xc
	s_clause 0x2
	s_load_b32 s52, s[0:1], 0x22c
	s_load_b64 s[34:35], s[0:1], 0xe8
	s_load_b64 s[40:41], s[0:1], 0x1c0
	v_mbcnt_lo_u32_b32 v15, -1, 0
	v_cmp_gt_u32_e32 vcc_lo, 32, v0
	s_mul_i32 s0, s12, s5
	v_dual_mov_b32 v7, 0 :: v_dual_lshlrev_b32 v16, 2, v0
	s_delay_alu instid0(VALU_DEP_3)
	v_cmp_gt_i32_e64 s1, 4, v15
	s_add_co_i32 s8, s0, s3
	v_mul_lo_u32 v5, s39, v0
	s_ashr_i32 s9, s8, 31
	v_dual_mov_b32 v6, v7 :: v_dual_lshlrev_b32 v17, 1, v0
	s_and_b32 s54, vcc_lo, s1
	s_lshl_b64 s[8:9], s[8:9], 1
	v_cmp_gt_u32_e64 s0, 2, v0
	s_wait_kmcnt 0x0
	s_add_nc_u64 s[44:45], s[6:7], s[8:9]
	v_dual_mov_b32 v33, s37 :: v_dual_add_nc_u32 v18, 0xc00, v17
	s_and_b32 s53, s13, 0xffff
	s_bfe_u32 s3, s13, 0xb0005
	s_lshl_b32 s55, s53, 2
	s_add_co_i32 s56, s53, -1
	s_cvt_f32_u32 s1, s55
	s_add_co_i32 s65, s56, s36
	s_cmp_gt_i32 s36, 0x600
	s_cvt_f32_u32 s12, s53
	v_rcp_iflag_f32_e32 v1, s1
	s_cselect_b32 s58, -1, 0
	s_cmp_gt_u32 s53, 31
	v_rcp_iflag_f32_e32 v4, s12
	s_cselect_b32 s59, -1, 0
	s_cmp_lt_u32 ttmp9, s4
	v_cmp_gt_u32_e64 s1, s36, v0
	s_cselect_b32 s42, 12, 18
	s_add_co_i32 s4, s3, -1
	s_bfe_u32 s60, s53, 0x30005
	v_readfirstlane_b32 s5, v1
	s_and_b32 s4, s4, 0xffff
	v_lshlrev_b64_e64 v[1:2], v15, -1
	s_cmp_gt_u32 s4, 6
	v_lshlrev_b64_e32 v[2:3], 1, v[5:6]
	s_mul_f32 s4, s5, 0x4f7ffffe
	s_cselect_b32 s61, -1, 0
	s_and_b32 s62, s3, 0x7f8
	s_cmp_lg_u32 s60, 0
	s_cvt_u32_f32 s5, s4
	s_cselect_b32 s63, -1, 0
	s_sub_co_i32 s4, 0, s55
	v_not_b32_e32 v20, v1
	s_mul_i32 s4, s4, s5
	v_add_co_u32 v8, vcc_lo, s44, v2
	s_mul_hi_u32 s13, s5, s4
	v_lshrrev_b32_e32 v2, 1, v0
	s_wait_alu 0xfffe
	s_add_co_i32 s46, s5, s13
	v_add_co_ci_u32_e64 v9, null, s45, v3, vcc_lo
	s_mul_hi_u32 s5, s36, s46
	v_or_b32_e32 v3, 3, v16
	s_mul_i32 s5, s5, s55
	v_cmp_gt_i32_e64 s3, s36, v0
	s_sub_co_i32 s5, s36, s5
	v_cmp_eq_u32_e64 s4, 0, v15
	s_sub_co_i32 s12, s5, s55
	s_cmp_ge_u32 s5, s55
	v_mul_lo_u32 v24, s39, v3
	s_wait_alu 0xfffe
	s_cselect_b32 s5, s12, s5
	v_readfirstlane_b32 s12, v4
	s_sub_co_i32 s13, s5, s55
	s_cmp_ge_u32 s5, s55
	v_mov_b32_e32 v32, 0
	s_wait_alu 0xfffe
	s_cselect_b32 s9, s13, s5
	s_mul_f32 s5, s12, 0x4f7ffffe
	s_sub_co_i32 s64, s36, s9
	s_sub_co_i32 s6, 0, s53
	v_add_nc_u32_e32 v19, s64, v0
	s_cvt_u32_f32 s5, s5
	s_abs_i32 s7, s65
	s_mov_b32 s12, s39
	v_dual_mov_b32 v30, 0 :: v_dual_lshlrev_b32 v25, 2, v5
	v_mul_lo_u32 v1, v19, s39
	s_mul_i32 s6, s6, s5
	s_wait_alu 0xfffe
	v_mad_co_u64_u32 v[12:13], null, s39, v16, s[12:13]
	s_mul_hi_u32 s6, s5, s6
	v_dual_mov_b32 v22, 0 :: v_dual_lshlrev_b32 v27, 3, v0
	s_add_co_i32 s48, s5, s6
	s_movk_i32 s5, 0x1f0
	s_mul_hi_u32 s6, s7, s48
	v_and_or_b32 v21, v2, s5, 0xc00
	v_ashrrev_i32_e32 v2, 31, v1
	s_mul_i32 s6, s6, s53
	v_lshl_or_b32 v28, v15, 2, 0xc00
	s_sub_co_i32 s5, s7, s6
	s_ashr_i32 s7, s65, 31
	v_lshlrev_b64_e32 v[1:2], 1, v[1:2]
	s_wait_alu 0xfffe
	s_sub_co_i32 s6, s5, s53
	s_cmp_ge_u32 s5, s53
	v_mov_b32_e32 v29, 0x8000
	s_cselect_b32 s6, s6, s5
	v_cmp_gt_i32_e64 s5, s64, v16
	v_add_co_u32 v10, vcc_lo, s44, v1
	v_add3_u32 v1, s53, s36, v0
	s_sub_co_i32 s8, s6, s53
	s_cmp_ge_u32 s6, s53
	s_wait_alu 0xfffd
	v_add_co_ci_u32_e64 v11, null, s45, v2, vcc_lo
	s_cselect_b32 s8, s8, s6
	v_or_b32_e32 v2, 2, v16
	v_subrev_nc_u32_e32 v1, s9, v1
	s_xor_b32 s8, s8, s7
	v_cmp_gt_u32_e64 s6, s36, v19
	s_wait_alu 0xfffe
	s_sub_co_i32 s8, s7, s8
	v_mul_lo_u32 v23, s39, v2
	v_mul_lo_u32 v26, s39, v1
	s_wait_alu 0xfffe
	s_add_co_i32 s65, s65, s8
	v_cmp_gt_i32_e64 s7, s36, v19
	s_wait_alu 0xfffe
	v_cmp_gt_i32_e64 s8, s65, v0
	v_mov_b32_e32 v31, 0
	s_mul_i32 s57, s39, s53
	s_mov_b32 s47, s43
	s_mov_b32 s49, s43
	s_lshl_b32 s66, s57, 2
	s_lshl_b32 s67, s53, 3
	;; [unrolled: 1-line block ×3, first 2 shown]
	s_mov_b32 s76, 14
	s_add_nc_u64 s[50:51], s[10:11], s[42:43]
	s_movk_i32 s69, 0x3c00
	s_mov_b32 s37, 0
                                        ; implicit-def: $sgpr73
                                        ; implicit-def: $sgpr75
                                        ; implicit-def: $sgpr70
                                        ; implicit-def: $sgpr72
                                        ; implicit-def: $sgpr74
                                        ; implicit-def: $sgpr71
	s_branch .LBB59_16
.LBB59_13:                              ;   in Loop: Header=BB59_16 Depth=1
	s_wait_alu 0xfffe
	s_or_b32 exec_lo, exec_lo, s13
	s_delay_alu instid0(SALU_CYCLE_1)
	s_and_b32 s10, s10, exec_lo
	s_and_not1_b32 s15, s15, exec_lo
	s_and_not1_b32 s14, s14, exec_lo
	s_or_not1_b32 s12, s12, exec_lo
.LBB59_14:                              ;   in Loop: Header=BB59_16 Depth=1
	s_wait_alu 0xfffe
	s_or_b32 exec_lo, exec_lo, s9
	s_delay_alu instid0(SALU_CYCLE_1)
	s_and_not1_b32 s9, s71, exec_lo
	s_and_b32 s10, s10, exec_lo
	s_and_not1_b32 s13, s72, exec_lo
	s_wait_alu 0xfffe
	s_or_b32 s71, s9, s10
	s_and_not1_b32 s9, s74, exec_lo
	s_and_b32 s10, s15, exec_lo
	s_and_b32 s14, s14, exec_lo
	s_wait_alu 0xfffe
	s_or_b32 s74, s9, s10
	s_or_b32 s72, s13, s14
	s_or_not1_b32 s13, s12, exec_lo
.LBB59_15:                              ;   in Loop: Header=BB59_16 Depth=1
	s_wait_alu 0xfffe
	s_or_b32 exec_lo, exec_lo, s11
	s_delay_alu instid0(SALU_CYCLE_1)
	s_and_b32 s9, exec_lo, s13
	v_mov_b32_e32 v33, v4
	s_wait_alu 0xfffe
	s_or_b32 s37, s9, s37
	s_and_not1_b32 s9, s70, exec_lo
	s_and_b32 s10, s71, exec_lo
	s_and_not1_b32 s11, s75, exec_lo
	s_wait_alu 0xfffe
	s_or_b32 s70, s9, s10
	s_and_b32 s9, s74, exec_lo
	s_and_not1_b32 s10, s73, exec_lo
	s_and_b32 s12, s72, exec_lo
	s_wait_alu 0xfffe
	s_or_b32 s75, s11, s9
	s_or_b32 s73, s10, s12
	s_mov_b32 s76, s21
	s_and_not1_b32 exec_lo, exec_lo, s37
	s_cbranch_execz .LBB59_246
.LBB59_16:                              ; =>This Loop Header: Depth=1
                                        ;     Child Loop BB59_21 Depth 2
                                        ;     Child Loop BB59_36 Depth 2
	;; [unrolled: 1-line block ×16, first 2 shown]
	ds_load_b64 v[1:2], v7 offset:4096
	s_wait_dscnt 0x0
	v_readfirstlane_b32 s42, v1
	s_cmp_gt_i32 s42, 0
	s_cbranch_scc1 .LBB59_43
; %bb.17:                               ;   in Loop: Header=BB59_16 Depth=1
	s_and_b32 vcc_lo, exec_lo, s58
	s_wait_alu 0xfffe
	s_cbranch_vccz .LBB59_29
; %bb.18:                               ;   in Loop: Header=BB59_16 Depth=1
	v_cmp_gt_i32_e32 vcc_lo, 0x601, v2
	s_mov_b32 s10, 0
	s_mov_b32 s9, 0
	s_cbranch_vccz .LBB59_30
; %bb.19:                               ;   in Loop: Header=BB59_16 Depth=1
	global_load_u16 v2, v[8:9], off
	s_load_u16 s11, s[50:51], 0x0
	s_mov_b32 s12, 0
	s_wait_kmcnt 0x0
	v_add_nc_u32_e32 v1, s11, v0
	s_mul_i32 s13, s39, s11
	s_delay_alu instid0(VALU_DEP_1)
	v_mul_lo_u32 v6, s39, v1
	v_mov_b32_e32 v1, v0
	s_branch .LBB59_21
.LBB59_20:                              ;   in Loop: Header=BB59_21 Depth=2
	s_wait_alu 0xfffe
	s_or_b32 exec_lo, exec_lo, s9
	v_cmp_le_i32_e32 vcc_lo, s36, v1
	v_add_nc_u32_e32 v6, s13, v6
	v_mov_b32_e32 v2, v3
	s_or_b32 s12, vcc_lo, s12
	s_wait_alu 0xfffe
	s_and_not1_b32 exec_lo, exec_lo, s12
	s_cbranch_execz .LBB59_75
.LBB59_21:                              ;   Parent Loop BB59_16 Depth=1
                                        ; =>  This Inner Loop Header: Depth=2
	s_wait_dscnt 0x0
	s_delay_alu instid0(VALU_DEP_1) | instskip(SKIP_2) | instid1(VALU_DEP_2)
	v_dual_mov_b32 v4, 0 :: v_dual_add_nc_u32 v1, s11, v1
	v_mov_b32_e32 v3, 0
	s_mov_b32 s9, exec_lo
	v_cmpx_gt_u32_e64 s36, v1
	s_cbranch_execz .LBB59_23
; %bb.22:                               ;   in Loop: Header=BB59_21 Depth=2
	v_lshlrev_b64_e32 v[13:14], 1, v[6:7]
	s_delay_alu instid0(VALU_DEP_1) | instskip(SKIP_1) | instid1(VALU_DEP_2)
	v_add_co_u32 v13, vcc_lo, s44, v13
	s_wait_alu 0xfffd
	v_add_co_ci_u32_e64 v14, null, s45, v14, vcc_lo
	global_load_u16 v3, v[13:14], off
.LBB59_23:                              ;   in Loop: Header=BB59_21 Depth=2
	s_wait_alu 0xfffe
	s_or_b32 exec_lo, exec_lo, s9
	s_wait_loadcnt 0x0
	v_cmp_lt_i16_e32 vcc_lo, -1, v2
	s_wait_alu 0xfffd
	v_dual_cndmask_b32 v14, 0xffff, v29 :: v_dual_and_b32 v13, 0xffff, v2
	v_cmp_o_f16_e32 vcc_lo, v2, v2
	s_delay_alu instid0(VALU_DEP_2) | instskip(SKIP_1) | instid1(VALU_DEP_1)
	v_xor_b32_e32 v13, v14, v13
	s_wait_alu 0xfffd
	v_cndmask_b32_e32 v13, 0xffff, v13, vcc_lo
	s_delay_alu instid0(VALU_DEP_1) | instskip(NEXT) | instid1(VALU_DEP_1)
	v_and_b32_e32 v13, v13, v31
	v_cmp_eq_u32_e32 vcc_lo, v13, v22
	s_cmp_lg_u32 vcc_lo, 0
	s_cselect_b32 s9, -1, 0
	s_wait_alu 0xfffe
	s_and_b32 s9, s4, s9
	s_wait_alu 0xfffe
	s_and_saveexec_b32 s14, s9
	s_cbranch_execz .LBB59_27
; %bb.24:                               ;   in Loop: Header=BB59_21 Depth=2
	s_mov_b32 s17, exec_lo
	s_bcnt1_i32_b32 s15, vcc_lo
	s_wait_alu 0xfffe
	v_mbcnt_lo_u32_b32 v4, s17, 0
	s_mov_b32 s16, exec_lo
                                        ; implicit-def: $vgpr13
	s_delay_alu instid0(VALU_DEP_1)
	v_cmpx_eq_u32_e32 0, v4
; %bb.25:                               ;   in Loop: Header=BB59_21 Depth=2
	s_bcnt1_i32_b32 s9, s17
	s_wait_alu 0xfffe
	s_mul_i32 s9, s15, s9
	s_wait_alu 0xfffe
	v_mov_b32_e32 v13, s9
	ds_add_rtn_u32 v13, v7, v13 offset:4104
; %bb.26:                               ;   in Loop: Header=BB59_21 Depth=2
	s_or_b32 exec_lo, exec_lo, s16
	s_wait_dscnt 0x0
	v_readfirstlane_b32 s9, v13
	s_wait_alu 0xf1ff
	s_delay_alu instid0(VALU_DEP_1)
	v_mad_u32_u24 v4, s15, v4, s9
.LBB59_27:                              ;   in Loop: Header=BB59_21 Depth=2
	s_wait_alu 0xfffe
	s_or_b32 exec_lo, exec_lo, s14
	ds_bpermute_b32 v4, v7, v4
	s_and_saveexec_b32 s9, vcc_lo
	s_cbranch_execz .LBB59_20
; %bb.28:                               ;   in Loop: Header=BB59_21 Depth=2
	v_and_b32_e32 v13, vcc_lo, v20
	s_delay_alu instid0(VALU_DEP_1) | instskip(NEXT) | instid1(VALU_DEP_1)
	v_bcnt_u32_b32 v13, v13, 0
	v_lshlrev_b32_e32 v13, 1, v13
	s_wait_dscnt 0x0
	s_delay_alu instid0(VALU_DEP_1)
	v_lshl_add_u32 v4, v4, 1, v13
	ds_store_b16 v4, v2
	s_branch .LBB59_20
.LBB59_29:                              ;   in Loop: Header=BB59_16 Depth=1
	s_mov_b32 s10, -1
	s_mov_b32 s9, 0
.LBB59_30:                              ;   in Loop: Header=BB59_16 Depth=1
	s_wait_alu 0xfffe
	s_and_b32 vcc_lo, exec_lo, s10
	s_wait_alu 0xfffe
	s_cbranch_vccz .LBB59_41
.LBB59_31:                              ;   in Loop: Header=BB59_16 Depth=1
	v_mov_b32_e32 v1, 0
	s_and_saveexec_b32 s9, s1
	s_cbranch_execz .LBB59_33
; %bb.32:                               ;   in Loop: Header=BB59_16 Depth=1
	global_load_u16 v1, v[8:9], off
.LBB59_33:                              ;   in Loop: Header=BB59_16 Depth=1
	s_wait_alu 0xfffe
	s_or_b32 exec_lo, exec_lo, s9
	s_and_saveexec_b32 s9, s3
	s_cbranch_execz .LBB59_38
; %bb.34:                               ;   in Loop: Header=BB59_16 Depth=1
	s_load_u16 s10, s[50:51], 0x0
	s_mov_b32 s13, 0
	s_wait_kmcnt 0x0
	v_dual_mov_b32 v3, v0 :: v_dual_add_nc_u32 v2, s10, v0
	s_lshl_b32 s11, s10, 1
	s_mul_i32 s12, s39, s10
	s_delay_alu instid0(VALU_DEP_1)
	v_mul_lo_u32 v6, s39, v2
	v_mov_b32_e32 v2, v17
	s_branch .LBB59_36
.LBB59_35:                              ;   in Loop: Header=BB59_36 Depth=2
	s_wait_alu 0xfffe
	s_or_b32 exec_lo, exec_lo, s14
	v_cmp_le_i32_e32 vcc_lo, s36, v3
	s_wait_loadcnt 0x0
	ds_store_b16 v2, v1
	v_dual_mov_b32 v1, v4 :: v_dual_add_nc_u32 v2, s11, v2
	v_add_nc_u32_e32 v6, s12, v6
	s_or_b32 s13, vcc_lo, s13
	s_wait_alu 0xfffe
	s_and_not1_b32 exec_lo, exec_lo, s13
	s_cbranch_execz .LBB59_38
.LBB59_36:                              ;   Parent Loop BB59_16 Depth=1
                                        ; =>  This Inner Loop Header: Depth=2
	v_dual_mov_b32 v4, 0 :: v_dual_add_nc_u32 v3, s10, v3
	s_mov_b32 s14, exec_lo
	s_delay_alu instid0(VALU_DEP_1)
	v_cmpx_gt_u32_e64 s36, v3
	s_cbranch_execz .LBB59_35
; %bb.37:                               ;   in Loop: Header=BB59_36 Depth=2
	s_delay_alu instid0(VALU_DEP_4) | instskip(NEXT) | instid1(VALU_DEP_1)
	v_lshlrev_b64_e32 v[13:14], 1, v[6:7]
	v_add_co_u32 v13, vcc_lo, s44, v13
	s_wait_alu 0xfffd
	s_delay_alu instid0(VALU_DEP_2)
	v_add_co_ci_u32_e64 v14, null, s45, v14, vcc_lo
	global_load_u16 v4, v[13:14], off
	s_branch .LBB59_35
.LBB59_38:                              ;   in Loop: Header=BB59_16 Depth=1
	s_wait_alu 0xfffe
	s_or_b32 exec_lo, exec_lo, s9
	s_wait_loadcnt_dscnt 0x0
	s_barrier_signal -1
	s_barrier_wait -1
	global_inv scope:SCOPE_SE
	s_and_saveexec_b32 s9, s2
; %bb.39:                               ;   in Loop: Header=BB59_16 Depth=1
	v_mov_b32_e32 v1, s36
	ds_store_b32 v7, v1 offset:4096
; %bb.40:                               ;   in Loop: Header=BB59_16 Depth=1
	s_wait_alu 0xfffe
	s_or_b32 exec_lo, exec_lo, s9
	s_mov_b32 s9, -1
	s_wait_loadcnt_dscnt 0x0
	s_barrier_signal -1
	s_barrier_wait -1
.LBB59_41:                              ;   in Loop: Header=BB59_16 Depth=1
	s_wait_alu 0xfffe
	s_and_b32 vcc_lo, exec_lo, s9
	s_wait_alu 0xfffe
	s_cbranch_vccz .LBB59_43
; %bb.42:                               ;   in Loop: Header=BB59_16 Depth=1
	s_wait_loadcnt 0x0
	global_inv scope:SCOPE_SE
	ds_load_b32 v1, v7 offset:4096
	s_wait_dscnt 0x0
	v_readfirstlane_b32 s42, v1
.LBB59_43:                              ;   in Loop: Header=BB59_16 Depth=1
	s_delay_alu instid0(VALU_DEP_1)
	s_cmp_lt_i32 s42, 1
	s_mov_b32 s9, -1
                                        ; implicit-def: $vgpr1
	s_cbranch_scc1 .LBB59_53
; %bb.44:                               ;   in Loop: Header=BB59_16 Depth=1
	s_wait_alu 0xfffe
	s_and_b32 vcc_lo, exec_lo, s9
	s_wait_alu 0xfffe
	s_cbranch_vccnz .LBB59_66
.LBB59_45:                              ;   in Loop: Header=BB59_16 Depth=1
	v_lshlrev_b32_e32 v6, 7, v30
	s_and_saveexec_b32 s9, s4
.LBB59_46:                              ;   in Loop: Header=BB59_16 Depth=1
	s_delay_alu instid0(VALU_DEP_1)
	v_lshl_add_u32 v13, v6, 2, v21
	ds_store_b128 v13, v[1:4]
.LBB59_47:                              ;   in Loop: Header=BB59_16 Depth=1
	s_wait_alu 0xfffe
	s_or_b32 exec_lo, exec_lo, s9
	s_wait_loadcnt_dscnt 0x0
	s_barrier_signal -1
	s_barrier_wait -1
	global_inv scope:SCOPE_SE
	s_and_saveexec_b32 s9, s54
	s_cbranch_execz .LBB59_82
; %bb.48:                               ;   in Loop: Header=BB59_16 Depth=1
	v_mov_b32_e32 v1, 0
	s_and_not1_b32 vcc_lo, exec_lo, s59
	s_wait_alu 0xfffe
	s_cbranch_vccnz .LBB59_81
; %bb.49:                               ;   in Loop: Header=BB59_16 Depth=1
	s_and_not1_b32 vcc_lo, exec_lo, s61
	s_wait_alu 0xfffe
	s_cbranch_vccnz .LBB59_78
; %bb.50:                               ;   in Loop: Header=BB59_16 Depth=1
	v_lshl_add_u32 v2, v30, 9, v28
	v_mov_b32_e32 v1, 0
	s_mov_b32 s10, 0
.LBB59_51:                              ;   Parent Loop BB59_16 Depth=1
                                        ; =>  This Inner Loop Header: Depth=2
	ds_load_2addr_b32 v[3:4], v2 offset1:4
	ds_load_2addr_b32 v[13:14], v2 offset0:8 offset1:12
	ds_load_2addr_b32 v[34:35], v2 offset0:16 offset1:20
	;; [unrolled: 1-line block ×3, first 2 shown]
	v_add_nc_u32_e32 v2, 0x80, v2
	s_wait_alu 0xfffe
	s_add_co_i32 s10, s10, 8
	s_wait_alu 0xfffe
	s_cmp_eq_u32 s62, s10
	s_wait_dscnt 0x3
	v_add3_u32 v1, v3, v1, v4
	s_wait_dscnt 0x2
	s_delay_alu instid0(VALU_DEP_1) | instskip(SKIP_1) | instid1(VALU_DEP_1)
	v_add3_u32 v1, v13, v1, v14
	s_wait_dscnt 0x1
	v_add3_u32 v1, v34, v1, v35
	s_wait_dscnt 0x0
	s_delay_alu instid0(VALU_DEP_1)
	v_add3_u32 v1, v36, v1, v37
	s_cbranch_scc0 .LBB59_51
; %bb.52:                               ;   in Loop: Header=BB59_16 Depth=1
	s_mov_b32 s10, s62
	s_and_not1_b32 vcc_lo, exec_lo, s63
	s_wait_alu 0xfffe
	s_cbranch_vccz .LBB59_79
	s_branch .LBB59_81
.LBB59_53:                              ;   in Loop: Header=BB59_16 Depth=1
	v_dual_mov_b32 v1, 0 :: v_dual_mov_b32 v2, 0
	v_dual_mov_b32 v3, 0 :: v_dual_mov_b32 v4, 0
	s_and_saveexec_b32 s77, s5
	s_cbranch_execnz .LBB59_56
; %bb.54:                               ;   in Loop: Header=BB59_16 Depth=1
	s_wait_alu 0xfffe
	s_or_b32 exec_lo, exec_lo, s77
	v_mov_b32_e32 v34, 0
	s_and_saveexec_b32 s9, s6
	s_cbranch_execnz .LBB59_59
.LBB59_55:                              ;   in Loop: Header=BB59_16 Depth=1
	s_wait_alu 0xfffe
	s_or_b32 exec_lo, exec_lo, s9
	s_and_saveexec_b32 s13, s7
	s_cbranch_execnz .LBB59_60
	s_branch .LBB59_65
.LBB59_56:                              ;   in Loop: Header=BB59_16 Depth=1
	v_mov_b32_e32 v6, v16
	s_mov_b32 s78, 0
	s_mov_b32 s79, 0
	s_mov_b32 s80, 0
	s_mov_b32 s81, 0
	s_mov_b32 s82, 0
	s_mov_b32 s83, 0
.LBB59_57:                              ;   Parent Loop BB59_16 Depth=1
                                        ; =>  This Inner Loop Header: Depth=2
	s_wait_alu 0xfffe
	v_add_nc_u32_e32 v1, s79, v25
	v_add_nc_u32_e32 v3, s79, v12
	;; [unrolled: 1-line block ×4, first 2 shown]
	s_add_co_i32 s79, s79, s66
	v_ashrrev_i32_e32 v2, 31, v1
	v_ashrrev_i32_e32 v4, 31, v3
	;; [unrolled: 1-line block ×4, first 2 shown]
	s_delay_alu instid0(VALU_DEP_4) | instskip(NEXT) | instid1(VALU_DEP_4)
	v_lshlrev_b64_e32 v[1:2], 1, v[1:2]
	v_lshlrev_b64_e32 v[3:4], 1, v[3:4]
	s_delay_alu instid0(VALU_DEP_4) | instskip(NEXT) | instid1(VALU_DEP_4)
	v_lshlrev_b64_e32 v[13:14], 1, v[13:14]
	v_lshlrev_b64_e32 v[34:35], 1, v[34:35]
	s_delay_alu instid0(VALU_DEP_4)
	v_add_co_u32 v1, vcc_lo, s44, v1
	s_wait_alu 0xfffd
	v_add_co_ci_u32_e64 v2, null, s45, v2, vcc_lo
	v_add_co_u32 v3, vcc_lo, s44, v3
	s_wait_alu 0xfffd
	v_add_co_ci_u32_e64 v4, null, s45, v4, vcc_lo
	;; [unrolled: 3-line block ×4, first 2 shown]
	s_clause 0x3
	global_load_u16 v1, v[1:2], off
	global_load_u16 v2, v[3:4], off
	;; [unrolled: 1-line block ×4, first 2 shown]
	s_wait_loadcnt 0x3
	v_cmp_lt_i16_e64 s9, -1, v1
	v_and_b32_e32 v13, 0xffff, v1
	s_wait_loadcnt 0x2
	v_and_b32_e32 v34, 0xffff, v2
	s_wait_loadcnt 0x1
	v_and_b32_e32 v36, 0xffff, v3
	v_cmp_o_f16_e64 s12, v1, v1
	s_wait_alu 0xf1ff
	v_cndmask_b32_e64 v14, 0xffff, v29, s9
	v_cmp_lt_i16_e64 s9, -1, v2
	s_wait_loadcnt 0x0
	v_and_b32_e32 v38, 0xffff, v4
	v_cmp_o_f16_e64 s10, v3, v3
	v_cmp_o_f16_e64 s11, v4, v4
	v_xor_b32_e32 v13, v14, v13
	s_wait_alu 0xf1ff
	v_cndmask_b32_e64 v35, 0xffff, v29, s9
	v_cmp_lt_i16_e64 s9, -1, v3
	s_delay_alu instid0(VALU_DEP_3) | instskip(NEXT) | instid1(VALU_DEP_3)
	v_cndmask_b32_e64 v1, 0xffff, v13, s12
	v_xor_b32_e32 v14, v35, v34
	s_wait_alu 0xf1ff
	s_delay_alu instid0(VALU_DEP_3) | instskip(SKIP_4) | instid1(VALU_DEP_3)
	v_cndmask_b32_e64 v37, 0xffff, v29, s9
	v_cmp_lt_i16_e64 s9, -1, v4
	v_and_b32_e32 v13, v1, v31
	v_bfe_u32 v1, v1, s76, 2
	s_wait_alu 0xf1ff
	v_cndmask_b32_e64 v39, 0xffff, v29, s9
	v_cmp_o_f16_e64 s9, v2, v2
	v_xor_b32_e32 v2, v37, v36
	v_cmp_eq_u32_e64 s13, 0, v1
	v_cmp_eq_u32_e64 s17, 1, v1
	v_xor_b32_e32 v3, v39, v38
	s_wait_alu 0xf1ff
	v_cndmask_b32_e64 v4, 0xffff, v14, s9
	v_cndmask_b32_e64 v2, 0xffff, v2, s10
	v_cmp_eq_u32_e64 s9, v13, v22
	v_cmp_eq_u32_e64 s21, 2, v1
	v_cndmask_b32_e64 v3, 0xffff, v3, s11
	v_and_b32_e32 v14, v4, v31
	v_bfe_u32 v4, v4, s76, 2
	v_and_b32_e32 v34, v2, v31
	v_bfe_u32 v2, v2, s76, 2
	v_and_b32_e32 v35, v3, v31
	v_bfe_u32 v3, v3, s76, 2
	v_cmp_eq_u32_e64 s10, v14, v22
	v_cmp_eq_u32_e64 s14, 0, v4
	v_cmp_eq_u32_e64 s11, v34, v22
	v_cmp_eq_u32_e64 s15, 0, v2
	s_and_b32 s13, s9, s13
	v_cmp_eq_u32_e64 s12, v35, v22
	v_cmp_eq_u32_e64 s16, 0, v3
	;; [unrolled: 1-line block ×3, first 2 shown]
	s_wait_alu 0xfffe
	v_cndmask_b32_e64 v1, 0, 1, s13
	s_and_b32 s13, s10, s14
	v_cmp_eq_u32_e64 s19, 1, v2
	v_cmp_eq_u32_e64 s23, 2, v2
	;; [unrolled: 1-line block ×3, first 2 shown]
	s_wait_alu 0xfffe
	v_cndmask_b32_e64 v2, 0, 1, s13
	s_and_b32 s13, s11, s15
	v_cmp_eq_u32_e64 s18, 1, v4
	v_cmp_eq_u32_e64 s20, 1, v3
	;; [unrolled: 1-line block ×4, first 2 shown]
	s_wait_alu 0xfffe
	v_cndmask_b32_e64 v3, 0, 1, s13
	s_and_b32 s13, s12, s16
	v_cmp_eq_u32_e64 s22, 2, v4
	v_cmp_eq_u32_e64 s26, 3, v4
	s_wait_alu 0xfffe
	v_cndmask_b32_e64 v4, 0, 1, s13
	s_and_b32 s13, s9, s17
	s_wait_alu 0xfffe
	v_cndmask_b32_e64 v13, 0, 1, s13
	s_and_b32 s13, s10, s18
	;; [unrolled: 3-line block ×4, first 2 shown]
	v_cmp_ne_u32_e64 s14, 0, v14
	s_wait_alu 0xfffe
	v_cndmask_b32_e64 v35, 0, 1, s13
	s_and_b32 s13, s9, s21
	s_and_b32 s9, s9, s25
	s_wait_alu 0xfffe
	v_cndmask_b32_e64 v36, 0, 1, s13
	s_and_b32 s13, s10, s22
	v_cndmask_b32_e64 v40, 0, 1, s9
	s_and_b32 s9, s10, s26
	s_wait_alu 0xfffe
	v_cndmask_b32_e64 v37, 0, 1, s13
	s_and_b32 s13, s11, s23
	v_cndmask_b32_e64 v41, 0, 1, s9
	;; [unrolled: 5-line block ×3, first 2 shown]
	s_and_b32 s9, s12, s28
	s_wait_alu 0xfffe
	v_cndmask_b32_e64 v39, 0, 1, s13
	v_cndmask_b32_e64 v43, 0, 1, s9
	v_cmp_ne_u32_e64 s9, 0, v1
	v_cmp_ne_u32_e64 s13, 0, v13
	;; [unrolled: 1-line block ×8, first 2 shown]
	s_bcnt1_i32_b32 s9, s9
	s_bcnt1_i32_b32 s13, s13
	;; [unrolled: 1-line block ×3, first 2 shown]
	v_cmp_ne_u32_e64 s20, 0, v39
	v_cmp_ne_u32_e64 s22, 0, v41
	s_bcnt1_i32_b32 s10, s10
	s_bcnt1_i32_b32 s14, s14
	;; [unrolled: 1-line block ×3, first 2 shown]
	s_wait_alu 0xfffe
	s_add_co_i32 s9, s9, s83
	s_add_co_i32 s13, s13, s82
	;; [unrolled: 1-line block ×3, first 2 shown]
	v_cmp_ne_u32_e64 s15, 0, v34
	v_cmp_ne_u32_e64 s23, 0, v42
	s_bcnt1_i32_b32 s11, s11
	s_bcnt1_i32_b32 s19, s19
	s_wait_alu 0xfffe
	s_add_co_i32 s9, s9, s10
	s_add_co_i32 s10, s13, s14
	;; [unrolled: 1-line block ×3, first 2 shown]
	s_bcnt1_i32_b32 s21, s21
	v_cmp_ne_u32_e64 s12, 0, v4
	v_cmp_ne_u32_e64 s16, 0, v35
	;; [unrolled: 1-line block ×3, first 2 shown]
	s_bcnt1_i32_b32 s20, s20
	s_wait_alu 0xfffe
	s_add_co_i32 s9, s9, s11
	s_add_co_i32 s11, s13, s19
	s_bcnt1_i32_b32 s22, s22
	s_add_co_i32 s21, s21, s80
	s_wait_alu 0xfffe
	s_add_co_i32 s81, s11, s20
	s_wait_alu 0xfffe
	v_dual_mov_b32 v3, s81 :: v_dual_add_nc_u32 v6, s55, v6
	s_bcnt1_i32_b32 s15, s15
	s_bcnt1_i32_b32 s23, s23
	s_add_co_i32 s14, s21, s22
	s_bcnt1_i32_b32 s12, s12
	s_bcnt1_i32_b32 s16, s16
	;; [unrolled: 1-line block ×3, first 2 shown]
	s_wait_alu 0xfffe
	s_add_co_i32 s10, s10, s15
	s_add_co_i32 s13, s14, s23
	v_cmp_le_i32_e32 vcc_lo, s64, v6
	s_add_co_i32 s83, s9, s12
	s_wait_alu 0xfffe
	s_add_co_i32 s82, s10, s16
	s_add_co_i32 s80, s13, s24
	s_wait_alu 0xfffe
	v_dual_mov_b32 v1, s83 :: v_dual_mov_b32 v2, s82
	v_mov_b32_e32 v4, s80
	s_or_b32 s78, vcc_lo, s78
	s_wait_alu 0xfffe
	s_and_not1_b32 exec_lo, exec_lo, s78
	s_cbranch_execnz .LBB59_57
; %bb.58:                               ;   in Loop: Header=BB59_16 Depth=1
	s_or_b32 exec_lo, exec_lo, s78
	s_delay_alu instid0(SALU_CYCLE_1)
	s_or_b32 exec_lo, exec_lo, s77
	v_mov_b32_e32 v34, 0
	s_and_saveexec_b32 s9, s6
	s_cbranch_execz .LBB59_55
.LBB59_59:                              ;   in Loop: Header=BB59_16 Depth=1
	global_load_u16 v34, v[10:11], off
	s_wait_alu 0xfffe
	s_or_b32 exec_lo, exec_lo, s9
	s_and_saveexec_b32 s13, s7
	s_cbranch_execz .LBB59_65
.LBB59_60:                              ;   in Loop: Header=BB59_16 Depth=1
	v_dual_mov_b32 v13, v26 :: v_dual_mov_b32 v6, v19
	s_mov_b32 s14, 0
	s_branch .LBB59_62
.LBB59_61:                              ;   in Loop: Header=BB59_62 Depth=2
	s_wait_alu 0xfffe
	s_or_b32 exec_lo, exec_lo, s9
	s_wait_loadcnt 0x0
	v_cmp_lt_i16_e32 vcc_lo, -1, v34
	v_and_b32_e32 v35, 0xffff, v34
	v_add_nc_u32_e32 v13, s57, v13
	s_wait_alu 0xfffd
	v_cndmask_b32_e32 v36, 0xffff, v29, vcc_lo
	v_cmp_o_f16_e32 vcc_lo, v34, v34
	s_delay_alu instid0(VALU_DEP_2) | instskip(SKIP_1) | instid1(VALU_DEP_1)
	v_xor_b32_e32 v35, v36, v35
	s_wait_alu 0xfffd
	v_cndmask_b32_e32 v34, 0xffff, v35, vcc_lo
	s_delay_alu instid0(VALU_DEP_1) | instskip(SKIP_1) | instid1(VALU_DEP_2)
	v_and_b32_e32 v35, v34, v31
	v_bfe_u32 v34, v34, s76, 2
	v_cmp_eq_u32_e32 vcc_lo, v35, v22
	s_delay_alu instid0(VALU_DEP_2)
	v_cmp_eq_u32_e64 s9, 0, v34
	v_cmp_eq_u32_e64 s10, 1, v34
	;; [unrolled: 1-line block ×4, first 2 shown]
	s_and_b32 s9, vcc_lo, s9
	s_wait_alu 0xfffe
	v_cndmask_b32_e64 v34, 0, 1, s9
	s_and_b32 s9, vcc_lo, s10
	s_wait_alu 0xfffe
	v_cndmask_b32_e64 v35, 0, 1, s9
	;; [unrolled: 3-line block ×3, first 2 shown]
	s_and_b32 s9, vcc_lo, s12
	v_cmp_ne_u32_e32 vcc_lo, 0, v34
	s_wait_alu 0xfffe
	v_cndmask_b32_e64 v37, 0, 1, s9
	v_cmp_ne_u32_e64 s9, 0, v35
	v_cmp_ne_u32_e64 s10, 0, v36
	v_cmp_le_i32_e64 s12, s36, v6
	s_bcnt1_i32_b32 s15, vcc_lo
	v_cmp_ne_u32_e64 s11, 0, v37
	s_bcnt1_i32_b32 s9, s9
	s_bcnt1_i32_b32 s10, s10
	s_wait_alu 0xfffe
	v_add_nc_u32_e32 v1, s15, v1
	v_add_nc_u32_e32 v2, s9, v2
	s_bcnt1_i32_b32 s11, s11
	v_add_nc_u32_e32 v3, s10, v3
	s_wait_alu 0xfffe
	v_add_nc_u32_e32 v4, s11, v4
	v_mov_b32_e32 v34, v14
	s_or_b32 s14, s12, s14
	s_wait_alu 0xfffe
	s_and_not1_b32 exec_lo, exec_lo, s14
	s_cbranch_execz .LBB59_64
.LBB59_62:                              ;   Parent Loop BB59_16 Depth=1
                                        ; =>  This Inner Loop Header: Depth=2
	s_delay_alu instid0(VALU_DEP_1) | instskip(SKIP_2) | instid1(VALU_DEP_2)
	v_add_nc_u32_e32 v6, s53, v6
	v_mov_b32_e32 v14, 0
	s_mov_b32 s9, exec_lo
	v_cmpx_gt_u32_e64 s36, v6
	s_cbranch_execz .LBB59_61
; %bb.63:                               ;   in Loop: Header=BB59_62 Depth=2
	v_ashrrev_i32_e32 v14, 31, v13
	s_delay_alu instid0(VALU_DEP_1) | instskip(NEXT) | instid1(VALU_DEP_1)
	v_lshlrev_b64_e32 v[35:36], 1, v[13:14]
	v_add_co_u32 v35, vcc_lo, s44, v35
	s_wait_alu 0xfffd
	s_delay_alu instid0(VALU_DEP_2)
	v_add_co_ci_u32_e64 v36, null, s45, v36, vcc_lo
	global_load_u16 v14, v[35:36], off
	s_branch .LBB59_61
.LBB59_64:                              ;   in Loop: Header=BB59_16 Depth=1
	s_or_b32 exec_lo, exec_lo, s14
.LBB59_65:                              ;   in Loop: Header=BB59_16 Depth=1
	s_wait_alu 0xfffe
	s_or_b32 exec_lo, exec_lo, s13
	s_branch .LBB59_45
.LBB59_66:                              ;   in Loop: Header=BB59_16 Depth=1
	s_mul_u64 s[10:11], s[42:43], s[46:47]
	v_dual_mov_b32 v1, 0 :: v_dual_mov_b32 v2, 0
	s_wait_alu 0xfffe
	s_mul_i32 s9, s11, s55
	v_dual_mov_b32 v3, 0 :: v_dual_mov_b32 v4, 0
	s_wait_alu 0xfffe
	s_sub_co_i32 s9, s42, s9
	s_mov_b32 s24, exec_lo
	s_wait_alu 0xfffe
	s_sub_co_i32 s10, s9, s55
	s_cmp_ge_u32 s9, s55
	s_wait_alu 0xfffe
	s_cselect_b32 s9, s10, s9
	s_wait_alu 0xfffe
	s_sub_co_i32 s10, s9, s55
	s_cmp_ge_u32 s9, s55
	s_wait_alu 0xfffe
	s_cselect_b32 s9, s10, s9
	s_wait_alu 0xfffe
	s_sub_co_i32 s23, s42, s9
	s_wait_alu 0xfffe
	v_cmpx_gt_u32_e64 s23, v16
	s_cbranch_execz .LBB59_70
; %bb.67:                               ;   in Loop: Header=BB59_16 Depth=1
	v_dual_mov_b32 v6, v27 :: v_dual_mov_b32 v13, v16
	s_mov_b32 s25, 0
	s_mov_b32 s26, 0
	;; [unrolled: 1-line block ×5, first 2 shown]
.LBB59_68:                              ;   Parent Loop BB59_16 Depth=1
                                        ; =>  This Inner Loop Header: Depth=2
	ds_load_b64 v[1:2], v6
	s_wait_dscnt 0x0
	v_cmp_lt_i16_e64 s9, -1, v1
	v_lshrrev_b32_e32 v3, 16, v1
	v_lshrrev_b32_e32 v36, 16, v2
	v_and_b32_e32 v4, 0xffff, v1
	s_wait_loadcnt 0x0
	v_and_b32_e32 v34, 0xffff, v2
	s_wait_alu 0xf1ff
	v_cndmask_b32_e64 v14, 0xffff, v29, s9
	v_cmp_lt_i16_e64 s9, -1, v2
	v_cmp_lt_i16_e64 s10, -1, v36
	s_delay_alu instid0(VALU_DEP_3) | instskip(SKIP_1) | instid1(VALU_DEP_3)
	v_xor_b32_e32 v4, v14, v4
	s_wait_alu 0xf1ff
	v_cndmask_b32_e64 v35, 0xffff, v29, s9
	v_cmp_lt_i16_e64 s9, -1, v3
	s_delay_alu instid0(VALU_DEP_2) | instskip(SKIP_1) | instid1(VALU_DEP_2)
	v_xor_b32_e32 v34, v35, v34
	s_wait_alu 0xf1ff
	v_cndmask_b32_e64 v14, 0xffff, v29, s9
	v_cmp_o_f16_e64 s9, v2, v2
	v_cndmask_b32_e64 v2, 0xffff, v29, s10
	v_cmp_o_f16_e64 s10, v1, v1
	s_delay_alu instid0(VALU_DEP_2) | instskip(SKIP_1) | instid1(VALU_DEP_2)
	v_xor_b32_e32 v2, v2, v36
	s_wait_alu 0xf1ff
	v_cndmask_b32_e64 v1, 0xffff, v4, s10
	v_xor_b32_e32 v4, v14, v3
	v_cmp_o_f16_e64 s10, v3, v3
	v_cndmask_b32_e64 v14, 0xffff, v34, s9
	v_cmp_o_f16_e64 s9, v36, v36
	s_wait_alu 0xf1ff
	s_delay_alu instid0(VALU_DEP_3)
	v_cndmask_b32_e64 v3, 0xffff, v4, s10
	v_and_b32_e32 v4, v1, v31
	v_bfe_u32 v1, v1, s76, 2
	v_and_b32_e32 v34, v14, v31
	v_bfe_u32 v14, v14, s76, 2
	v_cndmask_b32_e64 v2, 0xffff, v2, s9
	v_cmp_eq_u32_e64 s9, v4, v22
	v_cmp_eq_u32_e64 s11, 0, v1
	;; [unrolled: 1-line block ×4, first 2 shown]
	v_and_b32_e32 v4, v3, v31
	v_and_b32_e32 v34, v2, v31
	v_bfe_u32 v3, v3, s76, 2
	v_bfe_u32 v2, v2, s76, 2
	v_cmp_eq_u32_e64 s13, 1, v1
	v_cmp_eq_u32_e64 s15, 2, v1
	s_and_b32 s11, s9, s11
	v_cmp_eq_u32_e64 s14, 1, v14
	v_cmp_eq_u32_e64 s16, 2, v14
	;; [unrolled: 1-line block ×3, first 2 shown]
	s_wait_alu 0xfffe
	v_cndmask_b32_e64 v1, 0, 1, s11
	s_and_b32 s11, s10, s12
	v_cmp_eq_u32_e64 s18, 3, v14
	v_cmp_eq_u32_e64 s19, v4, v22
	;; [unrolled: 1-line block ×5, first 2 shown]
	s_wait_alu 0xfffe
	v_cndmask_b32_e64 v4, 0, 1, s11
	v_cmp_eq_u32_e64 s11, 1, v3
	s_and_b32 s13, s9, s13
	s_and_b32 s15, s9, s15
	s_wait_alu 0xfffe
	v_cndmask_b32_e64 v14, 0, 1, s13
	s_and_b32 s13, s10, s14
	v_cndmask_b32_e64 v35, 0, 1, s15
	s_and_b32 s15, s10, s16
	s_and_b32 s9, s9, s17
	v_cmp_eq_u32_e64 s12, 1, v2
	s_wait_alu 0xfffe
	v_cndmask_b32_e64 v34, 0, 1, s13
	v_cmp_eq_u32_e64 s13, 2, v3
	v_cmp_eq_u32_e64 s14, 2, v2
	v_cndmask_b32_e64 v36, 0, 1, s15
	v_cmp_eq_u32_e64 s15, 3, v3
	v_cmp_eq_u32_e64 s16, 3, v2
	v_cndmask_b32_e64 v2, 0, 1, s9
	s_and_b32 s9, s10, s18
	s_and_b32 s10, s19, s21
	;; [unrolled: 1-line block ×4, first 2 shown]
	s_wait_alu 0xfffe
	v_cndmask_b32_e64 v3, 0, 1, s9
	v_cmp_ne_u32_e64 s9, 0, v1
	v_cndmask_b32_e64 v1, 0, 1, s10
	v_cmp_ne_u32_e64 s10, 0, v4
	;; [unrolled: 2-line block ×3, first 2 shown]
	v_cndmask_b32_e64 v14, 0, 1, s11
	s_and_b32 s12, s20, s12
	s_and_b32 s13, s19, s13
	;; [unrolled: 1-line block ×5, first 2 shown]
	v_cmp_ne_u32_e64 s11, 0, v34
	s_wait_alu 0xfffe
	v_cndmask_b32_e64 v34, 0, 1, s12
	v_cmp_ne_u32_e64 s12, 0, v35
	v_cndmask_b32_e64 v35, 0, 1, s13
	v_cmp_ne_u32_e64 s13, 0, v36
	;; [unrolled: 2-line block ×5, first 2 shown]
	s_bcnt1_i32_b32 s17, s17
	s_bcnt1_i32_b32 s20, s11
	v_cmp_ne_u32_e64 s11, 0, v34
	s_bcnt1_i32_b32 s18, s9
	v_cmp_ne_u32_e64 s9, 0, v1
	;; [unrolled: 2-line block ×4, first 2 shown]
	s_wait_alu 0xfffe
	s_add_co_i32 s17, s17, s28
	s_bcnt1_i32_b32 s16, s16
	s_bcnt1_i32_b32 s19, s10
	s_wait_alu 0xfffe
	s_add_co_i32 s16, s17, s16
	v_cmp_ne_u32_e64 s10, 0, v4
	s_bcnt1_i32_b32 s22, s13
	v_cmp_ne_u32_e64 s13, 0, v36
	s_bcnt1_i32_b32 s79, s15
	;; [unrolled: 2-line block ×3, first 2 shown]
	s_wait_alu 0xfffe
	s_add_co_i32 s16, s16, s20
	s_add_co_i32 s18, s18, s77
	;; [unrolled: 1-line block ×4, first 2 shown]
	s_bcnt1_i32_b32 s9, s9
	s_bcnt1_i32_b32 s12, s12
	;; [unrolled: 1-line block ×3, first 2 shown]
	s_wait_alu 0xfffe
	s_add_co_i32 s28, s16, s11
	s_wait_alu 0xfffe
	v_dual_mov_b32 v2, s28 :: v_dual_add_nc_u32 v13, s55, v13
	s_add_co_i32 s9, s18, s9
	s_add_co_i32 s12, s21, s12
	;; [unrolled: 1-line block ×3, first 2 shown]
	s_bcnt1_i32_b32 s10, s10
	s_bcnt1_i32_b32 s13, s13
	;; [unrolled: 1-line block ×3, first 2 shown]
	s_wait_alu 0xfffe
	s_add_co_i32 s9, s9, s19
	s_add_co_i32 s12, s12, s22
	;; [unrolled: 1-line block ×3, first 2 shown]
	v_cmp_le_i32_e32 vcc_lo, s23, v13
	s_wait_alu 0xfffe
	s_add_co_i32 s77, s9, s10
	s_add_co_i32 s27, s12, s13
	;; [unrolled: 1-line block ×3, first 2 shown]
	s_wait_alu 0xfffe
	v_dual_mov_b32 v1, s77 :: v_dual_add_nc_u32 v6, s67, v6
	v_dual_mov_b32 v3, s27 :: v_dual_mov_b32 v4, s26
	s_or_b32 s25, vcc_lo, s25
	s_wait_alu 0xfffe
	s_and_not1_b32 exec_lo, exec_lo, s25
	s_cbranch_execnz .LBB59_68
; %bb.69:                               ;   in Loop: Header=BB59_16 Depth=1
	s_or_b32 exec_lo, exec_lo, s25
.LBB59_70:                              ;   in Loop: Header=BB59_16 Depth=1
	s_delay_alu instid0(SALU_CYCLE_1) | instskip(SKIP_2) | instid1(VALU_DEP_1)
	s_or_b32 exec_lo, exec_lo, s24
	v_add_nc_u32_e32 v6, s23, v0
	s_mov_b32 s14, exec_lo
	v_cmpx_gt_i32_e64 s42, v6
	s_cbranch_execz .LBB59_74
; %bb.71:                               ;   in Loop: Header=BB59_16 Depth=1
	v_lshlrev_b32_e32 v13, 1, v6
	s_mov_b32 s15, 0
.LBB59_72:                              ;   Parent Loop BB59_16 Depth=1
                                        ; =>  This Inner Loop Header: Depth=2
	ds_load_u16 v14, v13
	v_add_nc_u32_e32 v6, s53, v6
	v_add_nc_u32_e32 v13, s68, v13
	s_delay_alu instid0(VALU_DEP_2)
	v_cmp_le_i32_e32 vcc_lo, s42, v6
	s_wait_dscnt 0x0
	v_cmp_lt_i16_e64 s9, -1, v14
	s_wait_loadcnt 0x0
	v_and_b32_e32 v34, 0xffff, v14
	s_wait_alu 0xf1ff
	s_delay_alu instid0(VALU_DEP_2) | instskip(SKIP_1) | instid1(VALU_DEP_2)
	v_cndmask_b32_e64 v35, 0xffff, v29, s9
	v_cmp_o_f16_e64 s9, v14, v14
	v_xor_b32_e32 v34, v35, v34
	s_wait_alu 0xf1ff
	s_delay_alu instid0(VALU_DEP_1) | instskip(NEXT) | instid1(VALU_DEP_1)
	v_cndmask_b32_e64 v14, 0xffff, v34, s9
	v_and_b32_e32 v34, v14, v31
	v_bfe_u32 v14, v14, s76, 2
	s_delay_alu instid0(VALU_DEP_2) | instskip(NEXT) | instid1(VALU_DEP_2)
	v_cmp_eq_u32_e64 s9, v34, v22
	v_cmp_eq_u32_e64 s10, 0, v14
	;; [unrolled: 1-line block ×5, first 2 shown]
	s_and_b32 s10, s9, s10
	s_wait_alu 0xfffe
	v_cndmask_b32_e64 v14, 0, 1, s10
	s_and_b32 s10, s9, s11
	s_wait_alu 0xfffe
	v_cndmask_b32_e64 v34, 0, 1, s10
	s_and_b32 s10, s9, s12
	s_and_b32 s9, s9, s13
	s_wait_alu 0xfffe
	v_cndmask_b32_e64 v35, 0, 1, s10
	v_cndmask_b32_e64 v36, 0, 1, s9
	v_cmp_ne_u32_e64 s9, 0, v14
	v_cmp_ne_u32_e64 s10, 0, v34
	s_delay_alu instid0(VALU_DEP_4) | instskip(NEXT) | instid1(VALU_DEP_4)
	v_cmp_ne_u32_e64 s11, 0, v35
	v_cmp_ne_u32_e64 s12, 0, v36
	s_bcnt1_i32_b32 s9, s9
	s_bcnt1_i32_b32 s10, s10
	s_wait_alu 0xfffe
	v_add_nc_u32_e32 v1, s9, v1
	s_bcnt1_i32_b32 s11, s11
	s_bcnt1_i32_b32 s12, s12
	v_add_nc_u32_e32 v2, s10, v2
	s_wait_alu 0xfffe
	v_add_nc_u32_e32 v3, s11, v3
	v_add_nc_u32_e32 v4, s12, v4
	s_or_b32 s15, vcc_lo, s15
	s_wait_alu 0xfffe
	s_and_not1_b32 exec_lo, exec_lo, s15
	s_cbranch_execnz .LBB59_72
; %bb.73:                               ;   in Loop: Header=BB59_16 Depth=1
	s_or_b32 exec_lo, exec_lo, s15
.LBB59_74:                              ;   in Loop: Header=BB59_16 Depth=1
	s_wait_alu 0xfffe
	s_or_b32 exec_lo, exec_lo, s14
	v_lshlrev_b32_e32 v6, 7, v30
	s_and_saveexec_b32 s9, s4
	s_cbranch_execnz .LBB59_46
	s_branch .LBB59_47
.LBB59_75:                              ;   in Loop: Header=BB59_16 Depth=1
	s_or_b32 exec_lo, exec_lo, s12
	s_wait_dscnt 0x0
	s_barrier_signal -1
	s_barrier_wait -1
	global_inv scope:SCOPE_SE
	s_and_saveexec_b32 s9, s2
	s_cbranch_execz .LBB59_77
; %bb.76:                               ;   in Loop: Header=BB59_16 Depth=1
	ds_load_b32 v1, v7 offset:4104
	s_wait_dscnt 0x0
	ds_store_b32 v7, v1 offset:4096
.LBB59_77:                              ;   in Loop: Header=BB59_16 Depth=1
	s_wait_alu 0xfffe
	s_or_b32 exec_lo, exec_lo, s9
	s_wait_loadcnt_dscnt 0x0
	s_barrier_signal -1
	s_mov_b32 s9, -1
	s_barrier_wait -1
	s_and_b32 vcc_lo, exec_lo, s10
	s_wait_alu 0xfffe
	s_cbranch_vccnz .LBB59_31
	s_branch .LBB59_41
.LBB59_78:                              ;   in Loop: Header=BB59_16 Depth=1
	v_mov_b32_e32 v1, 0
	s_mov_b32 s10, 0
	s_and_not1_b32 vcc_lo, exec_lo, s63
	s_wait_alu 0xfffe
	s_cbranch_vccnz .LBB59_81
.LBB59_79:                              ;   in Loop: Header=BB59_16 Depth=1
	v_lshlrev_b32_e32 v2, 9, v30
	s_lshl_b32 s10, s10, 4
	s_wait_alu 0xfffe
	s_delay_alu instid0(VALU_DEP_1)
	v_add3_u32 v2, v2, s10, v28
	s_mov_b32 s10, s60
.LBB59_80:                              ;   Parent Loop BB59_16 Depth=1
                                        ; =>  This Inner Loop Header: Depth=2
	ds_load_b32 v3, v2
	v_add_nc_u32_e32 v2, 16, v2
	s_wait_alu 0xfffe
	s_add_co_i32 s10, s10, -1
	s_wait_alu 0xfffe
	s_cmp_lg_u32 s10, 0
	s_wait_dscnt 0x0
	v_add_nc_u32_e32 v1, v3, v1
	s_cbranch_scc1 .LBB59_80
.LBB59_81:                              ;   in Loop: Header=BB59_16 Depth=1
	v_add_lshl_u32 v2, v6, v15, 2
	ds_store_b32 v2, v1 offset:3072
.LBB59_82:                              ;   in Loop: Header=BB59_16 Depth=1
	s_wait_alu 0xfffe
	s_or_b32 exec_lo, exec_lo, s9
	v_lshlrev_b32_e32 v1, 2, v6
	s_wait_loadcnt_dscnt 0x0
	s_barrier_signal -1
	s_barrier_wait -1
	global_inv scope:SCOPE_SE
	ds_load_b128 v[1:4], v1 offset:3072
	s_lshl_b32 s10, 3, s76
	v_cmp_eq_u32_e32 vcc_lo, 1, v33
	s_wait_alu 0xfffe
	s_not_b32 s17, s10
	s_mov_b32 s13, -1
	s_mov_b32 s15, -1
                                        ; implicit-def: $sgpr20
                                        ; implicit-def: $sgpr18
	s_wait_dscnt 0x0
	v_readfirstlane_b32 s12, v1
	v_readfirstlane_b32 s19, v2
	;; [unrolled: 1-line block ×4, first 2 shown]
	s_cmp_eq_u32 s12, 1
	s_cselect_b32 s11, -1, 0
	s_wait_alu 0xfffe
	s_and_b32 s14, s11, vcc_lo
	s_wait_alu 0xfffe
	s_and_saveexec_b32 s11, s14
	s_cbranch_execz .LBB59_110
; %bb.83:                               ;   in Loop: Header=BB59_16 Depth=1
	ds_load_b32 v1, v7 offset:4096
	s_wait_loadcnt_dscnt 0x0
	s_barrier_signal -1
	s_barrier_wait -1
	global_inv scope:SCOPE_SE
	v_readfirstlane_b32 s15, v1
	s_and_saveexec_b32 s18, s0
; %bb.84:                               ;   in Loop: Header=BB59_16 Depth=1
	ds_store_b16 v18, v7
; %bb.85:                               ;   in Loop: Header=BB59_16 Depth=1
	s_wait_alu 0xfffe
	s_or_b32 exec_lo, exec_lo, s18
	v_and_b32_e32 v22, s17, v22
	v_or_b32_e32 v31, s10, v31
	s_mov_b32 s18, -1
	s_mov_b32 s20, 0
	s_cmp_lt_i32 s15, 1
	s_mov_b32 s21, 0
	s_mov_b32 s22, -1
	s_wait_loadcnt_dscnt 0x0
	s_barrier_signal -1
	s_barrier_wait -1
	global_inv scope:SCOPE_SE
                                        ; implicit-def: $vgpr32
	s_cbranch_scc0 .LBB59_97
; %bb.86:                               ;   in Loop: Header=BB59_16 Depth=1
	s_mov_b32 s22, 0
                                        ; implicit-def: $vgpr32
	s_and_saveexec_b32 s23, s8
	s_cbranch_execz .LBB59_96
; %bb.87:                               ;   in Loop: Header=BB59_16 Depth=1
	v_mov_b32_e32 v1, v5
	v_mov_b32_e32 v3, v0
                                        ; implicit-def: $sgpr24
	s_branch .LBB59_91
.LBB59_88:                              ;   in Loop: Header=BB59_91 Depth=2
	s_wait_alu 0xfffe
	s_or_b32 exec_lo, exec_lo, s25
	s_wait_loadcnt_dscnt 0x0
	s_barrier_signal -1
	s_barrier_wait -1
	global_inv scope:SCOPE_SE
	ds_load_b32 v2, v7 offset:3072
	s_wait_loadcnt_dscnt 0x0
	s_barrier_signal -1
	s_barrier_wait -1
	global_inv scope:SCOPE_SE
	v_cmp_neq_f16_e32 vcc_lo, 0, v2
	s_cbranch_vccnz .LBB59_94
; %bb.89:                               ;   in Loop: Header=BB59_91 Depth=2
	v_add_nc_u32_e32 v3, s53, v3
	v_add_nc_u32_e32 v1, s57, v1
	s_mov_b32 s25, 0
	s_delay_alu instid0(VALU_DEP_2)
	v_cmp_le_i32_e32 vcc_lo, s65, v3
	s_or_not1_b32 s26, vcc_lo, exec_lo
.LBB59_90:                              ;   in Loop: Header=BB59_91 Depth=2
	s_wait_alu 0xfffe
	s_and_b32 s26, exec_lo, s26
	s_wait_alu 0xfffe
	s_or_b32 s21, s26, s21
	s_and_not1_b32 s24, s24, exec_lo
	s_and_b32 s25, s25, exec_lo
	s_wait_alu 0xfffe
	s_or_b32 s24, s24, s25
	s_and_not1_b32 exec_lo, exec_lo, s21
	s_cbranch_execz .LBB59_95
.LBB59_91:                              ;   Parent Loop BB59_16 Depth=1
                                        ; =>  This Inner Loop Header: Depth=2
	s_mov_b32 s25, exec_lo
	s_delay_alu instid0(VALU_DEP_1)
	v_cmpx_gt_i32_e64 s36, v3
	s_cbranch_execz .LBB59_88
; %bb.92:                               ;   in Loop: Header=BB59_91 Depth=2
	v_ashrrev_i32_e32 v2, 31, v1
	s_delay_alu instid0(VALU_DEP_1) | instskip(NEXT) | instid1(VALU_DEP_1)
	v_lshlrev_b64_e32 v[13:14], 1, v[1:2]
	v_add_co_u32 v13, vcc_lo, s44, v13
	s_wait_alu 0xfffd
	s_delay_alu instid0(VALU_DEP_2)
	v_add_co_ci_u32_e64 v14, null, s45, v14, vcc_lo
	global_load_u16 v2, v[13:14], off
	s_wait_loadcnt 0x0
	v_cmp_lt_i16_e32 vcc_lo, -1, v2
	v_and_b32_e32 v4, 0xffff, v2
	s_wait_alu 0xfffd
	v_cndmask_b32_e32 v6, 0xffff, v29, vcc_lo
	v_cmp_o_f16_e32 vcc_lo, v2, v2
	s_delay_alu instid0(VALU_DEP_2) | instskip(SKIP_1) | instid1(VALU_DEP_1)
	v_xor_b32_e32 v4, v6, v4
	s_wait_alu 0xfffd
	v_cndmask_b32_e32 v4, 0xffff, v4, vcc_lo
	s_delay_alu instid0(VALU_DEP_1) | instskip(NEXT) | instid1(VALU_DEP_1)
	v_and_b32_e32 v4, v4, v31
	v_cmp_eq_u32_e32 vcc_lo, v4, v22
	s_and_b32 exec_lo, exec_lo, vcc_lo
	s_cbranch_execz .LBB59_88
; %bb.93:                               ;   in Loop: Header=BB59_91 Depth=2
	v_perm_b32 v2, v2, s69, 0x5040100
	ds_store_b32 v7, v2 offset:3072
	s_branch .LBB59_88
.LBB59_94:                              ;   in Loop: Header=BB59_91 Depth=2
	s_mov_b32 s26, -1
	s_mov_b32 s25, -1
                                        ; implicit-def: $vgpr3
                                        ; implicit-def: $vgpr1
	s_branch .LBB59_90
.LBB59_95:                              ;   in Loop: Header=BB59_16 Depth=1
	s_or_b32 exec_lo, exec_lo, s21
	v_lshrrev_b32_e32 v32, 16, v2
	s_wait_alu 0xfffe
	s_and_b32 s21, s24, exec_lo
.LBB59_96:                              ;   in Loop: Header=BB59_16 Depth=1
	s_wait_alu 0xfffe
	s_or_b32 exec_lo, exec_lo, s23
.LBB59_97:                              ;   in Loop: Header=BB59_16 Depth=1
	s_wait_alu 0xfffe
	s_and_b32 vcc_lo, exec_lo, s22
	s_wait_alu 0xfffe
	s_cbranch_vccz .LBB59_109
; %bb.98:                               ;   in Loop: Header=BB59_16 Depth=1
	s_add_co_i32 s20, s15, s56
                                        ; implicit-def: $vgpr32
	s_wait_alu 0xfffe
	s_abs_i32 s42, s20
	s_wait_alu 0xfffe
	s_mul_u64 s[22:23], s[42:43], s[48:49]
	s_ashr_i32 s22, s20, 31
	s_wait_alu 0xfffe
	s_mul_i32 s18, s23, s53
	s_wait_alu 0xfffe
	s_sub_co_i32 s18, s42, s18
	s_wait_alu 0xfffe
	s_sub_co_i32 s23, s18, s53
	s_cmp_ge_u32 s18, s53
	s_wait_alu 0xfffe
	s_cselect_b32 s18, s23, s18
	s_wait_alu 0xfffe
	s_sub_co_i32 s23, s18, s53
	s_cmp_ge_u32 s18, s53
	s_wait_alu 0xfffe
	s_cselect_b32 s18, s23, s18
	s_wait_alu 0xfffe
	s_xor_b32 s18, s18, s22
	s_wait_alu 0xfffe
	s_sub_co_i32 s18, s22, s18
	s_wait_alu 0xfffe
	s_add_co_i32 s20, s20, s18
	s_mov_b32 s18, exec_lo
	s_wait_alu 0xfffe
	v_cmpx_gt_i32_e64 s20, v0
	s_cbranch_execz .LBB59_108
; %bb.99:                               ;   in Loop: Header=BB59_16 Depth=1
	v_dual_mov_b32 v1, v17 :: v_dual_mov_b32 v2, v0
	s_mov_b32 s22, 0
                                        ; implicit-def: $sgpr23
	s_branch .LBB59_103
.LBB59_100:                             ;   in Loop: Header=BB59_103 Depth=2
	s_wait_alu 0xfffe
	s_or_b32 exec_lo, exec_lo, s24
	s_wait_loadcnt_dscnt 0x0
	s_barrier_signal -1
	s_barrier_wait -1
	global_inv scope:SCOPE_SE
	ds_load_b32 v3, v7 offset:3072
	s_wait_loadcnt_dscnt 0x0
	s_barrier_signal -1
	s_barrier_wait -1
	global_inv scope:SCOPE_SE
	v_cmp_neq_f16_e32 vcc_lo, 0, v3
	s_cbranch_vccnz .LBB59_106
; %bb.101:                              ;   in Loop: Header=BB59_103 Depth=2
	v_add_nc_u32_e32 v2, s53, v2
	v_add_nc_u32_e32 v1, s68, v1
	s_mov_b32 s24, 0
	s_delay_alu instid0(VALU_DEP_2)
	v_cmp_le_i32_e32 vcc_lo, s20, v2
	s_or_not1_b32 s25, vcc_lo, exec_lo
.LBB59_102:                             ;   in Loop: Header=BB59_103 Depth=2
	s_wait_alu 0xfffe
	s_and_b32 s25, exec_lo, s25
	s_wait_alu 0xfffe
	s_or_b32 s22, s25, s22
	s_and_not1_b32 s23, s23, exec_lo
	s_and_b32 s24, s24, exec_lo
	s_wait_alu 0xfffe
	s_or_b32 s23, s23, s24
	s_and_not1_b32 exec_lo, exec_lo, s22
	s_cbranch_execz .LBB59_107
.LBB59_103:                             ;   Parent Loop BB59_16 Depth=1
                                        ; =>  This Inner Loop Header: Depth=2
	s_mov_b32 s24, exec_lo
	s_delay_alu instid0(VALU_DEP_1)
	v_cmpx_gt_i32_e64 s15, v2
	s_cbranch_execz .LBB59_100
; %bb.104:                              ;   in Loop: Header=BB59_103 Depth=2
	ds_load_u16 v3, v1
	s_wait_dscnt 0x0
	v_cmp_lt_i16_e32 vcc_lo, -1, v3
	v_and_b32_e32 v4, 0xffff, v3
	s_wait_alu 0xfffd
	v_cndmask_b32_e32 v6, 0xffff, v29, vcc_lo
	v_cmp_o_f16_e32 vcc_lo, v3, v3
	s_delay_alu instid0(VALU_DEP_2) | instskip(SKIP_1) | instid1(VALU_DEP_1)
	v_xor_b32_e32 v4, v6, v4
	s_wait_alu 0xfffd
	v_cndmask_b32_e32 v4, 0xffff, v4, vcc_lo
	s_delay_alu instid0(VALU_DEP_1) | instskip(NEXT) | instid1(VALU_DEP_1)
	v_and_b32_e32 v4, v4, v31
	v_cmp_eq_u32_e32 vcc_lo, v4, v22
	s_and_b32 exec_lo, exec_lo, vcc_lo
	s_cbranch_execz .LBB59_100
; %bb.105:                              ;   in Loop: Header=BB59_103 Depth=2
	v_perm_b32 v3, v3, s69, 0x5040100
	ds_store_b32 v7, v3 offset:3072
	s_branch .LBB59_100
.LBB59_106:                             ;   in Loop: Header=BB59_103 Depth=2
	s_mov_b32 s25, -1
	s_mov_b32 s24, -1
                                        ; implicit-def: $vgpr2
                                        ; implicit-def: $vgpr1
	s_branch .LBB59_102
.LBB59_107:                             ;   in Loop: Header=BB59_16 Depth=1
	s_or_b32 exec_lo, exec_lo, s22
	s_delay_alu instid0(SALU_CYCLE_1)
	s_and_not1_b32 s15, s21, exec_lo
	s_wait_alu 0xfffe
	s_and_b32 s20, s23, exec_lo
	v_lshrrev_b32_e32 v32, 16, v3
	s_wait_alu 0xfffe
	s_or_b32 s21, s15, s20
.LBB59_108:                             ;   in Loop: Header=BB59_16 Depth=1
	s_or_b32 exec_lo, exec_lo, s18
	s_mov_b32 s18, 0
	s_mov_b32 s20, -1
.LBB59_109:                             ;   in Loop: Header=BB59_16 Depth=1
	s_wait_alu 0xfffe
	s_or_not1_b32 s15, s21, exec_lo
.LBB59_110:                             ;   in Loop: Header=BB59_16 Depth=1
	s_wait_alu 0xfffe
	s_or_b32 exec_lo, exec_lo, s11
	v_readfirstlane_b32 s21, v0
	s_and_not1_b32 s11, s74, exec_lo
	s_and_b32 s20, s20, exec_lo
	s_and_not1_b32 s22, s72, exec_lo
	s_and_b32 s18, s18, exec_lo
	s_and_not1_b32 s71, s71, exec_lo
	s_wait_alu 0xfffe
	s_or_b32 s74, s11, s20
	s_or_b32 s72, s22, s18
                                        ; implicit-def: $vgpr4
	s_and_saveexec_b32 s11, s15
	s_cbranch_execz .LBB59_15
; %bb.111:                              ;   in Loop: Header=BB59_16 Depth=1
	v_dual_mov_b32 v4, 1 :: v_dual_mov_b32 v3, 1
	s_xor_b32 s14, s14, -1
	s_mov_b32 s20, 0
	s_wait_alu 0xfffe
	s_and_saveexec_b32 s13, s14
	s_cbranch_execz .LBB59_120
; %bb.112:                              ;   in Loop: Header=BB59_16 Depth=1
	s_mov_b32 s14, exec_lo
	v_cmpx_ge_i32_e64 s12, v33
	s_wait_alu 0xfffe
	s_xor_b32 s14, exec_lo, s14
	s_cbranch_execz .LBB59_117
; %bb.113:                              ;   in Loop: Header=BB59_16 Depth=1
	ds_load_b32 v1, v7 offset:4096
	v_and_b32_e32 v22, s17, v22
	v_or_b32_e32 v31, s10, v31
	s_wait_dscnt 0x0
	v_cmp_ne_u32_e32 vcc_lo, 0, v1
	s_cbranch_vccnz .LBB59_117
; %bb.114:                              ;   in Loop: Header=BB59_16 Depth=1
	s_and_saveexec_b32 s15, s2
; %bb.115:                              ;   in Loop: Header=BB59_16 Depth=1
	v_mov_b32_e32 v1, s12
	ds_store_b32 v7, v1 offset:4100
; %bb.116:                              ;   in Loop: Header=BB59_16 Depth=1
	s_wait_alu 0xfffe
	s_or_b32 exec_lo, exec_lo, s15
	s_wait_loadcnt_dscnt 0x0
	s_barrier_signal -1
	s_barrier_wait -1
	global_inv scope:SCOPE_SE
.LBB59_117:                             ;   in Loop: Header=BB59_16 Depth=1
	s_wait_alu 0xfffe
	s_or_saveexec_b32 s14, s14
	v_mov_b32_e32 v3, 8
	s_mov_b32 s15, 0
	s_wait_alu 0xfffe
	s_xor_b32 exec_lo, exec_lo, s14
; %bb.118:                              ;   in Loop: Header=BB59_16 Depth=1
	v_subrev_nc_u32_e32 v33, s12, v33
	v_mov_b32_e32 v3, 0
	s_mov_b32 s15, exec_lo
; %bb.119:                              ;   in Loop: Header=BB59_16 Depth=1
	s_or_b32 exec_lo, exec_lo, s14
	s_delay_alu instid0(VALU_DEP_2)
	v_mov_b32_e32 v4, v33
	s_wait_alu 0xfffe
	s_and_b32 s20, s15, exec_lo
.LBB59_120:                             ;   in Loop: Header=BB59_16 Depth=1
	s_wait_alu 0xfffe
	s_or_b32 exec_lo, exec_lo, s13
	s_mov_b32 s12, -1
	s_mov_b32 s18, -1
                                        ; implicit-def: $sgpr14
                                        ; implicit-def: $sgpr15
	s_and_saveexec_b32 s13, s20
	s_wait_alu 0xfffe
	s_xor_b32 s13, exec_lo, s13
	s_cbranch_execz .LBB59_243
; %bb.121:                              ;   in Loop: Header=BB59_16 Depth=1
	v_cmp_eq_u32_e32 vcc_lo, 1, v4
	s_cmp_eq_u32 s19, 1
	s_mov_b32 s21, -1
	s_cselect_b32 s14, -1, 0
                                        ; implicit-def: $sgpr15
	s_wait_alu 0xfffe
	s_and_b32 s20, s14, vcc_lo
                                        ; implicit-def: $sgpr14
	s_wait_alu 0xfffe
	s_and_saveexec_b32 s18, s20
	s_cbranch_execz .LBB59_149
; %bb.122:                              ;   in Loop: Header=BB59_16 Depth=1
	ds_load_b32 v1, v7 offset:4096
	s_wait_loadcnt_dscnt 0x0
	s_barrier_signal -1
	s_barrier_wait -1
	global_inv scope:SCOPE_SE
	v_readfirstlane_b32 s21, v1
	s_and_saveexec_b32 s14, s0
; %bb.123:                              ;   in Loop: Header=BB59_16 Depth=1
	ds_store_b16 v18, v7
; %bb.124:                              ;   in Loop: Header=BB59_16 Depth=1
	s_wait_alu 0xfffe
	s_or_b32 exec_lo, exec_lo, s14
	s_lshl_b32 s14, 1, s76
	v_or_b32_e32 v31, s10, v31
	s_wait_alu 0xfffe
	v_and_or_b32 v22, v22, s17, s14
	s_mov_b32 s14, -1
	s_mov_b32 s15, 0
	s_cmp_gt_i32 s21, 0
	s_mov_b32 s22, 0
	s_mov_b32 s23, -1
	s_wait_loadcnt_dscnt 0x0
	s_barrier_signal -1
	s_barrier_wait -1
	global_inv scope:SCOPE_SE
                                        ; implicit-def: $vgpr32
	s_cbranch_scc1 .LBB59_136
; %bb.125:                              ;   in Loop: Header=BB59_16 Depth=1
	s_mov_b32 s23, 0
                                        ; implicit-def: $vgpr32
	s_and_saveexec_b32 s24, s8
	s_cbranch_execz .LBB59_135
; %bb.126:                              ;   in Loop: Header=BB59_16 Depth=1
	v_dual_mov_b32 v1, v5 :: v_dual_mov_b32 v6, v0
                                        ; implicit-def: $sgpr25
	s_branch .LBB59_130
.LBB59_127:                             ;   in Loop: Header=BB59_130 Depth=2
	s_wait_alu 0xfffe
	s_or_b32 exec_lo, exec_lo, s26
	s_wait_loadcnt_dscnt 0x0
	s_barrier_signal -1
	s_barrier_wait -1
	global_inv scope:SCOPE_SE
	ds_load_b32 v2, v7 offset:3072
	s_wait_loadcnt_dscnt 0x0
	s_barrier_signal -1
	s_barrier_wait -1
	global_inv scope:SCOPE_SE
	v_cmp_neq_f16_e32 vcc_lo, 0, v2
	s_cbranch_vccnz .LBB59_133
; %bb.128:                              ;   in Loop: Header=BB59_130 Depth=2
	v_add_nc_u32_e32 v6, s53, v6
	v_add_nc_u32_e32 v1, s57, v1
	s_mov_b32 s26, 0
	s_delay_alu instid0(VALU_DEP_2)
	v_cmp_le_i32_e32 vcc_lo, s65, v6
	s_or_not1_b32 s27, vcc_lo, exec_lo
.LBB59_129:                             ;   in Loop: Header=BB59_130 Depth=2
	s_wait_alu 0xfffe
	s_and_b32 s27, exec_lo, s27
	s_wait_alu 0xfffe
	s_or_b32 s22, s27, s22
	s_and_not1_b32 s25, s25, exec_lo
	s_and_b32 s26, s26, exec_lo
	s_wait_alu 0xfffe
	s_or_b32 s25, s25, s26
	s_and_not1_b32 exec_lo, exec_lo, s22
	s_cbranch_execz .LBB59_134
.LBB59_130:                             ;   Parent Loop BB59_16 Depth=1
                                        ; =>  This Inner Loop Header: Depth=2
	s_mov_b32 s26, exec_lo
	s_delay_alu instid0(VALU_DEP_1)
	v_cmpx_gt_i32_e64 s36, v6
	s_cbranch_execz .LBB59_127
; %bb.131:                              ;   in Loop: Header=BB59_130 Depth=2
	v_ashrrev_i32_e32 v2, 31, v1
	s_delay_alu instid0(VALU_DEP_1) | instskip(NEXT) | instid1(VALU_DEP_1)
	v_lshlrev_b64_e32 v[13:14], 1, v[1:2]
	v_add_co_u32 v13, vcc_lo, s44, v13
	s_wait_alu 0xfffd
	s_delay_alu instid0(VALU_DEP_2)
	v_add_co_ci_u32_e64 v14, null, s45, v14, vcc_lo
	global_load_u16 v2, v[13:14], off
	s_wait_loadcnt 0x0
	v_cmp_lt_i16_e32 vcc_lo, -1, v2
	s_wait_alu 0xfffd
	v_dual_cndmask_b32 v14, 0xffff, v29 :: v_dual_and_b32 v13, 0xffff, v2
	v_cmp_o_f16_e32 vcc_lo, v2, v2
	s_delay_alu instid0(VALU_DEP_2) | instskip(SKIP_1) | instid1(VALU_DEP_1)
	v_xor_b32_e32 v13, v14, v13
	s_wait_alu 0xfffd
	v_cndmask_b32_e32 v13, 0xffff, v13, vcc_lo
	s_delay_alu instid0(VALU_DEP_1) | instskip(NEXT) | instid1(VALU_DEP_1)
	v_and_b32_e32 v13, v13, v31
	v_cmp_eq_u32_e32 vcc_lo, v13, v22
	s_and_b32 exec_lo, exec_lo, vcc_lo
	s_cbranch_execz .LBB59_127
; %bb.132:                              ;   in Loop: Header=BB59_130 Depth=2
	v_perm_b32 v2, v2, s69, 0x5040100
	ds_store_b32 v7, v2 offset:3072
	s_branch .LBB59_127
.LBB59_133:                             ;   in Loop: Header=BB59_130 Depth=2
	s_mov_b32 s27, -1
	s_mov_b32 s26, -1
                                        ; implicit-def: $vgpr6
                                        ; implicit-def: $vgpr1
	s_branch .LBB59_129
.LBB59_134:                             ;   in Loop: Header=BB59_16 Depth=1
	s_or_b32 exec_lo, exec_lo, s22
	v_lshrrev_b32_e32 v32, 16, v2
	s_wait_alu 0xfffe
	s_and_b32 s22, s25, exec_lo
.LBB59_135:                             ;   in Loop: Header=BB59_16 Depth=1
	s_wait_alu 0xfffe
	s_or_b32 exec_lo, exec_lo, s24
.LBB59_136:                             ;   in Loop: Header=BB59_16 Depth=1
	s_wait_alu 0xfffe
	s_and_b32 vcc_lo, exec_lo, s23
	s_wait_alu 0xfffe
	s_cbranch_vccz .LBB59_148
; %bb.137:                              ;   in Loop: Header=BB59_16 Depth=1
	s_add_co_i32 s23, s21, s56
                                        ; implicit-def: $vgpr32
	s_wait_alu 0xfffe
	s_abs_i32 s42, s23
	s_wait_alu 0xfffe
	s_mul_u64 s[14:15], s[42:43], s[48:49]
	s_wait_alu 0xfffe
	s_mul_i32 s14, s15, s53
	s_ashr_i32 s15, s23, 31
	s_wait_alu 0xfffe
	s_sub_co_i32 s14, s42, s14
	s_wait_alu 0xfffe
	s_sub_co_i32 s24, s14, s53
	s_cmp_ge_u32 s14, s53
	s_wait_alu 0xfffe
	s_cselect_b32 s14, s24, s14
	s_wait_alu 0xfffe
	s_sub_co_i32 s24, s14, s53
	s_cmp_ge_u32 s14, s53
	s_wait_alu 0xfffe
	s_cselect_b32 s14, s24, s14
	s_wait_alu 0xfffe
	s_xor_b32 s14, s14, s15
	s_wait_alu 0xfffe
	s_sub_co_i32 s14, s15, s14
	s_wait_alu 0xfffe
	s_add_co_i32 s15, s23, s14
	s_mov_b32 s14, exec_lo
	s_wait_alu 0xfffe
	v_cmpx_gt_i32_e64 s15, v0
	s_cbranch_execz .LBB59_147
; %bb.138:                              ;   in Loop: Header=BB59_16 Depth=1
	v_dual_mov_b32 v1, v17 :: v_dual_mov_b32 v2, v0
	s_mov_b32 s23, 0
                                        ; implicit-def: $sgpr24
	s_branch .LBB59_142
.LBB59_139:                             ;   in Loop: Header=BB59_142 Depth=2
	s_wait_alu 0xfffe
	s_or_b32 exec_lo, exec_lo, s25
	s_wait_loadcnt_dscnt 0x0
	s_barrier_signal -1
	s_barrier_wait -1
	global_inv scope:SCOPE_SE
	ds_load_b32 v6, v7 offset:3072
	s_wait_loadcnt_dscnt 0x0
	s_barrier_signal -1
	s_barrier_wait -1
	global_inv scope:SCOPE_SE
	v_cmp_eq_f16_e32 vcc_lo, 0, v6
	s_cbranch_vccz .LBB59_145
; %bb.140:                              ;   in Loop: Header=BB59_142 Depth=2
	v_add_nc_u32_e32 v2, s53, v2
	v_add_nc_u32_e32 v1, s68, v1
	s_mov_b32 s25, 0
	s_delay_alu instid0(VALU_DEP_2)
	v_cmp_le_i32_e32 vcc_lo, s15, v2
	s_or_not1_b32 s26, vcc_lo, exec_lo
.LBB59_141:                             ;   in Loop: Header=BB59_142 Depth=2
	s_wait_alu 0xfffe
	s_and_b32 s26, exec_lo, s26
	s_wait_alu 0xfffe
	s_or_b32 s23, s26, s23
	s_and_not1_b32 s24, s24, exec_lo
	s_and_b32 s25, s25, exec_lo
	s_wait_alu 0xfffe
	s_or_b32 s24, s24, s25
	s_and_not1_b32 exec_lo, exec_lo, s23
	s_cbranch_execz .LBB59_146
.LBB59_142:                             ;   Parent Loop BB59_16 Depth=1
                                        ; =>  This Inner Loop Header: Depth=2
	s_mov_b32 s25, exec_lo
	s_delay_alu instid0(VALU_DEP_1)
	v_cmpx_gt_i32_e64 s21, v2
	s_cbranch_execz .LBB59_139
; %bb.143:                              ;   in Loop: Header=BB59_142 Depth=2
	ds_load_u16 v6, v1
	s_wait_dscnt 0x0
	v_cmp_lt_i16_e32 vcc_lo, -1, v6
	s_wait_alu 0xfffd
	v_dual_cndmask_b32 v14, 0xffff, v29 :: v_dual_and_b32 v13, 0xffff, v6
	v_cmp_o_f16_e32 vcc_lo, v6, v6
	s_delay_alu instid0(VALU_DEP_2) | instskip(SKIP_1) | instid1(VALU_DEP_1)
	v_xor_b32_e32 v13, v14, v13
	s_wait_alu 0xfffd
	v_cndmask_b32_e32 v13, 0xffff, v13, vcc_lo
	s_delay_alu instid0(VALU_DEP_1) | instskip(NEXT) | instid1(VALU_DEP_1)
	v_and_b32_e32 v13, v13, v31
	v_cmp_eq_u32_e32 vcc_lo, v13, v22
	s_and_b32 exec_lo, exec_lo, vcc_lo
	s_cbranch_execz .LBB59_139
; %bb.144:                              ;   in Loop: Header=BB59_142 Depth=2
	v_perm_b32 v6, v6, s69, 0x5040100
	ds_store_b32 v7, v6 offset:3072
	s_branch .LBB59_139
.LBB59_145:                             ;   in Loop: Header=BB59_142 Depth=2
	s_mov_b32 s26, -1
	s_mov_b32 s25, -1
                                        ; implicit-def: $vgpr2
                                        ; implicit-def: $vgpr1
	s_branch .LBB59_141
.LBB59_146:                             ;   in Loop: Header=BB59_16 Depth=1
	s_or_b32 exec_lo, exec_lo, s23
	v_lshrrev_b32_e32 v32, 16, v6
	s_and_not1_b32 s15, s22, exec_lo
	s_wait_alu 0xfffe
	s_and_b32 s21, s24, exec_lo
	s_wait_alu 0xfffe
	s_or_b32 s22, s15, s21
.LBB59_147:                             ;   in Loop: Header=BB59_16 Depth=1
	s_or_b32 exec_lo, exec_lo, s14
	s_mov_b32 s14, 0
	s_mov_b32 s15, -1
.LBB59_148:                             ;   in Loop: Header=BB59_16 Depth=1
	s_wait_alu 0xfffe
	s_or_not1_b32 s21, s22, exec_lo
.LBB59_149:                             ;   in Loop: Header=BB59_16 Depth=1
	s_wait_alu 0xfffe
	s_or_b32 exec_lo, exec_lo, s18
	s_mov_b32 s22, 0
	s_and_saveexec_b32 s18, s21
	s_cbranch_execz .LBB59_242
; %bb.150:                              ;   in Loop: Header=BB59_16 Depth=1
	v_dual_mov_b32 v6, 1 :: v_dual_mov_b32 v3, 1
	s_xor_b32 s21, s20, -1
	s_mov_b32 s23, 0
	s_wait_alu 0xfffe
	s_and_saveexec_b32 s20, s21
	s_cbranch_execz .LBB59_159
; %bb.151:                              ;   in Loop: Header=BB59_16 Depth=1
	s_mov_b32 s21, exec_lo
	v_cmpx_ge_i32_e64 s19, v4
	s_wait_alu 0xfffe
	s_xor_b32 s21, exec_lo, s21
	s_cbranch_execz .LBB59_156
; %bb.152:                              ;   in Loop: Header=BB59_16 Depth=1
	ds_load_b32 v1, v7 offset:4096
	s_lshl_b32 s22, 1, s76
	v_or_b32_e32 v31, s10, v31
	s_wait_alu 0xfffe
	v_and_or_b32 v22, v22, s17, s22
	s_wait_dscnt 0x0
	v_cmp_ne_u32_e32 vcc_lo, 0, v1
	s_cbranch_vccnz .LBB59_156
; %bb.153:                              ;   in Loop: Header=BB59_16 Depth=1
	s_and_saveexec_b32 s22, s2
; %bb.154:                              ;   in Loop: Header=BB59_16 Depth=1
	v_mov_b32_e32 v1, s19
	ds_store_b32 v7, v1 offset:4100
; %bb.155:                              ;   in Loop: Header=BB59_16 Depth=1
	s_wait_alu 0xfffe
	s_or_b32 exec_lo, exec_lo, s22
	s_wait_loadcnt_dscnt 0x0
	s_barrier_signal -1
	s_barrier_wait -1
	global_inv scope:SCOPE_SE
.LBB59_156:                             ;   in Loop: Header=BB59_16 Depth=1
	s_wait_alu 0xfffe
	s_or_saveexec_b32 s21, s21
	v_mov_b32_e32 v3, 8
	s_mov_b32 s22, 0
	s_wait_alu 0xfffe
	s_xor_b32 exec_lo, exec_lo, s21
; %bb.157:                              ;   in Loop: Header=BB59_16 Depth=1
	v_subrev_nc_u32_e32 v4, s19, v4
	v_mov_b32_e32 v3, 0
	s_mov_b32 s22, exec_lo
; %bb.158:                              ;   in Loop: Header=BB59_16 Depth=1
	s_or_b32 exec_lo, exec_lo, s21
	s_delay_alu instid0(VALU_DEP_2)
	v_mov_b32_e32 v6, v4
	s_wait_alu 0xfffe
	s_and_b32 s23, s22, exec_lo
.LBB59_159:                             ;   in Loop: Header=BB59_16 Depth=1
	s_wait_alu 0xfffe
	s_or_b32 exec_lo, exec_lo, s20
	s_mov_b32 s22, -1
                                        ; implicit-def: $sgpr20
                                        ; implicit-def: $sgpr21
	s_and_saveexec_b32 s19, s23
	s_cbranch_execz .LBB59_241
; %bb.160:                              ;   in Loop: Header=BB59_16 Depth=1
	v_cmp_eq_u32_e32 vcc_lo, 1, v6
	s_cmp_eq_u32 s16, 1
	s_mov_b32 s24, -1
	s_cselect_b32 s20, -1, 0
                                        ; implicit-def: $sgpr21
	s_wait_alu 0xfffe
	s_and_b32 s23, s20, vcc_lo
                                        ; implicit-def: $sgpr20
	s_wait_alu 0xfffe
	s_and_saveexec_b32 s22, s23
	s_cbranch_execz .LBB59_188
; %bb.161:                              ;   in Loop: Header=BB59_16 Depth=1
	ds_load_b32 v1, v7 offset:4096
	s_wait_loadcnt_dscnt 0x0
	s_barrier_signal -1
	s_barrier_wait -1
	global_inv scope:SCOPE_SE
	v_readfirstlane_b32 s24, v1
	s_and_saveexec_b32 s20, s0
; %bb.162:                              ;   in Loop: Header=BB59_16 Depth=1
	ds_store_b16 v18, v7
; %bb.163:                              ;   in Loop: Header=BB59_16 Depth=1
	s_wait_alu 0xfffe
	s_or_b32 exec_lo, exec_lo, s20
	s_lshl_b32 s20, 2, s76
	v_or_b32_e32 v31, s10, v31
	s_wait_alu 0xfffe
	v_and_or_b32 v22, v22, s17, s20
	s_mov_b32 s20, -1
	s_mov_b32 s21, 0
	s_cmp_gt_i32 s24, 0
	s_mov_b32 s25, 0
	s_mov_b32 s26, -1
	s_wait_loadcnt_dscnt 0x0
	s_barrier_signal -1
	s_barrier_wait -1
	global_inv scope:SCOPE_SE
                                        ; implicit-def: $vgpr32
	s_cbranch_scc1 .LBB59_175
; %bb.164:                              ;   in Loop: Header=BB59_16 Depth=1
	s_mov_b32 s26, 0
                                        ; implicit-def: $vgpr32
	s_and_saveexec_b32 s27, s8
	s_cbranch_execz .LBB59_174
; %bb.165:                              ;   in Loop: Header=BB59_16 Depth=1
	v_dual_mov_b32 v1, v5 :: v_dual_mov_b32 v4, v0
                                        ; implicit-def: $sgpr28
	s_branch .LBB59_169
.LBB59_166:                             ;   in Loop: Header=BB59_169 Depth=2
	s_wait_alu 0xfffe
	s_or_b32 exec_lo, exec_lo, s42
	s_wait_loadcnt_dscnt 0x0
	s_barrier_signal -1
	s_barrier_wait -1
	global_inv scope:SCOPE_SE
	ds_load_b32 v2, v7 offset:3072
	s_wait_loadcnt_dscnt 0x0
	s_barrier_signal -1
	s_barrier_wait -1
	global_inv scope:SCOPE_SE
	v_cmp_neq_f16_e32 vcc_lo, 0, v2
	s_cbranch_vccnz .LBB59_172
; %bb.167:                              ;   in Loop: Header=BB59_169 Depth=2
	v_add_nc_u32_e32 v4, s53, v4
	v_add_nc_u32_e32 v1, s57, v1
	s_mov_b32 s42, 0
	s_delay_alu instid0(VALU_DEP_2)
	v_cmp_le_i32_e32 vcc_lo, s65, v4
	s_or_not1_b32 s77, vcc_lo, exec_lo
.LBB59_168:                             ;   in Loop: Header=BB59_169 Depth=2
	s_wait_alu 0xfffe
	s_and_b32 s77, exec_lo, s77
	s_wait_alu 0xfffe
	s_or_b32 s25, s77, s25
	s_and_not1_b32 s28, s28, exec_lo
	s_and_b32 s42, s42, exec_lo
	s_wait_alu 0xfffe
	s_or_b32 s28, s28, s42
	s_and_not1_b32 exec_lo, exec_lo, s25
	s_cbranch_execz .LBB59_173
.LBB59_169:                             ;   Parent Loop BB59_16 Depth=1
                                        ; =>  This Inner Loop Header: Depth=2
	s_mov_b32 s42, exec_lo
	s_delay_alu instid0(VALU_DEP_1)
	v_cmpx_gt_i32_e64 s36, v4
	s_cbranch_execz .LBB59_166
; %bb.170:                              ;   in Loop: Header=BB59_169 Depth=2
	v_ashrrev_i32_e32 v2, 31, v1
	s_delay_alu instid0(VALU_DEP_1) | instskip(NEXT) | instid1(VALU_DEP_1)
	v_lshlrev_b64_e32 v[13:14], 1, v[1:2]
	v_add_co_u32 v13, vcc_lo, s44, v13
	s_wait_alu 0xfffd
	s_delay_alu instid0(VALU_DEP_2)
	v_add_co_ci_u32_e64 v14, null, s45, v14, vcc_lo
	global_load_u16 v2, v[13:14], off
	s_wait_loadcnt 0x0
	v_cmp_lt_i16_e32 vcc_lo, -1, v2
	s_wait_alu 0xfffd
	v_dual_cndmask_b32 v14, 0xffff, v29 :: v_dual_and_b32 v13, 0xffff, v2
	v_cmp_o_f16_e32 vcc_lo, v2, v2
	s_delay_alu instid0(VALU_DEP_2) | instskip(SKIP_1) | instid1(VALU_DEP_1)
	v_xor_b32_e32 v13, v14, v13
	s_wait_alu 0xfffd
	v_cndmask_b32_e32 v13, 0xffff, v13, vcc_lo
	s_delay_alu instid0(VALU_DEP_1) | instskip(NEXT) | instid1(VALU_DEP_1)
	v_and_b32_e32 v13, v13, v31
	v_cmp_eq_u32_e32 vcc_lo, v13, v22
	s_and_b32 exec_lo, exec_lo, vcc_lo
	s_cbranch_execz .LBB59_166
; %bb.171:                              ;   in Loop: Header=BB59_169 Depth=2
	v_perm_b32 v2, v2, s69, 0x5040100
	ds_store_b32 v7, v2 offset:3072
	s_branch .LBB59_166
.LBB59_172:                             ;   in Loop: Header=BB59_169 Depth=2
	s_mov_b32 s77, -1
	s_mov_b32 s42, -1
                                        ; implicit-def: $vgpr4
                                        ; implicit-def: $vgpr1
	s_branch .LBB59_168
.LBB59_173:                             ;   in Loop: Header=BB59_16 Depth=1
	s_or_b32 exec_lo, exec_lo, s25
	v_lshrrev_b32_e32 v32, 16, v2
	s_wait_alu 0xfffe
	s_and_b32 s25, s28, exec_lo
.LBB59_174:                             ;   in Loop: Header=BB59_16 Depth=1
	s_wait_alu 0xfffe
	s_or_b32 exec_lo, exec_lo, s27
.LBB59_175:                             ;   in Loop: Header=BB59_16 Depth=1
	s_wait_alu 0xfffe
	s_and_b32 vcc_lo, exec_lo, s26
	s_wait_alu 0xfffe
	s_cbranch_vccz .LBB59_187
; %bb.176:                              ;   in Loop: Header=BB59_16 Depth=1
	s_add_co_i32 s26, s24, s56
                                        ; implicit-def: $vgpr32
	s_wait_alu 0xfffe
	s_abs_i32 s42, s26
	s_wait_alu 0xfffe
	s_mul_u64 s[20:21], s[42:43], s[48:49]
	s_wait_alu 0xfffe
	s_mul_i32 s20, s21, s53
	s_ashr_i32 s21, s26, 31
	s_wait_alu 0xfffe
	s_sub_co_i32 s20, s42, s20
	s_wait_alu 0xfffe
	s_sub_co_i32 s27, s20, s53
	s_cmp_ge_u32 s20, s53
	s_wait_alu 0xfffe
	s_cselect_b32 s20, s27, s20
	s_wait_alu 0xfffe
	s_sub_co_i32 s27, s20, s53
	s_cmp_ge_u32 s20, s53
	s_wait_alu 0xfffe
	s_cselect_b32 s20, s27, s20
	s_wait_alu 0xfffe
	s_xor_b32 s20, s20, s21
	s_wait_alu 0xfffe
	s_sub_co_i32 s20, s21, s20
	s_wait_alu 0xfffe
	s_add_co_i32 s21, s26, s20
	s_mov_b32 s20, exec_lo
	s_wait_alu 0xfffe
	v_cmpx_gt_i32_e64 s21, v0
	s_cbranch_execz .LBB59_186
; %bb.177:                              ;   in Loop: Header=BB59_16 Depth=1
	v_dual_mov_b32 v1, v17 :: v_dual_mov_b32 v2, v0
	s_mov_b32 s26, 0
                                        ; implicit-def: $sgpr27
	s_branch .LBB59_181
.LBB59_178:                             ;   in Loop: Header=BB59_181 Depth=2
	s_wait_alu 0xfffe
	s_or_b32 exec_lo, exec_lo, s28
	s_wait_loadcnt_dscnt 0x0
	s_barrier_signal -1
	s_barrier_wait -1
	global_inv scope:SCOPE_SE
	ds_load_b32 v4, v7 offset:3072
	s_wait_loadcnt_dscnt 0x0
	s_barrier_signal -1
	s_barrier_wait -1
	global_inv scope:SCOPE_SE
	v_cmp_eq_f16_e32 vcc_lo, 0, v4
	s_cbranch_vccz .LBB59_184
; %bb.179:                              ;   in Loop: Header=BB59_181 Depth=2
	v_add_nc_u32_e32 v2, s53, v2
	v_add_nc_u32_e32 v1, s68, v1
	s_mov_b32 s28, 0
	s_delay_alu instid0(VALU_DEP_2)
	v_cmp_le_i32_e32 vcc_lo, s21, v2
	s_or_not1_b32 s42, vcc_lo, exec_lo
.LBB59_180:                             ;   in Loop: Header=BB59_181 Depth=2
	s_wait_alu 0xfffe
	s_and_b32 s42, exec_lo, s42
	s_wait_alu 0xfffe
	s_or_b32 s26, s42, s26
	s_and_not1_b32 s27, s27, exec_lo
	s_and_b32 s28, s28, exec_lo
	s_wait_alu 0xfffe
	s_or_b32 s27, s27, s28
	s_and_not1_b32 exec_lo, exec_lo, s26
	s_cbranch_execz .LBB59_185
.LBB59_181:                             ;   Parent Loop BB59_16 Depth=1
                                        ; =>  This Inner Loop Header: Depth=2
	s_mov_b32 s28, exec_lo
	s_delay_alu instid0(VALU_DEP_1)
	v_cmpx_gt_i32_e64 s24, v2
	s_cbranch_execz .LBB59_178
; %bb.182:                              ;   in Loop: Header=BB59_181 Depth=2
	ds_load_u16 v4, v1
	s_wait_dscnt 0x0
	v_cmp_lt_i16_e32 vcc_lo, -1, v4
	s_wait_alu 0xfffd
	v_dual_cndmask_b32 v14, 0xffff, v29 :: v_dual_and_b32 v13, 0xffff, v4
	v_cmp_o_f16_e32 vcc_lo, v4, v4
	s_delay_alu instid0(VALU_DEP_2) | instskip(SKIP_1) | instid1(VALU_DEP_1)
	v_xor_b32_e32 v13, v14, v13
	s_wait_alu 0xfffd
	v_cndmask_b32_e32 v13, 0xffff, v13, vcc_lo
	s_delay_alu instid0(VALU_DEP_1) | instskip(NEXT) | instid1(VALU_DEP_1)
	v_and_b32_e32 v13, v13, v31
	v_cmp_eq_u32_e32 vcc_lo, v13, v22
	s_and_b32 exec_lo, exec_lo, vcc_lo
	s_cbranch_execz .LBB59_178
; %bb.183:                              ;   in Loop: Header=BB59_181 Depth=2
	v_perm_b32 v4, v4, s69, 0x5040100
	ds_store_b32 v7, v4 offset:3072
	s_branch .LBB59_178
.LBB59_184:                             ;   in Loop: Header=BB59_181 Depth=2
	s_mov_b32 s42, -1
	s_mov_b32 s28, -1
                                        ; implicit-def: $vgpr2
                                        ; implicit-def: $vgpr1
	s_branch .LBB59_180
.LBB59_185:                             ;   in Loop: Header=BB59_16 Depth=1
	s_or_b32 exec_lo, exec_lo, s26
	v_lshrrev_b32_e32 v32, 16, v4
	s_and_not1_b32 s21, s25, exec_lo
	s_wait_alu 0xfffe
	s_and_b32 s24, s27, exec_lo
	s_wait_alu 0xfffe
	s_or_b32 s25, s21, s24
.LBB59_186:                             ;   in Loop: Header=BB59_16 Depth=1
	s_or_b32 exec_lo, exec_lo, s20
	s_mov_b32 s20, 0
	s_mov_b32 s21, -1
.LBB59_187:                             ;   in Loop: Header=BB59_16 Depth=1
	s_wait_alu 0xfffe
	s_or_not1_b32 s24, s25, exec_lo
.LBB59_188:                             ;   in Loop: Header=BB59_16 Depth=1
	s_wait_alu 0xfffe
	s_or_b32 exec_lo, exec_lo, s22
	s_mov_b32 s25, 0
	s_and_saveexec_b32 s22, s24
	s_cbranch_execz .LBB59_240
; %bb.189:                              ;   in Loop: Header=BB59_16 Depth=1
	v_dual_mov_b32 v4, 1 :: v_dual_mov_b32 v3, 1
	s_xor_b32 s24, s23, -1
	s_wait_alu 0xfffe
	s_and_saveexec_b32 s23, s24
	s_cbranch_execz .LBB59_198
; %bb.190:                              ;   in Loop: Header=BB59_16 Depth=1
	s_mov_b32 s24, exec_lo
	v_cmpx_ge_i32_e64 s16, v6
	s_wait_alu 0xfffe
	s_xor_b32 s24, exec_lo, s24
	s_cbranch_execz .LBB59_195
; %bb.191:                              ;   in Loop: Header=BB59_16 Depth=1
	ds_load_b32 v1, v7 offset:4096
	s_lshl_b32 s25, 2, s76
	v_or_b32_e32 v31, s10, v31
	s_wait_alu 0xfffe
	v_and_or_b32 v22, v22, s17, s25
	s_wait_dscnt 0x0
	v_cmp_ne_u32_e32 vcc_lo, 0, v1
	s_cbranch_vccnz .LBB59_195
; %bb.192:                              ;   in Loop: Header=BB59_16 Depth=1
	s_and_saveexec_b32 s17, s2
; %bb.193:                              ;   in Loop: Header=BB59_16 Depth=1
	v_mov_b32_e32 v1, s16
	ds_store_b32 v7, v1 offset:4100
; %bb.194:                              ;   in Loop: Header=BB59_16 Depth=1
	s_wait_alu 0xfffe
	s_or_b32 exec_lo, exec_lo, s17
	s_wait_loadcnt_dscnt 0x0
	s_barrier_signal -1
	s_barrier_wait -1
	global_inv scope:SCOPE_SE
.LBB59_195:                             ;   in Loop: Header=BB59_16 Depth=1
	s_wait_alu 0xfffe
	s_or_saveexec_b32 s17, s24
	v_mov_b32_e32 v3, 8
	s_mov_b32 s24, 0
	s_wait_alu 0xfffe
	s_xor_b32 exec_lo, exec_lo, s17
; %bb.196:                              ;   in Loop: Header=BB59_16 Depth=1
	v_subrev_nc_u32_e32 v6, s16, v6
	v_mov_b32_e32 v3, 0
	s_mov_b32 s24, exec_lo
; %bb.197:                              ;   in Loop: Header=BB59_16 Depth=1
	s_or_b32 exec_lo, exec_lo, s17
	s_delay_alu instid0(VALU_DEP_2)
	v_mov_b32_e32 v4, v6
	s_wait_alu 0xfffe
	s_and_b32 s25, s24, exec_lo
.LBB59_198:                             ;   in Loop: Header=BB59_16 Depth=1
	s_wait_alu 0xfffe
	s_or_b32 exec_lo, exec_lo, s23
	s_mov_b32 s17, -1
                                        ; implicit-def: $sgpr24
                                        ; implicit-def: $sgpr23
	s_and_saveexec_b32 s16, s25
	s_cbranch_execz .LBB59_239
; %bb.199:                              ;   in Loop: Header=BB59_16 Depth=1
	v_cmp_eq_u32_e32 vcc_lo, 1, v4
	s_cmp_eq_u32 s9, 1
	s_mov_b32 s26, -1
	s_cselect_b32 s17, -1, 0
                                        ; implicit-def: $sgpr24
                                        ; implicit-def: $sgpr23
	s_wait_alu 0xfffe
	s_and_b32 s17, s17, vcc_lo
	s_wait_alu 0xfffe
	s_and_saveexec_b32 s25, s17
	s_cbranch_execz .LBB59_227
; %bb.200:                              ;   in Loop: Header=BB59_16 Depth=1
	ds_load_b32 v1, v7 offset:4096
	s_wait_loadcnt_dscnt 0x0
	s_barrier_signal -1
	s_barrier_wait -1
	global_inv scope:SCOPE_SE
	v_readfirstlane_b32 s26, v1
	s_and_saveexec_b32 s23, s0
; %bb.201:                              ;   in Loop: Header=BB59_16 Depth=1
	ds_store_b16 v18, v7
; %bb.202:                              ;   in Loop: Header=BB59_16 Depth=1
	s_wait_alu 0xfffe
	s_or_b32 exec_lo, exec_lo, s23
	v_or_b32_e32 v22, s10, v22
	v_or_b32_e32 v31, s10, v31
	s_mov_b32 s23, -1
	s_mov_b32 s24, 0
	s_cmp_gt_i32 s26, 0
	s_mov_b32 s27, 0
	s_mov_b32 s28, -1
	s_wait_loadcnt_dscnt 0x0
	s_barrier_signal -1
	s_barrier_wait -1
	global_inv scope:SCOPE_SE
                                        ; implicit-def: $vgpr32
	s_cbranch_scc1 .LBB59_214
; %bb.203:                              ;   in Loop: Header=BB59_16 Depth=1
	s_mov_b32 s28, 0
                                        ; implicit-def: $vgpr32
	s_and_saveexec_b32 s42, s8
	s_cbranch_execz .LBB59_213
; %bb.204:                              ;   in Loop: Header=BB59_16 Depth=1
	v_dual_mov_b32 v1, v5 :: v_dual_mov_b32 v6, v0
                                        ; implicit-def: $sgpr77
	s_branch .LBB59_208
.LBB59_205:                             ;   in Loop: Header=BB59_208 Depth=2
	s_wait_alu 0xfffe
	s_or_b32 exec_lo, exec_lo, s78
	s_wait_loadcnt_dscnt 0x0
	s_barrier_signal -1
	s_barrier_wait -1
	global_inv scope:SCOPE_SE
	ds_load_b32 v2, v7 offset:3072
	s_wait_loadcnt_dscnt 0x0
	s_barrier_signal -1
	s_barrier_wait -1
	global_inv scope:SCOPE_SE
	v_cmp_neq_f16_e32 vcc_lo, 0, v2
	s_cbranch_vccnz .LBB59_211
; %bb.206:                              ;   in Loop: Header=BB59_208 Depth=2
	v_add_nc_u32_e32 v6, s53, v6
	v_add_nc_u32_e32 v1, s57, v1
	s_mov_b32 s78, 0
	s_delay_alu instid0(VALU_DEP_2)
	v_cmp_le_i32_e32 vcc_lo, s65, v6
	s_or_not1_b32 s79, vcc_lo, exec_lo
.LBB59_207:                             ;   in Loop: Header=BB59_208 Depth=2
	s_wait_alu 0xfffe
	s_and_b32 s79, exec_lo, s79
	s_wait_alu 0xfffe
	s_or_b32 s27, s79, s27
	s_and_not1_b32 s77, s77, exec_lo
	s_and_b32 s78, s78, exec_lo
	s_wait_alu 0xfffe
	s_or_b32 s77, s77, s78
	s_and_not1_b32 exec_lo, exec_lo, s27
	s_cbranch_execz .LBB59_212
.LBB59_208:                             ;   Parent Loop BB59_16 Depth=1
                                        ; =>  This Inner Loop Header: Depth=2
	s_mov_b32 s78, exec_lo
	s_delay_alu instid0(VALU_DEP_1)
	v_cmpx_gt_i32_e64 s36, v6
	s_cbranch_execz .LBB59_205
; %bb.209:                              ;   in Loop: Header=BB59_208 Depth=2
	v_ashrrev_i32_e32 v2, 31, v1
	s_delay_alu instid0(VALU_DEP_1) | instskip(NEXT) | instid1(VALU_DEP_1)
	v_lshlrev_b64_e32 v[13:14], 1, v[1:2]
	v_add_co_u32 v13, vcc_lo, s44, v13
	s_wait_alu 0xfffd
	s_delay_alu instid0(VALU_DEP_2)
	v_add_co_ci_u32_e64 v14, null, s45, v14, vcc_lo
	global_load_u16 v2, v[13:14], off
	s_wait_loadcnt 0x0
	v_cmp_lt_i16_e32 vcc_lo, -1, v2
	s_wait_alu 0xfffd
	v_dual_cndmask_b32 v14, 0xffff, v29 :: v_dual_and_b32 v13, 0xffff, v2
	v_cmp_o_f16_e32 vcc_lo, v2, v2
	s_delay_alu instid0(VALU_DEP_2) | instskip(SKIP_1) | instid1(VALU_DEP_1)
	v_xor_b32_e32 v13, v14, v13
	s_wait_alu 0xfffd
	v_cndmask_b32_e32 v13, 0xffff, v13, vcc_lo
	s_delay_alu instid0(VALU_DEP_1) | instskip(NEXT) | instid1(VALU_DEP_1)
	v_and_b32_e32 v13, v13, v31
	v_cmp_eq_u32_e32 vcc_lo, v13, v22
	s_and_b32 exec_lo, exec_lo, vcc_lo
	s_cbranch_execz .LBB59_205
; %bb.210:                              ;   in Loop: Header=BB59_208 Depth=2
	v_perm_b32 v2, v2, s69, 0x5040100
	ds_store_b32 v7, v2 offset:3072
	s_branch .LBB59_205
.LBB59_211:                             ;   in Loop: Header=BB59_208 Depth=2
	s_mov_b32 s79, -1
	s_mov_b32 s78, -1
                                        ; implicit-def: $vgpr6
                                        ; implicit-def: $vgpr1
	s_branch .LBB59_207
.LBB59_212:                             ;   in Loop: Header=BB59_16 Depth=1
	s_or_b32 exec_lo, exec_lo, s27
	v_lshrrev_b32_e32 v32, 16, v2
	s_wait_alu 0xfffe
	s_and_b32 s27, s77, exec_lo
.LBB59_213:                             ;   in Loop: Header=BB59_16 Depth=1
	s_wait_alu 0xfffe
	s_or_b32 exec_lo, exec_lo, s42
.LBB59_214:                             ;   in Loop: Header=BB59_16 Depth=1
	s_wait_alu 0xfffe
	s_and_b32 vcc_lo, exec_lo, s28
	s_wait_alu 0xfffe
	s_cbranch_vccz .LBB59_226
; %bb.215:                              ;   in Loop: Header=BB59_16 Depth=1
	s_add_co_i32 s24, s26, s56
                                        ; implicit-def: $vgpr32
	s_wait_alu 0xfffe
	s_abs_i32 s42, s24
	s_ashr_i32 s28, s24, 31
	s_wait_alu 0xfffe
	s_mul_u64 s[78:79], s[42:43], s[48:49]
	s_wait_alu 0xfffe
	s_mul_i32 s23, s79, s53
	s_wait_alu 0xfffe
	s_sub_co_i32 s23, s42, s23
	s_wait_alu 0xfffe
	s_sub_co_i32 s42, s23, s53
	s_cmp_ge_u32 s23, s53
	s_wait_alu 0xfffe
	s_cselect_b32 s23, s42, s23
	s_wait_alu 0xfffe
	s_sub_co_i32 s42, s23, s53
	s_cmp_ge_u32 s23, s53
	s_wait_alu 0xfffe
	s_cselect_b32 s23, s42, s23
	s_wait_alu 0xfffe
	s_xor_b32 s23, s23, s28
	s_wait_alu 0xfffe
	s_sub_co_i32 s23, s28, s23
	s_wait_alu 0xfffe
	s_add_co_i32 s24, s24, s23
	s_mov_b32 s23, exec_lo
	s_wait_alu 0xfffe
	v_cmpx_gt_i32_e64 s24, v0
	s_cbranch_execz .LBB59_225
; %bb.216:                              ;   in Loop: Header=BB59_16 Depth=1
	v_dual_mov_b32 v1, v17 :: v_dual_mov_b32 v2, v0
	s_mov_b32 s28, 0
                                        ; implicit-def: $sgpr42
	s_branch .LBB59_220
.LBB59_217:                             ;   in Loop: Header=BB59_220 Depth=2
	s_wait_alu 0xfffe
	s_or_b32 exec_lo, exec_lo, s77
	s_wait_loadcnt_dscnt 0x0
	s_barrier_signal -1
	s_barrier_wait -1
	global_inv scope:SCOPE_SE
	ds_load_b32 v6, v7 offset:3072
	s_wait_loadcnt_dscnt 0x0
	s_barrier_signal -1
	s_barrier_wait -1
	global_inv scope:SCOPE_SE
	v_cmp_eq_f16_e32 vcc_lo, 0, v6
	s_cbranch_vccz .LBB59_223
; %bb.218:                              ;   in Loop: Header=BB59_220 Depth=2
	v_add_nc_u32_e32 v2, s53, v2
	v_add_nc_u32_e32 v1, s68, v1
	s_mov_b32 s77, 0
	s_delay_alu instid0(VALU_DEP_2)
	v_cmp_le_i32_e32 vcc_lo, s24, v2
	s_or_not1_b32 s78, vcc_lo, exec_lo
.LBB59_219:                             ;   in Loop: Header=BB59_220 Depth=2
	s_wait_alu 0xfffe
	s_and_b32 s78, exec_lo, s78
	s_wait_alu 0xfffe
	s_or_b32 s28, s78, s28
	s_and_not1_b32 s42, s42, exec_lo
	s_and_b32 s77, s77, exec_lo
	s_wait_alu 0xfffe
	s_or_b32 s42, s42, s77
	s_and_not1_b32 exec_lo, exec_lo, s28
	s_cbranch_execz .LBB59_224
.LBB59_220:                             ;   Parent Loop BB59_16 Depth=1
                                        ; =>  This Inner Loop Header: Depth=2
	s_mov_b32 s77, exec_lo
	s_delay_alu instid0(VALU_DEP_1)
	v_cmpx_gt_i32_e64 s26, v2
	s_cbranch_execz .LBB59_217
; %bb.221:                              ;   in Loop: Header=BB59_220 Depth=2
	ds_load_u16 v6, v1
	s_wait_dscnt 0x0
	v_cmp_lt_i16_e32 vcc_lo, -1, v6
	s_wait_alu 0xfffd
	v_dual_cndmask_b32 v14, 0xffff, v29 :: v_dual_and_b32 v13, 0xffff, v6
	v_cmp_o_f16_e32 vcc_lo, v6, v6
	s_delay_alu instid0(VALU_DEP_2) | instskip(SKIP_1) | instid1(VALU_DEP_1)
	v_xor_b32_e32 v13, v14, v13
	s_wait_alu 0xfffd
	v_cndmask_b32_e32 v13, 0xffff, v13, vcc_lo
	s_delay_alu instid0(VALU_DEP_1) | instskip(NEXT) | instid1(VALU_DEP_1)
	v_and_b32_e32 v13, v13, v31
	v_cmp_eq_u32_e32 vcc_lo, v13, v22
	s_and_b32 exec_lo, exec_lo, vcc_lo
	s_cbranch_execz .LBB59_217
; %bb.222:                              ;   in Loop: Header=BB59_220 Depth=2
	v_perm_b32 v6, v6, s69, 0x5040100
	ds_store_b32 v7, v6 offset:3072
	s_branch .LBB59_217
.LBB59_223:                             ;   in Loop: Header=BB59_220 Depth=2
	s_mov_b32 s78, -1
	s_mov_b32 s77, -1
                                        ; implicit-def: $vgpr2
                                        ; implicit-def: $vgpr1
	s_branch .LBB59_219
.LBB59_224:                             ;   in Loop: Header=BB59_16 Depth=1
	s_or_b32 exec_lo, exec_lo, s28
	v_lshrrev_b32_e32 v32, 16, v6
	s_and_not1_b32 s24, s27, exec_lo
	s_wait_alu 0xfffe
	s_and_b32 s26, s42, exec_lo
	s_wait_alu 0xfffe
	s_or_b32 s27, s24, s26
.LBB59_225:                             ;   in Loop: Header=BB59_16 Depth=1
	s_or_b32 exec_lo, exec_lo, s23
	s_mov_b32 s23, 0
	s_mov_b32 s24, -1
.LBB59_226:                             ;   in Loop: Header=BB59_16 Depth=1
	s_wait_alu 0xfffe
	s_or_not1_b32 s26, s27, exec_lo
.LBB59_227:                             ;   in Loop: Header=BB59_16 Depth=1
	s_wait_alu 0xfffe
	s_or_b32 exec_lo, exec_lo, s25
	s_mov_b32 s27, 0
	s_and_saveexec_b32 s25, s26
	s_cbranch_execz .LBB59_238
; %bb.228:                              ;   in Loop: Header=BB59_16 Depth=1
	v_mov_b32_e32 v3, 1
	v_mov_b32_e32 v1, 1
	s_xor_b32 s26, s17, -1
	s_wait_alu 0xfffe
	s_and_saveexec_b32 s17, s26
	s_cbranch_execz .LBB59_237
; %bb.229:                              ;   in Loop: Header=BB59_16 Depth=1
	s_mov_b32 s26, exec_lo
	v_cmpx_ge_i32_e64 s9, v4
	s_wait_alu 0xfffe
	s_xor_b32 s26, exec_lo, s26
	s_cbranch_execz .LBB59_234
; %bb.230:                              ;   in Loop: Header=BB59_16 Depth=1
	ds_load_b32 v1, v7 offset:4096
	v_or_b32_e32 v22, s10, v22
	v_or_b32_e32 v31, s10, v31
	s_wait_dscnt 0x0
	v_cmp_ne_u32_e32 vcc_lo, 0, v1
	s_cbranch_vccnz .LBB59_234
; %bb.231:                              ;   in Loop: Header=BB59_16 Depth=1
	s_and_saveexec_b32 s10, s2
; %bb.232:                              ;   in Loop: Header=BB59_16 Depth=1
	v_mov_b32_e32 v1, s9
	ds_store_b32 v7, v1 offset:4100
; %bb.233:                              ;   in Loop: Header=BB59_16 Depth=1
	s_wait_alu 0xfffe
	s_or_b32 exec_lo, exec_lo, s10
	s_wait_loadcnt_dscnt 0x0
	s_barrier_signal -1
	s_barrier_wait -1
	global_inv scope:SCOPE_SE
.LBB59_234:                             ;   in Loop: Header=BB59_16 Depth=1
	s_wait_alu 0xfffe
	s_and_not1_saveexec_b32 s10, s26
; %bb.235:                              ;   in Loop: Header=BB59_16 Depth=1
	v_subrev_nc_u32_e32 v4, s9, v4
; %bb.236:                              ;   in Loop: Header=BB59_16 Depth=1
	s_wait_alu 0xfffe
	s_or_b32 exec_lo, exec_lo, s10
	v_mov_b32_e32 v3, 8
	s_delay_alu instid0(VALU_DEP_2)
	v_mov_b32_e32 v1, v4
.LBB59_237:                             ;   in Loop: Header=BB59_16 Depth=1
	s_wait_alu 0xfffe
	s_or_b32 exec_lo, exec_lo, s17
	s_delay_alu instid0(VALU_DEP_1)
	v_mov_b32_e32 v4, v1
	s_mov_b32 s27, exec_lo
.LBB59_238:                             ;   in Loop: Header=BB59_16 Depth=1
	s_wait_alu 0xfffe
	s_or_b32 exec_lo, exec_lo, s25
	s_delay_alu instid0(SALU_CYCLE_1)
	s_or_not1_b32 s17, s27, exec_lo
.LBB59_239:                             ;   in Loop: Header=BB59_16 Depth=1
	s_wait_alu 0xfffe
	s_or_b32 exec_lo, exec_lo, s16
	v_mov_b32_e32 v6, v4
	s_and_not1_b32 s9, s21, exec_lo
	s_and_b32 s10, s24, exec_lo
	s_and_not1_b32 s16, s20, exec_lo
	s_and_b32 s20, s23, exec_lo
	s_wait_alu 0xfffe
	s_or_b32 s21, s9, s10
	s_or_b32 s20, s16, s20
	s_and_b32 s25, s17, exec_lo
.LBB59_240:                             ;   in Loop: Header=BB59_16 Depth=1
	s_wait_alu 0xfffe
	s_or_b32 exec_lo, exec_lo, s22
	s_delay_alu instid0(SALU_CYCLE_1)
	s_or_not1_b32 s22, s25, exec_lo
.LBB59_241:                             ;   in Loop: Header=BB59_16 Depth=1
	s_wait_alu 0xfffe
	s_or_b32 exec_lo, exec_lo, s19
	v_mov_b32_e32 v4, v6
	s_and_not1_b32 s9, s15, exec_lo
	s_and_b32 s10, s21, exec_lo
	s_and_not1_b32 s14, s14, exec_lo
	s_and_b32 s16, s20, exec_lo
	s_wait_alu 0xfffe
	s_or_b32 s15, s9, s10
	s_or_b32 s14, s14, s16
	s_and_b32 s22, s22, exec_lo
.LBB59_242:                             ;   in Loop: Header=BB59_16 Depth=1
	s_wait_alu 0xfffe
	s_or_b32 exec_lo, exec_lo, s18
	s_delay_alu instid0(SALU_CYCLE_1)
	s_or_not1_b32 s18, s22, exec_lo
.LBB59_243:                             ;   in Loop: Header=BB59_16 Depth=1
	s_wait_alu 0xfffe
	s_or_b32 exec_lo, exec_lo, s13
	s_mov_b32 s10, 0
                                        ; implicit-def: $sgpr21
	s_and_saveexec_b32 s9, s18
	s_wait_alu 0xfffe
	s_xor_b32 s9, exec_lo, s9
	s_cbranch_execz .LBB59_14
; %bb.244:                              ;   in Loop: Header=BB59_16 Depth=1
	v_and_b32_e32 v1, 7, v3
	s_mov_b32 s12, -1
	s_mov_b32 s10, -1
	s_mov_b32 s13, exec_lo
                                        ; implicit-def: $sgpr21
	s_delay_alu instid0(VALU_DEP_1)
	v_cmpx_eq_u32_e32 0, v1
	s_cbranch_execz .LBB59_13
; %bb.245:                              ;   in Loop: Header=BB59_16 Depth=1
	s_add_co_i32 s21, s76, -2
	s_cmp_eq_u32 s76, 0
	v_xor_b32_e32 v30, 1, v30
	s_cselect_b32 s12, -1, 0
	s_xor_b32 s10, exec_lo, -1
	s_wait_alu 0xfffe
	s_or_not1_b32 s12, s12, exec_lo
	s_branch .LBB59_13
.LBB59_246:
	s_or_b32 exec_lo, exec_lo, s37
	s_xor_b32 s3, s75, -1
	s_xor_b32 s1, s73, -1
	;; [unrolled: 1-line block ×3, first 2 shown]
	s_mov_b32 s0, 0
	s_wait_alu 0xfffe
	s_and_saveexec_b32 s5, s1
	s_wait_alu 0xfffe
	s_xor_b32 s1, exec_lo, s5
	s_cbranch_execnz .LBB59_251
; %bb.247:
	s_wait_alu 0xfffe
	s_and_not1_saveexec_b32 s1, s1
	s_cbranch_execnz .LBB59_271
.LBB59_248:
	s_wait_alu 0xfffe
	s_or_b32 exec_lo, exec_lo, s1
	s_and_saveexec_b32 s1, s0
.LBB59_249:
	; divergent unreachable
.LBB59_250:
	s_endpgm
.LBB59_251:
	s_and_saveexec_b32 s0, s3
	s_wait_alu 0xfffe
	s_xor_b32 s3, exec_lo, s0
	s_cbranch_execz .LBB59_269
; %bb.252:
	s_and_saveexec_b32 s0, s4
	s_wait_alu 0xfffe
	s_xor_b32 s0, exec_lo, s0
; %bb.253:
	v_and_b32_e32 v1, 0x8000, v22
	v_mov_b32_e32 v2, 0xffff
	s_delay_alu instid0(VALU_DEP_2) | instskip(SKIP_1) | instid1(VALU_DEP_2)
	v_cmp_eq_u32_e32 vcc_lo, 0, v1
	s_wait_alu 0xfffd
	v_cndmask_b32_e32 v1, 0x8000, v2, vcc_lo
	s_delay_alu instid0(VALU_DEP_1)
	v_xor_b32_e32 v32, v1, v22
; %bb.254:
	s_wait_alu 0xfffe
	s_or_b32 exec_lo, exec_lo, s0
	s_and_saveexec_b32 s0, s2
; %bb.255:
	v_dual_mov_b32 v1, 0 :: v_dual_mov_b32 v2, s36
	ds_store_b32 v1, v2 offset:4108
; %bb.256:
	s_wait_alu 0xfffe
	s_or_b32 exec_lo, exec_lo, s0
	v_mov_b32_e32 v1, 0
	s_wait_loadcnt_dscnt 0x0
	s_barrier_signal -1
	s_barrier_wait -1
	global_inv scope:SCOPE_SE
	ds_load_b32 v1, v1 offset:4108
	s_mov_b32 s4, exec_lo
	s_wait_dscnt 0x0
	v_min_i32_e32 v1, s36, v1
	s_delay_alu instid0(VALU_DEP_1)
	v_cmpx_lt_i32_e64 v0, v1
	s_cbranch_execz .LBB59_266
; %bb.257:
	v_cmp_u_f16_e32 vcc_lo, v32, v32
	s_mov_b32 s5, 0
                                        ; implicit-def: $sgpr6
                                        ; implicit-def: $sgpr9
                                        ; implicit-def: $sgpr8
	s_xor_b32 s7, vcc_lo, -1
	s_branch .LBB59_259
.LBB59_258:                             ;   in Loop: Header=BB59_259 Depth=1
	s_wait_alu 0xfffe
	s_or_b32 exec_lo, exec_lo, s0
	s_delay_alu instid0(SALU_CYCLE_1)
	s_and_b32 s0, exec_lo, s9
	s_wait_alu 0xfffe
	s_or_b32 s5, s0, s5
	s_and_not1_b32 s0, s6, exec_lo
	s_and_b32 s6, s8, exec_lo
	s_wait_alu 0xfffe
	s_or_b32 s6, s0, s6
	s_and_not1_b32 exec_lo, exec_lo, s5
	s_cbranch_execz .LBB59_261
.LBB59_259:                             ; =>This Inner Loop Header: Depth=1
	v_ashrrev_i32_e32 v6, 31, v5
	s_or_b32 s8, s8, exec_lo
	s_or_b32 s9, s9, exec_lo
	s_delay_alu instid0(VALU_DEP_1) | instskip(NEXT) | instid1(VALU_DEP_1)
	v_lshlrev_b64_e32 v[2:3], 1, v[5:6]
	v_add_co_u32 v2, vcc_lo, s44, v2
	s_wait_alu 0xfffd
	s_delay_alu instid0(VALU_DEP_2)
	v_add_co_ci_u32_e64 v3, null, s45, v3, vcc_lo
	global_load_u16 v2, v[2:3], off
	s_wait_loadcnt 0x0
	v_cmp_o_f16_e32 vcc_lo, v2, v2
	v_cmp_neq_f16_e64 s0, v2, v32
	v_mov_b32_e32 v2, v0
                                        ; implicit-def: $vgpr0
	s_or_b32 s10, s7, vcc_lo
	s_wait_alu 0xfffe
	s_and_b32 s10, s0, s10
	s_wait_alu 0xfffe
	s_and_saveexec_b32 s0, s10
	s_cbranch_execz .LBB59_258
; %bb.260:                              ;   in Loop: Header=BB59_259 Depth=1
	v_add_nc_u32_e32 v0, s53, v2
	v_add_nc_u32_e32 v5, s57, v5
	s_and_not1_b32 s9, s9, exec_lo
	s_and_not1_b32 s8, s8, exec_lo
	s_delay_alu instid0(VALU_DEP_2)
	v_cmp_ge_i32_e32 vcc_lo, v0, v1
	s_and_b32 s10, vcc_lo, exec_lo
	s_wait_alu 0xfffe
	s_or_b32 s9, s9, s10
	s_branch .LBB59_258
.LBB59_261:
	s_or_b32 exec_lo, exec_lo, s5
	s_and_saveexec_b32 s0, s6
	s_wait_alu 0xfffe
	s_xor_b32 s0, exec_lo, s0
	s_cbranch_execz .LBB59_266
; %bb.262:
	s_mov_b32 s5, exec_lo
	s_brev_b32 s0, -2
.LBB59_263:                             ; =>This Inner Loop Header: Depth=1
	s_wait_alu 0xfffe
	s_ctz_i32_b32 s6, s5
	s_wait_alu 0xfffe
	v_readlane_b32 s7, v2, s6
	s_lshl_b32 s6, 1, s6
	s_wait_alu 0xfffe
	s_and_not1_b32 s5, s5, s6
	s_min_i32 s0, s0, s7
	s_wait_alu 0xfffe
	s_cmp_lg_u32 s5, 0
	s_cbranch_scc1 .LBB59_263
; %bb.264:
	v_mbcnt_lo_u32_b32 v0, exec_lo, 0
	s_mov_b32 s5, exec_lo
	s_delay_alu instid0(VALU_DEP_1)
	v_cmpx_eq_u32_e32 0, v0
	s_wait_alu 0xfffe
	s_xor_b32 s5, exec_lo, s5
; %bb.265:
	v_dual_mov_b32 v0, 0 :: v_dual_mov_b32 v1, s0
	ds_min_i32 v0, v1 offset:4108
.LBB59_266:
	s_wait_alu 0xfffe
	s_or_b32 exec_lo, exec_lo, s4
	s_wait_loadcnt_dscnt 0x0
	s_barrier_signal -1
	s_barrier_wait -1
	global_inv scope:SCOPE_SE
	s_and_saveexec_b32 s0, s2
	s_cbranch_execz .LBB59_268
; %bb.267:
	v_mov_b32_e32 v2, 0
	s_mul_i32 s5, s52, s33
	s_mul_i32 s2, s30, s38
	s_wait_alu 0xfffe
	s_add_co_i32 s6, s5, s31
	s_add_co_i32 s4, s2, s29
	ds_load_b32 v0, v2 offset:4108
	s_wait_alu 0xfffe
	s_ashr_i32 s7, s6, 31
	s_ashr_i32 s5, s4, 31
	s_wait_alu 0xfffe
	s_lshl_b64 s[6:7], s[6:7], 3
	s_lshl_b64 s[4:5], s[4:5], 1
	s_wait_alu 0xfffe
	s_add_nc_u64 s[6:7], s[40:41], s[6:7]
	s_add_nc_u64 s[4:5], s[34:35], s[4:5]
	s_wait_dscnt 0x0
	v_ashrrev_i32_e32 v1, 31, v0
	s_clause 0x1
	global_store_b64 v2, v[0:1], s[6:7]
	global_store_b16 v2, v32, s[4:5]
.LBB59_268:
	s_wait_alu 0xfffe
	s_or_b32 exec_lo, exec_lo, s0
.LBB59_269:
	s_or_saveexec_b32 s0, s3
	s_mov_b32 s2, 0
	s_wait_alu 0xfffe
	s_xor_b32 exec_lo, exec_lo, s0
	s_cbranch_execnz .LBB59_272
.LBB59_270:
	s_or_b32 exec_lo, exec_lo, s0
	s_delay_alu instid0(SALU_CYCLE_1)
	s_and_b32 s0, s2, exec_lo
	s_and_not1_saveexec_b32 s1, s1
	s_cbranch_execz .LBB59_248
.LBB59_271:
	s_wait_alu 0xfffe
	s_or_b32 s0, s0, exec_lo
	s_trap 2
	s_or_b32 exec_lo, exec_lo, s1
	s_wait_alu 0xfffe
	s_and_saveexec_b32 s1, s0
	s_cbranch_execnz .LBB59_249
	s_branch .LBB59_250
.LBB59_272:
	s_mov_b32 s2, exec_lo
	s_trap 2
	s_branch .LBB59_270
	.section	.rodata,"a",@progbits
	.p2align	6, 0x0
	.amdhsa_kernel _ZN2at6native12_GLOBAL__N_114gatherKthValueIN3c104HalfEiLin1EEEvNS_4cuda6detail10TensorInfoIKT_T0_EESA_SA_SA_SA_NS7_IS8_SA_EENS7_IlSA_EE
		.amdhsa_group_segment_fixed_size 4112
		.amdhsa_private_segment_fixed_size 0
		.amdhsa_kernarg_size 920
		.amdhsa_user_sgpr_count 2
		.amdhsa_user_sgpr_dispatch_ptr 0
		.amdhsa_user_sgpr_queue_ptr 0
		.amdhsa_user_sgpr_kernarg_segment_ptr 1
		.amdhsa_user_sgpr_dispatch_id 0
		.amdhsa_user_sgpr_private_segment_size 0
		.amdhsa_wavefront_size32 1
		.amdhsa_uses_dynamic_stack 0
		.amdhsa_enable_private_segment 0
		.amdhsa_system_sgpr_workgroup_id_x 1
		.amdhsa_system_sgpr_workgroup_id_y 1
		.amdhsa_system_sgpr_workgroup_id_z 1
		.amdhsa_system_sgpr_workgroup_info 0
		.amdhsa_system_vgpr_workitem_id 0
		.amdhsa_next_free_vgpr 44
		.amdhsa_next_free_sgpr 84
		.amdhsa_reserve_vcc 1
		.amdhsa_float_round_mode_32 0
		.amdhsa_float_round_mode_16_64 0
		.amdhsa_float_denorm_mode_32 3
		.amdhsa_float_denorm_mode_16_64 3
		.amdhsa_fp16_overflow 0
		.amdhsa_workgroup_processor_mode 1
		.amdhsa_memory_ordered 1
		.amdhsa_forward_progress 1
		.amdhsa_inst_pref_size 98
		.amdhsa_round_robin_scheduling 0
		.amdhsa_exception_fp_ieee_invalid_op 0
		.amdhsa_exception_fp_denorm_src 0
		.amdhsa_exception_fp_ieee_div_zero 0
		.amdhsa_exception_fp_ieee_overflow 0
		.amdhsa_exception_fp_ieee_underflow 0
		.amdhsa_exception_fp_ieee_inexact 0
		.amdhsa_exception_int_div_zero 0
	.end_amdhsa_kernel
	.section	.text._ZN2at6native12_GLOBAL__N_114gatherKthValueIN3c104HalfEiLin1EEEvNS_4cuda6detail10TensorInfoIKT_T0_EESA_SA_SA_SA_NS7_IS8_SA_EENS7_IlSA_EE,"axG",@progbits,_ZN2at6native12_GLOBAL__N_114gatherKthValueIN3c104HalfEiLin1EEEvNS_4cuda6detail10TensorInfoIKT_T0_EESA_SA_SA_SA_NS7_IS8_SA_EENS7_IlSA_EE,comdat
.Lfunc_end59:
	.size	_ZN2at6native12_GLOBAL__N_114gatherKthValueIN3c104HalfEiLin1EEEvNS_4cuda6detail10TensorInfoIKT_T0_EESA_SA_SA_SA_NS7_IS8_SA_EENS7_IlSA_EE, .Lfunc_end59-_ZN2at6native12_GLOBAL__N_114gatherKthValueIN3c104HalfEiLin1EEEvNS_4cuda6detail10TensorInfoIKT_T0_EESA_SA_SA_SA_NS7_IS8_SA_EENS7_IlSA_EE
                                        ; -- End function
	.set _ZN2at6native12_GLOBAL__N_114gatherKthValueIN3c104HalfEiLin1EEEvNS_4cuda6detail10TensorInfoIKT_T0_EESA_SA_SA_SA_NS7_IS8_SA_EENS7_IlSA_EE.num_vgpr, 44
	.set _ZN2at6native12_GLOBAL__N_114gatherKthValueIN3c104HalfEiLin1EEEvNS_4cuda6detail10TensorInfoIKT_T0_EESA_SA_SA_SA_NS7_IS8_SA_EENS7_IlSA_EE.num_agpr, 0
	.set _ZN2at6native12_GLOBAL__N_114gatherKthValueIN3c104HalfEiLin1EEEvNS_4cuda6detail10TensorInfoIKT_T0_EESA_SA_SA_SA_NS7_IS8_SA_EENS7_IlSA_EE.numbered_sgpr, 84
	.set _ZN2at6native12_GLOBAL__N_114gatherKthValueIN3c104HalfEiLin1EEEvNS_4cuda6detail10TensorInfoIKT_T0_EESA_SA_SA_SA_NS7_IS8_SA_EENS7_IlSA_EE.num_named_barrier, 0
	.set _ZN2at6native12_GLOBAL__N_114gatherKthValueIN3c104HalfEiLin1EEEvNS_4cuda6detail10TensorInfoIKT_T0_EESA_SA_SA_SA_NS7_IS8_SA_EENS7_IlSA_EE.private_seg_size, 0
	.set _ZN2at6native12_GLOBAL__N_114gatherKthValueIN3c104HalfEiLin1EEEvNS_4cuda6detail10TensorInfoIKT_T0_EESA_SA_SA_SA_NS7_IS8_SA_EENS7_IlSA_EE.uses_vcc, 1
	.set _ZN2at6native12_GLOBAL__N_114gatherKthValueIN3c104HalfEiLin1EEEvNS_4cuda6detail10TensorInfoIKT_T0_EESA_SA_SA_SA_NS7_IS8_SA_EENS7_IlSA_EE.uses_flat_scratch, 0
	.set _ZN2at6native12_GLOBAL__N_114gatherKthValueIN3c104HalfEiLin1EEEvNS_4cuda6detail10TensorInfoIKT_T0_EESA_SA_SA_SA_NS7_IS8_SA_EENS7_IlSA_EE.has_dyn_sized_stack, 0
	.set _ZN2at6native12_GLOBAL__N_114gatherKthValueIN3c104HalfEiLin1EEEvNS_4cuda6detail10TensorInfoIKT_T0_EESA_SA_SA_SA_NS7_IS8_SA_EENS7_IlSA_EE.has_recursion, 0
	.set _ZN2at6native12_GLOBAL__N_114gatherKthValueIN3c104HalfEiLin1EEEvNS_4cuda6detail10TensorInfoIKT_T0_EESA_SA_SA_SA_NS7_IS8_SA_EENS7_IlSA_EE.has_indirect_call, 0
	.section	.AMDGPU.csdata,"",@progbits
; Kernel info:
; codeLenInByte = 12520
; TotalNumSgprs: 86
; NumVgprs: 44
; ScratchSize: 0
; MemoryBound: 0
; FloatMode: 240
; IeeeMode: 1
; LDSByteSize: 4112 bytes/workgroup (compile time only)
; SGPRBlocks: 0
; VGPRBlocks: 5
; NumSGPRsForWavesPerEU: 86
; NumVGPRsForWavesPerEU: 44
; Occupancy: 16
; WaveLimiterHint : 1
; COMPUTE_PGM_RSRC2:SCRATCH_EN: 0
; COMPUTE_PGM_RSRC2:USER_SGPR: 2
; COMPUTE_PGM_RSRC2:TRAP_HANDLER: 0
; COMPUTE_PGM_RSRC2:TGID_X_EN: 1
; COMPUTE_PGM_RSRC2:TGID_Y_EN: 1
; COMPUTE_PGM_RSRC2:TGID_Z_EN: 1
; COMPUTE_PGM_RSRC2:TIDIG_COMP_CNT: 0
	.section	.text._ZN2at6native12_GLOBAL__N_114gatherKthValueIN3c104HalfElLi1EEEvNS_4cuda6detail10TensorInfoIKT_T0_EESA_SA_SA_SA_NS7_IS8_SA_EENS7_IlSA_EE,"axG",@progbits,_ZN2at6native12_GLOBAL__N_114gatherKthValueIN3c104HalfElLi1EEEvNS_4cuda6detail10TensorInfoIKT_T0_EESA_SA_SA_SA_NS7_IS8_SA_EENS7_IlSA_EE,comdat
	.globl	_ZN2at6native12_GLOBAL__N_114gatherKthValueIN3c104HalfElLi1EEEvNS_4cuda6detail10TensorInfoIKT_T0_EESA_SA_SA_SA_NS7_IS8_SA_EENS7_IlSA_EE ; -- Begin function _ZN2at6native12_GLOBAL__N_114gatherKthValueIN3c104HalfElLi1EEEvNS_4cuda6detail10TensorInfoIKT_T0_EESA_SA_SA_SA_NS7_IS8_SA_EENS7_IlSA_EE
	.p2align	8
	.type	_ZN2at6native12_GLOBAL__N_114gatherKthValueIN3c104HalfElLi1EEEvNS_4cuda6detail10TensorInfoIKT_T0_EESA_SA_SA_SA_NS7_IS8_SA_EENS7_IlSA_EE,@function
_ZN2at6native12_GLOBAL__N_114gatherKthValueIN3c104HalfElLi1EEEvNS_4cuda6detail10TensorInfoIKT_T0_EESA_SA_SA_SA_NS7_IS8_SA_EENS7_IlSA_EE: ; @_ZN2at6native12_GLOBAL__N_114gatherKthValueIN3c104HalfElLi1EEEvNS_4cuda6detail10TensorInfoIKT_T0_EESA_SA_SA_SA_NS7_IS8_SA_EENS7_IlSA_EE
; %bb.0:
	s_clause 0x1
	s_load_b64 s[4:5], s[0:1], 0x500
	s_load_b256 s[36:43], s[0:1], 0x1a0
	s_lshr_b32 s2, ttmp7, 16
	s_and_b32 s3, ttmp7, 0xffff
	s_mov_b32 s27, 0
	s_wait_kmcnt 0x0
	s_mul_i32 s2, s5, s2
	s_delay_alu instid0(SALU_CYCLE_1) | instskip(NEXT) | instid1(SALU_CYCLE_1)
	s_add_co_i32 s2, s2, s3
	s_mul_i32 s2, s2, s4
	s_delay_alu instid0(SALU_CYCLE_1) | instskip(NEXT) | instid1(SALU_CYCLE_1)
	s_add_co_i32 s26, s2, ttmp9
	v_cmp_le_i64_e64 s2, s[40:41], s[26:27]
	s_and_b32 vcc_lo, exec_lo, s2
	s_cbranch_vccnz .LBB60_281
; %bb.1:
	s_clause 0x1
	s_load_b64 s[10:11], s[0:1], 0xd0
	s_load_b64 s[8:9], s[0:1], 0x0
	v_cmp_eq_u32_e64 s2, 0, v0
	s_add_nc_u64 s[6:7], s[0:1], 0x500
	s_and_saveexec_b32 s3, s2
	s_cbranch_execz .LBB60_3
; %bb.2:
	v_dual_mov_b32 v1, 0 :: v_dual_mov_b32 v4, s37
	s_delay_alu instid0(VALU_DEP_1)
	v_dual_mov_b32 v3, s36 :: v_dual_mov_b32 v2, v1
	ds_store_b32 v1, v1 offset:5136
	ds_store_b128 v1, v[1:4] offset:5120
.LBB60_3:
	s_or_b32 exec_lo, exec_lo, s3
	v_lshlrev_b32_e32 v37, 3, v0
	v_mbcnt_lo_u32_b32 v32, -1, 0
	v_dual_mov_b32 v3, 0 :: v_dual_lshlrev_b32 v14, 2, v0
	v_mad_co_u64_u32 v[4:5], null, s42, v0, 0
	s_delay_alu instid0(VALU_DEP_4)
	v_or_b32_e32 v25, 4, v37
	v_or_b32_e32 v26, 2, v37
	v_lshlrev_b64_e64 v[8:9], v32, -1
	s_wait_kmcnt 0x0
	s_mul_u64 s[10:11], s[10:11], s[26:27]
	s_clause 0x3
	s_load_b64 s[34:35], s[0:1], 0x430
	s_load_b64 s[28:29], s[0:1], 0x360
	;; [unrolled: 1-line block ×4, first 2 shown]
	v_mad_co_u64_u32 v[21:22], null, s42, v25, 0
	v_mad_co_u64_u32 v[23:24], null, s42, v26, 0
	v_mov_b32_e32 v15, v3
	v_not_b32_e32 v35, v8
	v_cmp_gt_u32_e32 vcc_lo, 32, v0
	v_cmp_gt_i32_e64 s0, 4, v32
	v_mov_b32_e32 v8, v22
	s_lshl_b64 s[10:11], s[10:11], 1
	v_mov_b32_e32 v9, v24
	s_add_nc_u64 s[48:49], s[8:9], s[10:11]
	s_and_b32 s33, vcc_lo, s0
	s_wait_dscnt 0x0
	s_barrier_signal -1
	v_mad_co_u64_u32 v[24:25], null, s43, v25, v[8:9]
	s_barrier_wait -1
	global_inv scope:SCOPE_SE
	s_load_b32 s5, s[6:7], 0xc
	s_movk_i32 s8, 0x3e0
	s_mov_b32 s51, 0
	v_and_or_b32 v36, v0, s8, 0xc00
	v_mov_b32_e32 v38, v24
	v_or_b32_e32 v10, 6, v37
	v_cmp_lt_i64_e64 s82, 0x600, s[36:37]
	s_mov_b32 s45, s51
	v_cmp_eq_u32_e64 s1, 0, v32
	v_cmp_gt_u32_e64 s3, 2, v0
	v_mad_co_u64_u32 v[19:20], null, s42, v10, 0
	v_lshlrev_b32_e32 v33, 1, v0
	v_mov_b32_e32 v1, v5
	v_lshl_or_b32 v42, v32, 3, 0xc00
	s_mov_b32 s84, s42
	s_mov_b32 s86, s43
	v_add_nc_u32_e32 v34, 0xc00, v33
	v_mad_co_u64_u32 v[1:2], null, s43, v0, v[1:2]
	v_add_nc_u32_e32 v2, 2, v0
	s_wait_kmcnt 0x0
	s_and_b32 s44, s5, 0xffff
	s_bfe_u32 s5, s5, 0xb0005
	s_cmp_gt_u32 s44, 31
	s_add_nc_u64 s[52:53], s[44:45], -1
	s_cselect_b32 s83, -1, 0
	v_mov_b32_e32 v5, v1
	s_cmp_lt_u32 ttmp9, s4
	s_add_nc_u64 s[54:55], s[52:53], s[36:37]
	s_cselect_b32 s50, 12, 18
	s_add_co_i32 s8, s5, -1
	v_lshlrev_b64_e32 v[6:7], 1, v[4:5]
	s_wait_alu 0xfffe
	s_and_b32 s8, s8, 0xffff
	s_bfe_u32 s85, s44, 0x30005
	s_wait_alu 0xfffe
	s_cmp_gt_u32 s8, 6
	v_add_co_u32 v40, s8, s36, v0
	v_add_co_u32 v12, vcc_lo, s48, v6
	s_delay_alu instid0(VALU_DEP_1)
	v_add_co_ci_u32_e64 v13, null, s49, v7, vcc_lo
	v_cmp_gt_i64_e32 vcc_lo, s[36:37], v[2:3]
	v_not_b32_e32 v6, v0
	s_cselect_b32 s87, -1, 0
	s_and_b32 s88, s5, 0x7f8
	s_cmp_lg_u32 s85, 0
	v_lshlrev_b64_e32 v[24:25], 3, v[4:5]
	s_wait_alu 0xfffd
	v_cndmask_b32_e64 v2, v2, s36, vcc_lo
	v_cndmask_b32_e64 v7, 0, s37, vcc_lo
	s_cselect_b32 s89, -1, 0
	s_lshl_b64 s[56:57], s[42:43], 1
	v_add_co_ci_u32_e64 v41, null, s37, 0, s8
	v_add_co_u32 v6, vcc_lo, v2, v6
	v_mov_b32_e32 v1, v3
	s_wait_alu 0xfffd
	v_add_co_ci_u32_e64 v7, null, -1, v7, vcc_lo
	s_delay_alu instid0(VALU_DEP_3) | instskip(SKIP_2) | instid1(VALU_DEP_4)
	v_and_b32_e32 v16, -2, v6
	v_mul_lo_u32 v43, 0, s56
	v_cmp_gt_i64_e64 s0, s[36:37], v[0:1]
	v_cmp_lt_u64_e64 s4, 1, v[6:7]
	v_mov_b32_e32 v45, 0
	v_add_co_u32 v18, vcc_lo, v16, v0
	s_wait_alu 0xfffd
	v_add_co_ci_u32_e64 v2, null, 0, v7, vcc_lo
	v_mov_b32_e32 v2, v20
	v_mov_b32_e32 v20, 0
	s_mul_u64 s[8:9], s[42:43], s[44:45]
	v_mov_b32_e32 v46, 0
	s_lshl_b64 s[58:59], s[42:43], 3
	v_mad_co_u64_u32 v[10:11], null, s43, v10, v[2:3]
	v_mov_b32_e32 v17, v7
	s_wait_alu 0xfffe
	s_lshl_b64 s[46:47], s[8:9], 1
	s_lshl_b32 s90, s44, 1
	v_mov_b32_e32 v44, 0x8000
	s_mov_b32 s92, 14
	s_movk_i32 s91, 0x3c00
	v_mad_co_u64_u32 v[8:9], null, s43, v26, v[9:10]
	v_mov_b32_e32 v22, v10
	v_cmp_ne_u64_e64 s5, v[6:7], v[16:17]
	v_dual_mov_b32 v26, s38 :: v_dual_mov_b32 v27, s39
	s_add_nc_u64 s[38:39], s[6:7], s[50:51]
	s_mov_b32 s93, 0
	v_mov_b32_e32 v39, v8
	s_mov_b32 s94, 0
                                        ; implicit-def: $sgpr98
                                        ; implicit-def: $sgpr100
                                        ; implicit-def: $sgpr95
                                        ; implicit-def: $sgpr97
                                        ; implicit-def: $sgpr99
                                        ; implicit-def: $sgpr96
	s_branch .LBB60_7
.LBB60_4:                               ;   in Loop: Header=BB60_7 Depth=1
	s_wait_alu 0xfffe
	s_or_b32 exec_lo, exec_lo, s9
	s_delay_alu instid0(SALU_CYCLE_1)
	s_and_b32 s7, s7, exec_lo
	s_and_not1_b32 s22, s22, exec_lo
	s_and_not1_b32 s21, s21, exec_lo
	s_or_not1_b32 s18, s8, exec_lo
.LBB60_5:                               ;   in Loop: Header=BB60_7 Depth=1
	s_wait_alu 0xfffe
	s_or_b32 exec_lo, exec_lo, s6
	s_delay_alu instid0(SALU_CYCLE_1)
	s_and_not1_b32 s6, s96, exec_lo
	s_and_b32 s7, s7, exec_lo
	s_and_not1_b32 s8, s97, exec_lo
	s_wait_alu 0xfffe
	s_or_b32 s96, s6, s7
	s_and_not1_b32 s6, s99, exec_lo
	s_and_b32 s7, s22, exec_lo
	s_and_b32 s9, s21, exec_lo
	s_wait_alu 0xfffe
	s_or_b32 s99, s6, s7
	s_or_b32 s97, s8, s9
	s_or_not1_b32 s18, s18, exec_lo
.LBB60_6:                               ;   in Loop: Header=BB60_7 Depth=1
	s_wait_alu 0xfffe
	s_or_b32 exec_lo, exec_lo, s17
	s_delay_alu instid0(SALU_CYCLE_1)
	s_and_b32 s6, exec_lo, s18
	v_dual_mov_b32 v27, v9 :: v_dual_mov_b32 v26, v8
	s_wait_alu 0xfffe
	s_or_b32 s93, s6, s93
	s_and_not1_b32 s6, s95, exec_lo
	s_and_b32 s7, s96, exec_lo
	s_and_not1_b32 s8, s100, exec_lo
	s_wait_alu 0xfffe
	s_or_b32 s95, s6, s7
	s_and_b32 s6, s99, exec_lo
	s_and_not1_b32 s7, s98, exec_lo
	s_and_b32 s9, s97, exec_lo
	s_wait_alu 0xfffe
	s_or_b32 s100, s8, s6
	s_or_b32 s98, s7, s9
	s_and_not1_b32 exec_lo, exec_lo, s93
	s_cbranch_execz .LBB60_277
.LBB60_7:                               ; =>This Loop Header: Depth=1
                                        ;     Child Loop BB60_12 Depth 2
                                        ;     Child Loop BB60_26 Depth 2
	;; [unrolled: 1-line block ×17, first 2 shown]
	ds_load_b128 v[4:7], v3 offset:5120
	s_wait_dscnt 0x0
	v_readfirstlane_b32 s61, v5
	v_readfirstlane_b32 s60, v4
	s_wait_alu 0xf1ff
	s_delay_alu instid0(VALU_DEP_1)
	v_cmp_gt_i64_e64 s6, s[60:61], 0
	s_and_b32 vcc_lo, exec_lo, s6
	s_wait_alu 0xfffe
	s_cbranch_vccnz .LBB60_39
; %bb.8:                                ;   in Loop: Header=BB60_7 Depth=1
	s_and_b32 vcc_lo, exec_lo, s82
	s_wait_alu 0xfffe
	s_cbranch_vccz .LBB60_20
; %bb.9:                                ;   in Loop: Header=BB60_7 Depth=1
	v_cmp_gt_i64_e32 vcc_lo, 0x601, v[6:7]
	s_mov_b32 s8, 0
	s_mov_b32 s6, 0
	s_cbranch_vccz .LBB60_21
; %bb.10:                               ;   in Loop: Header=BB60_7 Depth=1
	global_load_u16 v2, v3, s[38:39]
	global_load_u16 v8, v[12:13], off
	s_mov_b32 s9, 0
	s_wait_loadcnt 0x1
	v_and_b32_e32 v2, 0xffff, v2
	s_delay_alu instid0(VALU_DEP_1) | instskip(SKIP_3) | instid1(VALU_DEP_3)
	v_add_co_u32 v4, s6, v0, v2
	s_wait_alu 0xf1fe
	v_add_co_ci_u32_e64 v5, null, 0, 0, s6
	v_mul_lo_u32 v6, v2, s57
	v_mul_lo_u32 v10, s57, v4
	v_mul_hi_u32 v11, v2, s56
	s_delay_alu instid0(VALU_DEP_4) | instskip(SKIP_2) | instid1(VALU_DEP_2)
	v_mul_lo_u32 v7, s56, v5
	v_mad_co_u64_u32 v[4:5], null, s56, v4, s[48:49]
	v_add_nc_u32_e32 v6, v6, v43
	v_add3_u32 v5, v10, v5, v7
	s_delay_alu instid0(VALU_DEP_2)
	v_dual_mov_b32 v7, v1 :: v_dual_add_nc_u32 v10, v6, v11
	v_mul_lo_u32 v9, v2, s56
	v_mov_b32_e32 v6, v0
	s_branch .LBB60_12
.LBB60_11:                              ;   in Loop: Header=BB60_12 Depth=2
	s_wait_alu 0xfffe
	s_or_b32 exec_lo, exec_lo, s7
	v_add_co_u32 v4, vcc_lo, v4, v9
	s_wait_alu 0xfffd
	v_add_co_ci_u32_e64 v5, null, v5, v10, vcc_lo
	v_mov_b32_e32 v8, v11
	s_and_not1_b32 exec_lo, exec_lo, s9
	s_cbranch_execz .LBB60_73
.LBB60_12:                              ;   Parent Loop BB60_7 Depth=1
                                        ; =>  This Inner Loop Header: Depth=2
	s_delay_alu instid0(VALU_DEP_1)
	v_add_co_u32 v6, vcc_lo, v6, v2
	s_wait_alu 0xfffd
	v_add_co_ci_u32_e64 v7, null, 0, v7, vcc_lo
	s_wait_dscnt 0x0
	v_dual_mov_b32 v28, 0 :: v_dual_mov_b32 v11, 0
	s_mov_b32 s7, exec_lo
	s_delay_alu instid0(VALU_DEP_2)
	v_cmp_le_i64_e32 vcc_lo, s[36:37], v[6:7]
	v_cmpx_gt_i64_e64 s[36:37], v[6:7]
	s_cbranch_execz .LBB60_14
; %bb.13:                               ;   in Loop: Header=BB60_12 Depth=2
	global_load_u16 v11, v[4:5], off
.LBB60_14:                              ;   in Loop: Header=BB60_12 Depth=2
	s_wait_alu 0xfffe
	s_or_b32 exec_lo, exec_lo, s7
	s_wait_loadcnt 0x0
	v_cmp_lt_i16_e64 s6, -1, v8
	v_and_b32_e32 v29, 0xffff, v8
	s_wait_alu 0xf1ff
	s_delay_alu instid0(VALU_DEP_2) | instskip(SKIP_1) | instid1(VALU_DEP_2)
	v_cndmask_b32_e64 v30, 0xffff, v44, s6
	v_cmp_o_f16_e64 s6, v8, v8
	v_xor_b32_e32 v29, v30, v29
	s_wait_alu 0xf1ff
	s_delay_alu instid0(VALU_DEP_1) | instskip(NEXT) | instid1(VALU_DEP_1)
	v_cndmask_b32_e64 v29, 0xffff, v29, s6
	v_and_b32_e32 v29, v29, v45
	s_delay_alu instid0(VALU_DEP_1)
	v_cmp_eq_u32_e64 s6, v29, v20
	s_cmp_lg_u32 s6, 0
	s_cselect_b32 s7, -1, 0
	s_wait_alu 0xfffe
	s_and_b32 s7, s1, s7
	s_wait_alu 0xfffe
	s_and_saveexec_b32 s10, s7
	s_cbranch_execz .LBB60_18
; %bb.15:                               ;   in Loop: Header=BB60_12 Depth=2
	s_mov_b32 s13, exec_lo
	s_bcnt1_i32_b32 s11, s6
	s_wait_alu 0xfffe
	v_mbcnt_lo_u32_b32 v28, s13, 0
	s_mov_b32 s12, exec_lo
                                        ; implicit-def: $vgpr29
	s_delay_alu instid0(VALU_DEP_1)
	v_cmpx_eq_u32_e32 0, v28
; %bb.16:                               ;   in Loop: Header=BB60_12 Depth=2
	s_bcnt1_i32_b32 s7, s13
	s_wait_alu 0xfffe
	s_mul_i32 s7, s11, s7
	s_wait_alu 0xfffe
	v_mov_b32_e32 v29, s7
	ds_add_rtn_u32 v29, v3, v29 offset:5136
; %bb.17:                               ;   in Loop: Header=BB60_12 Depth=2
	s_or_b32 exec_lo, exec_lo, s12
	s_wait_dscnt 0x0
	v_readfirstlane_b32 s7, v29
	s_wait_alu 0xf1ff
	s_delay_alu instid0(VALU_DEP_1)
	v_mad_u32_u24 v28, s11, v28, s7
.LBB60_18:                              ;   in Loop: Header=BB60_12 Depth=2
	s_wait_alu 0xfffe
	s_or_b32 exec_lo, exec_lo, s10
	ds_bpermute_b32 v28, v3, v28
	s_and_b32 s7, exec_lo, vcc_lo
	s_wait_alu 0xfffe
	s_or_b32 s9, s7, s9
	s_and_saveexec_b32 s7, s6
	s_cbranch_execz .LBB60_11
; %bb.19:                               ;   in Loop: Header=BB60_12 Depth=2
	v_and_b32_e32 v29, s6, v35
	s_delay_alu instid0(VALU_DEP_1) | instskip(NEXT) | instid1(VALU_DEP_1)
	v_bcnt_u32_b32 v29, v29, 0
	v_lshlrev_b32_e32 v29, 1, v29
	s_wait_dscnt 0x0
	s_delay_alu instid0(VALU_DEP_1)
	v_lshl_add_u32 v28, v28, 1, v29
	ds_store_b16 v28, v8
	s_branch .LBB60_11
.LBB60_20:                              ;   in Loop: Header=BB60_7 Depth=1
	s_mov_b32 s8, -1
	s_mov_b32 s6, 0
.LBB60_21:                              ;   in Loop: Header=BB60_7 Depth=1
	s_wait_alu 0xfffe
	s_and_b32 vcc_lo, exec_lo, s8
	s_wait_alu 0xfffe
	s_cbranch_vccz .LBB60_37
.LBB60_22:                              ;   in Loop: Header=BB60_7 Depth=1
	s_and_saveexec_b32 s7, s0
	s_cbranch_execz .LBB60_34
; %bb.23:                               ;   in Loop: Header=BB60_7 Depth=1
	global_load_u16 v4, v3, s[38:39]
	global_load_u16 v28, v[12:13], off
	v_mov_b32_e32 v6, v0
	s_mov_b32 s12, exec_lo
	s_wait_loadcnt 0x1
	v_and_b32_e32 v2, 0xffff, v4
	v_readfirstlane_b32 s6, v4
	s_delay_alu instid0(VALU_DEP_2) | instskip(NEXT) | instid1(VALU_DEP_1)
	v_add_nc_u32_e32 v2, v2, v0
	v_cmpx_gt_i64_e64 s[36:37], v[2:3]
	s_cbranch_execz .LBB60_33
; %bb.24:                               ;   in Loop: Header=BB60_7 Depth=1
	s_and_b32 s50, s6, 0xffff
	v_dual_mov_b32 v9, v1 :: v_dual_mov_b32 v8, v0
	s_wait_alu 0xfffe
	s_cmp_eq_u32 s50, 1
	v_dual_mov_b32 v5, v3 :: v_dual_mov_b32 v4, v2
	s_cselect_b32 s6, -1, 0
                                        ; implicit-def: $vgpr6_vgpr7
	s_wait_alu 0xfffe
	s_and_b32 s9, s4, s6
	s_mov_b32 s6, -1
	s_wait_alu 0xfffe
	s_and_saveexec_b32 s8, s9
	s_cbranch_execz .LBB60_28
; %bb.25:                               ;   in Loop: Header=BB60_7 Depth=1
	v_add_co_u32 v4, s6, v2, 1
	s_wait_alu 0xf1ff
	v_add_co_ci_u32_e64 v5, null, 0, 0, s6
	s_wait_loadcnt 0x0
	v_dual_mov_b32 v8, v16 :: v_dual_lshlrev_b32 v11, 16, v28
	v_dual_mov_b32 v9, v17 :: v_dual_mov_b32 v10, v33
	s_delay_alu instid0(VALU_DEP_3)
	v_mov_b32_e32 v7, v5
	v_dual_mov_b32 v6, v4 :: v_dual_mov_b32 v5, v3
	v_mov_b32_e32 v4, v2
	s_mov_b32 s9, 0
.LBB60_26:                              ;   Parent Loop BB60_7 Depth=1
                                        ; =>  This Inner Loop Header: Depth=2
	s_delay_alu instid0(VALU_DEP_2) | instskip(NEXT) | instid1(VALU_DEP_2)
	v_mul_lo_u32 v47, v5, s84
	v_mul_lo_u32 v48, v4, s86
	v_mad_co_u64_u32 v[28:29], null, v4, s84, 0
	v_mul_lo_u32 v49, v7, s42
	v_mul_lo_u32 v50, v6, s43
	v_mad_co_u64_u32 v[30:31], null, v6, s42, 0
	s_delay_alu instid0(VALU_DEP_4) | instskip(NEXT) | instid1(VALU_DEP_2)
	v_add3_u32 v29, v29, v48, v47
	v_add3_u32 v31, v31, v50, v49
	s_delay_alu instid0(VALU_DEP_2) | instskip(NEXT) | instid1(VALU_DEP_2)
	v_lshlrev_b64_e32 v[28:29], 1, v[28:29]
	v_lshlrev_b64_e32 v[30:31], 1, v[30:31]
	s_delay_alu instid0(VALU_DEP_2) | instskip(SKIP_1) | instid1(VALU_DEP_3)
	v_add_co_u32 v28, vcc_lo, s48, v28
	s_wait_alu 0xfffd
	v_add_co_ci_u32_e64 v29, null, s49, v29, vcc_lo
	s_delay_alu instid0(VALU_DEP_3)
	v_add_co_u32 v30, vcc_lo, s48, v30
	s_wait_alu 0xfffd
	v_add_co_ci_u32_e64 v31, null, s49, v31, vcc_lo
	s_clause 0x1
	global_load_u16 v29, v[28:29], off
	global_load_u16 v28, v[30:31], off
	v_add_co_u32 v8, vcc_lo, v8, -2
	s_wait_alu 0xfffd
	v_add_co_ci_u32_e64 v9, null, -1, v9, vcc_lo
	v_add_co_u32 v6, vcc_lo, v6, 2
	s_wait_alu 0xfffd
	v_add_co_ci_u32_e64 v7, null, 0, v7, vcc_lo
	s_delay_alu instid0(VALU_DEP_3) | instskip(SKIP_4) | instid1(VALU_DEP_3)
	v_cmp_eq_u64_e64 s6, 0, v[8:9]
	v_add_co_u32 v4, vcc_lo, v4, 2
	s_wait_alu 0xfffd
	v_add_co_ci_u32_e64 v5, null, 0, v5, vcc_lo
	s_wait_alu 0xfffe
	s_or_b32 s9, s6, s9
	s_wait_loadcnt 0x1
	v_alignbit_b32 v11, v29, v11, 16
	s_wait_loadcnt 0x0
	v_perm_b32 v29, v28, v29, 0x5040100
	ds_store_b32 v10, v11
	v_dual_mov_b32 v11, v29 :: v_dual_add_nc_u32 v10, 4, v10
	s_wait_alu 0xfffe
	s_and_not1_b32 exec_lo, exec_lo, s9
	s_cbranch_execnz .LBB60_26
; %bb.27:                               ;   in Loop: Header=BB60_7 Depth=1
	s_or_b32 exec_lo, exec_lo, s9
	v_add_co_u32 v4, vcc_lo, v2, v16
	s_wait_alu 0xfffd
	v_add_co_ci_u32_e64 v5, null, 0, v17, vcc_lo
	v_dual_mov_b32 v8, v18 :: v_dual_mov_b32 v9, v19
	s_delay_alu instid0(VALU_DEP_3)
	v_add_co_u32 v6, vcc_lo, v4, -1
	s_or_not1_b32 s6, s5, exec_lo
	s_wait_alu 0xfffd
	v_add_co_ci_u32_e64 v2, null, -1, v5, vcc_lo
.LBB60_28:                              ;   in Loop: Header=BB60_7 Depth=1
	s_wait_alu 0xfffe
	s_or_b32 exec_lo, exec_lo, s8
	s_and_saveexec_b32 s13, s6
	s_cbranch_execz .LBB60_32
; %bb.29:                               ;   in Loop: Header=BB60_7 Depth=1
	v_mad_co_u64_u32 v[10:11], null, s56, v4, s[48:49]
	v_mul_lo_u32 v2, s56, v5
	v_mul_lo_u32 v6, s57, v4
	s_sub_nc_u64 s[8:9], 0, s[50:51]
	s_mul_u64 s[10:11], s[56:57], s[50:51]
	s_mov_b32 s14, 0
	s_delay_alu instid0(VALU_DEP_1)
	v_add3_u32 v11, v6, v11, v2
.LBB60_30:                              ;   Parent Loop BB60_7 Depth=1
                                        ; =>  This Inner Loop Header: Depth=2
	s_wait_loadcnt 0x0
	v_mov_b32_e32 v2, v28
	global_load_u16 v28, v[10:11], off
	v_dual_mov_b32 v30, v5 :: v_dual_lshlrev_b32 v7, 1, v8
	v_mov_b32_e32 v29, v4
	ds_store_b16 v7, v2
	v_add_co_u32 v4, vcc_lo, v29, s50
	s_wait_alu 0xfffd
	v_add_co_ci_u32_e64 v5, null, 0, v30, vcc_lo
	s_wait_alu 0xfffe
	v_add_co_u32 v10, vcc_lo, v10, s10
	s_wait_alu 0xfffd
	v_add_co_ci_u32_e64 v11, null, s11, v11, vcc_lo
	v_cmp_le_i64_e32 vcc_lo, s[36:37], v[4:5]
	v_add_co_u32 v6, s6, s8, v4
	s_wait_alu 0xf1ff
	v_add_co_ci_u32_e64 v8, null, s9, v5, s6
	v_dual_mov_b32 v8, v29 :: v_dual_mov_b32 v9, v30
	s_or_b32 s14, vcc_lo, s14
	s_wait_alu 0xfffe
	s_and_not1_b32 exec_lo, exec_lo, s14
	s_cbranch_execnz .LBB60_30
; %bb.31:                               ;   in Loop: Header=BB60_7 Depth=1
	s_or_b32 exec_lo, exec_lo, s14
.LBB60_32:                              ;   in Loop: Header=BB60_7 Depth=1
	s_wait_alu 0xfffe
	s_or_b32 exec_lo, exec_lo, s13
.LBB60_33:                              ;   in Loop: Header=BB60_7 Depth=1
	s_wait_alu 0xfffe
	s_or_b32 exec_lo, exec_lo, s12
	v_lshlrev_b32_e32 v2, 1, v6
	s_wait_loadcnt 0x0
	ds_store_b16 v2, v28
.LBB60_34:                              ;   in Loop: Header=BB60_7 Depth=1
	s_wait_alu 0xfffe
	s_or_b32 exec_lo, exec_lo, s7
	s_wait_loadcnt_dscnt 0x0
	s_barrier_signal -1
	s_barrier_wait -1
	global_inv scope:SCOPE_SE
	s_and_saveexec_b32 s6, s2
; %bb.35:                               ;   in Loop: Header=BB60_7 Depth=1
	v_dual_mov_b32 v4, s36 :: v_dual_mov_b32 v5, s37
	ds_store_b64 v3, v[4:5] offset:5120
; %bb.36:                               ;   in Loop: Header=BB60_7 Depth=1
	s_wait_alu 0xfffe
	s_or_b32 exec_lo, exec_lo, s6
	s_mov_b32 s6, -1
	s_wait_loadcnt_dscnt 0x0
	s_barrier_signal -1
	s_barrier_wait -1
.LBB60_37:                              ;   in Loop: Header=BB60_7 Depth=1
	s_wait_alu 0xfffe
	s_and_b32 vcc_lo, exec_lo, s6
	s_wait_alu 0xfffe
	s_cbranch_vccz .LBB60_39
; %bb.38:                               ;   in Loop: Header=BB60_7 Depth=1
	s_wait_loadcnt 0x0
	global_inv scope:SCOPE_SE
	ds_load_b64 v[4:5], v3 offset:5120
	s_wait_dscnt 0x0
	v_readfirstlane_b32 s60, v4
.LBB60_39:                              ;   in Loop: Header=BB60_7 Depth=1
	s_delay_alu instid0(VALU_DEP_1)
	s_cmp_lt_i32 s60, 1
	s_mov_b32 s6, -1
                                        ; implicit-def: $vgpr4_vgpr5
                                        ; implicit-def: $vgpr8_vgpr9
	s_cbranch_scc1 .LBB60_49
; %bb.40:                               ;   in Loop: Header=BB60_7 Depth=1
	s_wait_alu 0xfffe
	s_and_b32 vcc_lo, exec_lo, s6
	s_wait_alu 0xfffe
	s_cbranch_vccnz .LBB60_63
.LBB60_41:                              ;   in Loop: Header=BB60_7 Depth=1
	s_lshl_b32 s6, s94, 7
	s_and_saveexec_b32 s7, s1
	s_cbranch_execz .LBB60_43
.LBB60_42:                              ;   in Loop: Header=BB60_7 Depth=1
	s_wait_alu 0xfffe
	v_lshl_add_u32 v2, s6, 3, v36
	ds_store_b128 v2, v[4:7]
	ds_store_b128 v2, v[8:11] offset:16
.LBB60_43:                              ;   in Loop: Header=BB60_7 Depth=1
	s_wait_alu 0xfffe
	s_or_b32 exec_lo, exec_lo, s7
	s_wait_loadcnt_dscnt 0x0
	s_barrier_signal -1
	s_barrier_wait -1
	global_inv scope:SCOPE_SE
	s_and_saveexec_b32 s7, s33
	s_cbranch_execz .LBB60_80
; %bb.44:                               ;   in Loop: Header=BB60_7 Depth=1
	v_mov_b32_e32 v4, 0
	v_mov_b32_e32 v5, 0
	s_and_not1_b32 vcc_lo, exec_lo, s83
	s_wait_alu 0xfffe
	s_cbranch_vccnz .LBB60_79
; %bb.45:                               ;   in Loop: Header=BB60_7 Depth=1
	v_mov_b32_e32 v4, 0
	v_mov_b32_e32 v5, 0
	s_and_not1_b32 vcc_lo, exec_lo, s87
	s_wait_alu 0xfffe
	s_cbranch_vccnz .LBB60_76
; %bb.46:                               ;   in Loop: Header=BB60_7 Depth=1
	v_lshl_add_u32 v2, s94, 10, v42
	s_mov_b32 s8, 0
.LBB60_47:                              ;   Parent Loop BB60_7 Depth=1
                                        ; =>  This Inner Loop Header: Depth=2
	ds_load_2addr_b64 v[6:9], v2 offset1:4
	ds_load_2addr_b64 v[28:31], v2 offset0:8 offset1:12
	ds_load_2addr_b64 v[47:50], v2 offset0:16 offset1:20
	s_wait_alu 0xfffe
	s_add_co_i32 s8, s8, 8
	s_wait_alu 0xfffe
	s_cmp_eq_u32 s88, s8
	s_wait_dscnt 0x2
	v_add_co_u32 v4, vcc_lo, v6, v4
	s_wait_alu 0xfffd
	v_add_co_ci_u32_e64 v5, null, v7, v5, vcc_lo
	s_delay_alu instid0(VALU_DEP_2) | instskip(SKIP_1) | instid1(VALU_DEP_2)
	v_add_co_u32 v8, vcc_lo, v8, v4
	s_wait_alu 0xfffd
	v_add_co_ci_u32_e64 v9, null, v9, v5, vcc_lo
	ds_load_2addr_b64 v[4:7], v2 offset0:24 offset1:28
	s_wait_dscnt 0x2
	v_add_co_u32 v8, vcc_lo, v28, v8
	s_wait_alu 0xfffd
	v_add_co_ci_u32_e64 v9, null, v29, v9, vcc_lo
	v_add_nc_u32_e32 v2, 0x100, v2
	s_delay_alu instid0(VALU_DEP_3) | instskip(SKIP_1) | instid1(VALU_DEP_3)
	v_add_co_u32 v8, vcc_lo, v30, v8
	s_wait_alu 0xfffd
	v_add_co_ci_u32_e64 v9, null, v31, v9, vcc_lo
	s_wait_dscnt 0x1
	s_delay_alu instid0(VALU_DEP_2) | instskip(SKIP_1) | instid1(VALU_DEP_2)
	v_add_co_u32 v8, vcc_lo, v47, v8
	s_wait_alu 0xfffd
	v_add_co_ci_u32_e64 v9, null, v48, v9, vcc_lo
	s_delay_alu instid0(VALU_DEP_2) | instskip(SKIP_1) | instid1(VALU_DEP_2)
	v_add_co_u32 v8, vcc_lo, v49, v8
	s_wait_alu 0xfffd
	v_add_co_ci_u32_e64 v9, null, v50, v9, vcc_lo
	s_wait_dscnt 0x0
	s_delay_alu instid0(VALU_DEP_2) | instskip(SKIP_1) | instid1(VALU_DEP_2)
	v_add_co_u32 v4, vcc_lo, v4, v8
	s_wait_alu 0xfffd
	v_add_co_ci_u32_e64 v5, null, v5, v9, vcc_lo
	s_delay_alu instid0(VALU_DEP_2) | instskip(SKIP_1) | instid1(VALU_DEP_2)
	v_add_co_u32 v4, vcc_lo, v6, v4
	s_wait_alu 0xfffd
	v_add_co_ci_u32_e64 v5, null, v7, v5, vcc_lo
	s_cbranch_scc0 .LBB60_47
; %bb.48:                               ;   in Loop: Header=BB60_7 Depth=1
	s_mov_b32 s8, s88
	s_and_not1_b32 vcc_lo, exec_lo, s89
	s_wait_alu 0xfffe
	s_cbranch_vccz .LBB60_77
	s_branch .LBB60_79
.LBB60_49:                              ;   in Loop: Header=BB60_7 Depth=1
	global_load_u16 v2, v3, s[38:39]
	s_mov_b32 s7, s37
	s_wait_loadcnt 0x0
	v_readfirstlane_b32 s6, v2
	s_wait_alu 0xfffe
	s_and_b32 s62, s6, 0xffff
	s_mov_b32 s6, s51
	s_wait_alu 0xfffe
	s_lshl_b32 s64, s62, 2
	s_cmp_lg_u64 s[6:7], 0
	s_cbranch_scc0 .LBB60_72
; %bb.50:                               ;   in Loop: Header=BB60_7 Depth=1
	s_mov_b32 s65, s51
	s_wait_alu 0xfffe
	s_add_nc_u64 s[6:7], s[64:65], 0
	s_wait_alu 0xfffe
	s_xor_b64 s[6:7], s[6:7], 0
	s_wait_alu 0xfffe
	s_cvt_f32_u32 s8, s6
	s_cvt_f32_u32 s9, s7
	s_sub_nc_u64 s[10:11], 0, s[6:7]
	s_wait_alu 0xfffe
	s_delay_alu instid0(SALU_CYCLE_1) | instskip(SKIP_1) | instid1(SALU_CYCLE_2)
	s_fmamk_f32 s8, s9, 0x4f800000, s8
	s_wait_alu 0xfffe
	v_s_rcp_f32 s8, s8
	s_delay_alu instid0(TRANS32_DEP_1) | instskip(SKIP_1) | instid1(SALU_CYCLE_2)
	s_mul_f32 s8, s8, 0x5f7ffffc
	s_wait_alu 0xfffe
	s_mul_f32 s9, s8, 0x2f800000
	s_wait_alu 0xfffe
	s_delay_alu instid0(SALU_CYCLE_2) | instskip(SKIP_1) | instid1(SALU_CYCLE_2)
	s_trunc_f32 s9, s9
	s_wait_alu 0xfffe
	s_fmamk_f32 s8, s9, 0xcf800000, s8
	s_cvt_u32_f32 s9, s9
	s_wait_alu 0xfffe
	s_delay_alu instid0(SALU_CYCLE_1) | instskip(SKIP_1) | instid1(SALU_CYCLE_2)
	s_cvt_u32_f32 s8, s8
	s_wait_alu 0xfffe
	s_mul_u64 s[12:13], s[10:11], s[8:9]
	s_wait_alu 0xfffe
	s_mul_hi_u32 s15, s8, s13
	s_mul_i32 s14, s8, s13
	s_mul_hi_u32 s50, s8, s12
	s_mul_i32 s17, s9, s12
	s_wait_alu 0xfffe
	s_add_nc_u64 s[14:15], s[50:51], s[14:15]
	s_mul_hi_u32 s16, s9, s12
	s_mul_hi_u32 s18, s9, s13
	s_mul_i32 s12, s9, s13
	s_wait_alu 0xfffe
	s_add_co_u32 s13, s14, s17
	s_add_co_ci_u32 s50, s15, s16
	s_add_co_ci_u32 s13, s18, 0
	s_wait_alu 0xfffe
	s_add_nc_u64 s[12:13], s[50:51], s[12:13]
	s_wait_alu 0xfffe
	s_add_co_u32 s8, s8, s12
	s_cselect_b32 s12, -1, 0
	s_wait_alu 0xfffe
	s_cmp_lg_u32 s12, 0
	s_add_co_ci_u32 s9, s9, s13
	s_wait_alu 0xfffe
	s_mul_u64 s[10:11], s[10:11], s[8:9]
	s_wait_alu 0xfffe
	s_mul_hi_u32 s13, s8, s11
	s_mul_i32 s12, s8, s11
	s_mul_hi_u32 s50, s8, s10
	s_mul_i32 s15, s9, s10
	s_wait_alu 0xfffe
	s_add_nc_u64 s[12:13], s[50:51], s[12:13]
	s_mul_hi_u32 s14, s9, s10
	s_mul_hi_u32 s16, s9, s11
	s_mul_i32 s10, s9, s11
	s_wait_alu 0xfffe
	s_add_co_u32 s11, s12, s15
	s_add_co_ci_u32 s50, s13, s14
	s_add_co_ci_u32 s11, s16, 0
	s_wait_alu 0xfffe
	s_add_nc_u64 s[10:11], s[50:51], s[10:11]
	s_wait_alu 0xfffe
	s_add_co_u32 s14, s8, s10
	s_cselect_b32 s8, -1, 0
	s_wait_alu 0xfffe
	s_cmp_lg_u32 s8, 0
	s_add_co_ci_u32 s15, s9, s11
	s_ashr_i32 s8, s37, 31
	s_wait_alu 0xfffe
	s_mov_b32 s9, s8
	s_wait_alu 0xfffe
	s_add_nc_u64 s[10:11], s[36:37], s[8:9]
	s_wait_alu 0xfffe
	s_xor_b64 s[10:11], s[10:11], s[8:9]
	s_wait_alu 0xfffe
	s_mul_hi_u32 s13, s10, s15
	s_mul_i32 s12, s10, s15
	s_mul_hi_u32 s50, s10, s14
	s_mul_i32 s18, s11, s14
	s_wait_alu 0xfffe
	s_add_nc_u64 s[12:13], s[50:51], s[12:13]
	s_mul_hi_u32 s17, s11, s14
	s_mul_hi_u32 s16, s11, s15
	s_wait_alu 0xfffe
	s_add_co_u32 s12, s12, s18
	s_add_co_ci_u32 s50, s13, s17
	s_mul_i32 s14, s11, s15
	s_add_co_ci_u32 s15, s16, 0
	s_wait_alu 0xfffe
	s_add_nc_u64 s[12:13], s[50:51], s[14:15]
	s_wait_alu 0xfffe
	s_mul_u64 s[12:13], s[6:7], s[12:13]
	s_wait_alu 0xfffe
	s_sub_co_u32 s10, s10, s12
	s_cselect_b32 s12, -1, 0
	s_sub_co_i32 s14, s11, s13
	s_wait_alu 0xfffe
	s_cmp_lg_u32 s12, 0
	s_sub_co_ci_u32 s14, s14, s7
	s_sub_co_u32 s15, s10, s6
	s_cselect_b32 s16, -1, 0
	s_wait_alu 0xfffe
	s_cmp_lg_u32 s16, 0
	s_sub_co_ci_u32 s17, s14, 0
	s_wait_alu 0xfffe
	s_cmp_ge_u32 s17, s7
	s_cselect_b32 s18, -1, 0
	s_cmp_ge_u32 s15, s6
	s_cselect_b32 s19, -1, 0
	s_cmp_eq_u32 s17, s7
	s_cselect_b32 s18, s19, s18
	s_cmp_lg_u32 s16, 0
	s_sub_co_ci_u32 s14, s14, s7
	s_sub_co_u32 s16, s15, s6
	s_cselect_b32 s19, -1, 0
	s_delay_alu instid0(SALU_CYCLE_1)
	s_cmp_lg_u32 s19, 0
	s_wait_alu 0xfffe
	s_sub_co_ci_u32 s14, s14, 0
	s_cmp_lg_u32 s18, 0
	s_cselect_b32 s15, s16, s15
	s_wait_alu 0xfffe
	s_cselect_b32 s14, s14, s17
	s_cmp_lg_u32 s12, 0
	s_sub_co_ci_u32 s11, s11, s13
	s_wait_alu 0xfffe
	s_cmp_ge_u32 s11, s7
	s_cselect_b32 s12, -1, 0
	s_cmp_ge_u32 s10, s6
	s_cselect_b32 s6, -1, 0
	s_cmp_eq_u32 s11, s7
	s_wait_alu 0xfffe
	s_cselect_b32 s6, s6, s12
	s_wait_alu 0xfffe
	s_cmp_lg_u32 s6, 0
	s_cselect_b32 s7, s14, s11
	s_cselect_b32 s6, s15, s10
	s_wait_alu 0xfffe
	s_xor_b64 s[6:7], s[6:7], s[8:9]
	s_wait_alu 0xfffe
	s_sub_nc_u64 s[66:67], s[6:7], s[8:9]
	s_cbranch_execnz .LBB60_52
.LBB60_51:                              ;   in Loop: Header=BB60_7 Depth=1
	s_wait_alu 0xfffe
	v_cvt_f32_u32_e32 v2, s64
	s_sub_co_i32 s7, 0, s64
	s_delay_alu instid0(VALU_DEP_1) | instskip(NEXT) | instid1(TRANS32_DEP_1)
	v_rcp_iflag_f32_e32 v2, v2
	v_mul_f32_e32 v2, 0x4f7ffffe, v2
	s_delay_alu instid0(VALU_DEP_1) | instskip(NEXT) | instid1(VALU_DEP_1)
	v_cvt_u32_f32_e32 v2, v2
	v_readfirstlane_b32 s6, v2
	s_wait_alu 0xfffe
	s_mul_i32 s7, s7, s6
	s_wait_alu 0xfffe
	s_mul_hi_u32 s7, s6, s7
	s_wait_alu 0xfffe
	s_add_co_i32 s6, s6, s7
	s_wait_alu 0xfffe
	s_mul_hi_u32 s6, s36, s6
	s_wait_alu 0xfffe
	s_mul_i32 s6, s6, s64
	s_wait_alu 0xfffe
	s_sub_co_i32 s6, s36, s6
	s_wait_alu 0xfffe
	s_sub_co_i32 s7, s6, s64
	s_cmp_ge_u32 s6, s64
	s_wait_alu 0xfffe
	s_cselect_b32 s6, s7, s6
	s_wait_alu 0xfffe
	s_sub_co_i32 s7, s6, s64
	s_cmp_ge_u32 s6, s64
	s_wait_alu 0xfffe
	s_cselect_b32 s50, s7, s6
	s_wait_alu 0xfffe
	s_mov_b64 s[66:67], s[50:51]
.LBB60_52:                              ;   in Loop: Header=BB60_7 Depth=1
	v_mov_b32_e32 v4, 0
	v_dual_mov_b32 v8, 0 :: v_dual_mov_b32 v5, 0
	v_dual_mov_b32 v6, 0 :: v_dual_mov_b32 v9, 0
	;; [unrolled: 1-line block ×3, first 2 shown]
	v_mov_b32_e32 v11, 0
	s_wait_alu 0xfffe
	s_sub_nc_u64 s[68:69], s[36:37], s[66:67]
	s_mov_b32 s63, s51
	s_mov_b32 s61, exec_lo
	s_wait_alu 0xfffe
	v_cmpx_gt_i64_e64 s[68:69], v[14:15]
	s_cbranch_execz .LBB60_56
; %bb.53:                               ;   in Loop: Header=BB60_7 Depth=1
	v_dual_mov_b32 v29, v15 :: v_dual_mov_b32 v28, v14
	s_mul_u64 s[70:71], s[58:59], s[62:63]
	s_mov_b64 s[72:73], 0
	s_mov_b32 s65, 0
	s_mov_b64 s[74:75], s[48:49]
	s_mov_b64 s[76:77], 0
	;; [unrolled: 1-line block ×4, first 2 shown]
.LBB60_54:                              ;   Parent Loop BB60_7 Depth=1
                                        ; =>  This Inner Loop Header: Depth=2
	s_wait_alu 0xfffe
	v_add_co_u32 v4, vcc_lo, s74, v24
	s_wait_alu 0xfffd
	v_add_co_ci_u32_e64 v5, null, s75, v25, vcc_lo
	v_add_co_u32 v6, vcc_lo, s74, v23
	s_wait_alu 0xfffd
	v_add_co_ci_u32_e64 v7, null, s75, v39, vcc_lo
	;; [unrolled: 3-line block ×4, first 2 shown]
	s_clause 0x3
	global_load_u16 v2, v[4:5], off
	global_load_u16 v4, v[6:7], off
	global_load_u16 v5, v[8:9], off
	global_load_u16 v6, v[10:11], off
	v_add_co_u32 v28, vcc_lo, v28, s64
	s_wait_alu 0xfffd
	v_add_co_ci_u32_e64 v29, null, 0, v29, vcc_lo
	s_add_nc_u64 s[74:75], s[74:75], s[70:71]
	v_cmp_le_i64_e32 vcc_lo, s[68:69], v[28:29]
	s_wait_loadcnt 0x3
	v_cmp_lt_i16_e64 s6, -1, v2
	v_and_b32_e32 v7, 0xffff, v2
	s_wait_loadcnt 0x2
	v_and_b32_e32 v9, 0xffff, v4
	s_wait_loadcnt 0x1
	v_and_b32_e32 v11, 0xffff, v5
	v_cmp_o_f16_e64 s9, v2, v2
	s_wait_alu 0xf1ff
	v_cndmask_b32_e64 v8, 0xffff, v44, s6
	v_cmp_lt_i16_e64 s6, -1, v4
	s_wait_loadcnt 0x0
	v_and_b32_e32 v31, 0xffff, v6
	v_cmp_o_f16_e64 s7, v5, v5
	v_cmp_o_f16_e64 s8, v6, v6
	v_xor_b32_e32 v7, v8, v7
	s_wait_alu 0xf1ff
	v_cndmask_b32_e64 v10, 0xffff, v44, s6
	v_cmp_lt_i16_e64 s6, -1, v5
	s_delay_alu instid0(VALU_DEP_3) | instskip(NEXT) | instid1(VALU_DEP_3)
	v_cndmask_b32_e64 v2, 0xffff, v7, s9
	v_xor_b32_e32 v8, v10, v9
	s_wait_alu 0xf1ff
	s_delay_alu instid0(VALU_DEP_3) | instskip(SKIP_4) | instid1(VALU_DEP_3)
	v_cndmask_b32_e64 v30, 0xffff, v44, s6
	v_cmp_lt_i16_e64 s6, -1, v6
	v_and_b32_e32 v7, v2, v45
	v_bfe_u32 v2, v2, s92, 2
	s_wait_alu 0xf1ff
	v_cndmask_b32_e64 v47, 0xffff, v44, s6
	v_cmp_o_f16_e64 s6, v4, v4
	v_xor_b32_e32 v4, v30, v11
	v_cmp_eq_u32_e64 s10, 0, v2
	v_cmp_eq_u32_e64 s14, 1, v2
	v_xor_b32_e32 v5, v47, v31
	s_wait_alu 0xf1ff
	v_cndmask_b32_e64 v6, 0xffff, v8, s6
	v_cndmask_b32_e64 v4, 0xffff, v4, s7
	v_cmp_eq_u32_e64 s6, v7, v20
	v_cmp_eq_u32_e64 s18, 2, v2
	v_cndmask_b32_e64 v5, 0xffff, v5, s8
	v_and_b32_e32 v8, v6, v45
	v_bfe_u32 v6, v6, s92, 2
	v_and_b32_e32 v9, v4, v45
	v_bfe_u32 v4, v4, s92, 2
	;; [unrolled: 2-line block ×3, first 2 shown]
	v_cmp_eq_u32_e64 s7, v8, v20
	v_cmp_eq_u32_e64 s11, 0, v6
	;; [unrolled: 1-line block ×4, first 2 shown]
	s_and_b32 s10, s6, s10
	v_cmp_eq_u32_e64 s9, v10, v20
	v_cmp_eq_u32_e64 s13, 0, v5
	;; [unrolled: 1-line block ×3, first 2 shown]
	s_wait_alu 0xfffe
	v_cndmask_b32_e64 v2, 0, 1, s10
	s_and_b32 s10, s7, s11
	v_cmp_eq_u32_e64 s16, 1, v4
	v_cmp_eq_u32_e64 s20, 2, v4
	;; [unrolled: 1-line block ×3, first 2 shown]
	s_wait_alu 0xfffe
	v_cndmask_b32_e64 v4, 0, 1, s10
	s_and_b32 s10, s8, s12
	v_cmp_eq_u32_e64 s15, 1, v6
	v_cmp_eq_u32_e64 s17, 1, v5
	;; [unrolled: 1-line block ×4, first 2 shown]
	s_wait_alu 0xfffe
	v_cndmask_b32_e64 v5, 0, 1, s10
	s_and_b32 s10, s9, s13
	v_cmp_eq_u32_e64 s19, 2, v6
	v_cmp_eq_u32_e64 s23, 3, v6
	s_wait_alu 0xfffe
	v_cndmask_b32_e64 v6, 0, 1, s10
	s_and_b32 s10, s6, s14
	s_wait_alu 0xfffe
	v_cndmask_b32_e64 v7, 0, 1, s10
	s_and_b32 s10, s7, s15
	;; [unrolled: 3-line block ×4, first 2 shown]
	v_cmp_ne_u32_e64 s11, 0, v8
	s_wait_alu 0xfffe
	v_cndmask_b32_e64 v10, 0, 1, s10
	s_and_b32 s10, s6, s18
	s_and_b32 s6, s6, s22
	s_wait_alu 0xfffe
	v_cndmask_b32_e64 v11, 0, 1, s10
	v_cndmask_b32_e64 v48, 0, 1, s6
	s_and_b32 s6, s7, s23
	s_and_b32 s10, s7, s19
	s_wait_alu 0xfffe
	v_cndmask_b32_e64 v49, 0, 1, s6
	s_and_b32 s6, s8, s24
	v_cndmask_b32_e64 v30, 0, 1, s10
	s_and_b32 s10, s8, s20
	s_wait_alu 0xfffe
	v_cndmask_b32_e64 v50, 0, 1, s6
	s_and_b32 s6, s9, s25
	v_cndmask_b32_e64 v31, 0, 1, s10
	s_and_b32 s10, s9, s21
	s_wait_alu 0xfffe
	v_cndmask_b32_e64 v51, 0, 1, s6
	v_cmp_ne_u32_e64 s6, 0, v2
	v_cmp_ne_u32_e64 s7, 0, v4
	v_cndmask_b32_e64 v47, 0, 1, s10
	v_cmp_ne_u32_e64 s8, 0, v5
	v_cmp_ne_u32_e64 s10, 0, v7
	;; [unrolled: 1-line block ×6, first 2 shown]
	s_bcnt1_i32_b32 s6, s6
	s_bcnt1_i32_b32 s7, s7
	v_cmp_ne_u32_e64 s13, 0, v10
	v_cmp_ne_u32_e64 s16, 0, v31
	;; [unrolled: 1-line block ×4, first 2 shown]
	s_bcnt1_i32_b32 s8, s8
	s_bcnt1_i32_b32 s10, s10
	;; [unrolled: 1-line block ×3, first 2 shown]
	s_wait_alu 0xfffe
	s_add_co_i32 s6, s7, s6
	v_cmp_ne_u32_e64 s17, 0, v47
	v_cmp_ne_u32_e64 s20, 0, v50
	s_bcnt1_i32_b32 s9, s9
	s_bcnt1_i32_b32 s12, s12
	;; [unrolled: 1-line block ×4, first 2 shown]
	s_add_co_i32 s7, s11, s10
	s_wait_alu 0xfffe
	s_add_co_i32 s6, s6, s8
	v_cmp_ne_u32_e64 s21, 0, v51
	s_bcnt1_i32_b32 s13, s13
	s_bcnt1_i32_b32 s16, s16
	;; [unrolled: 1-line block ×4, first 2 shown]
	s_add_co_i32 s10, s15, s14
	s_add_co_i32 s7, s7, s12
	s_wait_alu 0xfffe
	s_add_co_i32 s50, s6, s9
	s_bcnt1_i32_b32 s17, s17
	s_bcnt1_i32_b32 s20, s20
	s_add_co_i32 s11, s19, s18
	s_add_co_i32 s8, s10, s16
	s_wait_alu 0xfffe
	s_add_nc_u64 s[80:81], s[80:81], s[50:51]
	s_add_co_i32 s50, s7, s13
	s_bcnt1_i32_b32 s21, s21
	s_add_co_i32 s10, s11, s20
	s_wait_alu 0xfffe
	s_add_nc_u64 s[78:79], s[78:79], s[50:51]
	s_add_co_i32 s50, s8, s17
	v_mov_b32_e32 v4, s80
	s_wait_alu 0xfffe
	s_add_nc_u64 s[76:77], s[76:77], s[50:51]
	s_add_co_i32 s50, s10, s21
	v_mov_b32_e32 v6, s78
	s_wait_alu 0xfffe
	s_add_nc_u64 s[72:73], s[72:73], s[50:51]
	v_mov_b32_e32 v8, s76
	s_wait_alu 0xfffe
	v_dual_mov_b32 v10, s72 :: v_dual_mov_b32 v5, s81
	v_mov_b32_e32 v7, s79
	v_mov_b32_e32 v9, s77
	;; [unrolled: 1-line block ×3, first 2 shown]
	s_or_b32 s65, vcc_lo, s65
	s_wait_alu 0xfffe
	s_and_not1_b32 exec_lo, exec_lo, s65
	s_cbranch_execnz .LBB60_54
; %bb.55:                               ;   in Loop: Header=BB60_7 Depth=1
	s_or_b32 exec_lo, exec_lo, s65
.LBB60_56:                              ;   in Loop: Header=BB60_7 Depth=1
	s_wait_alu 0xfffe
	s_or_b32 exec_lo, exec_lo, s61
	v_add_co_u32 v28, s6, s68, v0
	s_wait_alu 0xf1ff
	v_add_co_ci_u32_e64 v29, null, s69, 0, s6
	s_mov_b32 s12, exec_lo
	v_cmpx_gt_i64_e64 s[36:37], v[28:29]
	s_cbranch_execz .LBB60_62
; %bb.57:                               ;   in Loop: Header=BB60_7 Depth=1
	v_mul_lo_u32 v2, v29, s42
	v_mul_lo_u32 v47, v28, s43
	v_mad_co_u64_u32 v[30:31], null, v28, s42, 0
	s_mul_u64 s[10:11], s[56:57], s[62:63]
	s_mov_b32 s13, 0
	v_add3_u32 v31, v31, v47, v2
	s_delay_alu instid0(VALU_DEP_1) | instskip(NEXT) | instid1(VALU_DEP_1)
	v_lshlrev_b64_e32 v[30:31], 1, v[30:31]
	v_add_co_u32 v30, vcc_lo, s48, v30
	s_wait_alu 0xfffd
	s_delay_alu instid0(VALU_DEP_2)
	v_add_co_ci_u32_e64 v31, null, s49, v31, vcc_lo
	v_add_co_u32 v2, vcc_lo, v40, s62
	global_load_u16 v47, v[30:31], off
	s_wait_alu 0xfffd
	v_add_co_ci_u32_e64 v30, null, 0, v41, vcc_lo
	v_sub_co_u32 v2, vcc_lo, v2, s66
	s_wait_alu 0xfffd
	s_delay_alu instid0(VALU_DEP_2) | instskip(NEXT) | instid1(VALU_DEP_2)
	v_subrev_co_ci_u32_e64 v30, null, s67, v30, vcc_lo
	v_mul_lo_u32 v49, s57, v2
	s_delay_alu instid0(VALU_DEP_2) | instskip(SKIP_1) | instid1(VALU_DEP_1)
	v_mul_lo_u32 v48, s56, v30
	v_mad_co_u64_u32 v[30:31], null, s56, v2, s[48:49]
	v_add3_u32 v31, v49, v31, v48
	s_branch .LBB60_59
.LBB60_58:                              ;   in Loop: Header=BB60_59 Depth=2
	s_wait_alu 0xfffe
	s_or_b32 exec_lo, exec_lo, s7
	s_wait_loadcnt 0x0
	v_cmp_lt_i16_e64 s6, -1, v47
	v_and_b32_e32 v48, 0xffff, v47
	s_and_b32 s7, exec_lo, vcc_lo
	s_wait_alu 0xfffe
	s_or_b32 s13, s7, s13
	v_cndmask_b32_e64 v49, 0xffff, v44, s6
	v_cmp_o_f16_e64 s6, v47, v47
	s_delay_alu instid0(VALU_DEP_2) | instskip(SKIP_1) | instid1(VALU_DEP_1)
	v_xor_b32_e32 v48, v49, v48
	s_wait_alu 0xf1ff
	v_cndmask_b32_e64 v47, 0xffff, v48, s6
	s_delay_alu instid0(VALU_DEP_1) | instskip(SKIP_1) | instid1(VALU_DEP_2)
	v_and_b32_e32 v48, v47, v45
	v_bfe_u32 v47, v47, s92, 2
	v_cmp_eq_u32_e32 vcc_lo, v48, v20
	s_delay_alu instid0(VALU_DEP_2)
	v_cmp_eq_u32_e64 s6, 0, v47
	v_cmp_eq_u32_e64 s7, 1, v47
	;; [unrolled: 1-line block ×4, first 2 shown]
	s_and_b32 s6, vcc_lo, s6
	s_wait_alu 0xfffe
	v_cndmask_b32_e64 v47, 0, 1, s6
	s_and_b32 s6, vcc_lo, s7
	s_wait_alu 0xfffe
	v_cndmask_b32_e64 v48, 0, 1, s6
	;; [unrolled: 3-line block ×3, first 2 shown]
	s_and_b32 s6, vcc_lo, s9
	v_cmp_ne_u32_e32 vcc_lo, 0, v47
	s_wait_alu 0xfffe
	v_cndmask_b32_e64 v50, 0, 1, s6
	v_cmp_ne_u32_e64 s6, 0, v48
	v_cmp_ne_u32_e64 s7, 0, v49
	v_mov_b32_e32 v47, v2
	s_bcnt1_i32_b32 s9, vcc_lo
	v_cmp_ne_u32_e64 s8, 0, v50
	s_bcnt1_i32_b32 s6, s6
	s_wait_alu 0xfffe
	v_add_co_u32 v4, vcc_lo, v4, s9
	s_bcnt1_i32_b32 s7, s7
	s_wait_alu 0xfffd
	v_add_co_ci_u32_e64 v5, null, 0, v5, vcc_lo
	v_add_co_u32 v6, vcc_lo, v6, s6
	s_wait_alu 0xfffd
	v_add_co_ci_u32_e64 v7, null, 0, v7, vcc_lo
	s_wait_alu 0xfffe
	v_add_co_u32 v8, vcc_lo, v8, s7
	s_bcnt1_i32_b32 s6, s8
	s_wait_alu 0xfffd
	v_add_co_ci_u32_e64 v9, null, 0, v9, vcc_lo
	s_wait_alu 0xfffe
	v_add_co_u32 v10, vcc_lo, v10, s6
	s_wait_alu 0xfffd
	v_add_co_ci_u32_e64 v11, null, 0, v11, vcc_lo
	v_add_co_u32 v30, vcc_lo, v30, s10
	s_wait_alu 0xfffd
	v_add_co_ci_u32_e64 v31, null, s11, v31, vcc_lo
	s_and_not1_b32 exec_lo, exec_lo, s13
	s_cbranch_execz .LBB60_61
.LBB60_59:                              ;   Parent Loop BB60_7 Depth=1
                                        ; =>  This Inner Loop Header: Depth=2
	v_add_co_u32 v28, vcc_lo, v28, s62
	s_wait_alu 0xfffd
	v_add_co_ci_u32_e64 v29, null, 0, v29, vcc_lo
	v_mov_b32_e32 v2, 0
	s_mov_b32 s7, exec_lo
	s_delay_alu instid0(VALU_DEP_2)
	v_cmp_le_i64_e32 vcc_lo, s[36:37], v[28:29]
	v_cmpx_gt_i64_e64 s[36:37], v[28:29]
	s_cbranch_execz .LBB60_58
; %bb.60:                               ;   in Loop: Header=BB60_59 Depth=2
	global_load_u16 v2, v[30:31], off
	s_branch .LBB60_58
.LBB60_61:                              ;   in Loop: Header=BB60_7 Depth=1
	s_or_b32 exec_lo, exec_lo, s13
.LBB60_62:                              ;   in Loop: Header=BB60_7 Depth=1
	s_wait_alu 0xfffe
	s_or_b32 exec_lo, exec_lo, s12
	s_branch .LBB60_41
.LBB60_63:                              ;   in Loop: Header=BB60_7 Depth=1
	global_load_u16 v2, v3, s[38:39]
	v_mov_b32_e32 v6, 0
	v_mov_b32_e32 v8, 0
	v_dual_mov_b32 v10, 0 :: v_dual_mov_b32 v9, 0
	v_mov_b32_e32 v11, 0
	s_mov_b32 s66, exec_lo
	v_mov_b32_e32 v7, 0
	s_wait_loadcnt 0x0
	v_readfirstlane_b32 s6, v2
	v_and_b32_e32 v2, 0xffff, v2
	s_and_b32 s61, 0xffff, s6
	s_wait_alu 0xfffe
	s_lshl_b32 s65, s61, 2
	s_wait_alu 0xfffe
	s_cvt_f32_u32 s6, s65
	s_sub_co_i32 s7, 0, s65
	s_wait_alu 0xfffe
	s_delay_alu instid0(SALU_CYCLE_1) | instskip(NEXT) | instid1(TRANS32_DEP_1)
	v_rcp_iflag_f32_e32 v4, s6
	v_readfirstlane_b32 s6, v4
	s_mul_f32 s6, s6, 0x4f7ffffe
	s_wait_alu 0xfffe
	s_delay_alu instid0(SALU_CYCLE_2) | instskip(SKIP_1) | instid1(SALU_CYCLE_2)
	s_cvt_u32_f32 s6, s6
	s_wait_alu 0xfffe
	s_mul_i32 s7, s7, s6
	s_wait_alu 0xfffe
	s_mul_hi_u32 s7, s6, s7
	s_wait_alu 0xfffe
	s_add_co_i32 s6, s6, s7
	s_wait_alu 0xfffe
	s_mul_hi_u32 s6, s60, s6
	s_wait_alu 0xfffe
	s_mul_i32 s7, s6, s65
	s_add_co_i32 s8, s6, 1
	s_wait_alu 0xfffe
	s_sub_co_i32 s7, s60, s7
	s_wait_alu 0xfffe
	s_sub_co_i32 s9, s7, s65
	s_cmp_ge_u32 s7, s65
	s_cselect_b32 s6, s8, s6
	s_wait_alu 0xfffe
	s_cselect_b32 s7, s9, s7
	s_add_co_i32 s8, s6, 1
	s_wait_alu 0xfffe
	s_cmp_ge_u32 s7, s65
	s_cselect_b32 s64, s8, s6
	s_wait_alu 0xfffe
	v_mul_hi_u32 v5, s64, v2
	v_mul_lo_u32 v4, s64, v2
	s_delay_alu instid0(VALU_DEP_1) | instskip(SKIP_2) | instid1(VALU_DEP_3)
	v_lshlrev_b64_e32 v[28:29], 2, v[4:5]
	v_mov_b32_e32 v4, 0
	v_mov_b32_e32 v5, 0
	v_cmpx_gt_u64_e64 v[28:29], v[14:15]
	s_cbranch_execz .LBB60_67
; %bb.64:                               ;   in Loop: Header=BB60_7 Depth=1
	v_mov_b32_e32 v31, v15
	v_dual_mov_b32 v47, v37 :: v_dual_mov_b32 v30, v14
	s_lshl_b32 s67, s61, 3
	s_mov_b64 s[20:21], 0
	s_mov_b32 s68, 0
	s_mov_b64 s[22:23], 0
	s_mov_b64 s[24:25], 0
	;; [unrolled: 1-line block ×3, first 2 shown]
.LBB60_65:                              ;   Parent Loop BB60_7 Depth=1
                                        ; =>  This Inner Loop Header: Depth=2
	ds_load_b64 v[4:5], v47
	v_add_co_u32 v30, vcc_lo, v30, s65
	s_wait_alu 0xfffd
	v_add_co_ci_u32_e64 v31, null, 0, v31, vcc_lo
	s_delay_alu instid0(VALU_DEP_1)
	v_cmp_ge_u64_e32 vcc_lo, v[30:31], v[28:29]
	s_wait_dscnt 0x0
	v_cmp_lt_i16_e64 s6, -1, v4
	v_lshrrev_b32_e32 v6, 16, v4
	v_lshrrev_b32_e32 v11, 16, v5
	v_and_b32_e32 v7, 0xffff, v4
	v_and_b32_e32 v9, 0xffff, v5
	s_wait_alu 0xf1ff
	v_cndmask_b32_e64 v8, 0xffff, v44, s6
	v_cmp_lt_i16_e64 s6, -1, v5
	v_cmp_lt_i16_e64 s7, -1, v11
	s_delay_alu instid0(VALU_DEP_3) | instskip(SKIP_1) | instid1(VALU_DEP_3)
	v_xor_b32_e32 v7, v8, v7
	s_wait_alu 0xf1ff
	v_cndmask_b32_e64 v10, 0xffff, v44, s6
	v_cmp_lt_i16_e64 s6, -1, v6
	s_delay_alu instid0(VALU_DEP_2) | instskip(SKIP_1) | instid1(VALU_DEP_2)
	v_xor_b32_e32 v9, v10, v9
	s_wait_alu 0xf1ff
	v_cndmask_b32_e64 v8, 0xffff, v44, s6
	v_cmp_o_f16_e64 s6, v5, v5
	v_cndmask_b32_e64 v5, 0xffff, v44, s7
	v_cmp_o_f16_e64 s7, v4, v4
	s_delay_alu instid0(VALU_DEP_2) | instskip(SKIP_1) | instid1(VALU_DEP_2)
	v_xor_b32_e32 v5, v5, v11
	s_wait_alu 0xf1ff
	v_cndmask_b32_e64 v4, 0xffff, v7, s7
	v_xor_b32_e32 v7, v8, v6
	v_cmp_o_f16_e64 s7, v6, v6
	v_cndmask_b32_e64 v8, 0xffff, v9, s6
	v_cmp_o_f16_e64 s6, v11, v11
	s_wait_alu 0xf1ff
	s_delay_alu instid0(VALU_DEP_3)
	v_cndmask_b32_e64 v6, 0xffff, v7, s7
	v_and_b32_e32 v7, v4, v45
	v_bfe_u32 v4, v4, s92, 2
	v_and_b32_e32 v9, v8, v45
	v_bfe_u32 v8, v8, s92, 2
	v_cndmask_b32_e64 v5, 0xffff, v5, s6
	v_cmp_eq_u32_e64 s6, v7, v20
	v_cmp_eq_u32_e64 s8, 0, v4
	v_and_b32_e32 v7, v6, v45
	v_cmp_eq_u32_e64 s7, v9, v20
	v_bfe_u32 v6, v6, s92, 2
	v_cmp_eq_u32_e64 s9, 0, v8
	v_cmp_eq_u32_e64 s10, 1, v4
	;; [unrolled: 1-line block ×3, first 2 shown]
	v_and_b32_e32 v9, v5, v45
	v_bfe_u32 v5, v5, s92, 2
	v_cmp_eq_u32_e64 s11, 1, v8
	v_cmp_eq_u32_e64 s13, 2, v8
	;; [unrolled: 1-line block ×3, first 2 shown]
	s_and_b32 s8, s6, s8
	v_cmp_eq_u32_e64 s15, 3, v8
	v_cmp_eq_u32_e64 s16, v7, v20
	;; [unrolled: 1-line block ×3, first 2 shown]
	s_wait_alu 0xfffe
	v_cndmask_b32_e64 v4, 0, 1, s8
	s_and_b32 s8, s7, s9
	s_and_b32 s10, s6, s10
	;; [unrolled: 1-line block ×3, first 2 shown]
	v_cmp_eq_u32_e64 s17, v9, v20
	v_cmp_eq_u32_e64 s19, 0, v5
	s_wait_alu 0xfffe
	v_cndmask_b32_e64 v7, 0, 1, s8
	v_cmp_eq_u32_e64 s8, 1, v6
	v_cndmask_b32_e64 v8, 0, 1, s10
	s_and_b32 s10, s7, s11
	v_cndmask_b32_e64 v10, 0, 1, s12
	s_and_b32 s12, s7, s13
	s_and_b32 s6, s6, s14
	v_cmp_eq_u32_e64 s9, 1, v5
	s_wait_alu 0xfffe
	v_cndmask_b32_e64 v9, 0, 1, s10
	v_cmp_eq_u32_e64 s10, 2, v6
	v_cmp_eq_u32_e64 s11, 2, v5
	v_cndmask_b32_e64 v11, 0, 1, s12
	v_cmp_eq_u32_e64 s12, 3, v6
	v_cmp_eq_u32_e64 s13, 3, v5
	v_cndmask_b32_e64 v5, 0, 1, s6
	s_and_b32 s6, s7, s15
	s_and_b32 s7, s16, s18
	s_wait_alu 0xfffe
	v_cndmask_b32_e64 v6, 0, 1, s6
	v_cmp_ne_u32_e64 s6, 0, v4
	v_cndmask_b32_e64 v4, 0, 1, s7
	s_and_b32 s14, s17, s19
	s_and_b32 s8, s16, s8
	v_cmp_ne_u32_e64 s7, 0, v7
	s_wait_alu 0xfffe
	v_cndmask_b32_e64 v7, 0, 1, s14
	v_cmp_ne_u32_e64 s14, 0, v8
	v_cndmask_b32_e64 v8, 0, 1, s8
	s_and_b32 s9, s17, s9
	s_and_b32 s10, s16, s10
	;; [unrolled: 1-line block ×4, first 2 shown]
	v_cmp_ne_u32_e64 s8, 0, v9
	s_wait_alu 0xfffe
	v_cndmask_b32_e64 v9, 0, 1, s9
	v_cmp_ne_u32_e64 s9, 0, v10
	v_cndmask_b32_e64 v10, 0, 1, s10
	v_cmp_ne_u32_e64 s10, 0, v11
	;; [unrolled: 2-line block ×3, first 2 shown]
	v_cndmask_b32_e64 v5, 0, 1, s12
	s_and_b32 s13, s17, s13
	s_bcnt1_i32_b32 s15, s6
	v_cmp_ne_u32_e64 s6, 0, v4
	v_cmp_ne_u32_e64 s12, 0, v6
	s_wait_alu 0xfffe
	v_cndmask_b32_e64 v6, 0, 1, s13
	v_cmp_ne_u32_e64 s13, 0, v8
	s_bcnt1_i32_b32 s16, s7
	v_cmp_ne_u32_e64 s7, 0, v7
	s_bcnt1_i32_b32 s18, s9
	;; [unrolled: 2-line block ×4, first 2 shown]
	s_bcnt1_i32_b32 s17, s8
	v_cmp_ne_u32_e64 s8, 0, v9
	s_bcnt1_i32_b32 s14, s14
	s_bcnt1_i32_b32 s13, s13
	s_wait_alu 0xfffe
	s_add_co_i32 s6, s6, s15
	s_bcnt1_i32_b32 s19, s10
	v_cmp_ne_u32_e64 s10, 0, v11
	s_bcnt1_i32_b32 s7, s7
	s_bcnt1_i32_b32 s9, s9
	;; [unrolled: 1-line block ×3, first 2 shown]
	s_add_co_i32 s13, s13, s14
	s_wait_alu 0xfffe
	s_add_co_i32 s6, s6, s16
	s_bcnt1_i32_b32 s69, s12
	v_cmp_ne_u32_e64 s12, 0, v6
	s_bcnt1_i32_b32 s8, s8
	s_add_co_i32 s9, s9, s18
	s_add_co_i32 s11, s11, s50
	;; [unrolled: 1-line block ×3, first 2 shown]
	s_wait_alu 0xfffe
	s_add_co_i32 s50, s6, s7
	s_bcnt1_i32_b32 s10, s10
	s_add_co_i32 s9, s9, s19
	s_wait_alu 0xfffe
	s_add_nc_u64 s[62:63], s[62:63], s[50:51]
	s_add_co_i32 s50, s13, s8
	s_bcnt1_i32_b32 s12, s12
	s_add_co_i32 s11, s11, s69
	s_wait_alu 0xfffe
	s_add_nc_u64 s[24:25], s[24:25], s[50:51]
	s_add_co_i32 s50, s9, s10
	v_dual_mov_b32 v4, s62 :: v_dual_add_nc_u32 v47, s67, v47
	s_wait_alu 0xfffe
	s_add_nc_u64 s[22:23], s[22:23], s[50:51]
	s_add_co_i32 s50, s11, s12
	v_mov_b32_e32 v6, s24
	s_wait_alu 0xfffe
	s_add_nc_u64 s[20:21], s[20:21], s[50:51]
	v_mov_b32_e32 v8, s22
	s_wait_alu 0xfffe
	v_dual_mov_b32 v10, s20 :: v_dual_mov_b32 v5, s63
	v_mov_b32_e32 v7, s25
	v_mov_b32_e32 v9, s23
	;; [unrolled: 1-line block ×3, first 2 shown]
	s_or_b32 s68, vcc_lo, s68
	s_wait_alu 0xfffe
	s_and_not1_b32 exec_lo, exec_lo, s68
	s_cbranch_execnz .LBB60_65
; %bb.66:                               ;   in Loop: Header=BB60_7 Depth=1
	s_or_b32 exec_lo, exec_lo, s68
.LBB60_67:                              ;   in Loop: Header=BB60_7 Depth=1
	s_delay_alu instid0(SALU_CYCLE_1)
	s_or_b32 exec_lo, exec_lo, s66
	v_add_co_u32 v28, vcc_lo, v28, v0
	s_wait_alu 0xfffd
	v_add_co_ci_u32_e64 v29, null, 0, v29, vcc_lo
	s_and_b32 s50, s60, 0x7fffffff
	s_mov_b32 s11, exec_lo
	s_wait_alu 0xfffe
	v_cmpx_gt_u64_e64 s[50:51], v[28:29]
	s_cbranch_execz .LBB60_71
; %bb.68:                               ;   in Loop: Header=BB60_7 Depth=1
	s_mul_i32 s64, s64, s61
	s_lshl_b32 s13, s61, 1
	s_wait_alu 0xfffe
	v_lshl_add_u32 v30, s64, 3, v33
	s_mov_b32 s12, 0
.LBB60_69:                              ;   Parent Loop BB60_7 Depth=1
                                        ; =>  This Inner Loop Header: Depth=2
	ds_load_u16 v31, v30
	v_add_co_u32 v28, vcc_lo, v28, v2
	s_wait_alu 0xfffd
	v_add_co_ci_u32_e64 v29, null, 0, v29, vcc_lo
	v_add_nc_u32_e32 v30, s13, v30
	s_delay_alu instid0(VALU_DEP_2) | instskip(SKIP_4) | instid1(VALU_DEP_2)
	v_cmp_le_u64_e32 vcc_lo, s[50:51], v[28:29]
	s_wait_dscnt 0x0
	v_cmp_lt_i16_e64 s6, -1, v31
	v_and_b32_e32 v47, 0xffff, v31
	s_wait_alu 0xf1ff
	v_cndmask_b32_e64 v48, 0xffff, v44, s6
	v_cmp_o_f16_e64 s6, v31, v31
	s_delay_alu instid0(VALU_DEP_2) | instskip(SKIP_1) | instid1(VALU_DEP_1)
	v_xor_b32_e32 v47, v48, v47
	s_wait_alu 0xf1ff
	v_cndmask_b32_e64 v31, 0xffff, v47, s6
	s_delay_alu instid0(VALU_DEP_1) | instskip(SKIP_1) | instid1(VALU_DEP_2)
	v_and_b32_e32 v47, v31, v45
	v_bfe_u32 v31, v31, s92, 2
	v_cmp_eq_u32_e64 s6, v47, v20
	s_delay_alu instid0(VALU_DEP_2)
	v_cmp_eq_u32_e64 s7, 0, v31
	v_cmp_eq_u32_e64 s8, 1, v31
	;; [unrolled: 1-line block ×4, first 2 shown]
	s_and_b32 s7, s6, s7
	s_wait_alu 0xfffe
	v_cndmask_b32_e64 v31, 0, 1, s7
	s_and_b32 s7, s6, s8
	s_wait_alu 0xfffe
	v_cndmask_b32_e64 v47, 0, 1, s7
	s_and_b32 s7, s6, s9
	s_and_b32 s6, s6, s10
	s_wait_alu 0xfffe
	v_cndmask_b32_e64 v48, 0, 1, s7
	v_cndmask_b32_e64 v49, 0, 1, s6
	v_cmp_ne_u32_e64 s6, 0, v31
	v_cmp_ne_u32_e64 s7, 0, v47
	s_delay_alu instid0(VALU_DEP_4) | instskip(NEXT) | instid1(VALU_DEP_4)
	v_cmp_ne_u32_e64 s8, 0, v48
	v_cmp_ne_u32_e64 s9, 0, v49
	s_bcnt1_i32_b32 s6, s6
	s_bcnt1_i32_b32 s7, s7
	s_wait_alu 0xfffe
	v_add_co_u32 v4, s6, v4, s6
	s_bcnt1_i32_b32 s8, s8
	v_add_co_ci_u32_e64 v5, null, 0, v5, s6
	v_add_co_u32 v6, s6, v6, s7
	s_bcnt1_i32_b32 s9, s9
	v_add_co_ci_u32_e64 v7, null, 0, v7, s6
	s_wait_alu 0xfffe
	v_add_co_u32 v8, s6, v8, s8
	s_wait_alu 0xf1ff
	v_add_co_ci_u32_e64 v9, null, 0, v9, s6
	v_add_co_u32 v10, s6, v10, s9
	s_wait_alu 0xf1ff
	v_add_co_ci_u32_e64 v11, null, 0, v11, s6
	s_or_b32 s12, vcc_lo, s12
	s_wait_alu 0xfffe
	s_and_not1_b32 exec_lo, exec_lo, s12
	s_cbranch_execnz .LBB60_69
; %bb.70:                               ;   in Loop: Header=BB60_7 Depth=1
	s_or_b32 exec_lo, exec_lo, s12
.LBB60_71:                              ;   in Loop: Header=BB60_7 Depth=1
	s_delay_alu instid0(SALU_CYCLE_1)
	s_or_b32 exec_lo, exec_lo, s11
	s_lshl_b32 s6, s94, 7
	s_and_saveexec_b32 s7, s1
	s_cbranch_execnz .LBB60_42
	s_branch .LBB60_43
.LBB60_72:                              ;   in Loop: Header=BB60_7 Depth=1
                                        ; implicit-def: $sgpr66_sgpr67
	s_branch .LBB60_51
.LBB60_73:                              ;   in Loop: Header=BB60_7 Depth=1
	s_or_b32 exec_lo, exec_lo, s9
	s_wait_dscnt 0x0
	s_barrier_signal -1
	s_barrier_wait -1
	global_inv scope:SCOPE_SE
	s_and_saveexec_b32 s6, s2
	s_cbranch_execz .LBB60_75
; %bb.74:                               ;   in Loop: Header=BB60_7 Depth=1
	ds_load_b32 v4, v3 offset:5136
	s_wait_dscnt 0x0
	v_ashrrev_i32_e32 v5, 31, v4
	ds_store_b64 v3, v[4:5] offset:5120
.LBB60_75:                              ;   in Loop: Header=BB60_7 Depth=1
	s_wait_alu 0xfffe
	s_or_b32 exec_lo, exec_lo, s6
	s_wait_loadcnt_dscnt 0x0
	s_barrier_signal -1
	s_mov_b32 s6, -1
	s_barrier_wait -1
	s_and_b32 vcc_lo, exec_lo, s8
	s_wait_alu 0xfffe
	s_cbranch_vccnz .LBB60_22
	s_branch .LBB60_37
.LBB60_76:                              ;   in Loop: Header=BB60_7 Depth=1
	s_mov_b32 s8, 0
	s_and_not1_b32 vcc_lo, exec_lo, s89
	s_wait_alu 0xfffe
	s_cbranch_vccnz .LBB60_79
.LBB60_77:                              ;   in Loop: Header=BB60_7 Depth=1
	s_lshl_b32 s9, s94, 10
	s_lshl_b32 s8, s8, 5
	s_wait_alu 0xfffe
	v_add3_u32 v2, s9, s8, v42
	s_mov_b32 s8, s85
.LBB60_78:                              ;   Parent Loop BB60_7 Depth=1
                                        ; =>  This Inner Loop Header: Depth=2
	ds_load_b64 v[6:7], v2
	v_add_nc_u32_e32 v2, 32, v2
	s_wait_alu 0xfffe
	s_add_co_i32 s8, s8, -1
	s_wait_alu 0xfffe
	s_cmp_lg_u32 s8, 0
	s_wait_dscnt 0x0
	v_add_co_u32 v4, vcc_lo, v6, v4
	s_wait_alu 0xfffd
	v_add_co_ci_u32_e64 v5, null, v7, v5, vcc_lo
	s_cbranch_scc1 .LBB60_78
.LBB60_79:                              ;   in Loop: Header=BB60_7 Depth=1
	v_add_lshl_u32 v2, s6, v32, 3
	ds_store_b64 v2, v[4:5] offset:3072
.LBB60_80:                              ;   in Loop: Header=BB60_7 Depth=1
	s_wait_alu 0xfffe
	s_or_b32 exec_lo, exec_lo, s7
	s_lshl_b32 s6, s6, 3
	s_wait_loadcnt_dscnt 0x0
	s_wait_alu 0xfffe
	v_mov_b32_e32 v2, s6
	s_barrier_signal -1
	s_barrier_wait -1
	global_inv scope:SCOPE_SE
	v_cmp_eq_u64_e32 vcc_lo, 1, v[26:27]
	ds_load_b128 v[4:7], v2 offset:3072
	ds_load_b128 v[8:11], v2 offset:3088
	s_lshl_b32 s16, 3, s92
	s_mov_b32 s18, -1
	s_wait_alu 0xfffe
	s_not_b32 s20, s16
                                        ; implicit-def: $sgpr22
                                        ; implicit-def: $sgpr21
	s_wait_dscnt 0x1
	v_cmp_eq_u64_e64 s6, 1, v[4:5]
	s_wait_dscnt 0x0
	v_readfirstlane_b32 s10, v8
	v_readfirstlane_b32 s11, v9
	v_readfirstlane_b32 s8, v10
	v_readfirstlane_b32 s9, v11
	s_and_b32 s19, s6, vcc_lo
	s_mov_b32 s6, -1
	s_and_saveexec_b32 s17, s19
	s_cbranch_execz .LBB60_114
; %bb.81:                               ;   in Loop: Header=BB60_7 Depth=1
	ds_load_b64 v[8:9], v3 offset:5120
	s_wait_loadcnt_dscnt 0x0
	s_barrier_signal -1
	s_barrier_wait -1
	global_inv scope:SCOPE_SE
	v_readfirstlane_b32 s12, v8
	v_readfirstlane_b32 s13, v9
	s_and_saveexec_b32 s6, s3
; %bb.82:                               ;   in Loop: Header=BB60_7 Depth=1
	ds_store_b16 v34, v3
; %bb.83:                               ;   in Loop: Header=BB60_7 Depth=1
	s_wait_alu 0xfffe
	s_or_b32 exec_lo, exec_lo, s6
	v_cmp_lt_i64_e64 s6, s[12:13], 1
	v_and_b32_e32 v20, s20, v20
	v_or_b32_e32 v45, s16, v45
	s_mov_b32 s21, -1
	s_mov_b32 s22, 0
	s_mov_b32 s23, 0
	s_and_b32 vcc_lo, exec_lo, s6
	s_mov_b32 s7, -1
	s_wait_loadcnt_dscnt 0x0
	s_barrier_signal -1
	s_barrier_wait -1
	global_inv scope:SCOPE_SE
                                        ; implicit-def: $vgpr46
	s_wait_alu 0xfffe
	s_cbranch_vccz .LBB60_98
; %bb.84:                               ;   in Loop: Header=BB60_7 Depth=1
	s_mov_b32 s6, s51
	s_mov_b32 s7, s55
	s_wait_alu 0xfffe
	s_cmp_lg_u64 s[6:7], 0
	s_cbranch_scc0 .LBB60_141
; %bb.85:                               ;   in Loop: Header=BB60_7 Depth=1
	s_add_nc_u64 s[6:7], s[44:45], 0
	s_wait_alu 0xfffe
	s_xor_b64 s[6:7], s[6:7], 0
	s_wait_alu 0xfffe
	s_cvt_f32_u32 s14, s6
	s_cvt_f32_u32 s15, s7
	s_sub_nc_u64 s[24:25], 0, s[6:7]
	s_wait_alu 0xfffe
	s_delay_alu instid0(SALU_CYCLE_1) | instskip(SKIP_1) | instid1(SALU_CYCLE_2)
	s_fmamk_f32 s14, s15, 0x4f800000, s14
	s_wait_alu 0xfffe
	v_s_rcp_f32 s14, s14
	s_delay_alu instid0(TRANS32_DEP_1) | instskip(SKIP_1) | instid1(SALU_CYCLE_2)
	s_mul_f32 s14, s14, 0x5f7ffffc
	s_wait_alu 0xfffe
	s_mul_f32 s15, s14, 0x2f800000
	s_wait_alu 0xfffe
	s_delay_alu instid0(SALU_CYCLE_2) | instskip(SKIP_1) | instid1(SALU_CYCLE_2)
	s_trunc_f32 s15, s15
	s_wait_alu 0xfffe
	s_fmamk_f32 s14, s15, 0xcf800000, s14
	s_cvt_u32_f32 s15, s15
	s_wait_alu 0xfffe
	s_delay_alu instid0(SALU_CYCLE_1) | instskip(SKIP_1) | instid1(SALU_CYCLE_2)
	s_cvt_u32_f32 s14, s14
	s_wait_alu 0xfffe
	s_mul_u64 s[60:61], s[24:25], s[14:15]
	s_wait_alu 0xfffe
	s_mul_hi_u32 s63, s14, s61
	s_mul_i32 s62, s14, s61
	s_mul_hi_u32 s50, s14, s60
	s_mul_i32 s64, s15, s60
	s_wait_alu 0xfffe
	s_add_nc_u64 s[62:63], s[50:51], s[62:63]
	s_mul_hi_u32 s23, s15, s60
	s_mul_hi_u32 s65, s15, s61
	s_wait_alu 0xfffe
	s_add_co_u32 s50, s62, s64
	s_add_co_ci_u32 s50, s63, s23
	s_mul_i32 s60, s15, s61
	s_add_co_ci_u32 s61, s65, 0
	s_wait_alu 0xfffe
	s_add_nc_u64 s[60:61], s[50:51], s[60:61]
	s_wait_alu 0xfffe
	s_add_co_u32 s14, s14, s60
	s_cselect_b32 s23, -1, 0
	s_wait_alu 0xfffe
	s_cmp_lg_u32 s23, 0
	s_add_co_ci_u32 s15, s15, s61
	s_wait_alu 0xfffe
	s_mul_u64 s[24:25], s[24:25], s[14:15]
	s_wait_alu 0xfffe
	s_mul_hi_u32 s61, s14, s25
	s_mul_i32 s60, s14, s25
	s_mul_hi_u32 s50, s14, s24
	s_mul_i32 s62, s15, s24
	s_wait_alu 0xfffe
	s_add_nc_u64 s[60:61], s[50:51], s[60:61]
	s_mul_hi_u32 s23, s15, s24
	s_mul_hi_u32 s63, s15, s25
	s_mul_i32 s24, s15, s25
	s_wait_alu 0xfffe
	s_add_co_u32 s25, s60, s62
	s_add_co_ci_u32 s50, s61, s23
	s_add_co_ci_u32 s25, s63, 0
	s_wait_alu 0xfffe
	s_add_nc_u64 s[24:25], s[50:51], s[24:25]
	s_wait_alu 0xfffe
	s_add_co_u32 s23, s14, s24
	s_cselect_b32 s14, -1, 0
	s_wait_alu 0xfffe
	s_cmp_lg_u32 s14, 0
	s_add_co_ci_u32 s62, s15, s25
	s_ashr_i32 s14, s55, 31
	s_wait_alu 0xfffe
	s_mov_b32 s15, s14
	s_wait_alu 0xfffe
	s_add_nc_u64 s[24:25], s[54:55], s[14:15]
	s_wait_alu 0xfffe
	s_xor_b64 s[24:25], s[24:25], s[14:15]
	s_wait_alu 0xfffe
	s_mul_hi_u32 s61, s24, s62
	s_mul_i32 s60, s24, s62
	s_mul_hi_u32 s50, s24, s23
	s_mul_hi_u32 s64, s25, s23
	s_mul_i32 s23, s25, s23
	s_wait_alu 0xfffe
	s_add_nc_u64 s[60:61], s[50:51], s[60:61]
	s_mul_hi_u32 s63, s25, s62
	s_wait_alu 0xfffe
	s_add_co_u32 s23, s60, s23
	s_add_co_ci_u32 s50, s61, s64
	s_mul_i32 s62, s25, s62
	s_add_co_ci_u32 s63, s63, 0
	s_wait_alu 0xfffe
	s_add_nc_u64 s[60:61], s[50:51], s[62:63]
	s_wait_alu 0xfffe
	s_mul_u64 s[60:61], s[6:7], s[60:61]
	s_wait_alu 0xfffe
	s_sub_co_u32 s23, s24, s60
	s_cselect_b32 s24, -1, 0
	s_sub_co_i32 s50, s25, s61
	s_wait_alu 0xfffe
	s_cmp_lg_u32 s24, 0
	s_sub_co_ci_u32 s50, s50, s7
	s_sub_co_u32 s60, s23, s6
	s_cselect_b32 s62, -1, 0
	s_wait_alu 0xfffe
	s_cmp_lg_u32 s62, 0
	s_sub_co_ci_u32 s63, s50, 0
	s_wait_alu 0xfffe
	s_cmp_ge_u32 s63, s7
	s_cselect_b32 s64, -1, 0
	s_cmp_ge_u32 s60, s6
	s_cselect_b32 s65, -1, 0
	s_cmp_eq_u32 s63, s7
	s_wait_alu 0xfffe
	s_cselect_b32 s64, s65, s64
	s_cmp_lg_u32 s62, 0
	s_sub_co_ci_u32 s50, s50, s7
	s_sub_co_u32 s62, s60, s6
	s_cselect_b32 s65, -1, 0
	s_wait_alu 0xfffe
	s_cmp_lg_u32 s65, 0
	s_sub_co_ci_u32 s50, s50, 0
	s_cmp_lg_u32 s64, 0
	s_cselect_b32 s60, s62, s60
	s_wait_alu 0xfffe
	s_cselect_b32 s50, s50, s63
	s_cmp_lg_u32 s24, 0
	s_sub_co_ci_u32 s24, s25, s61
	s_wait_alu 0xfffe
	s_cmp_ge_u32 s24, s7
	s_cselect_b32 s25, -1, 0
	s_cmp_ge_u32 s23, s6
	s_cselect_b32 s6, -1, 0
	s_cmp_eq_u32 s24, s7
	s_wait_alu 0xfffe
	s_cselect_b32 s6, s6, s25
	s_wait_alu 0xfffe
	s_cmp_lg_u32 s6, 0
	s_cselect_b32 s7, s50, s24
	s_cselect_b32 s6, s60, s23
	s_wait_alu 0xfffe
	s_xor_b64 s[6:7], s[6:7], s[14:15]
	s_wait_alu 0xfffe
	s_sub_nc_u64 s[6:7], s[6:7], s[14:15]
	s_cbranch_execnz .LBB60_87
.LBB60_86:                              ;   in Loop: Header=BB60_7 Depth=1
	v_cvt_f32_u32_e32 v2, s44
	s_sub_co_i32 s7, 0, s44
	s_delay_alu instid0(VALU_DEP_1) | instskip(NEXT) | instid1(TRANS32_DEP_1)
	v_rcp_iflag_f32_e32 v2, v2
	v_mul_f32_e32 v2, 0x4f7ffffe, v2
	s_delay_alu instid0(VALU_DEP_1) | instskip(NEXT) | instid1(VALU_DEP_1)
	v_cvt_u32_f32_e32 v2, v2
	v_readfirstlane_b32 s6, v2
	s_wait_alu 0xfffe
	s_mul_i32 s7, s7, s6
	s_wait_alu 0xfffe
	s_mul_hi_u32 s7, s6, s7
	s_wait_alu 0xfffe
	s_add_co_i32 s6, s6, s7
	s_wait_alu 0xfffe
	s_mul_hi_u32 s6, s54, s6
	s_wait_alu 0xfffe
	s_mul_i32 s6, s6, s44
	s_wait_alu 0xfffe
	s_sub_co_i32 s6, s54, s6
	s_wait_alu 0xfffe
	s_sub_co_i32 s7, s6, s44
	s_cmp_ge_u32 s6, s44
	s_wait_alu 0xfffe
	s_cselect_b32 s6, s7, s6
	s_wait_alu 0xfffe
	s_sub_co_i32 s7, s6, s44
	s_cmp_ge_u32 s6, s44
	s_wait_alu 0xfffe
	s_cselect_b32 s50, s7, s6
	s_wait_alu 0xfffe
	s_mov_b64 s[6:7], s[50:51]
.LBB60_87:                              ;   in Loop: Header=BB60_7 Depth=1
	s_wait_alu 0xfffe
	s_sub_nc_u64 s[14:15], s[54:55], s[6:7]
	s_mov_b32 s7, 0
	s_mov_b32 s23, 0
	s_mov_b32 s24, exec_lo
                                        ; implicit-def: $vgpr46
	s_wait_alu 0xfffe
	v_cmpx_gt_i64_e64 s[14:15], v[0:1]
	s_cbranch_execz .LBB60_97
; %bb.88:                               ;   in Loop: Header=BB60_7 Depth=1
	v_dual_mov_b32 v8, v12 :: v_dual_mov_b32 v9, v13
	v_dual_mov_b32 v11, v1 :: v_dual_mov_b32 v10, v0
                                        ; implicit-def: $sgpr25
	s_branch .LBB60_92
.LBB60_89:                              ;   in Loop: Header=BB60_92 Depth=2
	s_wait_alu 0xfffe
	s_or_b32 exec_lo, exec_lo, s6
	s_wait_loadcnt_dscnt 0x0
	s_barrier_signal -1
	s_barrier_wait -1
	global_inv scope:SCOPE_SE
	ds_load_b32 v2, v3 offset:3072
	s_wait_loadcnt_dscnt 0x0
	s_barrier_signal -1
	s_barrier_wait -1
	global_inv scope:SCOPE_SE
	v_cmp_neq_f16_e32 vcc_lo, 0, v2
	s_cbranch_vccnz .LBB60_95
; %bb.90:                               ;   in Loop: Header=BB60_92 Depth=2
	v_add_co_u32 v10, vcc_lo, v10, s44
	s_wait_alu 0xfffd
	v_add_co_ci_u32_e64 v11, null, 0, v11, vcc_lo
	v_add_co_u32 v8, s6, v8, s46
	s_wait_alu 0xf1ff
	v_add_co_ci_u32_e64 v9, null, s47, v9, s6
	s_delay_alu instid0(VALU_DEP_3)
	v_cmp_le_i64_e32 vcc_lo, s[14:15], v[10:11]
	s_mov_b32 s6, 0
	s_or_not1_b32 s50, vcc_lo, exec_lo
.LBB60_91:                              ;   in Loop: Header=BB60_92 Depth=2
	s_wait_alu 0xfffe
	s_and_b32 s50, exec_lo, s50
	s_wait_alu 0xfffe
	s_or_b32 s23, s50, s23
	s_and_not1_b32 s25, s25, exec_lo
	s_and_b32 s6, s6, exec_lo
	s_wait_alu 0xfffe
	s_or_b32 s25, s25, s6
	s_and_not1_b32 exec_lo, exec_lo, s23
	s_cbranch_execz .LBB60_96
.LBB60_92:                              ;   Parent Loop BB60_7 Depth=1
                                        ; =>  This Inner Loop Header: Depth=2
	s_mov_b32 s6, exec_lo
	s_delay_alu instid0(VALU_DEP_1)
	v_cmpx_gt_i64_e64 s[36:37], v[10:11]
	s_cbranch_execz .LBB60_89
; %bb.93:                               ;   in Loop: Header=BB60_92 Depth=2
	global_load_u16 v2, v[8:9], off
	s_wait_loadcnt 0x0
	v_cmp_lt_i16_e32 vcc_lo, -1, v2
	s_wait_alu 0xfffd
	v_dual_cndmask_b32 v29, 0xffff, v44 :: v_dual_and_b32 v28, 0xffff, v2
	v_cmp_o_f16_e32 vcc_lo, v2, v2
	s_delay_alu instid0(VALU_DEP_2) | instskip(SKIP_1) | instid1(VALU_DEP_1)
	v_xor_b32_e32 v28, v29, v28
	s_wait_alu 0xfffd
	v_cndmask_b32_e32 v28, 0xffff, v28, vcc_lo
	s_delay_alu instid0(VALU_DEP_1) | instskip(NEXT) | instid1(VALU_DEP_1)
	v_and_b32_e32 v28, v28, v45
	v_cmp_eq_u32_e32 vcc_lo, v28, v20
	s_and_b32 exec_lo, exec_lo, vcc_lo
	s_cbranch_execz .LBB60_89
; %bb.94:                               ;   in Loop: Header=BB60_92 Depth=2
	v_perm_b32 v2, v2, s91, 0x5040100
	ds_store_b32 v3, v2 offset:3072
	s_branch .LBB60_89
.LBB60_95:                              ;   in Loop: Header=BB60_92 Depth=2
	s_mov_b32 s50, -1
	s_mov_b32 s6, -1
                                        ; implicit-def: $vgpr10_vgpr11
                                        ; implicit-def: $vgpr8_vgpr9
	s_branch .LBB60_91
.LBB60_96:                              ;   in Loop: Header=BB60_7 Depth=1
	s_or_b32 exec_lo, exec_lo, s23
	v_lshrrev_b32_e32 v46, 16, v2
	s_wait_alu 0xfffe
	s_and_b32 s23, s25, exec_lo
.LBB60_97:                              ;   in Loop: Header=BB60_7 Depth=1
	s_or_b32 exec_lo, exec_lo, s24
.LBB60_98:                              ;   in Loop: Header=BB60_7 Depth=1
	s_delay_alu instid0(SALU_CYCLE_1)
	s_and_b32 vcc_lo, exec_lo, s7
	s_wait_alu 0xfffe
	s_cbranch_vccz .LBB60_113
; %bb.99:                               ;   in Loop: Header=BB60_7 Depth=1
	s_add_nc_u64 s[6:7], s[12:13], s[52:53]
	s_mov_b32 s14, s51
	s_wait_alu 0xfffe
	s_mov_b32 s15, s7
	s_wait_alu 0xfffe
	s_cmp_lg_u64 s[14:15], 0
	s_cbranch_scc0 .LBB60_142
; %bb.100:                              ;   in Loop: Header=BB60_7 Depth=1
	s_add_nc_u64 s[14:15], s[44:45], 0
	s_wait_alu 0xfffe
	s_xor_b64 s[14:15], s[14:15], 0
	s_wait_alu 0xfffe
	s_cvt_f32_u32 s21, s14
	s_cvt_f32_u32 s22, s15
	s_sub_nc_u64 s[60:61], 0, s[14:15]
	s_wait_alu 0xfffe
	s_delay_alu instid0(SALU_CYCLE_1) | instskip(SKIP_1) | instid1(SALU_CYCLE_2)
	s_fmamk_f32 s21, s22, 0x4f800000, s21
	s_wait_alu 0xfffe
	v_s_rcp_f32 s21, s21
	s_delay_alu instid0(TRANS32_DEP_1) | instskip(SKIP_1) | instid1(SALU_CYCLE_2)
	s_mul_f32 s21, s21, 0x5f7ffffc
	s_wait_alu 0xfffe
	s_mul_f32 s22, s21, 0x2f800000
	s_wait_alu 0xfffe
	s_delay_alu instid0(SALU_CYCLE_2) | instskip(SKIP_1) | instid1(SALU_CYCLE_2)
	s_trunc_f32 s22, s22
	s_wait_alu 0xfffe
	s_fmamk_f32 s21, s22, 0xcf800000, s21
	s_cvt_u32_f32 s25, s22
	s_wait_alu 0xfffe
	s_delay_alu instid0(SALU_CYCLE_1) | instskip(SKIP_1) | instid1(SALU_CYCLE_2)
	s_cvt_u32_f32 s24, s21
	s_wait_alu 0xfffe
	s_mul_u64 s[62:63], s[60:61], s[24:25]
	s_wait_alu 0xfffe
	s_mul_hi_u32 s65, s24, s63
	s_mul_i32 s64, s24, s63
	s_mul_hi_u32 s50, s24, s62
	s_mul_i32 s22, s25, s62
	s_wait_alu 0xfffe
	s_add_nc_u64 s[64:65], s[50:51], s[64:65]
	s_mul_hi_u32 s21, s25, s62
	s_mul_hi_u32 s66, s25, s63
	s_wait_alu 0xfffe
	s_add_co_u32 s22, s64, s22
	s_add_co_ci_u32 s50, s65, s21
	s_mul_i32 s62, s25, s63
	s_add_co_ci_u32 s63, s66, 0
	s_wait_alu 0xfffe
	s_add_nc_u64 s[62:63], s[50:51], s[62:63]
	s_wait_alu 0xfffe
	s_add_co_u32 s24, s24, s62
	s_cselect_b32 s21, -1, 0
	s_wait_alu 0xfffe
	s_cmp_lg_u32 s21, 0
	s_add_co_ci_u32 s25, s25, s63
	s_wait_alu 0xfffe
	s_mul_u64 s[60:61], s[60:61], s[24:25]
	s_wait_alu 0xfffe
	s_mul_hi_u32 s63, s24, s61
	s_mul_i32 s62, s24, s61
	s_mul_hi_u32 s50, s24, s60
	s_mul_i32 s22, s25, s60
	s_wait_alu 0xfffe
	s_add_nc_u64 s[62:63], s[50:51], s[62:63]
	s_mul_hi_u32 s21, s25, s60
	s_mul_hi_u32 s64, s25, s61
	s_wait_alu 0xfffe
	s_add_co_u32 s22, s62, s22
	s_add_co_ci_u32 s50, s63, s21
	s_mul_i32 s60, s25, s61
	s_add_co_ci_u32 s61, s64, 0
	s_wait_alu 0xfffe
	s_add_nc_u64 s[60:61], s[50:51], s[60:61]
	s_wait_alu 0xfffe
	s_add_co_u32 s21, s24, s60
	s_cselect_b32 s22, -1, 0
	s_wait_alu 0xfffe
	s_cmp_lg_u32 s22, 0
	s_add_co_ci_u32 s22, s25, s61
	s_ashr_i32 s24, s7, 31
	s_wait_alu 0xfffe
	s_mov_b32 s25, s24
	s_wait_alu 0xfffe
	s_add_nc_u64 s[60:61], s[6:7], s[24:25]
	s_wait_alu 0xfffe
	s_xor_b64 s[60:61], s[60:61], s[24:25]
	s_wait_alu 0xfffe
	s_mul_hi_u32 s63, s60, s22
	s_mul_i32 s62, s60, s22
	s_mul_hi_u32 s50, s60, s21
	s_mul_hi_u32 s66, s61, s21
	s_mul_i32 s21, s61, s21
	s_wait_alu 0xfffe
	s_add_nc_u64 s[62:63], s[50:51], s[62:63]
	s_mul_hi_u32 s65, s61, s22
	s_wait_alu 0xfffe
	s_add_co_u32 s21, s62, s21
	s_add_co_ci_u32 s50, s63, s66
	s_mul_i32 s64, s61, s22
	s_add_co_ci_u32 s65, s65, 0
	s_wait_alu 0xfffe
	s_add_nc_u64 s[62:63], s[50:51], s[64:65]
	s_wait_alu 0xfffe
	s_mul_u64 s[62:63], s[14:15], s[62:63]
	s_wait_alu 0xfffe
	s_sub_co_u32 s21, s60, s62
	s_cselect_b32 s22, -1, 0
	s_sub_co_i32 s50, s61, s63
	s_wait_alu 0xfffe
	s_cmp_lg_u32 s22, 0
	s_sub_co_ci_u32 s50, s50, s15
	s_sub_co_u32 s60, s21, s14
	s_cselect_b32 s62, -1, 0
	s_wait_alu 0xfffe
	s_cmp_lg_u32 s62, 0
	s_sub_co_ci_u32 s64, s50, 0
	s_wait_alu 0xfffe
	s_cmp_ge_u32 s64, s15
	s_cselect_b32 s65, -1, 0
	s_cmp_ge_u32 s60, s14
	s_cselect_b32 s66, -1, 0
	s_cmp_eq_u32 s64, s15
	s_wait_alu 0xfffe
	s_cselect_b32 s65, s66, s65
	s_cmp_lg_u32 s62, 0
	s_sub_co_ci_u32 s50, s50, s15
	s_sub_co_u32 s62, s60, s14
	s_cselect_b32 s66, -1, 0
	s_wait_alu 0xfffe
	s_cmp_lg_u32 s66, 0
	s_sub_co_ci_u32 s50, s50, 0
	s_cmp_lg_u32 s65, 0
	s_cselect_b32 s60, s62, s60
	s_wait_alu 0xfffe
	s_cselect_b32 s50, s50, s64
	s_cmp_lg_u32 s22, 0
	s_sub_co_ci_u32 s22, s61, s63
	s_wait_alu 0xfffe
	s_cmp_ge_u32 s22, s15
	s_cselect_b32 s61, -1, 0
	s_cmp_ge_u32 s21, s14
	s_cselect_b32 s14, -1, 0
	s_cmp_eq_u32 s22, s15
	s_wait_alu 0xfffe
	s_cselect_b32 s14, s14, s61
	s_wait_alu 0xfffe
	s_cmp_lg_u32 s14, 0
	s_cselect_b32 s15, s50, s22
	s_cselect_b32 s14, s60, s21
	s_wait_alu 0xfffe
	s_xor_b64 s[14:15], s[14:15], s[24:25]
	s_wait_alu 0xfffe
	s_sub_nc_u64 s[14:15], s[14:15], s[24:25]
	s_cbranch_execnz .LBB60_102
.LBB60_101:                             ;   in Loop: Header=BB60_7 Depth=1
	v_cvt_f32_u32_e32 v2, s44
	s_sub_co_i32 s15, 0, s44
	s_delay_alu instid0(VALU_DEP_1) | instskip(NEXT) | instid1(TRANS32_DEP_1)
	v_rcp_iflag_f32_e32 v2, v2
	v_mul_f32_e32 v2, 0x4f7ffffe, v2
	s_delay_alu instid0(VALU_DEP_1) | instskip(NEXT) | instid1(VALU_DEP_1)
	v_cvt_u32_f32_e32 v2, v2
	v_readfirstlane_b32 s14, v2
	s_wait_alu 0xfffe
	s_mul_i32 s15, s15, s14
	s_wait_alu 0xfffe
	s_mul_hi_u32 s15, s14, s15
	s_wait_alu 0xfffe
	s_add_co_i32 s14, s14, s15
	s_wait_alu 0xfffe
	s_mul_hi_u32 s14, s6, s14
	s_wait_alu 0xfffe
	s_mul_i32 s14, s14, s44
	s_wait_alu 0xfffe
	s_sub_co_i32 s14, s6, s14
	s_wait_alu 0xfffe
	s_sub_co_i32 s15, s14, s44
	s_cmp_ge_u32 s14, s44
	s_wait_alu 0xfffe
	s_cselect_b32 s14, s15, s14
	s_wait_alu 0xfffe
	s_sub_co_i32 s15, s14, s44
	s_cmp_ge_u32 s14, s44
	s_wait_alu 0xfffe
	s_cselect_b32 s50, s15, s14
	s_wait_alu 0xfffe
	s_mov_b64 s[14:15], s[50:51]
.LBB60_102:                             ;   in Loop: Header=BB60_7 Depth=1
	s_wait_alu 0xfffe
	s_sub_nc_u64 s[6:7], s[6:7], s[14:15]
	s_mov_b32 s14, exec_lo
                                        ; implicit-def: $vgpr46
	s_wait_alu 0xfffe
	v_cmpx_gt_i64_e64 s[6:7], v[0:1]
	s_cbranch_execz .LBB60_112
; %bb.103:                              ;   in Loop: Header=BB60_7 Depth=1
	v_dual_mov_b32 v2, v33 :: v_dual_mov_b32 v9, v1
	v_mov_b32_e32 v8, v0
	s_mov_b32 s15, 0
                                        ; implicit-def: $sgpr21
	s_branch .LBB60_107
.LBB60_104:                             ;   in Loop: Header=BB60_107 Depth=2
	s_wait_alu 0xfffe
	s_or_b32 exec_lo, exec_lo, s22
	s_wait_loadcnt_dscnt 0x0
	s_barrier_signal -1
	s_barrier_wait -1
	global_inv scope:SCOPE_SE
	ds_load_b32 v10, v3 offset:3072
	s_wait_loadcnt_dscnt 0x0
	s_barrier_signal -1
	s_barrier_wait -1
	global_inv scope:SCOPE_SE
	v_cmp_neq_f16_e32 vcc_lo, 0, v10
	s_cbranch_vccnz .LBB60_110
; %bb.105:                              ;   in Loop: Header=BB60_107 Depth=2
	v_add_co_u32 v8, vcc_lo, v8, s44
	s_wait_alu 0xfffd
	v_add_co_ci_u32_e64 v9, null, 0, v9, vcc_lo
	v_add_nc_u32_e32 v2, s90, v2
	s_mov_b32 s22, 0
	s_delay_alu instid0(VALU_DEP_2)
	v_cmp_le_i64_e32 vcc_lo, s[6:7], v[8:9]
	s_or_not1_b32 s24, vcc_lo, exec_lo
.LBB60_106:                             ;   in Loop: Header=BB60_107 Depth=2
	s_wait_alu 0xfffe
	s_and_b32 s24, exec_lo, s24
	s_wait_alu 0xfffe
	s_or_b32 s15, s24, s15
	s_and_not1_b32 s21, s21, exec_lo
	s_and_b32 s22, s22, exec_lo
	s_wait_alu 0xfffe
	s_or_b32 s21, s21, s22
	s_and_not1_b32 exec_lo, exec_lo, s15
	s_cbranch_execz .LBB60_111
.LBB60_107:                             ;   Parent Loop BB60_7 Depth=1
                                        ; =>  This Inner Loop Header: Depth=2
	s_mov_b32 s22, exec_lo
	s_delay_alu instid0(VALU_DEP_1)
	v_cmpx_gt_u64_e64 s[12:13], v[8:9]
	s_cbranch_execz .LBB60_104
; %bb.108:                              ;   in Loop: Header=BB60_107 Depth=2
	ds_load_u16 v10, v2
	s_wait_dscnt 0x0
	v_cmp_lt_i16_e32 vcc_lo, -1, v10
	s_wait_alu 0xfffd
	v_dual_cndmask_b32 v28, 0xffff, v44 :: v_dual_and_b32 v11, 0xffff, v10
	v_cmp_o_f16_e32 vcc_lo, v10, v10
	s_delay_alu instid0(VALU_DEP_2) | instskip(SKIP_1) | instid1(VALU_DEP_1)
	v_xor_b32_e32 v11, v28, v11
	s_wait_alu 0xfffd
	v_cndmask_b32_e32 v11, 0xffff, v11, vcc_lo
	s_delay_alu instid0(VALU_DEP_1) | instskip(NEXT) | instid1(VALU_DEP_1)
	v_and_b32_e32 v11, v11, v45
	v_cmp_eq_u32_e32 vcc_lo, v11, v20
	s_and_b32 exec_lo, exec_lo, vcc_lo
	s_cbranch_execz .LBB60_104
; %bb.109:                              ;   in Loop: Header=BB60_107 Depth=2
	v_perm_b32 v10, v10, s91, 0x5040100
	ds_store_b32 v3, v10 offset:3072
	s_branch .LBB60_104
.LBB60_110:                             ;   in Loop: Header=BB60_107 Depth=2
	s_mov_b32 s24, -1
	s_mov_b32 s22, -1
                                        ; implicit-def: $vgpr8_vgpr9
                                        ; implicit-def: $vgpr2
	s_branch .LBB60_106
.LBB60_111:                             ;   in Loop: Header=BB60_7 Depth=1
	s_or_b32 exec_lo, exec_lo, s15
	v_lshrrev_b32_e32 v46, 16, v10
	s_and_not1_b32 s6, s23, exec_lo
	s_wait_alu 0xfffe
	s_and_b32 s7, s21, exec_lo
	s_wait_alu 0xfffe
	s_or_b32 s23, s6, s7
.LBB60_112:                             ;   in Loop: Header=BB60_7 Depth=1
	s_or_b32 exec_lo, exec_lo, s14
	s_mov_b32 s21, 0
	s_mov_b32 s22, -1
.LBB60_113:                             ;   in Loop: Header=BB60_7 Depth=1
	s_wait_alu 0xfffe
	s_or_not1_b32 s6, s23, exec_lo
.LBB60_114:                             ;   in Loop: Header=BB60_7 Depth=1
	s_wait_alu 0xfffe
	s_or_b32 exec_lo, exec_lo, s17
	s_delay_alu instid0(SALU_CYCLE_1)
	s_and_not1_b32 s7, s99, exec_lo
	s_and_b32 s12, s22, exec_lo
	s_and_not1_b32 s13, s97, exec_lo
	s_and_b32 s14, s21, exec_lo
	s_and_not1_b32 s96, s96, exec_lo
	s_wait_alu 0xfffe
	s_or_b32 s99, s7, s12
	s_or_b32 s97, s13, s14
                                        ; implicit-def: $vgpr8_vgpr9
	s_and_saveexec_b32 s17, s6
	s_cbranch_execz .LBB60_6
; %bb.115:                              ;   in Loop: Header=BB60_7 Depth=1
	v_mov_b32_e32 v8, 1
	v_dual_mov_b32 v9, 0 :: v_dual_mov_b32 v2, 1
	s_xor_b32 s12, s19, -1
	s_mov_b32 s7, 0
	s_wait_alu 0xfffe
	s_and_saveexec_b32 s6, s12
	s_cbranch_execz .LBB60_124
; %bb.116:                              ;   in Loop: Header=BB60_7 Depth=1
	s_mov_b32 s7, exec_lo
	v_cmpx_le_i64_e64 v[26:27], v[4:5]
	s_wait_alu 0xfffe
	s_xor_b32 s7, exec_lo, s7
	s_cbranch_execz .LBB60_121
; %bb.117:                              ;   in Loop: Header=BB60_7 Depth=1
	ds_load_b64 v[8:9], v3 offset:5120
	v_and_b32_e32 v20, s20, v20
	v_or_b32_e32 v45, s16, v45
	s_wait_dscnt 0x0
	v_cmp_ne_u64_e32 vcc_lo, 0, v[8:9]
	s_cbranch_vccnz .LBB60_121
; %bb.118:                              ;   in Loop: Header=BB60_7 Depth=1
	s_and_saveexec_b32 s12, s2
; %bb.119:                              ;   in Loop: Header=BB60_7 Depth=1
	ds_store_b64 v3, v[4:5] offset:5128
; %bb.120:                              ;   in Loop: Header=BB60_7 Depth=1
	s_wait_alu 0xfffe
	s_or_b32 exec_lo, exec_lo, s12
	s_wait_loadcnt_dscnt 0x0
	s_barrier_signal -1
	s_barrier_wait -1
	global_inv scope:SCOPE_SE
.LBB60_121:                             ;   in Loop: Header=BB60_7 Depth=1
	s_wait_alu 0xfffe
	s_or_saveexec_b32 s7, s7
	v_mov_b32_e32 v2, 8
	s_mov_b32 s12, 0
	s_wait_alu 0xfffe
	s_xor_b32 exec_lo, exec_lo, s7
; %bb.122:                              ;   in Loop: Header=BB60_7 Depth=1
	v_sub_co_u32 v26, vcc_lo, v26, v4
	s_wait_alu 0xfffd
	v_sub_co_ci_u32_e64 v27, null, v27, v5, vcc_lo
	v_mov_b32_e32 v2, 0
	s_mov_b32 s12, exec_lo
; %bb.123:                              ;   in Loop: Header=BB60_7 Depth=1
	s_or_b32 exec_lo, exec_lo, s7
	s_delay_alu instid0(VALU_DEP_2)
	v_dual_mov_b32 v8, v26 :: v_dual_mov_b32 v9, v27
	s_wait_alu 0xfffe
	s_and_b32 s7, s12, exec_lo
.LBB60_124:                             ;   in Loop: Header=BB60_7 Depth=1
	s_wait_alu 0xfffe
	s_or_b32 exec_lo, exec_lo, s6
	s_mov_b32 s18, -1
	s_mov_b32 s6, -1
                                        ; implicit-def: $sgpr21
                                        ; implicit-def: $sgpr22
	s_and_saveexec_b32 s12, s7
	s_wait_alu 0xfffe
	s_xor_b32 s19, exec_lo, s12
	s_cbranch_execz .LBB60_272
; %bb.125:                              ;   in Loop: Header=BB60_7 Depth=1
	v_cmp_eq_u64_e32 vcc_lo, 1, v[6:7]
	v_cmp_eq_u64_e64 s6, 1, v[8:9]
                                        ; implicit-def: $sgpr22
                                        ; implicit-def: $sgpr21
	s_and_b32 s24, vcc_lo, s6
	s_mov_b32 s6, -1
	s_wait_alu 0xfffe
	s_and_saveexec_b32 s23, s24
	s_cbranch_execz .LBB60_161
; %bb.126:                              ;   in Loop: Header=BB60_7 Depth=1
	ds_load_b64 v[4:5], v3 offset:5120
	s_wait_loadcnt_dscnt 0x0
	s_barrier_signal -1
	s_barrier_wait -1
	global_inv scope:SCOPE_SE
	v_readfirstlane_b32 s12, v4
	v_readfirstlane_b32 s13, v5
	s_and_saveexec_b32 s6, s3
; %bb.127:                              ;   in Loop: Header=BB60_7 Depth=1
	ds_store_b16 v34, v3
; %bb.128:                              ;   in Loop: Header=BB60_7 Depth=1
	s_wait_alu 0xfffe
	s_or_b32 exec_lo, exec_lo, s6
	s_lshl_b32 s6, 1, s92
	v_or_b32_e32 v45, s16, v45
	s_wait_alu 0xfffe
	v_and_or_b32 v20, v20, s20, s6
	v_cmp_gt_i64_e64 s6, s[12:13], 0
	s_mov_b32 s21, -1
	s_mov_b32 s22, 0
	s_mov_b32 s25, 0
	s_mov_b32 s7, -1
	s_wait_loadcnt_dscnt 0x0
	s_and_b32 vcc_lo, exec_lo, s6
	s_barrier_signal -1
	s_barrier_wait -1
	global_inv scope:SCOPE_SE
                                        ; implicit-def: $vgpr46
	s_wait_alu 0xfffe
	s_cbranch_vccnz .LBB60_145
; %bb.129:                              ;   in Loop: Header=BB60_7 Depth=1
	s_mov_b32 s6, s51
	s_mov_b32 s7, s55
	s_wait_alu 0xfffe
	s_cmp_lg_u64 s[6:7], 0
	s_cbranch_scc0 .LBB60_189
; %bb.130:                              ;   in Loop: Header=BB60_7 Depth=1
	s_add_nc_u64 s[6:7], s[44:45], 0
	s_wait_alu 0xfffe
	s_xor_b64 s[6:7], s[6:7], 0
	s_wait_alu 0xfffe
	s_cvt_f32_u32 s14, s6
	s_cvt_f32_u32 s15, s7
	s_sub_nc_u64 s[60:61], 0, s[6:7]
	s_wait_alu 0xfffe
	s_delay_alu instid0(SALU_CYCLE_1) | instskip(SKIP_1) | instid1(SALU_CYCLE_2)
	s_fmamk_f32 s14, s15, 0x4f800000, s14
	s_wait_alu 0xfffe
	v_s_rcp_f32 s14, s14
	s_delay_alu instid0(TRANS32_DEP_1) | instskip(SKIP_1) | instid1(SALU_CYCLE_2)
	s_mul_f32 s14, s14, 0x5f7ffffc
	s_wait_alu 0xfffe
	s_mul_f32 s15, s14, 0x2f800000
	s_wait_alu 0xfffe
	s_delay_alu instid0(SALU_CYCLE_2) | instskip(SKIP_1) | instid1(SALU_CYCLE_2)
	s_trunc_f32 s15, s15
	s_wait_alu 0xfffe
	s_fmamk_f32 s14, s15, 0xcf800000, s14
	s_cvt_u32_f32 s15, s15
	s_wait_alu 0xfffe
	s_delay_alu instid0(SALU_CYCLE_1) | instskip(SKIP_1) | instid1(SALU_CYCLE_2)
	s_cvt_u32_f32 s14, s14
	s_wait_alu 0xfffe
	s_mul_u64 s[62:63], s[60:61], s[14:15]
	s_wait_alu 0xfffe
	s_mul_hi_u32 s65, s14, s63
	s_mul_i32 s64, s14, s63
	s_mul_hi_u32 s50, s14, s62
	s_mul_i32 s66, s15, s62
	s_wait_alu 0xfffe
	s_add_nc_u64 s[64:65], s[50:51], s[64:65]
	s_mul_hi_u32 s25, s15, s62
	s_mul_hi_u32 s67, s15, s63
	s_wait_alu 0xfffe
	s_add_co_u32 s50, s64, s66
	s_add_co_ci_u32 s50, s65, s25
	s_mul_i32 s62, s15, s63
	s_add_co_ci_u32 s63, s67, 0
	s_wait_alu 0xfffe
	s_add_nc_u64 s[62:63], s[50:51], s[62:63]
	s_wait_alu 0xfffe
	s_add_co_u32 s14, s14, s62
	s_cselect_b32 s25, -1, 0
	s_wait_alu 0xfffe
	s_cmp_lg_u32 s25, 0
	s_add_co_ci_u32 s15, s15, s63
	s_wait_alu 0xfffe
	s_mul_u64 s[60:61], s[60:61], s[14:15]
	s_wait_alu 0xfffe
	s_mul_hi_u32 s63, s14, s61
	s_mul_i32 s62, s14, s61
	s_mul_hi_u32 s50, s14, s60
	s_mul_i32 s64, s15, s60
	s_wait_alu 0xfffe
	s_add_nc_u64 s[62:63], s[50:51], s[62:63]
	s_mul_hi_u32 s25, s15, s60
	s_mul_hi_u32 s65, s15, s61
	s_wait_alu 0xfffe
	s_add_co_u32 s50, s62, s64
	s_add_co_ci_u32 s50, s63, s25
	s_mul_i32 s60, s15, s61
	s_add_co_ci_u32 s61, s65, 0
	s_wait_alu 0xfffe
	s_add_nc_u64 s[60:61], s[50:51], s[60:61]
	s_wait_alu 0xfffe
	s_add_co_u32 s25, s14, s60
	s_cselect_b32 s14, -1, 0
	s_wait_alu 0xfffe
	s_cmp_lg_u32 s14, 0
	s_add_co_ci_u32 s64, s15, s61
	s_ashr_i32 s14, s55, 31
	s_wait_alu 0xfffe
	s_mov_b32 s15, s14
	s_wait_alu 0xfffe
	s_add_nc_u64 s[60:61], s[54:55], s[14:15]
	s_wait_alu 0xfffe
	s_xor_b64 s[60:61], s[60:61], s[14:15]
	s_wait_alu 0xfffe
	s_mul_hi_u32 s63, s60, s64
	s_mul_i32 s62, s60, s64
	s_mul_hi_u32 s50, s60, s25
	s_mul_hi_u32 s66, s61, s25
	s_mul_i32 s25, s61, s25
	s_wait_alu 0xfffe
	s_add_nc_u64 s[62:63], s[50:51], s[62:63]
	s_mul_hi_u32 s65, s61, s64
	s_wait_alu 0xfffe
	s_add_co_u32 s25, s62, s25
	s_add_co_ci_u32 s50, s63, s66
	s_mul_i32 s64, s61, s64
	s_add_co_ci_u32 s65, s65, 0
	s_wait_alu 0xfffe
	s_add_nc_u64 s[62:63], s[50:51], s[64:65]
	s_wait_alu 0xfffe
	s_mul_u64 s[62:63], s[6:7], s[62:63]
	s_wait_alu 0xfffe
	s_sub_co_u32 s25, s60, s62
	s_cselect_b32 s50, -1, 0
	s_sub_co_i32 s60, s61, s63
	s_wait_alu 0xfffe
	s_cmp_lg_u32 s50, 0
	s_sub_co_ci_u32 s60, s60, s7
	s_sub_co_u32 s62, s25, s6
	s_cselect_b32 s64, -1, 0
	s_wait_alu 0xfffe
	s_cmp_lg_u32 s64, 0
	s_sub_co_ci_u32 s65, s60, 0
	s_wait_alu 0xfffe
	s_cmp_ge_u32 s65, s7
	s_cselect_b32 s66, -1, 0
	s_cmp_ge_u32 s62, s6
	s_cselect_b32 s67, -1, 0
	s_cmp_eq_u32 s65, s7
	s_wait_alu 0xfffe
	s_cselect_b32 s66, s67, s66
	s_cmp_lg_u32 s64, 0
	s_sub_co_ci_u32 s60, s60, s7
	s_sub_co_u32 s64, s62, s6
	s_cselect_b32 s67, -1, 0
	s_wait_alu 0xfffe
	s_cmp_lg_u32 s67, 0
	s_sub_co_ci_u32 s60, s60, 0
	s_cmp_lg_u32 s66, 0
	s_cselect_b32 s62, s64, s62
	s_wait_alu 0xfffe
	s_cselect_b32 s60, s60, s65
	s_cmp_lg_u32 s50, 0
	s_sub_co_ci_u32 s50, s61, s63
	s_wait_alu 0xfffe
	s_cmp_ge_u32 s50, s7
	s_cselect_b32 s61, -1, 0
	s_cmp_ge_u32 s25, s6
	s_cselect_b32 s6, -1, 0
	s_cmp_eq_u32 s50, s7
	s_wait_alu 0xfffe
	s_cselect_b32 s6, s6, s61
	s_wait_alu 0xfffe
	s_cmp_lg_u32 s6, 0
	s_cselect_b32 s7, s60, s50
	s_cselect_b32 s6, s62, s25
	s_wait_alu 0xfffe
	s_xor_b64 s[6:7], s[6:7], s[14:15]
	s_wait_alu 0xfffe
	s_sub_nc_u64 s[6:7], s[6:7], s[14:15]
	s_cbranch_execnz .LBB60_132
.LBB60_131:                             ;   in Loop: Header=BB60_7 Depth=1
	v_cvt_f32_u32_e32 v4, s44
	s_sub_co_i32 s7, 0, s44
	s_delay_alu instid0(VALU_DEP_1) | instskip(NEXT) | instid1(TRANS32_DEP_1)
	v_rcp_iflag_f32_e32 v4, v4
	v_mul_f32_e32 v4, 0x4f7ffffe, v4
	s_delay_alu instid0(VALU_DEP_1) | instskip(NEXT) | instid1(VALU_DEP_1)
	v_cvt_u32_f32_e32 v4, v4
	v_readfirstlane_b32 s6, v4
	s_wait_alu 0xfffe
	s_mul_i32 s7, s7, s6
	s_wait_alu 0xfffe
	s_mul_hi_u32 s7, s6, s7
	s_wait_alu 0xfffe
	s_add_co_i32 s6, s6, s7
	s_wait_alu 0xfffe
	s_mul_hi_u32 s6, s54, s6
	s_wait_alu 0xfffe
	s_mul_i32 s6, s6, s44
	s_wait_alu 0xfffe
	s_sub_co_i32 s6, s54, s6
	s_wait_alu 0xfffe
	s_sub_co_i32 s7, s6, s44
	s_cmp_ge_u32 s6, s44
	s_wait_alu 0xfffe
	s_cselect_b32 s6, s7, s6
	s_wait_alu 0xfffe
	s_sub_co_i32 s7, s6, s44
	s_cmp_ge_u32 s6, s44
	s_wait_alu 0xfffe
	s_cselect_b32 s50, s7, s6
	s_wait_alu 0xfffe
	s_mov_b64 s[6:7], s[50:51]
.LBB60_132:                             ;   in Loop: Header=BB60_7 Depth=1
	s_wait_alu 0xfffe
	s_sub_nc_u64 s[14:15], s[54:55], s[6:7]
	s_mov_b32 s7, 0
	s_mov_b32 s25, 0
	s_mov_b32 s50, exec_lo
                                        ; implicit-def: $vgpr46
	s_wait_alu 0xfffe
	v_cmpx_gt_i64_e64 s[14:15], v[0:1]
	s_cbranch_execz .LBB60_144
; %bb.133:                              ;   in Loop: Header=BB60_7 Depth=1
	v_dual_mov_b32 v4, v12 :: v_dual_mov_b32 v5, v13
	v_dual_mov_b32 v11, v1 :: v_dual_mov_b32 v10, v0
                                        ; implicit-def: $sgpr60
	s_branch .LBB60_137
.LBB60_134:                             ;   in Loop: Header=BB60_137 Depth=2
	s_wait_alu 0xfffe
	s_or_b32 exec_lo, exec_lo, s6
	s_wait_loadcnt_dscnt 0x0
	s_barrier_signal -1
	s_barrier_wait -1
	global_inv scope:SCOPE_SE
	ds_load_b32 v26, v3 offset:3072
	s_wait_loadcnt_dscnt 0x0
	s_barrier_signal -1
	s_barrier_wait -1
	global_inv scope:SCOPE_SE
	v_cmp_neq_f16_e32 vcc_lo, 0, v26
	s_cbranch_vccnz .LBB60_140
; %bb.135:                              ;   in Loop: Header=BB60_137 Depth=2
	v_add_co_u32 v10, vcc_lo, v10, s44
	s_wait_alu 0xfffd
	v_add_co_ci_u32_e64 v11, null, 0, v11, vcc_lo
	v_add_co_u32 v4, s6, v4, s46
	s_wait_alu 0xf1ff
	v_add_co_ci_u32_e64 v5, null, s47, v5, s6
	s_delay_alu instid0(VALU_DEP_3)
	v_cmp_le_i64_e32 vcc_lo, s[14:15], v[10:11]
	s_mov_b32 s6, 0
	s_or_not1_b32 s61, vcc_lo, exec_lo
.LBB60_136:                             ;   in Loop: Header=BB60_137 Depth=2
	s_wait_alu 0xfffe
	s_and_b32 s61, exec_lo, s61
	s_wait_alu 0xfffe
	s_or_b32 s25, s61, s25
	s_and_not1_b32 s60, s60, exec_lo
	s_and_b32 s6, s6, exec_lo
	s_wait_alu 0xfffe
	s_or_b32 s60, s60, s6
	s_and_not1_b32 exec_lo, exec_lo, s25
	s_cbranch_execz .LBB60_143
.LBB60_137:                             ;   Parent Loop BB60_7 Depth=1
                                        ; =>  This Inner Loop Header: Depth=2
	s_mov_b32 s6, exec_lo
	s_delay_alu instid0(VALU_DEP_1)
	v_cmpx_gt_i64_e64 s[36:37], v[10:11]
	s_cbranch_execz .LBB60_134
; %bb.138:                              ;   in Loop: Header=BB60_137 Depth=2
	global_load_u16 v26, v[4:5], off
	s_wait_loadcnt 0x0
	v_cmp_lt_i16_e32 vcc_lo, -1, v26
	s_wait_alu 0xfffd
	v_dual_cndmask_b32 v28, 0xffff, v44 :: v_dual_and_b32 v27, 0xffff, v26
	v_cmp_o_f16_e32 vcc_lo, v26, v26
	s_delay_alu instid0(VALU_DEP_2) | instskip(SKIP_1) | instid1(VALU_DEP_1)
	v_xor_b32_e32 v27, v28, v27
	s_wait_alu 0xfffd
	v_cndmask_b32_e32 v27, 0xffff, v27, vcc_lo
	s_delay_alu instid0(VALU_DEP_1) | instskip(NEXT) | instid1(VALU_DEP_1)
	v_and_b32_e32 v27, v27, v45
	v_cmp_eq_u32_e32 vcc_lo, v27, v20
	s_and_b32 exec_lo, exec_lo, vcc_lo
	s_cbranch_execz .LBB60_134
; %bb.139:                              ;   in Loop: Header=BB60_137 Depth=2
	v_perm_b32 v26, v26, s91, 0x5040100
	ds_store_b32 v3, v26 offset:3072
	s_branch .LBB60_134
.LBB60_140:                             ;   in Loop: Header=BB60_137 Depth=2
	s_mov_b32 s61, -1
	s_mov_b32 s6, -1
                                        ; implicit-def: $vgpr10_vgpr11
                                        ; implicit-def: $vgpr4_vgpr5
	s_branch .LBB60_136
.LBB60_141:                             ;   in Loop: Header=BB60_7 Depth=1
                                        ; implicit-def: $sgpr6_sgpr7
	s_branch .LBB60_86
.LBB60_142:                             ;   in Loop: Header=BB60_7 Depth=1
                                        ; implicit-def: $sgpr14_sgpr15
	s_branch .LBB60_101
.LBB60_143:                             ;   in Loop: Header=BB60_7 Depth=1
	s_or_b32 exec_lo, exec_lo, s25
	v_lshrrev_b32_e32 v46, 16, v26
	s_wait_alu 0xfffe
	s_and_b32 s25, s60, exec_lo
.LBB60_144:                             ;   in Loop: Header=BB60_7 Depth=1
	s_or_b32 exec_lo, exec_lo, s50
.LBB60_145:                             ;   in Loop: Header=BB60_7 Depth=1
	s_delay_alu instid0(SALU_CYCLE_1)
	s_and_b32 vcc_lo, exec_lo, s7
	s_wait_alu 0xfffe
	s_cbranch_vccz .LBB60_160
; %bb.146:                              ;   in Loop: Header=BB60_7 Depth=1
	s_add_nc_u64 s[6:7], s[12:13], s[52:53]
	s_mov_b32 s14, s51
	s_wait_alu 0xfffe
	s_mov_b32 s15, s7
	s_wait_alu 0xfffe
	s_cmp_lg_u64 s[14:15], 0
	s_cbranch_scc0 .LBB60_190
; %bb.147:                              ;   in Loop: Header=BB60_7 Depth=1
	s_add_nc_u64 s[14:15], s[44:45], 0
	s_wait_alu 0xfffe
	s_xor_b64 s[14:15], s[14:15], 0
	s_wait_alu 0xfffe
	s_cvt_f32_u32 s21, s14
	s_cvt_f32_u32 s22, s15
	s_sub_nc_u64 s[62:63], 0, s[14:15]
	s_wait_alu 0xfffe
	s_delay_alu instid0(SALU_CYCLE_1) | instskip(SKIP_1) | instid1(SALU_CYCLE_2)
	s_fmamk_f32 s21, s22, 0x4f800000, s21
	s_wait_alu 0xfffe
	v_s_rcp_f32 s21, s21
	s_delay_alu instid0(TRANS32_DEP_1) | instskip(SKIP_1) | instid1(SALU_CYCLE_2)
	s_mul_f32 s21, s21, 0x5f7ffffc
	s_wait_alu 0xfffe
	s_mul_f32 s22, s21, 0x2f800000
	s_wait_alu 0xfffe
	s_delay_alu instid0(SALU_CYCLE_2) | instskip(SKIP_1) | instid1(SALU_CYCLE_2)
	s_trunc_f32 s22, s22
	s_wait_alu 0xfffe
	s_fmamk_f32 s21, s22, 0xcf800000, s21
	s_cvt_u32_f32 s61, s22
	s_wait_alu 0xfffe
	s_delay_alu instid0(SALU_CYCLE_1) | instskip(SKIP_1) | instid1(SALU_CYCLE_2)
	s_cvt_u32_f32 s60, s21
	s_wait_alu 0xfffe
	s_mul_u64 s[64:65], s[62:63], s[60:61]
	s_wait_alu 0xfffe
	s_mul_hi_u32 s67, s60, s65
	s_mul_i32 s66, s60, s65
	s_mul_hi_u32 s50, s60, s64
	s_mul_i32 s22, s61, s64
	s_wait_alu 0xfffe
	s_add_nc_u64 s[66:67], s[50:51], s[66:67]
	s_mul_hi_u32 s21, s61, s64
	s_mul_hi_u32 s68, s61, s65
	s_wait_alu 0xfffe
	s_add_co_u32 s22, s66, s22
	s_add_co_ci_u32 s50, s67, s21
	s_mul_i32 s64, s61, s65
	s_add_co_ci_u32 s65, s68, 0
	s_wait_alu 0xfffe
	s_add_nc_u64 s[64:65], s[50:51], s[64:65]
	s_wait_alu 0xfffe
	s_add_co_u32 s60, s60, s64
	s_cselect_b32 s21, -1, 0
	s_wait_alu 0xfffe
	s_cmp_lg_u32 s21, 0
	s_add_co_ci_u32 s61, s61, s65
	s_wait_alu 0xfffe
	s_mul_u64 s[62:63], s[62:63], s[60:61]
	s_wait_alu 0xfffe
	s_mul_hi_u32 s65, s60, s63
	s_mul_i32 s64, s60, s63
	s_mul_hi_u32 s50, s60, s62
	s_mul_i32 s22, s61, s62
	s_wait_alu 0xfffe
	s_add_nc_u64 s[64:65], s[50:51], s[64:65]
	s_mul_hi_u32 s21, s61, s62
	s_mul_hi_u32 s66, s61, s63
	s_wait_alu 0xfffe
	s_add_co_u32 s22, s64, s22
	s_add_co_ci_u32 s50, s65, s21
	s_mul_i32 s62, s61, s63
	s_add_co_ci_u32 s63, s66, 0
	s_wait_alu 0xfffe
	s_add_nc_u64 s[62:63], s[50:51], s[62:63]
	s_wait_alu 0xfffe
	s_add_co_u32 s21, s60, s62
	s_cselect_b32 s22, -1, 0
	s_wait_alu 0xfffe
	s_cmp_lg_u32 s22, 0
	s_add_co_ci_u32 s22, s61, s63
	s_ashr_i32 s60, s7, 31
	s_wait_alu 0xfffe
	s_mov_b32 s61, s60
	s_wait_alu 0xfffe
	s_add_nc_u64 s[62:63], s[6:7], s[60:61]
	s_wait_alu 0xfffe
	s_xor_b64 s[62:63], s[62:63], s[60:61]
	s_wait_alu 0xfffe
	s_mul_hi_u32 s65, s62, s22
	s_mul_i32 s64, s62, s22
	s_mul_hi_u32 s50, s62, s21
	s_mul_hi_u32 s68, s63, s21
	s_mul_i32 s21, s63, s21
	s_wait_alu 0xfffe
	s_add_nc_u64 s[64:65], s[50:51], s[64:65]
	s_mul_hi_u32 s67, s63, s22
	s_wait_alu 0xfffe
	s_add_co_u32 s21, s64, s21
	s_add_co_ci_u32 s50, s65, s68
	s_mul_i32 s66, s63, s22
	s_add_co_ci_u32 s67, s67, 0
	s_wait_alu 0xfffe
	s_add_nc_u64 s[64:65], s[50:51], s[66:67]
	s_wait_alu 0xfffe
	s_mul_u64 s[64:65], s[14:15], s[64:65]
	s_wait_alu 0xfffe
	s_sub_co_u32 s21, s62, s64
	s_cselect_b32 s22, -1, 0
	s_sub_co_i32 s50, s63, s65
	s_wait_alu 0xfffe
	s_cmp_lg_u32 s22, 0
	s_sub_co_ci_u32 s50, s50, s15
	s_sub_co_u32 s62, s21, s14
	s_cselect_b32 s64, -1, 0
	s_wait_alu 0xfffe
	s_cmp_lg_u32 s64, 0
	s_sub_co_ci_u32 s66, s50, 0
	s_wait_alu 0xfffe
	s_cmp_ge_u32 s66, s15
	s_cselect_b32 s67, -1, 0
	s_cmp_ge_u32 s62, s14
	s_cselect_b32 s68, -1, 0
	s_cmp_eq_u32 s66, s15
	s_wait_alu 0xfffe
	s_cselect_b32 s67, s68, s67
	s_cmp_lg_u32 s64, 0
	s_sub_co_ci_u32 s50, s50, s15
	s_sub_co_u32 s64, s62, s14
	s_cselect_b32 s68, -1, 0
	s_wait_alu 0xfffe
	s_cmp_lg_u32 s68, 0
	s_sub_co_ci_u32 s50, s50, 0
	s_cmp_lg_u32 s67, 0
	s_cselect_b32 s62, s64, s62
	s_wait_alu 0xfffe
	s_cselect_b32 s50, s50, s66
	s_cmp_lg_u32 s22, 0
	s_sub_co_ci_u32 s22, s63, s65
	s_wait_alu 0xfffe
	s_cmp_ge_u32 s22, s15
	s_cselect_b32 s63, -1, 0
	s_cmp_ge_u32 s21, s14
	s_cselect_b32 s14, -1, 0
	s_cmp_eq_u32 s22, s15
	s_wait_alu 0xfffe
	s_cselect_b32 s14, s14, s63
	s_wait_alu 0xfffe
	s_cmp_lg_u32 s14, 0
	s_cselect_b32 s15, s50, s22
	s_cselect_b32 s14, s62, s21
	s_wait_alu 0xfffe
	s_xor_b64 s[14:15], s[14:15], s[60:61]
	s_wait_alu 0xfffe
	s_sub_nc_u64 s[14:15], s[14:15], s[60:61]
	s_cbranch_execnz .LBB60_149
.LBB60_148:                             ;   in Loop: Header=BB60_7 Depth=1
	v_cvt_f32_u32_e32 v4, s44
	s_sub_co_i32 s15, 0, s44
	s_delay_alu instid0(VALU_DEP_1) | instskip(NEXT) | instid1(TRANS32_DEP_1)
	v_rcp_iflag_f32_e32 v4, v4
	v_mul_f32_e32 v4, 0x4f7ffffe, v4
	s_delay_alu instid0(VALU_DEP_1) | instskip(NEXT) | instid1(VALU_DEP_1)
	v_cvt_u32_f32_e32 v4, v4
	v_readfirstlane_b32 s14, v4
	s_wait_alu 0xfffe
	s_mul_i32 s15, s15, s14
	s_wait_alu 0xfffe
	s_mul_hi_u32 s15, s14, s15
	s_wait_alu 0xfffe
	s_add_co_i32 s14, s14, s15
	s_wait_alu 0xfffe
	s_mul_hi_u32 s14, s6, s14
	s_wait_alu 0xfffe
	s_mul_i32 s14, s14, s44
	s_wait_alu 0xfffe
	s_sub_co_i32 s14, s6, s14
	s_wait_alu 0xfffe
	s_sub_co_i32 s15, s14, s44
	s_cmp_ge_u32 s14, s44
	s_wait_alu 0xfffe
	s_cselect_b32 s14, s15, s14
	s_wait_alu 0xfffe
	s_sub_co_i32 s15, s14, s44
	s_cmp_ge_u32 s14, s44
	s_wait_alu 0xfffe
	s_cselect_b32 s50, s15, s14
	s_wait_alu 0xfffe
	s_mov_b64 s[14:15], s[50:51]
.LBB60_149:                             ;   in Loop: Header=BB60_7 Depth=1
	s_wait_alu 0xfffe
	s_sub_nc_u64 s[6:7], s[6:7], s[14:15]
	s_mov_b32 s14, exec_lo
                                        ; implicit-def: $vgpr46
	s_wait_alu 0xfffe
	v_cmpx_gt_i64_e64 s[6:7], v[0:1]
	s_cbranch_execz .LBB60_159
; %bb.150:                              ;   in Loop: Header=BB60_7 Depth=1
	v_dual_mov_b32 v10, v33 :: v_dual_mov_b32 v5, v1
	v_mov_b32_e32 v4, v0
	s_mov_b32 s15, 0
                                        ; implicit-def: $sgpr21
	s_branch .LBB60_154
.LBB60_151:                             ;   in Loop: Header=BB60_154 Depth=2
	s_wait_alu 0xfffe
	s_or_b32 exec_lo, exec_lo, s22
	s_wait_loadcnt_dscnt 0x0
	s_barrier_signal -1
	s_barrier_wait -1
	global_inv scope:SCOPE_SE
	ds_load_b32 v11, v3 offset:3072
	s_wait_loadcnt_dscnt 0x0
	s_barrier_signal -1
	s_barrier_wait -1
	global_inv scope:SCOPE_SE
	v_cmp_eq_f16_e32 vcc_lo, 0, v11
	s_cbranch_vccz .LBB60_157
; %bb.152:                              ;   in Loop: Header=BB60_154 Depth=2
	v_add_co_u32 v4, vcc_lo, v4, s44
	s_wait_alu 0xfffd
	v_add_co_ci_u32_e64 v5, null, 0, v5, vcc_lo
	v_add_nc_u32_e32 v10, s90, v10
	s_mov_b32 s22, 0
	s_delay_alu instid0(VALU_DEP_2)
	v_cmp_le_i64_e32 vcc_lo, s[6:7], v[4:5]
	s_or_not1_b32 s50, vcc_lo, exec_lo
.LBB60_153:                             ;   in Loop: Header=BB60_154 Depth=2
	s_wait_alu 0xfffe
	s_and_b32 s50, exec_lo, s50
	s_wait_alu 0xfffe
	s_or_b32 s15, s50, s15
	s_and_not1_b32 s21, s21, exec_lo
	s_and_b32 s22, s22, exec_lo
	s_wait_alu 0xfffe
	s_or_b32 s21, s21, s22
	s_and_not1_b32 exec_lo, exec_lo, s15
	s_cbranch_execz .LBB60_158
.LBB60_154:                             ;   Parent Loop BB60_7 Depth=1
                                        ; =>  This Inner Loop Header: Depth=2
	s_mov_b32 s22, exec_lo
	s_delay_alu instid0(VALU_DEP_1)
	v_cmpx_gt_u64_e64 s[12:13], v[4:5]
	s_cbranch_execz .LBB60_151
; %bb.155:                              ;   in Loop: Header=BB60_154 Depth=2
	ds_load_u16 v11, v10
	s_wait_dscnt 0x0
	v_cmp_lt_i16_e32 vcc_lo, -1, v11
	s_wait_alu 0xfffd
	v_dual_cndmask_b32 v27, 0xffff, v44 :: v_dual_and_b32 v26, 0xffff, v11
	v_cmp_o_f16_e32 vcc_lo, v11, v11
	s_delay_alu instid0(VALU_DEP_2) | instskip(SKIP_1) | instid1(VALU_DEP_1)
	v_xor_b32_e32 v26, v27, v26
	s_wait_alu 0xfffd
	v_cndmask_b32_e32 v26, 0xffff, v26, vcc_lo
	s_delay_alu instid0(VALU_DEP_1) | instskip(NEXT) | instid1(VALU_DEP_1)
	v_and_b32_e32 v26, v26, v45
	v_cmp_eq_u32_e32 vcc_lo, v26, v20
	s_and_b32 exec_lo, exec_lo, vcc_lo
	s_cbranch_execz .LBB60_151
; %bb.156:                              ;   in Loop: Header=BB60_154 Depth=2
	v_perm_b32 v11, v11, s91, 0x5040100
	ds_store_b32 v3, v11 offset:3072
	s_branch .LBB60_151
.LBB60_157:                             ;   in Loop: Header=BB60_154 Depth=2
	s_mov_b32 s50, -1
	s_mov_b32 s22, -1
                                        ; implicit-def: $vgpr4_vgpr5
                                        ; implicit-def: $vgpr10
	s_branch .LBB60_153
.LBB60_158:                             ;   in Loop: Header=BB60_7 Depth=1
	s_or_b32 exec_lo, exec_lo, s15
	v_lshrrev_b32_e32 v46, 16, v11
	s_and_not1_b32 s6, s25, exec_lo
	s_wait_alu 0xfffe
	s_and_b32 s7, s21, exec_lo
	s_wait_alu 0xfffe
	s_or_b32 s25, s6, s7
.LBB60_159:                             ;   in Loop: Header=BB60_7 Depth=1
	s_or_b32 exec_lo, exec_lo, s14
	s_mov_b32 s21, 0
	s_mov_b32 s22, -1
.LBB60_160:                             ;   in Loop: Header=BB60_7 Depth=1
	s_wait_alu 0xfffe
	s_or_not1_b32 s6, s25, exec_lo
.LBB60_161:                             ;   in Loop: Header=BB60_7 Depth=1
	s_wait_alu 0xfffe
	s_or_b32 exec_lo, exec_lo, s23
	s_mov_b32 s7, 0
	s_and_saveexec_b32 s23, s6
	s_cbranch_execz .LBB60_271
; %bb.162:                              ;   in Loop: Header=BB60_7 Depth=1
	v_mov_b32_e32 v4, 1
	v_dual_mov_b32 v5, 0 :: v_dual_mov_b32 v2, 1
	s_xor_b32 s12, s24, -1
	s_wait_alu 0xfffe
	s_and_saveexec_b32 s6, s12
	s_cbranch_execz .LBB60_172
; %bb.163:                              ;   in Loop: Header=BB60_7 Depth=1
	s_mov_b32 s7, exec_lo
	v_cmpx_le_i64_e64 v[8:9], v[6:7]
	s_wait_alu 0xfffe
	s_xor_b32 s7, exec_lo, s7
	s_cbranch_execz .LBB60_169
; %bb.164:                              ;   in Loop: Header=BB60_7 Depth=1
	ds_load_b64 v[4:5], v3 offset:5120
	s_lshl_b32 s12, 1, s92
	v_or_b32_e32 v45, s16, v45
	s_wait_alu 0xfffe
	v_and_or_b32 v20, v20, s20, s12
	s_wait_dscnt 0x0
	v_cmp_ne_u64_e32 vcc_lo, 0, v[4:5]
	s_cbranch_vccnz .LBB60_168
; %bb.165:                              ;   in Loop: Header=BB60_7 Depth=1
	s_and_saveexec_b32 s12, s2
; %bb.166:                              ;   in Loop: Header=BB60_7 Depth=1
	ds_store_b64 v3, v[6:7] offset:5128
; %bb.167:                              ;   in Loop: Header=BB60_7 Depth=1
	s_wait_alu 0xfffe
	s_or_b32 exec_lo, exec_lo, s12
	s_wait_loadcnt_dscnt 0x0
	s_barrier_signal -1
	s_barrier_wait -1
	global_inv scope:SCOPE_SE
.LBB60_168:                             ;   in Loop: Header=BB60_7 Depth=1
                                        ; implicit-def: $vgpr4_vgpr5_vgpr6_vgpr7
.LBB60_169:                             ;   in Loop: Header=BB60_7 Depth=1
	s_wait_alu 0xfffe
	s_or_saveexec_b32 s7, s7
	v_mov_b32_e32 v2, 8
	s_mov_b32 s12, 0
	s_wait_alu 0xfffe
	s_xor_b32 exec_lo, exec_lo, s7
; %bb.170:                              ;   in Loop: Header=BB60_7 Depth=1
	v_sub_co_u32 v8, vcc_lo, v8, v6
	s_wait_alu 0xfffd
	v_sub_co_ci_u32_e64 v9, null, v9, v7, vcc_lo
	v_mov_b32_e32 v2, 0
	s_mov_b32 s12, exec_lo
; %bb.171:                              ;   in Loop: Header=BB60_7 Depth=1
	s_or_b32 exec_lo, exec_lo, s7
	s_delay_alu instid0(VALU_DEP_2)
	v_dual_mov_b32 v4, v8 :: v_dual_mov_b32 v5, v9
	s_wait_alu 0xfffe
	s_and_b32 s7, s12, exec_lo
.LBB60_172:                             ;   in Loop: Header=BB60_7 Depth=1
	s_wait_alu 0xfffe
	s_or_b32 exec_lo, exec_lo, s6
	s_mov_b32 s6, -1
                                        ; implicit-def: $sgpr25
                                        ; implicit-def: $sgpr60
	s_and_saveexec_b32 s24, s7
	s_cbranch_execz .LBB60_270
; %bb.173:                              ;   in Loop: Header=BB60_7 Depth=1
	v_cmp_eq_u64_e32 vcc_lo, 1, v[4:5]
	s_cmp_eq_u64 s[10:11], 1
                                        ; implicit-def: $sgpr60
                                        ; implicit-def: $sgpr25
	s_cselect_b32 s6, -1, 0
	s_wait_alu 0xfffe
	s_and_b32 s61, s6, vcc_lo
	s_mov_b32 s6, -1
	s_wait_alu 0xfffe
	s_and_saveexec_b32 s62, s61
	s_cbranch_execz .LBB60_209
; %bb.174:                              ;   in Loop: Header=BB60_7 Depth=1
	ds_load_b64 v[6:7], v3 offset:5120
	s_wait_loadcnt_dscnt 0x0
	s_barrier_signal -1
	s_barrier_wait -1
	global_inv scope:SCOPE_SE
	v_readfirstlane_b32 s12, v6
	v_readfirstlane_b32 s13, v7
	s_and_saveexec_b32 s6, s3
; %bb.175:                              ;   in Loop: Header=BB60_7 Depth=1
	ds_store_b16 v34, v3
; %bb.176:                              ;   in Loop: Header=BB60_7 Depth=1
	s_wait_alu 0xfffe
	s_or_b32 exec_lo, exec_lo, s6
	s_lshl_b32 s6, 2, s92
	v_or_b32_e32 v45, s16, v45
	s_wait_alu 0xfffe
	v_and_or_b32 v20, v20, s20, s6
	v_cmp_gt_i64_e64 s6, s[12:13], 0
	s_mov_b32 s25, -1
	s_mov_b32 s60, 0
	s_mov_b32 s63, 0
	s_mov_b32 s7, -1
	s_wait_loadcnt_dscnt 0x0
	s_and_b32 vcc_lo, exec_lo, s6
	s_barrier_signal -1
	s_barrier_wait -1
	global_inv scope:SCOPE_SE
                                        ; implicit-def: $vgpr46
	s_wait_alu 0xfffe
	s_cbranch_vccnz .LBB60_193
; %bb.177:                              ;   in Loop: Header=BB60_7 Depth=1
	s_mov_b32 s6, s51
	s_mov_b32 s7, s55
	s_wait_alu 0xfffe
	s_cmp_lg_u64 s[6:7], 0
	s_cbranch_scc0 .LBB60_236
; %bb.178:                              ;   in Loop: Header=BB60_7 Depth=1
	s_add_nc_u64 s[6:7], s[44:45], 0
	s_wait_alu 0xfffe
	s_xor_b64 s[6:7], s[6:7], 0
	s_wait_alu 0xfffe
	s_cvt_f32_u32 s14, s6
	s_cvt_f32_u32 s15, s7
	s_sub_nc_u64 s[64:65], 0, s[6:7]
	s_wait_alu 0xfffe
	s_delay_alu instid0(SALU_CYCLE_1) | instskip(SKIP_1) | instid1(SALU_CYCLE_2)
	s_fmamk_f32 s14, s15, 0x4f800000, s14
	s_wait_alu 0xfffe
	v_s_rcp_f32 s14, s14
	s_delay_alu instid0(TRANS32_DEP_1) | instskip(SKIP_1) | instid1(SALU_CYCLE_2)
	s_mul_f32 s14, s14, 0x5f7ffffc
	s_wait_alu 0xfffe
	s_mul_f32 s15, s14, 0x2f800000
	s_wait_alu 0xfffe
	s_delay_alu instid0(SALU_CYCLE_2) | instskip(SKIP_1) | instid1(SALU_CYCLE_2)
	s_trunc_f32 s15, s15
	s_wait_alu 0xfffe
	s_fmamk_f32 s14, s15, 0xcf800000, s14
	s_cvt_u32_f32 s15, s15
	s_wait_alu 0xfffe
	s_delay_alu instid0(SALU_CYCLE_1) | instskip(SKIP_1) | instid1(SALU_CYCLE_2)
	s_cvt_u32_f32 s14, s14
	s_wait_alu 0xfffe
	s_mul_u64 s[66:67], s[64:65], s[14:15]
	s_wait_alu 0xfffe
	s_mul_hi_u32 s69, s14, s67
	s_mul_i32 s68, s14, s67
	s_mul_hi_u32 s50, s14, s66
	s_mul_i32 s70, s15, s66
	s_wait_alu 0xfffe
	s_add_nc_u64 s[68:69], s[50:51], s[68:69]
	s_mul_hi_u32 s63, s15, s66
	s_mul_hi_u32 s71, s15, s67
	s_wait_alu 0xfffe
	s_add_co_u32 s50, s68, s70
	s_add_co_ci_u32 s50, s69, s63
	s_mul_i32 s66, s15, s67
	s_add_co_ci_u32 s67, s71, 0
	s_wait_alu 0xfffe
	s_add_nc_u64 s[66:67], s[50:51], s[66:67]
	s_wait_alu 0xfffe
	s_add_co_u32 s14, s14, s66
	s_cselect_b32 s50, -1, 0
	s_wait_alu 0xfffe
	s_cmp_lg_u32 s50, 0
	s_add_co_ci_u32 s15, s15, s67
	s_wait_alu 0xfffe
	s_mul_u64 s[64:65], s[64:65], s[14:15]
	s_wait_alu 0xfffe
	s_mul_hi_u32 s67, s14, s65
	s_mul_i32 s66, s14, s65
	s_mul_hi_u32 s50, s14, s64
	s_mul_i32 s68, s15, s64
	s_wait_alu 0xfffe
	s_add_nc_u64 s[66:67], s[50:51], s[66:67]
	s_mul_hi_u32 s63, s15, s64
	s_mul_hi_u32 s69, s15, s65
	s_wait_alu 0xfffe
	s_add_co_u32 s50, s66, s68
	s_add_co_ci_u32 s50, s67, s63
	s_mul_i32 s64, s15, s65
	s_add_co_ci_u32 s65, s69, 0
	s_wait_alu 0xfffe
	s_add_nc_u64 s[64:65], s[50:51], s[64:65]
	s_wait_alu 0xfffe
	s_add_co_u32 s63, s14, s64
	s_cselect_b32 s14, -1, 0
	s_wait_alu 0xfffe
	s_cmp_lg_u32 s14, 0
	s_add_co_ci_u32 s68, s15, s65
	s_ashr_i32 s14, s55, 31
	s_wait_alu 0xfffe
	s_mov_b32 s15, s14
	s_wait_alu 0xfffe
	s_add_nc_u64 s[64:65], s[54:55], s[14:15]
	s_wait_alu 0xfffe
	s_xor_b64 s[64:65], s[64:65], s[14:15]
	s_wait_alu 0xfffe
	s_mul_hi_u32 s67, s64, s68
	s_mul_i32 s66, s64, s68
	s_mul_hi_u32 s50, s64, s63
	s_mul_hi_u32 s70, s65, s63
	s_mul_i32 s63, s65, s63
	s_wait_alu 0xfffe
	s_add_nc_u64 s[66:67], s[50:51], s[66:67]
	s_mul_hi_u32 s69, s65, s68
	s_wait_alu 0xfffe
	s_add_co_u32 s50, s66, s63
	s_add_co_ci_u32 s50, s67, s70
	s_mul_i32 s68, s65, s68
	s_add_co_ci_u32 s69, s69, 0
	s_wait_alu 0xfffe
	s_add_nc_u64 s[66:67], s[50:51], s[68:69]
	s_wait_alu 0xfffe
	s_mul_u64 s[66:67], s[6:7], s[66:67]
	s_wait_alu 0xfffe
	s_sub_co_u32 s50, s64, s66
	s_cselect_b32 s63, -1, 0
	s_sub_co_i32 s64, s65, s67
	s_wait_alu 0xfffe
	s_cmp_lg_u32 s63, 0
	s_sub_co_ci_u32 s64, s64, s7
	s_sub_co_u32 s66, s50, s6
	s_cselect_b32 s68, -1, 0
	s_wait_alu 0xfffe
	s_cmp_lg_u32 s68, 0
	s_sub_co_ci_u32 s69, s64, 0
	s_wait_alu 0xfffe
	s_cmp_ge_u32 s69, s7
	s_cselect_b32 s70, -1, 0
	s_cmp_ge_u32 s66, s6
	s_cselect_b32 s71, -1, 0
	s_cmp_eq_u32 s69, s7
	s_cselect_b32 s70, s71, s70
	s_cmp_lg_u32 s68, 0
	s_sub_co_ci_u32 s64, s64, s7
	s_sub_co_u32 s68, s66, s6
	s_cselect_b32 s71, -1, 0
	s_delay_alu instid0(SALU_CYCLE_1)
	s_cmp_lg_u32 s71, 0
	s_wait_alu 0xfffe
	s_sub_co_ci_u32 s64, s64, 0
	s_cmp_lg_u32 s70, 0
	s_cselect_b32 s66, s68, s66
	s_wait_alu 0xfffe
	s_cselect_b32 s64, s64, s69
	s_cmp_lg_u32 s63, 0
	s_sub_co_ci_u32 s63, s65, s67
	s_wait_alu 0xfffe
	s_cmp_ge_u32 s63, s7
	s_cselect_b32 s65, -1, 0
	s_cmp_ge_u32 s50, s6
	s_cselect_b32 s6, -1, 0
	s_cmp_eq_u32 s63, s7
	s_wait_alu 0xfffe
	s_cselect_b32 s6, s6, s65
	s_wait_alu 0xfffe
	s_cmp_lg_u32 s6, 0
	s_cselect_b32 s7, s64, s63
	s_cselect_b32 s6, s66, s50
	s_wait_alu 0xfffe
	s_xor_b64 s[6:7], s[6:7], s[14:15]
	s_wait_alu 0xfffe
	s_sub_nc_u64 s[6:7], s[6:7], s[14:15]
	s_cbranch_execnz .LBB60_180
.LBB60_179:                             ;   in Loop: Header=BB60_7 Depth=1
	v_cvt_f32_u32_e32 v6, s44
	s_sub_co_i32 s7, 0, s44
	s_delay_alu instid0(VALU_DEP_1) | instskip(NEXT) | instid1(TRANS32_DEP_1)
	v_rcp_iflag_f32_e32 v6, v6
	v_mul_f32_e32 v6, 0x4f7ffffe, v6
	s_delay_alu instid0(VALU_DEP_1) | instskip(NEXT) | instid1(VALU_DEP_1)
	v_cvt_u32_f32_e32 v6, v6
	v_readfirstlane_b32 s6, v6
	s_wait_alu 0xfffe
	s_mul_i32 s7, s7, s6
	s_wait_alu 0xfffe
	s_mul_hi_u32 s7, s6, s7
	s_wait_alu 0xfffe
	s_add_co_i32 s6, s6, s7
	s_wait_alu 0xfffe
	s_mul_hi_u32 s6, s54, s6
	s_wait_alu 0xfffe
	s_mul_i32 s6, s6, s44
	s_wait_alu 0xfffe
	s_sub_co_i32 s6, s54, s6
	s_wait_alu 0xfffe
	s_sub_co_i32 s7, s6, s44
	s_cmp_ge_u32 s6, s44
	s_wait_alu 0xfffe
	s_cselect_b32 s6, s7, s6
	s_wait_alu 0xfffe
	s_sub_co_i32 s7, s6, s44
	s_cmp_ge_u32 s6, s44
	s_wait_alu 0xfffe
	s_cselect_b32 s50, s7, s6
	s_wait_alu 0xfffe
	s_mov_b64 s[6:7], s[50:51]
.LBB60_180:                             ;   in Loop: Header=BB60_7 Depth=1
	s_wait_alu 0xfffe
	s_sub_nc_u64 s[14:15], s[54:55], s[6:7]
	s_mov_b32 s7, 0
	s_mov_b32 s63, 0
	s_mov_b32 s50, exec_lo
                                        ; implicit-def: $vgpr46
	s_wait_alu 0xfffe
	v_cmpx_gt_i64_e64 s[14:15], v[0:1]
	s_cbranch_execz .LBB60_192
; %bb.181:                              ;   in Loop: Header=BB60_7 Depth=1
	v_dual_mov_b32 v6, v12 :: v_dual_mov_b32 v7, v13
	v_dual_mov_b32 v9, v1 :: v_dual_mov_b32 v8, v0
                                        ; implicit-def: $sgpr64
	s_branch .LBB60_185
.LBB60_182:                             ;   in Loop: Header=BB60_185 Depth=2
	s_wait_alu 0xfffe
	s_or_b32 exec_lo, exec_lo, s6
	s_wait_loadcnt_dscnt 0x0
	s_barrier_signal -1
	s_barrier_wait -1
	global_inv scope:SCOPE_SE
	ds_load_b32 v10, v3 offset:3072
	s_wait_loadcnt_dscnt 0x0
	s_barrier_signal -1
	s_barrier_wait -1
	global_inv scope:SCOPE_SE
	v_cmp_neq_f16_e32 vcc_lo, 0, v10
	s_cbranch_vccnz .LBB60_188
; %bb.183:                              ;   in Loop: Header=BB60_185 Depth=2
	v_add_co_u32 v8, vcc_lo, v8, s44
	s_wait_alu 0xfffd
	v_add_co_ci_u32_e64 v9, null, 0, v9, vcc_lo
	v_add_co_u32 v6, s6, v6, s46
	s_wait_alu 0xf1ff
	v_add_co_ci_u32_e64 v7, null, s47, v7, s6
	s_delay_alu instid0(VALU_DEP_3)
	v_cmp_le_i64_e32 vcc_lo, s[14:15], v[8:9]
	s_mov_b32 s6, 0
	s_or_not1_b32 s65, vcc_lo, exec_lo
.LBB60_184:                             ;   in Loop: Header=BB60_185 Depth=2
	s_wait_alu 0xfffe
	s_and_b32 s65, exec_lo, s65
	s_wait_alu 0xfffe
	s_or_b32 s63, s65, s63
	s_and_not1_b32 s64, s64, exec_lo
	s_and_b32 s6, s6, exec_lo
	s_wait_alu 0xfffe
	s_or_b32 s64, s64, s6
	s_and_not1_b32 exec_lo, exec_lo, s63
	s_cbranch_execz .LBB60_191
.LBB60_185:                             ;   Parent Loop BB60_7 Depth=1
                                        ; =>  This Inner Loop Header: Depth=2
	s_mov_b32 s6, exec_lo
	s_delay_alu instid0(VALU_DEP_1)
	v_cmpx_gt_i64_e64 s[36:37], v[8:9]
	s_cbranch_execz .LBB60_182
; %bb.186:                              ;   in Loop: Header=BB60_185 Depth=2
	global_load_u16 v10, v[6:7], off
	s_wait_loadcnt 0x0
	v_cmp_lt_i16_e32 vcc_lo, -1, v10
	s_wait_alu 0xfffd
	v_dual_cndmask_b32 v26, 0xffff, v44 :: v_dual_and_b32 v11, 0xffff, v10
	v_cmp_o_f16_e32 vcc_lo, v10, v10
	s_delay_alu instid0(VALU_DEP_2) | instskip(SKIP_1) | instid1(VALU_DEP_1)
	v_xor_b32_e32 v11, v26, v11
	s_wait_alu 0xfffd
	v_cndmask_b32_e32 v11, 0xffff, v11, vcc_lo
	s_delay_alu instid0(VALU_DEP_1) | instskip(NEXT) | instid1(VALU_DEP_1)
	v_and_b32_e32 v11, v11, v45
	v_cmp_eq_u32_e32 vcc_lo, v11, v20
	s_and_b32 exec_lo, exec_lo, vcc_lo
	s_cbranch_execz .LBB60_182
; %bb.187:                              ;   in Loop: Header=BB60_185 Depth=2
	v_perm_b32 v10, v10, s91, 0x5040100
	ds_store_b32 v3, v10 offset:3072
	s_branch .LBB60_182
.LBB60_188:                             ;   in Loop: Header=BB60_185 Depth=2
	s_mov_b32 s65, -1
	s_mov_b32 s6, -1
                                        ; implicit-def: $vgpr8_vgpr9
                                        ; implicit-def: $vgpr6_vgpr7
	s_branch .LBB60_184
.LBB60_189:                             ;   in Loop: Header=BB60_7 Depth=1
                                        ; implicit-def: $sgpr6_sgpr7
	s_branch .LBB60_131
.LBB60_190:                             ;   in Loop: Header=BB60_7 Depth=1
                                        ; implicit-def: $sgpr14_sgpr15
	s_branch .LBB60_148
.LBB60_191:                             ;   in Loop: Header=BB60_7 Depth=1
	s_or_b32 exec_lo, exec_lo, s63
	v_lshrrev_b32_e32 v46, 16, v10
	s_wait_alu 0xfffe
	s_and_b32 s63, s64, exec_lo
.LBB60_192:                             ;   in Loop: Header=BB60_7 Depth=1
	s_or_b32 exec_lo, exec_lo, s50
.LBB60_193:                             ;   in Loop: Header=BB60_7 Depth=1
	s_delay_alu instid0(SALU_CYCLE_1)
	s_and_b32 vcc_lo, exec_lo, s7
	s_wait_alu 0xfffe
	s_cbranch_vccz .LBB60_208
; %bb.194:                              ;   in Loop: Header=BB60_7 Depth=1
	s_add_nc_u64 s[6:7], s[12:13], s[52:53]
	s_mov_b32 s14, s51
	s_wait_alu 0xfffe
	s_mov_b32 s15, s7
	s_wait_alu 0xfffe
	s_cmp_lg_u64 s[14:15], 0
	s_cbranch_scc0 .LBB60_237
; %bb.195:                              ;   in Loop: Header=BB60_7 Depth=1
	s_add_nc_u64 s[14:15], s[44:45], 0
	s_wait_alu 0xfffe
	s_xor_b64 s[14:15], s[14:15], 0
	s_wait_alu 0xfffe
	s_cvt_f32_u32 s25, s14
	s_cvt_f32_u32 s50, s15
	s_sub_nc_u64 s[66:67], 0, s[14:15]
	s_wait_alu 0xfffe
	s_delay_alu instid0(SALU_CYCLE_1) | instskip(SKIP_1) | instid1(SALU_CYCLE_2)
	s_fmamk_f32 s25, s50, 0x4f800000, s25
	s_wait_alu 0xfffe
	v_s_rcp_f32 s25, s25
	s_delay_alu instid0(TRANS32_DEP_1) | instskip(SKIP_1) | instid1(SALU_CYCLE_2)
	s_mul_f32 s25, s25, 0x5f7ffffc
	s_wait_alu 0xfffe
	s_mul_f32 s50, s25, 0x2f800000
	s_wait_alu 0xfffe
	s_delay_alu instid0(SALU_CYCLE_2) | instskip(SKIP_1) | instid1(SALU_CYCLE_2)
	s_trunc_f32 s50, s50
	s_wait_alu 0xfffe
	s_fmamk_f32 s25, s50, 0xcf800000, s25
	s_cvt_u32_f32 s65, s50
	s_wait_alu 0xfffe
	s_delay_alu instid0(SALU_CYCLE_1) | instskip(SKIP_1) | instid1(SALU_CYCLE_2)
	s_cvt_u32_f32 s64, s25
	s_wait_alu 0xfffe
	s_mul_u64 s[68:69], s[66:67], s[64:65]
	s_wait_alu 0xfffe
	s_mul_hi_u32 s71, s64, s69
	s_mul_i32 s70, s64, s69
	s_mul_hi_u32 s50, s64, s68
	s_mul_i32 s60, s65, s68
	s_wait_alu 0xfffe
	s_add_nc_u64 s[70:71], s[50:51], s[70:71]
	s_mul_hi_u32 s25, s65, s68
	s_mul_hi_u32 s72, s65, s69
	s_add_co_u32 s50, s70, s60
	s_wait_alu 0xfffe
	s_add_co_ci_u32 s50, s71, s25
	s_mul_i32 s68, s65, s69
	s_add_co_ci_u32 s69, s72, 0
	s_wait_alu 0xfffe
	s_add_nc_u64 s[68:69], s[50:51], s[68:69]
	s_wait_alu 0xfffe
	s_add_co_u32 s64, s64, s68
	s_cselect_b32 s25, -1, 0
	s_wait_alu 0xfffe
	s_cmp_lg_u32 s25, 0
	s_add_co_ci_u32 s65, s65, s69
	s_wait_alu 0xfffe
	s_mul_u64 s[66:67], s[66:67], s[64:65]
	s_wait_alu 0xfffe
	s_mul_hi_u32 s69, s64, s67
	s_mul_i32 s68, s64, s67
	s_mul_hi_u32 s50, s64, s66
	s_mul_i32 s60, s65, s66
	s_wait_alu 0xfffe
	s_add_nc_u64 s[68:69], s[50:51], s[68:69]
	s_mul_hi_u32 s25, s65, s66
	s_mul_hi_u32 s70, s65, s67
	s_wait_alu 0xfffe
	s_add_co_u32 s50, s68, s60
	s_add_co_ci_u32 s50, s69, s25
	s_mul_i32 s66, s65, s67
	s_add_co_ci_u32 s67, s70, 0
	s_wait_alu 0xfffe
	s_add_nc_u64 s[66:67], s[50:51], s[66:67]
	s_wait_alu 0xfffe
	s_add_co_u32 s25, s64, s66
	s_cselect_b32 s50, -1, 0
	s_wait_alu 0xfffe
	s_cmp_lg_u32 s50, 0
	s_add_co_ci_u32 s60, s65, s67
	s_ashr_i32 s64, s7, 31
	s_wait_alu 0xfffe
	s_mov_b32 s65, s64
	s_wait_alu 0xfffe
	s_add_nc_u64 s[66:67], s[6:7], s[64:65]
	s_wait_alu 0xfffe
	s_xor_b64 s[66:67], s[66:67], s[64:65]
	s_wait_alu 0xfffe
	s_mul_hi_u32 s69, s66, s60
	s_mul_i32 s68, s66, s60
	s_mul_hi_u32 s50, s66, s25
	s_mul_hi_u32 s72, s67, s25
	s_mul_i32 s25, s67, s25
	s_wait_alu 0xfffe
	s_add_nc_u64 s[68:69], s[50:51], s[68:69]
	s_mul_hi_u32 s71, s67, s60
	s_wait_alu 0xfffe
	s_add_co_u32 s25, s68, s25
	s_add_co_ci_u32 s50, s69, s72
	s_mul_i32 s70, s67, s60
	s_add_co_ci_u32 s71, s71, 0
	s_wait_alu 0xfffe
	s_add_nc_u64 s[68:69], s[50:51], s[70:71]
	s_wait_alu 0xfffe
	s_mul_u64 s[68:69], s[14:15], s[68:69]
	s_wait_alu 0xfffe
	s_sub_co_u32 s25, s66, s68
	s_cselect_b32 s50, -1, 0
	s_sub_co_i32 s60, s67, s69
	s_wait_alu 0xfffe
	s_cmp_lg_u32 s50, 0
	s_sub_co_ci_u32 s60, s60, s15
	s_sub_co_u32 s66, s25, s14
	s_cselect_b32 s68, -1, 0
	s_wait_alu 0xfffe
	s_cmp_lg_u32 s68, 0
	s_sub_co_ci_u32 s70, s60, 0
	s_delay_alu instid0(SALU_CYCLE_1)
	s_cmp_ge_u32 s70, s15
	s_cselect_b32 s71, -1, 0
	s_cmp_ge_u32 s66, s14
	s_cselect_b32 s72, -1, 0
	s_cmp_eq_u32 s70, s15
	s_wait_alu 0xfffe
	s_cselect_b32 s71, s72, s71
	s_cmp_lg_u32 s68, 0
	s_sub_co_ci_u32 s60, s60, s15
	s_sub_co_u32 s68, s66, s14
	s_cselect_b32 s72, -1, 0
	s_wait_alu 0xfffe
	s_cmp_lg_u32 s72, 0
	s_sub_co_ci_u32 s60, s60, 0
	s_cmp_lg_u32 s71, 0
	s_cselect_b32 s66, s68, s66
	s_wait_alu 0xfffe
	s_cselect_b32 s60, s60, s70
	s_cmp_lg_u32 s50, 0
	s_sub_co_ci_u32 s50, s67, s69
	s_wait_alu 0xfffe
	s_cmp_ge_u32 s50, s15
	s_cselect_b32 s67, -1, 0
	s_cmp_ge_u32 s25, s14
	s_cselect_b32 s14, -1, 0
	s_cmp_eq_u32 s50, s15
	s_wait_alu 0xfffe
	s_cselect_b32 s14, s14, s67
	s_wait_alu 0xfffe
	s_cmp_lg_u32 s14, 0
	s_cselect_b32 s15, s60, s50
	s_cselect_b32 s14, s66, s25
	s_wait_alu 0xfffe
	s_xor_b64 s[14:15], s[14:15], s[64:65]
	s_wait_alu 0xfffe
	s_sub_nc_u64 s[14:15], s[14:15], s[64:65]
	s_cbranch_execnz .LBB60_197
.LBB60_196:                             ;   in Loop: Header=BB60_7 Depth=1
	v_cvt_f32_u32_e32 v6, s44
	s_sub_co_i32 s15, 0, s44
	s_delay_alu instid0(VALU_DEP_1) | instskip(NEXT) | instid1(TRANS32_DEP_1)
	v_rcp_iflag_f32_e32 v6, v6
	v_mul_f32_e32 v6, 0x4f7ffffe, v6
	s_delay_alu instid0(VALU_DEP_1) | instskip(NEXT) | instid1(VALU_DEP_1)
	v_cvt_u32_f32_e32 v6, v6
	v_readfirstlane_b32 s14, v6
	s_wait_alu 0xfffe
	s_mul_i32 s15, s15, s14
	s_wait_alu 0xfffe
	s_mul_hi_u32 s15, s14, s15
	s_wait_alu 0xfffe
	s_add_co_i32 s14, s14, s15
	s_wait_alu 0xfffe
	s_mul_hi_u32 s14, s6, s14
	s_wait_alu 0xfffe
	s_mul_i32 s14, s14, s44
	s_wait_alu 0xfffe
	s_sub_co_i32 s14, s6, s14
	s_wait_alu 0xfffe
	s_sub_co_i32 s15, s14, s44
	s_cmp_ge_u32 s14, s44
	s_wait_alu 0xfffe
	s_cselect_b32 s14, s15, s14
	s_wait_alu 0xfffe
	s_sub_co_i32 s15, s14, s44
	s_cmp_ge_u32 s14, s44
	s_wait_alu 0xfffe
	s_cselect_b32 s50, s15, s14
	s_wait_alu 0xfffe
	s_mov_b64 s[14:15], s[50:51]
.LBB60_197:                             ;   in Loop: Header=BB60_7 Depth=1
	s_wait_alu 0xfffe
	s_sub_nc_u64 s[6:7], s[6:7], s[14:15]
	s_mov_b32 s14, exec_lo
                                        ; implicit-def: $vgpr46
	s_wait_alu 0xfffe
	v_cmpx_gt_i64_e64 s[6:7], v[0:1]
	s_cbranch_execz .LBB60_207
; %bb.198:                              ;   in Loop: Header=BB60_7 Depth=1
	v_dual_mov_b32 v8, v33 :: v_dual_mov_b32 v7, v1
	v_mov_b32_e32 v6, v0
	s_mov_b32 s15, 0
                                        ; implicit-def: $sgpr25
	s_branch .LBB60_202
.LBB60_199:                             ;   in Loop: Header=BB60_202 Depth=2
	s_wait_alu 0xfffe
	s_or_b32 exec_lo, exec_lo, s50
	s_wait_loadcnt_dscnt 0x0
	s_barrier_signal -1
	s_barrier_wait -1
	global_inv scope:SCOPE_SE
	ds_load_b32 v9, v3 offset:3072
	s_wait_loadcnt_dscnt 0x0
	s_barrier_signal -1
	s_barrier_wait -1
	global_inv scope:SCOPE_SE
	v_cmp_eq_f16_e32 vcc_lo, 0, v9
	s_cbranch_vccz .LBB60_205
; %bb.200:                              ;   in Loop: Header=BB60_202 Depth=2
	v_add_co_u32 v6, vcc_lo, v6, s44
	s_wait_alu 0xfffd
	v_add_co_ci_u32_e64 v7, null, 0, v7, vcc_lo
	v_add_nc_u32_e32 v8, s90, v8
	s_mov_b32 s50, 0
	s_delay_alu instid0(VALU_DEP_2)
	v_cmp_le_i64_e32 vcc_lo, s[6:7], v[6:7]
	s_or_not1_b32 s60, vcc_lo, exec_lo
.LBB60_201:                             ;   in Loop: Header=BB60_202 Depth=2
	s_wait_alu 0xfffe
	s_and_b32 s60, exec_lo, s60
	s_wait_alu 0xfffe
	s_or_b32 s15, s60, s15
	s_and_not1_b32 s25, s25, exec_lo
	s_and_b32 s50, s50, exec_lo
	s_wait_alu 0xfffe
	s_or_b32 s25, s25, s50
	s_and_not1_b32 exec_lo, exec_lo, s15
	s_cbranch_execz .LBB60_206
.LBB60_202:                             ;   Parent Loop BB60_7 Depth=1
                                        ; =>  This Inner Loop Header: Depth=2
	s_mov_b32 s50, exec_lo
	s_delay_alu instid0(VALU_DEP_1)
	v_cmpx_gt_u64_e64 s[12:13], v[6:7]
	s_cbranch_execz .LBB60_199
; %bb.203:                              ;   in Loop: Header=BB60_202 Depth=2
	ds_load_u16 v9, v8
	s_wait_dscnt 0x0
	v_cmp_lt_i16_e32 vcc_lo, -1, v9
	s_wait_alu 0xfffd
	v_dual_cndmask_b32 v11, 0xffff, v44 :: v_dual_and_b32 v10, 0xffff, v9
	v_cmp_o_f16_e32 vcc_lo, v9, v9
	s_delay_alu instid0(VALU_DEP_2) | instskip(SKIP_1) | instid1(VALU_DEP_1)
	v_xor_b32_e32 v10, v11, v10
	s_wait_alu 0xfffd
	v_cndmask_b32_e32 v10, 0xffff, v10, vcc_lo
	s_delay_alu instid0(VALU_DEP_1) | instskip(NEXT) | instid1(VALU_DEP_1)
	v_and_b32_e32 v10, v10, v45
	v_cmp_eq_u32_e32 vcc_lo, v10, v20
	s_and_b32 exec_lo, exec_lo, vcc_lo
	s_cbranch_execz .LBB60_199
; %bb.204:                              ;   in Loop: Header=BB60_202 Depth=2
	v_perm_b32 v9, v9, s91, 0x5040100
	ds_store_b32 v3, v9 offset:3072
	s_branch .LBB60_199
.LBB60_205:                             ;   in Loop: Header=BB60_202 Depth=2
	s_mov_b32 s60, -1
	s_mov_b32 s50, -1
                                        ; implicit-def: $vgpr6_vgpr7
                                        ; implicit-def: $vgpr8
	s_branch .LBB60_201
.LBB60_206:                             ;   in Loop: Header=BB60_7 Depth=1
	s_or_b32 exec_lo, exec_lo, s15
	v_lshrrev_b32_e32 v46, 16, v9
	s_and_not1_b32 s6, s63, exec_lo
	s_wait_alu 0xfffe
	s_and_b32 s7, s25, exec_lo
	s_wait_alu 0xfffe
	s_or_b32 s63, s6, s7
.LBB60_207:                             ;   in Loop: Header=BB60_7 Depth=1
	s_or_b32 exec_lo, exec_lo, s14
	s_mov_b32 s25, 0
	s_mov_b32 s60, -1
.LBB60_208:                             ;   in Loop: Header=BB60_7 Depth=1
	s_wait_alu 0xfffe
	s_or_not1_b32 s6, s63, exec_lo
.LBB60_209:                             ;   in Loop: Header=BB60_7 Depth=1
	s_wait_alu 0xfffe
	s_or_b32 exec_lo, exec_lo, s62
	s_mov_b32 s7, 0
	s_and_saveexec_b32 s14, s6
	s_cbranch_execz .LBB60_269
; %bb.210:                              ;   in Loop: Header=BB60_7 Depth=1
	v_mov_b32_e32 v6, 1
	v_dual_mov_b32 v7, 0 :: v_dual_mov_b32 v2, 1
	s_xor_b32 s12, s61, -1
	s_wait_alu 0xfffe
	s_and_saveexec_b32 s6, s12
	s_cbranch_execz .LBB60_219
; %bb.211:                              ;   in Loop: Header=BB60_7 Depth=1
	s_mov_b32 s7, exec_lo
	v_cmpx_ge_i64_e64 s[10:11], v[4:5]
	s_wait_alu 0xfffe
	s_xor_b32 s7, exec_lo, s7
	s_cbranch_execz .LBB60_216
; %bb.212:                              ;   in Loop: Header=BB60_7 Depth=1
	ds_load_b64 v[6:7], v3 offset:5120
	s_lshl_b32 s12, 2, s92
	v_or_b32_e32 v45, s16, v45
	s_wait_alu 0xfffe
	v_and_or_b32 v20, v20, s20, s12
	s_wait_dscnt 0x0
	v_cmp_ne_u64_e32 vcc_lo, 0, v[6:7]
	s_cbranch_vccnz .LBB60_216
; %bb.213:                              ;   in Loop: Header=BB60_7 Depth=1
	s_and_saveexec_b32 s12, s2
; %bb.214:                              ;   in Loop: Header=BB60_7 Depth=1
	v_dual_mov_b32 v6, s10 :: v_dual_mov_b32 v7, s11
	ds_store_b64 v3, v[6:7] offset:5128
; %bb.215:                              ;   in Loop: Header=BB60_7 Depth=1
	s_wait_alu 0xfffe
	s_or_b32 exec_lo, exec_lo, s12
	s_wait_loadcnt_dscnt 0x0
	s_barrier_signal -1
	s_barrier_wait -1
	global_inv scope:SCOPE_SE
.LBB60_216:                             ;   in Loop: Header=BB60_7 Depth=1
	s_wait_alu 0xfffe
	s_or_saveexec_b32 s7, s7
	v_mov_b32_e32 v2, 8
	s_mov_b32 s12, 0
	s_wait_alu 0xfffe
	s_xor_b32 exec_lo, exec_lo, s7
; %bb.217:                              ;   in Loop: Header=BB60_7 Depth=1
	v_sub_co_u32 v4, vcc_lo, v4, s10
	s_wait_alu 0xfffd
	v_subrev_co_ci_u32_e64 v5, null, s11, v5, vcc_lo
	v_mov_b32_e32 v2, 0
	s_mov_b32 s12, exec_lo
; %bb.218:                              ;   in Loop: Header=BB60_7 Depth=1
	s_or_b32 exec_lo, exec_lo, s7
	s_delay_alu instid0(VALU_DEP_2)
	v_dual_mov_b32 v7, v5 :: v_dual_mov_b32 v6, v4
	s_wait_alu 0xfffe
	s_and_b32 s7, s12, exec_lo
.LBB60_219:                             ;   in Loop: Header=BB60_7 Depth=1
	s_wait_alu 0xfffe
	s_or_b32 exec_lo, exec_lo, s6
	s_mov_b32 s6, -1
                                        ; implicit-def: $sgpr63
                                        ; implicit-def: $sgpr62
	s_and_saveexec_b32 s15, s7
	s_cbranch_execz .LBB60_268
; %bb.220:                              ;   in Loop: Header=BB60_7 Depth=1
	v_cmp_eq_u64_e32 vcc_lo, 1, v[6:7]
	s_cmp_eq_u64 s[8:9], 1
	s_mov_b32 s7, -1
	s_cselect_b32 s6, -1, 0
                                        ; implicit-def: $sgpr63
                                        ; implicit-def: $sgpr62
	s_wait_alu 0xfffe
	s_and_b32 s20, s6, vcc_lo
	s_wait_alu 0xfffe
	s_and_saveexec_b32 s61, s20
	s_cbranch_execz .LBB60_256
; %bb.221:                              ;   in Loop: Header=BB60_7 Depth=1
	ds_load_b64 v[4:5], v3 offset:5120
	s_wait_loadcnt_dscnt 0x0
	s_barrier_signal -1
	s_barrier_wait -1
	global_inv scope:SCOPE_SE
	v_readfirstlane_b32 s10, v4
	v_readfirstlane_b32 s11, v5
	s_and_saveexec_b32 s6, s3
; %bb.222:                              ;   in Loop: Header=BB60_7 Depth=1
	ds_store_b16 v34, v3
; %bb.223:                              ;   in Loop: Header=BB60_7 Depth=1
	s_wait_alu 0xfffe
	s_or_b32 exec_lo, exec_lo, s6
	v_cmp_gt_i64_e64 s6, s[10:11], 0
	v_or_b32_e32 v20, s16, v20
	v_or_b32_e32 v45, s16, v45
	s_mov_b32 s62, -1
	s_mov_b32 s63, 0
	s_mov_b32 s64, 0
	s_and_b32 vcc_lo, exec_lo, s6
	s_wait_loadcnt_dscnt 0x0
	s_barrier_signal -1
	s_barrier_wait -1
	global_inv scope:SCOPE_SE
                                        ; implicit-def: $vgpr46
	s_wait_alu 0xfffe
	s_cbranch_vccnz .LBB60_240
; %bb.224:                              ;   in Loop: Header=BB60_7 Depth=1
	s_mov_b32 s6, s51
	s_mov_b32 s7, s55
	s_wait_alu 0xfffe
	s_cmp_lg_u64 s[6:7], 0
	s_cbranch_scc0 .LBB60_275
; %bb.225:                              ;   in Loop: Header=BB60_7 Depth=1
	s_add_nc_u64 s[6:7], s[44:45], 0
	s_wait_alu 0xfffe
	s_xor_b64 s[6:7], s[6:7], 0
	s_wait_alu 0xfffe
	s_cvt_f32_u32 s12, s6
	s_cvt_f32_u32 s13, s7
	s_sub_nc_u64 s[64:65], 0, s[6:7]
	s_wait_alu 0xfffe
	s_delay_alu instid0(SALU_CYCLE_1) | instskip(SKIP_1) | instid1(SALU_CYCLE_2)
	s_fmamk_f32 s12, s13, 0x4f800000, s12
	s_wait_alu 0xfffe
	v_s_rcp_f32 s12, s12
	s_delay_alu instid0(TRANS32_DEP_1) | instskip(SKIP_1) | instid1(SALU_CYCLE_2)
	s_mul_f32 s12, s12, 0x5f7ffffc
	s_wait_alu 0xfffe
	s_mul_f32 s13, s12, 0x2f800000
	s_wait_alu 0xfffe
	s_delay_alu instid0(SALU_CYCLE_2) | instskip(SKIP_1) | instid1(SALU_CYCLE_2)
	s_trunc_f32 s13, s13
	s_wait_alu 0xfffe
	s_fmamk_f32 s12, s13, 0xcf800000, s12
	s_cvt_u32_f32 s13, s13
	s_wait_alu 0xfffe
	s_delay_alu instid0(SALU_CYCLE_1) | instskip(SKIP_1) | instid1(SALU_CYCLE_2)
	s_cvt_u32_f32 s12, s12
	s_wait_alu 0xfffe
	s_mul_u64 s[66:67], s[64:65], s[12:13]
	s_wait_alu 0xfffe
	s_mul_hi_u32 s69, s12, s67
	s_mul_i32 s68, s12, s67
	s_mul_hi_u32 s50, s12, s66
	s_mul_i32 s71, s13, s66
	s_wait_alu 0xfffe
	s_add_nc_u64 s[68:69], s[50:51], s[68:69]
	s_mul_hi_u32 s70, s13, s66
	s_mul_hi_u32 s72, s13, s67
	s_wait_alu 0xfffe
	s_add_co_u32 s50, s68, s71
	s_add_co_ci_u32 s50, s69, s70
	s_mul_i32 s66, s13, s67
	s_add_co_ci_u32 s67, s72, 0
	s_wait_alu 0xfffe
	s_add_nc_u64 s[66:67], s[50:51], s[66:67]
	s_wait_alu 0xfffe
	s_add_co_u32 s12, s12, s66
	s_cselect_b32 s50, -1, 0
	s_wait_alu 0xfffe
	s_cmp_lg_u32 s50, 0
	s_add_co_ci_u32 s13, s13, s67
	s_wait_alu 0xfffe
	s_mul_u64 s[64:65], s[64:65], s[12:13]
	s_wait_alu 0xfffe
	s_mul_hi_u32 s67, s12, s65
	s_mul_i32 s66, s12, s65
	s_mul_hi_u32 s50, s12, s64
	s_mul_i32 s69, s13, s64
	s_wait_alu 0xfffe
	s_add_nc_u64 s[66:67], s[50:51], s[66:67]
	s_mul_hi_u32 s68, s13, s64
	s_mul_hi_u32 s70, s13, s65
	s_wait_alu 0xfffe
	s_add_co_u32 s50, s66, s69
	s_add_co_ci_u32 s50, s67, s68
	s_mul_i32 s64, s13, s65
	s_add_co_ci_u32 s65, s70, 0
	s_wait_alu 0xfffe
	s_add_nc_u64 s[64:65], s[50:51], s[64:65]
	s_wait_alu 0xfffe
	s_add_co_u32 s68, s12, s64
	s_cselect_b32 s12, -1, 0
	s_wait_alu 0xfffe
	s_cmp_lg_u32 s12, 0
	s_add_co_ci_u32 s69, s13, s65
	s_ashr_i32 s12, s55, 31
	s_wait_alu 0xfffe
	s_mov_b32 s13, s12
	s_wait_alu 0xfffe
	s_add_nc_u64 s[64:65], s[54:55], s[12:13]
	s_wait_alu 0xfffe
	s_xor_b64 s[64:65], s[64:65], s[12:13]
	s_wait_alu 0xfffe
	s_mul_hi_u32 s67, s64, s69
	s_mul_i32 s66, s64, s69
	s_mul_hi_u32 s50, s64, s68
	s_mul_i32 s72, s65, s68
	s_wait_alu 0xfffe
	s_add_nc_u64 s[66:67], s[50:51], s[66:67]
	s_mul_hi_u32 s71, s65, s68
	s_mul_hi_u32 s70, s65, s69
	s_wait_alu 0xfffe
	s_add_co_u32 s50, s66, s72
	s_add_co_ci_u32 s50, s67, s71
	s_mul_i32 s68, s65, s69
	s_add_co_ci_u32 s69, s70, 0
	s_wait_alu 0xfffe
	s_add_nc_u64 s[66:67], s[50:51], s[68:69]
	s_wait_alu 0xfffe
	s_mul_u64 s[66:67], s[6:7], s[66:67]
	s_wait_alu 0xfffe
	s_sub_co_u32 s50, s64, s66
	s_cselect_b32 s64, -1, 0
	s_sub_co_i32 s66, s65, s67
	s_wait_alu 0xfffe
	s_cmp_lg_u32 s64, 0
	s_sub_co_ci_u32 s66, s66, s7
	s_sub_co_u32 s68, s50, s6
	s_cselect_b32 s69, -1, 0
	s_wait_alu 0xfffe
	s_cmp_lg_u32 s69, 0
	s_sub_co_ci_u32 s70, s66, 0
	s_delay_alu instid0(SALU_CYCLE_1)
	s_cmp_ge_u32 s70, s7
	s_cselect_b32 s71, -1, 0
	s_cmp_ge_u32 s68, s6
	s_cselect_b32 s72, -1, 0
	s_cmp_eq_u32 s70, s7
	s_wait_alu 0xfffe
	s_cselect_b32 s71, s72, s71
	s_cmp_lg_u32 s69, 0
	s_sub_co_ci_u32 s66, s66, s7
	s_sub_co_u32 s69, s68, s6
	s_cselect_b32 s72, -1, 0
	s_wait_alu 0xfffe
	s_cmp_lg_u32 s72, 0
	s_sub_co_ci_u32 s66, s66, 0
	s_cmp_lg_u32 s71, 0
	s_cselect_b32 s68, s69, s68
	s_wait_alu 0xfffe
	s_cselect_b32 s66, s66, s70
	s_cmp_lg_u32 s64, 0
	s_sub_co_ci_u32 s64, s65, s67
	s_wait_alu 0xfffe
	s_cmp_ge_u32 s64, s7
	s_cselect_b32 s65, -1, 0
	s_cmp_ge_u32 s50, s6
	s_cselect_b32 s6, -1, 0
	s_cmp_eq_u32 s64, s7
	s_wait_alu 0xfffe
	s_cselect_b32 s6, s6, s65
	s_wait_alu 0xfffe
	s_cmp_lg_u32 s6, 0
	s_cselect_b32 s7, s66, s64
	s_cselect_b32 s6, s68, s50
	s_wait_alu 0xfffe
	s_xor_b64 s[6:7], s[6:7], s[12:13]
	s_wait_alu 0xfffe
	s_sub_nc_u64 s[6:7], s[6:7], s[12:13]
	s_cbranch_execnz .LBB60_227
.LBB60_226:                             ;   in Loop: Header=BB60_7 Depth=1
	v_cvt_f32_u32_e32 v4, s44
	s_sub_co_i32 s7, 0, s44
	s_delay_alu instid0(VALU_DEP_1) | instskip(NEXT) | instid1(TRANS32_DEP_1)
	v_rcp_iflag_f32_e32 v4, v4
	v_mul_f32_e32 v4, 0x4f7ffffe, v4
	s_delay_alu instid0(VALU_DEP_1) | instskip(NEXT) | instid1(VALU_DEP_1)
	v_cvt_u32_f32_e32 v4, v4
	v_readfirstlane_b32 s6, v4
	s_wait_alu 0xfffe
	s_mul_i32 s7, s7, s6
	s_wait_alu 0xfffe
	s_mul_hi_u32 s7, s6, s7
	s_wait_alu 0xfffe
	s_add_co_i32 s6, s6, s7
	s_wait_alu 0xfffe
	s_mul_hi_u32 s6, s54, s6
	s_wait_alu 0xfffe
	s_mul_i32 s6, s6, s44
	s_wait_alu 0xfffe
	s_sub_co_i32 s6, s54, s6
	s_wait_alu 0xfffe
	s_sub_co_i32 s7, s6, s44
	s_cmp_ge_u32 s6, s44
	s_wait_alu 0xfffe
	s_cselect_b32 s6, s7, s6
	s_wait_alu 0xfffe
	s_sub_co_i32 s7, s6, s44
	s_cmp_ge_u32 s6, s44
	s_wait_alu 0xfffe
	s_cselect_b32 s50, s7, s6
	s_wait_alu 0xfffe
	s_mov_b64 s[6:7], s[50:51]
.LBB60_227:                             ;   in Loop: Header=BB60_7 Depth=1
	s_wait_alu 0xfffe
	s_sub_nc_u64 s[12:13], s[54:55], s[6:7]
	s_mov_b32 s7, 0
	s_mov_b32 s64, 0
	s_mov_b32 s50, exec_lo
                                        ; implicit-def: $vgpr46
	s_wait_alu 0xfffe
	v_cmpx_gt_i64_e64 s[12:13], v[0:1]
	s_cbranch_execz .LBB60_239
; %bb.228:                              ;   in Loop: Header=BB60_7 Depth=1
	v_dual_mov_b32 v4, v12 :: v_dual_mov_b32 v5, v13
	v_dual_mov_b32 v9, v1 :: v_dual_mov_b32 v8, v0
                                        ; implicit-def: $sgpr65
	s_branch .LBB60_232
.LBB60_229:                             ;   in Loop: Header=BB60_232 Depth=2
	s_wait_alu 0xfffe
	s_or_b32 exec_lo, exec_lo, s6
	s_wait_loadcnt_dscnt 0x0
	s_barrier_signal -1
	s_barrier_wait -1
	global_inv scope:SCOPE_SE
	ds_load_b32 v10, v3 offset:3072
	s_wait_loadcnt_dscnt 0x0
	s_barrier_signal -1
	s_barrier_wait -1
	global_inv scope:SCOPE_SE
	v_cmp_neq_f16_e32 vcc_lo, 0, v10
	s_cbranch_vccnz .LBB60_235
; %bb.230:                              ;   in Loop: Header=BB60_232 Depth=2
	v_add_co_u32 v8, vcc_lo, v8, s44
	s_wait_alu 0xfffd
	v_add_co_ci_u32_e64 v9, null, 0, v9, vcc_lo
	v_add_co_u32 v4, s6, v4, s46
	s_wait_alu 0xf1ff
	v_add_co_ci_u32_e64 v5, null, s47, v5, s6
	s_delay_alu instid0(VALU_DEP_3)
	v_cmp_le_i64_e32 vcc_lo, s[12:13], v[8:9]
	s_mov_b32 s6, 0
	s_or_not1_b32 s66, vcc_lo, exec_lo
.LBB60_231:                             ;   in Loop: Header=BB60_232 Depth=2
	s_wait_alu 0xfffe
	s_and_b32 s66, exec_lo, s66
	s_wait_alu 0xfffe
	s_or_b32 s64, s66, s64
	s_and_not1_b32 s65, s65, exec_lo
	s_and_b32 s6, s6, exec_lo
	s_wait_alu 0xfffe
	s_or_b32 s65, s65, s6
	s_and_not1_b32 exec_lo, exec_lo, s64
	s_cbranch_execz .LBB60_238
.LBB60_232:                             ;   Parent Loop BB60_7 Depth=1
                                        ; =>  This Inner Loop Header: Depth=2
	s_mov_b32 s6, exec_lo
	s_delay_alu instid0(VALU_DEP_1)
	v_cmpx_gt_i64_e64 s[36:37], v[8:9]
	s_cbranch_execz .LBB60_229
; %bb.233:                              ;   in Loop: Header=BB60_232 Depth=2
	global_load_u16 v10, v[4:5], off
	s_wait_loadcnt 0x0
	v_cmp_lt_i16_e32 vcc_lo, -1, v10
	s_wait_alu 0xfffd
	v_dual_cndmask_b32 v26, 0xffff, v44 :: v_dual_and_b32 v11, 0xffff, v10
	v_cmp_o_f16_e32 vcc_lo, v10, v10
	s_delay_alu instid0(VALU_DEP_2) | instskip(SKIP_1) | instid1(VALU_DEP_1)
	v_xor_b32_e32 v11, v26, v11
	s_wait_alu 0xfffd
	v_cndmask_b32_e32 v11, 0xffff, v11, vcc_lo
	s_delay_alu instid0(VALU_DEP_1) | instskip(NEXT) | instid1(VALU_DEP_1)
	v_and_b32_e32 v11, v11, v45
	v_cmp_eq_u32_e32 vcc_lo, v11, v20
	s_and_b32 exec_lo, exec_lo, vcc_lo
	s_cbranch_execz .LBB60_229
; %bb.234:                              ;   in Loop: Header=BB60_232 Depth=2
	v_perm_b32 v10, v10, s91, 0x5040100
	ds_store_b32 v3, v10 offset:3072
	s_branch .LBB60_229
.LBB60_235:                             ;   in Loop: Header=BB60_232 Depth=2
	s_mov_b32 s66, -1
	s_mov_b32 s6, -1
                                        ; implicit-def: $vgpr8_vgpr9
                                        ; implicit-def: $vgpr4_vgpr5
	s_branch .LBB60_231
.LBB60_236:                             ;   in Loop: Header=BB60_7 Depth=1
                                        ; implicit-def: $sgpr6_sgpr7
	s_branch .LBB60_179
.LBB60_237:                             ;   in Loop: Header=BB60_7 Depth=1
                                        ; implicit-def: $sgpr14_sgpr15
	s_branch .LBB60_196
.LBB60_238:                             ;   in Loop: Header=BB60_7 Depth=1
	s_or_b32 exec_lo, exec_lo, s64
	v_lshrrev_b32_e32 v46, 16, v10
	s_wait_alu 0xfffe
	s_and_b32 s64, s65, exec_lo
.LBB60_239:                             ;   in Loop: Header=BB60_7 Depth=1
	s_or_b32 exec_lo, exec_lo, s50
.LBB60_240:                             ;   in Loop: Header=BB60_7 Depth=1
	s_delay_alu instid0(SALU_CYCLE_1)
	s_and_b32 vcc_lo, exec_lo, s7
	s_wait_alu 0xfffe
	s_cbranch_vccz .LBB60_255
; %bb.241:                              ;   in Loop: Header=BB60_7 Depth=1
	s_add_nc_u64 s[6:7], s[10:11], s[52:53]
	s_mov_b32 s12, s51
	s_wait_alu 0xfffe
	s_mov_b32 s13, s7
	s_wait_alu 0xfffe
	s_cmp_lg_u64 s[12:13], 0
	s_cbranch_scc0 .LBB60_276
; %bb.242:                              ;   in Loop: Header=BB60_7 Depth=1
	s_add_nc_u64 s[12:13], s[44:45], 0
	s_wait_alu 0xfffe
	s_xor_b64 s[12:13], s[12:13], 0
	s_wait_alu 0xfffe
	s_cvt_f32_u32 s50, s12
	s_cvt_f32_u32 s62, s13
	s_sub_nc_u64 s[66:67], 0, s[12:13]
	s_wait_alu 0xfffe
	s_delay_alu instid0(SALU_CYCLE_1) | instskip(SKIP_1) | instid1(SALU_CYCLE_2)
	s_fmamk_f32 s50, s62, 0x4f800000, s50
	s_wait_alu 0xfffe
	v_s_rcp_f32 s50, s50
	s_delay_alu instid0(TRANS32_DEP_1) | instskip(SKIP_1) | instid1(SALU_CYCLE_2)
	s_mul_f32 s50, s50, 0x5f7ffffc
	s_wait_alu 0xfffe
	s_mul_f32 s62, s50, 0x2f800000
	s_wait_alu 0xfffe
	s_delay_alu instid0(SALU_CYCLE_2) | instskip(SKIP_1) | instid1(SALU_CYCLE_2)
	s_trunc_f32 s62, s62
	s_wait_alu 0xfffe
	s_fmamk_f32 s50, s62, 0xcf800000, s50
	s_cvt_u32_f32 s63, s62
	s_wait_alu 0xfffe
	s_delay_alu instid0(SALU_CYCLE_1) | instskip(SKIP_1) | instid1(SALU_CYCLE_2)
	s_cvt_u32_f32 s62, s50
	s_wait_alu 0xfffe
	s_mul_u64 s[68:69], s[66:67], s[62:63]
	s_wait_alu 0xfffe
	s_mul_hi_u32 s71, s62, s69
	s_mul_i32 s70, s62, s69
	s_mul_hi_u32 s50, s62, s68
	s_mul_i32 s72, s63, s68
	s_wait_alu 0xfffe
	s_add_nc_u64 s[70:71], s[50:51], s[70:71]
	s_mul_hi_u32 s65, s63, s68
	s_mul_hi_u32 s73, s63, s69
	s_add_co_u32 s50, s70, s72
	s_wait_alu 0xfffe
	s_add_co_ci_u32 s50, s71, s65
	s_mul_i32 s68, s63, s69
	s_add_co_ci_u32 s69, s73, 0
	s_wait_alu 0xfffe
	s_add_nc_u64 s[68:69], s[50:51], s[68:69]
	s_wait_alu 0xfffe
	s_add_co_u32 s62, s62, s68
	s_cselect_b32 s50, -1, 0
	s_wait_alu 0xfffe
	s_cmp_lg_u32 s50, 0
	s_add_co_ci_u32 s63, s63, s69
	s_wait_alu 0xfffe
	s_mul_u64 s[66:67], s[66:67], s[62:63]
	s_wait_alu 0xfffe
	s_mul_hi_u32 s69, s62, s67
	s_mul_i32 s68, s62, s67
	s_mul_hi_u32 s50, s62, s66
	s_mul_i32 s70, s63, s66
	s_wait_alu 0xfffe
	s_add_nc_u64 s[68:69], s[50:51], s[68:69]
	s_mul_hi_u32 s65, s63, s66
	s_mul_hi_u32 s71, s63, s67
	s_wait_alu 0xfffe
	s_add_co_u32 s50, s68, s70
	s_add_co_ci_u32 s50, s69, s65
	s_mul_i32 s66, s63, s67
	s_add_co_ci_u32 s67, s71, 0
	s_wait_alu 0xfffe
	s_add_nc_u64 s[66:67], s[50:51], s[66:67]
	s_wait_alu 0xfffe
	s_add_co_u32 s65, s62, s66
	s_cselect_b32 s50, -1, 0
	s_wait_alu 0xfffe
	s_cmp_lg_u32 s50, 0
	s_add_co_ci_u32 s70, s63, s67
	s_ashr_i32 s62, s7, 31
	s_wait_alu 0xfffe
	s_mov_b32 s63, s62
	s_wait_alu 0xfffe
	s_add_nc_u64 s[66:67], s[6:7], s[62:63]
	s_wait_alu 0xfffe
	s_xor_b64 s[66:67], s[66:67], s[62:63]
	s_wait_alu 0xfffe
	s_mul_hi_u32 s69, s66, s70
	s_mul_i32 s68, s66, s70
	s_mul_hi_u32 s50, s66, s65
	s_mul_hi_u32 s72, s67, s65
	s_mul_i32 s65, s67, s65
	s_wait_alu 0xfffe
	s_add_nc_u64 s[68:69], s[50:51], s[68:69]
	s_mul_hi_u32 s71, s67, s70
	s_wait_alu 0xfffe
	s_add_co_u32 s50, s68, s65
	s_add_co_ci_u32 s50, s69, s72
	s_mul_i32 s70, s67, s70
	s_add_co_ci_u32 s71, s71, 0
	s_wait_alu 0xfffe
	s_add_nc_u64 s[68:69], s[50:51], s[70:71]
	s_wait_alu 0xfffe
	s_mul_u64 s[68:69], s[12:13], s[68:69]
	s_wait_alu 0xfffe
	s_sub_co_u32 s50, s66, s68
	s_cselect_b32 s65, -1, 0
	s_sub_co_i32 s66, s67, s69
	s_wait_alu 0xfffe
	s_cmp_lg_u32 s65, 0
	s_sub_co_ci_u32 s66, s66, s13
	s_sub_co_u32 s68, s50, s12
	s_cselect_b32 s70, -1, 0
	s_delay_alu instid0(SALU_CYCLE_1) | instskip(SKIP_2) | instid1(SALU_CYCLE_1)
	s_cmp_lg_u32 s70, 0
	s_wait_alu 0xfffe
	s_sub_co_ci_u32 s71, s66, 0
	s_cmp_ge_u32 s71, s13
	s_cselect_b32 s72, -1, 0
	s_cmp_ge_u32 s68, s12
	s_cselect_b32 s73, -1, 0
	s_cmp_eq_u32 s71, s13
	s_wait_alu 0xfffe
	s_cselect_b32 s72, s73, s72
	s_cmp_lg_u32 s70, 0
	s_sub_co_ci_u32 s66, s66, s13
	s_sub_co_u32 s70, s68, s12
	s_cselect_b32 s73, -1, 0
	s_wait_alu 0xfffe
	s_cmp_lg_u32 s73, 0
	s_sub_co_ci_u32 s66, s66, 0
	s_cmp_lg_u32 s72, 0
	s_cselect_b32 s68, s70, s68
	s_wait_alu 0xfffe
	s_cselect_b32 s66, s66, s71
	s_cmp_lg_u32 s65, 0
	s_sub_co_ci_u32 s65, s67, s69
	s_wait_alu 0xfffe
	s_cmp_ge_u32 s65, s13
	s_cselect_b32 s67, -1, 0
	s_cmp_ge_u32 s50, s12
	s_cselect_b32 s12, -1, 0
	s_cmp_eq_u32 s65, s13
	s_wait_alu 0xfffe
	s_cselect_b32 s12, s12, s67
	s_wait_alu 0xfffe
	s_cmp_lg_u32 s12, 0
	s_cselect_b32 s13, s66, s65
	s_cselect_b32 s12, s68, s50
	s_wait_alu 0xfffe
	s_xor_b64 s[12:13], s[12:13], s[62:63]
	s_wait_alu 0xfffe
	s_sub_nc_u64 s[12:13], s[12:13], s[62:63]
	s_cbranch_execnz .LBB60_244
.LBB60_243:                             ;   in Loop: Header=BB60_7 Depth=1
	v_cvt_f32_u32_e32 v4, s44
	s_sub_co_i32 s13, 0, s44
	s_delay_alu instid0(VALU_DEP_1) | instskip(NEXT) | instid1(TRANS32_DEP_1)
	v_rcp_iflag_f32_e32 v4, v4
	v_mul_f32_e32 v4, 0x4f7ffffe, v4
	s_delay_alu instid0(VALU_DEP_1) | instskip(NEXT) | instid1(VALU_DEP_1)
	v_cvt_u32_f32_e32 v4, v4
	v_readfirstlane_b32 s12, v4
	s_wait_alu 0xfffe
	s_mul_i32 s13, s13, s12
	s_wait_alu 0xfffe
	s_mul_hi_u32 s13, s12, s13
	s_wait_alu 0xfffe
	s_add_co_i32 s12, s12, s13
	s_wait_alu 0xfffe
	s_mul_hi_u32 s12, s6, s12
	s_wait_alu 0xfffe
	s_mul_i32 s12, s12, s44
	s_wait_alu 0xfffe
	s_sub_co_i32 s12, s6, s12
	s_wait_alu 0xfffe
	s_sub_co_i32 s13, s12, s44
	s_cmp_ge_u32 s12, s44
	s_wait_alu 0xfffe
	s_cselect_b32 s12, s13, s12
	s_wait_alu 0xfffe
	s_sub_co_i32 s13, s12, s44
	s_cmp_ge_u32 s12, s44
	s_wait_alu 0xfffe
	s_cselect_b32 s50, s13, s12
	s_wait_alu 0xfffe
	s_mov_b64 s[12:13], s[50:51]
.LBB60_244:                             ;   in Loop: Header=BB60_7 Depth=1
	s_wait_alu 0xfffe
	s_sub_nc_u64 s[6:7], s[6:7], s[12:13]
	s_mov_b32 s12, exec_lo
                                        ; implicit-def: $vgpr46
	s_wait_alu 0xfffe
	v_cmpx_gt_i64_e64 s[6:7], v[0:1]
	s_cbranch_execz .LBB60_254
; %bb.245:                              ;   in Loop: Header=BB60_7 Depth=1
	v_dual_mov_b32 v8, v33 :: v_dual_mov_b32 v5, v1
	v_mov_b32_e32 v4, v0
	s_mov_b32 s13, 0
                                        ; implicit-def: $sgpr50
	s_branch .LBB60_249
.LBB60_246:                             ;   in Loop: Header=BB60_249 Depth=2
	s_wait_alu 0xfffe
	s_or_b32 exec_lo, exec_lo, s62
	s_wait_loadcnt_dscnt 0x0
	s_barrier_signal -1
	s_barrier_wait -1
	global_inv scope:SCOPE_SE
	ds_load_b32 v9, v3 offset:3072
	s_wait_loadcnt_dscnt 0x0
	s_barrier_signal -1
	s_barrier_wait -1
	global_inv scope:SCOPE_SE
	v_cmp_eq_f16_e32 vcc_lo, 0, v9
	s_cbranch_vccz .LBB60_252
; %bb.247:                              ;   in Loop: Header=BB60_249 Depth=2
	v_add_co_u32 v4, vcc_lo, v4, s44
	s_wait_alu 0xfffd
	v_add_co_ci_u32_e64 v5, null, 0, v5, vcc_lo
	v_add_nc_u32_e32 v8, s90, v8
	s_mov_b32 s62, 0
	s_delay_alu instid0(VALU_DEP_2)
	v_cmp_le_i64_e32 vcc_lo, s[6:7], v[4:5]
	s_or_not1_b32 s63, vcc_lo, exec_lo
.LBB60_248:                             ;   in Loop: Header=BB60_249 Depth=2
	s_wait_alu 0xfffe
	s_and_b32 s63, exec_lo, s63
	s_wait_alu 0xfffe
	s_or_b32 s13, s63, s13
	s_and_not1_b32 s50, s50, exec_lo
	s_and_b32 s62, s62, exec_lo
	s_wait_alu 0xfffe
	s_or_b32 s50, s50, s62
	s_and_not1_b32 exec_lo, exec_lo, s13
	s_cbranch_execz .LBB60_253
.LBB60_249:                             ;   Parent Loop BB60_7 Depth=1
                                        ; =>  This Inner Loop Header: Depth=2
	s_mov_b32 s62, exec_lo
	s_delay_alu instid0(VALU_DEP_1)
	v_cmpx_gt_u64_e64 s[10:11], v[4:5]
	s_cbranch_execz .LBB60_246
; %bb.250:                              ;   in Loop: Header=BB60_249 Depth=2
	ds_load_u16 v9, v8
	s_wait_dscnt 0x0
	v_cmp_lt_i16_e32 vcc_lo, -1, v9
	s_wait_alu 0xfffd
	v_dual_cndmask_b32 v11, 0xffff, v44 :: v_dual_and_b32 v10, 0xffff, v9
	v_cmp_o_f16_e32 vcc_lo, v9, v9
	s_delay_alu instid0(VALU_DEP_2) | instskip(SKIP_1) | instid1(VALU_DEP_1)
	v_xor_b32_e32 v10, v11, v10
	s_wait_alu 0xfffd
	v_cndmask_b32_e32 v10, 0xffff, v10, vcc_lo
	s_delay_alu instid0(VALU_DEP_1) | instskip(NEXT) | instid1(VALU_DEP_1)
	v_and_b32_e32 v10, v10, v45
	v_cmp_eq_u32_e32 vcc_lo, v10, v20
	s_and_b32 exec_lo, exec_lo, vcc_lo
	s_cbranch_execz .LBB60_246
; %bb.251:                              ;   in Loop: Header=BB60_249 Depth=2
	v_perm_b32 v9, v9, s91, 0x5040100
	ds_store_b32 v3, v9 offset:3072
	s_branch .LBB60_246
.LBB60_252:                             ;   in Loop: Header=BB60_249 Depth=2
	s_mov_b32 s63, -1
	s_mov_b32 s62, -1
                                        ; implicit-def: $vgpr4_vgpr5
                                        ; implicit-def: $vgpr8
	s_branch .LBB60_248
.LBB60_253:                             ;   in Loop: Header=BB60_7 Depth=1
	s_or_b32 exec_lo, exec_lo, s13
	v_lshrrev_b32_e32 v46, 16, v9
	s_and_not1_b32 s6, s64, exec_lo
	s_wait_alu 0xfffe
	s_and_b32 s7, s50, exec_lo
	s_wait_alu 0xfffe
	s_or_b32 s64, s6, s7
.LBB60_254:                             ;   in Loop: Header=BB60_7 Depth=1
	s_or_b32 exec_lo, exec_lo, s12
	s_mov_b32 s62, 0
	s_mov_b32 s63, -1
.LBB60_255:                             ;   in Loop: Header=BB60_7 Depth=1
	s_wait_alu 0xfffe
	s_or_not1_b32 s7, s64, exec_lo
.LBB60_256:                             ;   in Loop: Header=BB60_7 Depth=1
	s_wait_alu 0xfffe
	s_or_b32 exec_lo, exec_lo, s61
	s_mov_b32 s10, 0
	s_and_saveexec_b32 s6, s7
	s_cbranch_execz .LBB60_267
; %bb.257:                              ;   in Loop: Header=BB60_7 Depth=1
	v_mov_b32_e32 v4, 1
	v_dual_mov_b32 v5, 0 :: v_dual_mov_b32 v2, 1
	s_xor_b32 s10, s20, -1
	s_wait_alu 0xfffe
	s_and_saveexec_b32 s7, s10
	s_cbranch_execz .LBB60_266
; %bb.258:                              ;   in Loop: Header=BB60_7 Depth=1
	s_mov_b32 s10, exec_lo
	v_cmpx_ge_i64_e64 s[8:9], v[6:7]
	s_wait_alu 0xfffe
	s_xor_b32 s10, exec_lo, s10
	s_cbranch_execz .LBB60_263
; %bb.259:                              ;   in Loop: Header=BB60_7 Depth=1
	ds_load_b64 v[4:5], v3 offset:5120
	v_or_b32_e32 v20, s16, v20
	v_or_b32_e32 v45, s16, v45
	s_wait_dscnt 0x0
	v_cmp_ne_u64_e32 vcc_lo, 0, v[4:5]
	s_cbranch_vccnz .LBB60_263
; %bb.260:                              ;   in Loop: Header=BB60_7 Depth=1
	s_and_saveexec_b32 s11, s2
; %bb.261:                              ;   in Loop: Header=BB60_7 Depth=1
	v_dual_mov_b32 v4, s8 :: v_dual_mov_b32 v5, s9
	ds_store_b64 v3, v[4:5] offset:5128
; %bb.262:                              ;   in Loop: Header=BB60_7 Depth=1
	s_wait_alu 0xfffe
	s_or_b32 exec_lo, exec_lo, s11
	s_wait_loadcnt_dscnt 0x0
	s_barrier_signal -1
	s_barrier_wait -1
	global_inv scope:SCOPE_SE
.LBB60_263:                             ;   in Loop: Header=BB60_7 Depth=1
	s_wait_alu 0xfffe
	s_and_not1_saveexec_b32 s10, s10
; %bb.264:                              ;   in Loop: Header=BB60_7 Depth=1
	v_sub_co_u32 v6, vcc_lo, v6, s8
	s_wait_alu 0xfffd
	v_subrev_co_ci_u32_e64 v7, null, s9, v7, vcc_lo
; %bb.265:                              ;   in Loop: Header=BB60_7 Depth=1
	s_wait_alu 0xfffe
	s_or_b32 exec_lo, exec_lo, s10
	v_mov_b32_e32 v4, v6
	s_delay_alu instid0(VALU_DEP_2)
	v_dual_mov_b32 v2, 8 :: v_dual_mov_b32 v5, v7
.LBB60_266:                             ;   in Loop: Header=BB60_7 Depth=1
	s_wait_alu 0xfffe
	s_or_b32 exec_lo, exec_lo, s7
	s_delay_alu instid0(VALU_DEP_1)
	v_dual_mov_b32 v7, v5 :: v_dual_mov_b32 v6, v4
	s_mov_b32 s10, exec_lo
.LBB60_267:                             ;   in Loop: Header=BB60_7 Depth=1
	s_wait_alu 0xfffe
	s_or_b32 exec_lo, exec_lo, s6
	s_delay_alu instid0(SALU_CYCLE_1)
	s_or_not1_b32 s6, s10, exec_lo
.LBB60_268:                             ;   in Loop: Header=BB60_7 Depth=1
	s_wait_alu 0xfffe
	s_or_b32 exec_lo, exec_lo, s15
	v_dual_mov_b32 v4, v6 :: v_dual_mov_b32 v5, v7
	s_and_not1_b32 s7, s60, exec_lo
	s_and_b32 s8, s63, exec_lo
	s_and_not1_b32 s9, s25, exec_lo
	s_and_b32 s10, s62, exec_lo
	s_wait_alu 0xfffe
	s_or_b32 s60, s7, s8
	s_or_b32 s25, s9, s10
	s_and_b32 s7, s6, exec_lo
.LBB60_269:                             ;   in Loop: Header=BB60_7 Depth=1
	s_wait_alu 0xfffe
	s_or_b32 exec_lo, exec_lo, s14
	s_delay_alu instid0(SALU_CYCLE_1)
	s_or_not1_b32 s6, s7, exec_lo
.LBB60_270:                             ;   in Loop: Header=BB60_7 Depth=1
	s_wait_alu 0xfffe
	s_or_b32 exec_lo, exec_lo, s24
	v_dual_mov_b32 v9, v5 :: v_dual_mov_b32 v8, v4
	s_and_not1_b32 s7, s22, exec_lo
	s_and_b32 s8, s60, exec_lo
	s_and_not1_b32 s9, s21, exec_lo
	s_and_b32 s10, s25, exec_lo
	s_wait_alu 0xfffe
	s_or_b32 s22, s7, s8
	s_or_b32 s21, s9, s10
	s_and_b32 s7, s6, exec_lo
.LBB60_271:                             ;   in Loop: Header=BB60_7 Depth=1
	s_wait_alu 0xfffe
	s_or_b32 exec_lo, exec_lo, s23
	s_delay_alu instid0(SALU_CYCLE_1)
	s_or_not1_b32 s6, s7, exec_lo
.LBB60_272:                             ;   in Loop: Header=BB60_7 Depth=1
	s_or_b32 exec_lo, exec_lo, s19
	s_mov_b32 s7, 0
	s_wait_alu 0xfffe
	s_and_saveexec_b32 s8, s6
	s_wait_alu 0xfffe
	s_xor_b32 s6, exec_lo, s8
	s_cbranch_execz .LBB60_5
; %bb.273:                              ;   in Loop: Header=BB60_7 Depth=1
	v_and_b32_e32 v2, 7, v2
	s_mov_b32 s8, -1
	s_mov_b32 s7, -1
	s_mov_b32 s9, exec_lo
	s_delay_alu instid0(VALU_DEP_1)
	v_cmpx_eq_u32_e32 0, v2
	s_cbranch_execz .LBB60_4
; %bb.274:                              ;   in Loop: Header=BB60_7 Depth=1
	s_xor_b32 s94, s94, 1
	s_add_co_i32 s10, s92, -2
	s_cmp_eq_u32 s92, 0
	s_wait_alu 0xfffe
	s_mov_b32 s92, s10
	s_cselect_b32 s8, -1, 0
	s_xor_b32 s7, exec_lo, -1
	s_wait_alu 0xfffe
	s_or_not1_b32 s8, s8, exec_lo
	s_branch .LBB60_4
.LBB60_275:                             ;   in Loop: Header=BB60_7 Depth=1
                                        ; implicit-def: $sgpr6_sgpr7
	s_branch .LBB60_226
.LBB60_276:                             ;   in Loop: Header=BB60_7 Depth=1
                                        ; implicit-def: $sgpr12_sgpr13
	s_branch .LBB60_243
.LBB60_277:
	s_or_b32 exec_lo, exec_lo, s93
	s_xor_b32 s5, s100, -1
	s_xor_b32 s1, s98, -1
	;; [unrolled: 1-line block ×3, first 2 shown]
	s_mov_b32 s3, 0
	s_and_saveexec_b32 s6, s1
	s_wait_alu 0xfffe
	s_xor_b32 s1, exec_lo, s6
	s_cbranch_execnz .LBB60_282
; %bb.278:
	s_and_not1_saveexec_b32 s0, s1
	s_cbranch_execnz .LBB60_304
.LBB60_279:
	s_wait_alu 0xfffe
	s_or_b32 exec_lo, exec_lo, s0
	s_and_saveexec_b32 s0, s3
.LBB60_280:
	; divergent unreachable
.LBB60_281:
	s_endpgm
.LBB60_282:
	s_and_saveexec_b32 s3, s5
	s_delay_alu instid0(SALU_CYCLE_1)
	s_xor_b32 s3, exec_lo, s3
	s_cbranch_execz .LBB60_302
; %bb.283:
	s_and_saveexec_b32 s5, s4
	s_delay_alu instid0(SALU_CYCLE_1)
	s_xor_b32 s4, exec_lo, s5
; %bb.284:
	v_and_b32_e32 v2, 0x8000, v20
	v_mov_b32_e32 v3, 0xffff
	s_delay_alu instid0(VALU_DEP_2) | instskip(SKIP_1) | instid1(VALU_DEP_2)
	v_cmp_eq_u32_e32 vcc_lo, 0, v2
	s_wait_alu 0xfffd
	v_cndmask_b32_e32 v2, 0x8000, v3, vcc_lo
	s_delay_alu instid0(VALU_DEP_1)
	v_xor_b32_e32 v46, v2, v20
; %bb.285:
	s_or_b32 exec_lo, exec_lo, s4
	s_and_saveexec_b32 s4, s2
; %bb.286:
	v_dual_mov_b32 v2, 0 :: v_dual_mov_b32 v3, s36
	ds_store_b32 v2, v3 offset:5140
; %bb.287:
	s_or_b32 exec_lo, exec_lo, s4
	s_wait_loadcnt_dscnt 0x0
	s_barrier_signal -1
	s_barrier_wait -1
	global_inv scope:SCOPE_SE
	s_and_saveexec_b32 s4, s0
	s_cbranch_execz .LBB60_299
; %bb.288:
	v_mov_b32_e32 v2, 0
	v_cmp_u_f16_e32 vcc_lo, v46, v46
	s_mov_b32 s5, 0
                                        ; implicit-def: $sgpr7
                                        ; implicit-def: $sgpr8
                                        ; implicit-def: $sgpr9
	ds_load_b32 v4, v2 offset:5140
	s_xor_b32 s6, vcc_lo, -1
	s_wait_dscnt 0x0
	v_ashrrev_i32_e32 v5, 31, v4
	s_branch .LBB60_291
.LBB60_289:                             ;   in Loop: Header=BB60_291 Depth=1
	s_wait_alu 0xfffe
	s_or_b32 exec_lo, exec_lo, s13
	s_delay_alu instid0(SALU_CYCLE_1)
	s_and_not1_b32 s0, s9, exec_lo
	s_and_b32 s9, s11, exec_lo
	s_and_not1_b32 s8, s8, exec_lo
	s_and_b32 s11, s12, exec_lo
	s_wait_alu 0xfffe
	s_or_b32 s9, s0, s9
	s_or_b32 s8, s8, s11
.LBB60_290:                             ;   in Loop: Header=BB60_291 Depth=1
	s_wait_alu 0xfffe
	s_or_b32 exec_lo, exec_lo, s10
	s_delay_alu instid0(SALU_CYCLE_1)
	s_and_b32 s0, exec_lo, s8
	s_wait_alu 0xfffe
	s_or_b32 s5, s0, s5
	s_and_not1_b32 s0, s7, exec_lo
	s_and_b32 s7, s9, exec_lo
	s_wait_alu 0xfffe
	s_or_b32 s7, s0, s7
	s_and_not1_b32 exec_lo, exec_lo, s5
	s_cbranch_execz .LBB60_294
.LBB60_291:                             ; =>This Inner Loop Header: Depth=1
	v_dual_mov_b32 v3, v1 :: v_dual_mov_b32 v2, v0
	s_or_b32 s9, s9, exec_lo
	s_or_b32 s8, s8, exec_lo
	s_mov_b32 s10, exec_lo
                                        ; implicit-def: $vgpr0_vgpr1
	s_delay_alu instid0(VALU_DEP_1)
	v_cmpx_lt_i64_e64 v[2:3], v[4:5]
	s_cbranch_execz .LBB60_290
; %bb.292:                              ;   in Loop: Header=BB60_291 Depth=1
	global_load_u16 v0, v[12:13], off
	s_mov_b32 s12, -1
	s_wait_loadcnt 0x0
	v_cmp_o_f16_e32 vcc_lo, v0, v0
	v_cmp_neq_f16_e64 s0, v0, v46
                                        ; implicit-def: $vgpr0_vgpr1
	s_wait_alu 0xfffe
	s_or_b32 s11, s6, vcc_lo
	s_wait_alu 0xfffe
	s_and_b32 s0, s0, s11
	s_mov_b32 s11, 0
	s_wait_alu 0xfffe
	s_and_saveexec_b32 s13, s0
	s_cbranch_execz .LBB60_289
; %bb.293:                              ;   in Loop: Header=BB60_291 Depth=1
	v_add_co_u32 v0, vcc_lo, v2, s44
	s_wait_alu 0xfffd
	v_add_co_ci_u32_e64 v1, null, 0, v3, vcc_lo
	v_add_co_u32 v12, s0, v12, s46
	s_wait_alu 0xf1ff
	v_add_co_ci_u32_e64 v13, null, s47, v13, s0
	s_delay_alu instid0(VALU_DEP_3)
	v_cmp_le_i64_e32 vcc_lo, s[36:37], v[0:1]
	s_mov_b32 s11, exec_lo
	s_or_not1_b32 s12, vcc_lo, exec_lo
	s_branch .LBB60_289
.LBB60_294:
	s_or_b32 exec_lo, exec_lo, s5
	s_wait_alu 0xfffe
	s_xor_b32 s0, s7, -1
	s_wait_alu 0xfffe
	s_and_saveexec_b32 s5, s0
	s_delay_alu instid0(SALU_CYCLE_1)
	s_xor_b32 s5, exec_lo, s5
	s_cbranch_execz .LBB60_299
; %bb.295:
	s_mov_b32 s5, exec_lo
	s_brev_b32 s0, -2
.LBB60_296:                             ; =>This Inner Loop Header: Depth=1
	s_ctz_i32_b32 s6, s5
	s_wait_alu 0xfffe
	v_readlane_b32 s7, v2, s6
	s_lshl_b32 s6, 1, s6
	s_wait_alu 0xfffe
	s_and_not1_b32 s5, s5, s6
	s_min_i32 s0, s0, s7
	s_cmp_lg_u32 s5, 0
	s_cbranch_scc1 .LBB60_296
; %bb.297:
	v_mbcnt_lo_u32_b32 v0, exec_lo, 0
	s_mov_b32 s5, exec_lo
	s_delay_alu instid0(VALU_DEP_1)
	v_cmpx_eq_u32_e32 0, v0
	s_xor_b32 s5, exec_lo, s5
; %bb.298:
	s_wait_alu 0xfffe
	v_dual_mov_b32 v0, 0 :: v_dual_mov_b32 v1, s0
	ds_min_i32 v0, v1 offset:5140
.LBB60_299:
	s_or_b32 exec_lo, exec_lo, s4
	s_wait_loadcnt_dscnt 0x0
	s_barrier_signal -1
	s_barrier_wait -1
	global_inv scope:SCOPE_SE
	s_and_saveexec_b32 s0, s2
	s_cbranch_execz .LBB60_301
; %bb.300:
	v_mov_b32_e32 v2, 0
	s_mul_u64 s[6:7], s[34:35], s[26:27]
	s_mul_u64 s[4:5], s[40:41], s[26:27]
	s_wait_alu 0xfffe
	s_lshl_b64 s[6:7], s[6:7], 3
	s_lshl_b64 s[4:5], s[4:5], 1
	ds_load_b32 v0, v2 offset:5140
	s_wait_alu 0xfffe
	s_add_nc_u64 s[6:7], s[28:29], s[6:7]
	s_add_nc_u64 s[4:5], s[30:31], s[4:5]
	s_wait_dscnt 0x0
	v_ashrrev_i32_e32 v1, 31, v0
	s_clause 0x1
	global_store_b64 v2, v[0:1], s[6:7]
	global_store_b16 v2, v46, s[4:5]
.LBB60_301:
	s_wait_alu 0xfffe
	s_or_b32 exec_lo, exec_lo, s0
.LBB60_302:
	s_or_saveexec_b32 s0, s3
	s_mov_b32 s2, 0
	s_wait_alu 0xfffe
	s_xor_b32 exec_lo, exec_lo, s0
	s_cbranch_execnz .LBB60_305
.LBB60_303:
	s_or_b32 exec_lo, exec_lo, s0
	s_delay_alu instid0(SALU_CYCLE_1)
	s_and_b32 s3, s2, exec_lo
	s_and_not1_saveexec_b32 s0, s1
	s_cbranch_execz .LBB60_279
.LBB60_304:
	s_or_b32 s3, s3, exec_lo
	s_trap 2
	s_wait_alu 0xfffe
	s_or_b32 exec_lo, exec_lo, s0
	s_and_saveexec_b32 s0, s3
	s_cbranch_execnz .LBB60_280
	s_branch .LBB60_281
.LBB60_305:
	s_mov_b32 s2, exec_lo
	s_trap 2
	s_branch .LBB60_303
	.section	.rodata,"a",@progbits
	.p2align	6, 0x0
	.amdhsa_kernel _ZN2at6native12_GLOBAL__N_114gatherKthValueIN3c104HalfElLi1EEEvNS_4cuda6detail10TensorInfoIKT_T0_EESA_SA_SA_SA_NS7_IS8_SA_EENS7_IlSA_EE
		.amdhsa_group_segment_fixed_size 5144
		.amdhsa_private_segment_fixed_size 0
		.amdhsa_kernarg_size 1536
		.amdhsa_user_sgpr_count 2
		.amdhsa_user_sgpr_dispatch_ptr 0
		.amdhsa_user_sgpr_queue_ptr 0
		.amdhsa_user_sgpr_kernarg_segment_ptr 1
		.amdhsa_user_sgpr_dispatch_id 0
		.amdhsa_user_sgpr_private_segment_size 0
		.amdhsa_wavefront_size32 1
		.amdhsa_uses_dynamic_stack 0
		.amdhsa_enable_private_segment 0
		.amdhsa_system_sgpr_workgroup_id_x 1
		.amdhsa_system_sgpr_workgroup_id_y 1
		.amdhsa_system_sgpr_workgroup_id_z 1
		.amdhsa_system_sgpr_workgroup_info 0
		.amdhsa_system_vgpr_workitem_id 0
		.amdhsa_next_free_vgpr 52
		.amdhsa_next_free_sgpr 101
		.amdhsa_reserve_vcc 1
		.amdhsa_float_round_mode_32 0
		.amdhsa_float_round_mode_16_64 0
		.amdhsa_float_denorm_mode_32 3
		.amdhsa_float_denorm_mode_16_64 3
		.amdhsa_fp16_overflow 0
		.amdhsa_workgroup_processor_mode 1
		.amdhsa_memory_ordered 1
		.amdhsa_forward_progress 1
		.amdhsa_inst_pref_size 156
		.amdhsa_round_robin_scheduling 0
		.amdhsa_exception_fp_ieee_invalid_op 0
		.amdhsa_exception_fp_denorm_src 0
		.amdhsa_exception_fp_ieee_div_zero 0
		.amdhsa_exception_fp_ieee_overflow 0
		.amdhsa_exception_fp_ieee_underflow 0
		.amdhsa_exception_fp_ieee_inexact 0
		.amdhsa_exception_int_div_zero 0
	.end_amdhsa_kernel
	.section	.text._ZN2at6native12_GLOBAL__N_114gatherKthValueIN3c104HalfElLi1EEEvNS_4cuda6detail10TensorInfoIKT_T0_EESA_SA_SA_SA_NS7_IS8_SA_EENS7_IlSA_EE,"axG",@progbits,_ZN2at6native12_GLOBAL__N_114gatherKthValueIN3c104HalfElLi1EEEvNS_4cuda6detail10TensorInfoIKT_T0_EESA_SA_SA_SA_NS7_IS8_SA_EENS7_IlSA_EE,comdat
.Lfunc_end60:
	.size	_ZN2at6native12_GLOBAL__N_114gatherKthValueIN3c104HalfElLi1EEEvNS_4cuda6detail10TensorInfoIKT_T0_EESA_SA_SA_SA_NS7_IS8_SA_EENS7_IlSA_EE, .Lfunc_end60-_ZN2at6native12_GLOBAL__N_114gatherKthValueIN3c104HalfElLi1EEEvNS_4cuda6detail10TensorInfoIKT_T0_EESA_SA_SA_SA_NS7_IS8_SA_EENS7_IlSA_EE
                                        ; -- End function
	.set _ZN2at6native12_GLOBAL__N_114gatherKthValueIN3c104HalfElLi1EEEvNS_4cuda6detail10TensorInfoIKT_T0_EESA_SA_SA_SA_NS7_IS8_SA_EENS7_IlSA_EE.num_vgpr, 52
	.set _ZN2at6native12_GLOBAL__N_114gatherKthValueIN3c104HalfElLi1EEEvNS_4cuda6detail10TensorInfoIKT_T0_EESA_SA_SA_SA_NS7_IS8_SA_EENS7_IlSA_EE.num_agpr, 0
	.set _ZN2at6native12_GLOBAL__N_114gatherKthValueIN3c104HalfElLi1EEEvNS_4cuda6detail10TensorInfoIKT_T0_EESA_SA_SA_SA_NS7_IS8_SA_EENS7_IlSA_EE.numbered_sgpr, 101
	.set _ZN2at6native12_GLOBAL__N_114gatherKthValueIN3c104HalfElLi1EEEvNS_4cuda6detail10TensorInfoIKT_T0_EESA_SA_SA_SA_NS7_IS8_SA_EENS7_IlSA_EE.num_named_barrier, 0
	.set _ZN2at6native12_GLOBAL__N_114gatherKthValueIN3c104HalfElLi1EEEvNS_4cuda6detail10TensorInfoIKT_T0_EESA_SA_SA_SA_NS7_IS8_SA_EENS7_IlSA_EE.private_seg_size, 0
	.set _ZN2at6native12_GLOBAL__N_114gatherKthValueIN3c104HalfElLi1EEEvNS_4cuda6detail10TensorInfoIKT_T0_EESA_SA_SA_SA_NS7_IS8_SA_EENS7_IlSA_EE.uses_vcc, 1
	.set _ZN2at6native12_GLOBAL__N_114gatherKthValueIN3c104HalfElLi1EEEvNS_4cuda6detail10TensorInfoIKT_T0_EESA_SA_SA_SA_NS7_IS8_SA_EENS7_IlSA_EE.uses_flat_scratch, 0
	.set _ZN2at6native12_GLOBAL__N_114gatherKthValueIN3c104HalfElLi1EEEvNS_4cuda6detail10TensorInfoIKT_T0_EESA_SA_SA_SA_NS7_IS8_SA_EENS7_IlSA_EE.has_dyn_sized_stack, 0
	.set _ZN2at6native12_GLOBAL__N_114gatherKthValueIN3c104HalfElLi1EEEvNS_4cuda6detail10TensorInfoIKT_T0_EESA_SA_SA_SA_NS7_IS8_SA_EENS7_IlSA_EE.has_recursion, 0
	.set _ZN2at6native12_GLOBAL__N_114gatherKthValueIN3c104HalfElLi1EEEvNS_4cuda6detail10TensorInfoIKT_T0_EESA_SA_SA_SA_NS7_IS8_SA_EENS7_IlSA_EE.has_indirect_call, 0
	.section	.AMDGPU.csdata,"",@progbits
; Kernel info:
; codeLenInByte = 19960
; TotalNumSgprs: 103
; NumVgprs: 52
; ScratchSize: 0
; MemoryBound: 0
; FloatMode: 240
; IeeeMode: 1
; LDSByteSize: 5144 bytes/workgroup (compile time only)
; SGPRBlocks: 0
; VGPRBlocks: 6
; NumSGPRsForWavesPerEU: 103
; NumVGPRsForWavesPerEU: 52
; Occupancy: 16
; WaveLimiterHint : 1
; COMPUTE_PGM_RSRC2:SCRATCH_EN: 0
; COMPUTE_PGM_RSRC2:USER_SGPR: 2
; COMPUTE_PGM_RSRC2:TRAP_HANDLER: 0
; COMPUTE_PGM_RSRC2:TGID_X_EN: 1
; COMPUTE_PGM_RSRC2:TGID_Y_EN: 1
; COMPUTE_PGM_RSRC2:TGID_Z_EN: 1
; COMPUTE_PGM_RSRC2:TIDIG_COMP_CNT: 0
	.section	.text._ZN2at6native12_GLOBAL__N_114gatherKthValueIN3c104HalfElLi2EEEvNS_4cuda6detail10TensorInfoIKT_T0_EESA_SA_SA_SA_NS7_IS8_SA_EENS7_IlSA_EE,"axG",@progbits,_ZN2at6native12_GLOBAL__N_114gatherKthValueIN3c104HalfElLi2EEEvNS_4cuda6detail10TensorInfoIKT_T0_EESA_SA_SA_SA_NS7_IS8_SA_EENS7_IlSA_EE,comdat
	.globl	_ZN2at6native12_GLOBAL__N_114gatherKthValueIN3c104HalfElLi2EEEvNS_4cuda6detail10TensorInfoIKT_T0_EESA_SA_SA_SA_NS7_IS8_SA_EENS7_IlSA_EE ; -- Begin function _ZN2at6native12_GLOBAL__N_114gatherKthValueIN3c104HalfElLi2EEEvNS_4cuda6detail10TensorInfoIKT_T0_EESA_SA_SA_SA_NS7_IS8_SA_EENS7_IlSA_EE
	.p2align	8
	.type	_ZN2at6native12_GLOBAL__N_114gatherKthValueIN3c104HalfElLi2EEEvNS_4cuda6detail10TensorInfoIKT_T0_EESA_SA_SA_SA_NS7_IS8_SA_EENS7_IlSA_EE,@function
_ZN2at6native12_GLOBAL__N_114gatherKthValueIN3c104HalfElLi2EEEvNS_4cuda6detail10TensorInfoIKT_T0_EESA_SA_SA_SA_NS7_IS8_SA_EENS7_IlSA_EE: ; @_ZN2at6native12_GLOBAL__N_114gatherKthValueIN3c104HalfElLi2EEEvNS_4cuda6detail10TensorInfoIKT_T0_EESA_SA_SA_SA_NS7_IS8_SA_EENS7_IlSA_EE
; %bb.0:
	s_clause 0x1
	s_load_b64 s[8:9], s[0:1], 0x500
	s_load_b256 s[36:43], s[0:1], 0x1a0
	s_lshr_b32 s2, ttmp7, 16
	s_and_b32 s3, ttmp7, 0xffff
	s_mov_b32 s27, 0
	s_wait_kmcnt 0x0
	s_mul_i32 s2, s9, s2
	s_delay_alu instid0(SALU_CYCLE_1) | instskip(NEXT) | instid1(SALU_CYCLE_1)
	s_add_co_i32 s2, s2, s3
	s_mul_i32 s2, s2, s8
	s_delay_alu instid0(SALU_CYCLE_1) | instskip(NEXT) | instid1(SALU_CYCLE_1)
	s_add_co_i32 s26, s2, ttmp9
	v_cmp_le_i64_e64 s2, s[40:41], s[26:27]
	s_and_b32 vcc_lo, exec_lo, s2
	s_cbranch_vccnz .LBB61_290
; %bb.1:
	s_clause 0x1
	s_load_b64 s[10:11], s[0:1], 0x10
	s_load_b64 s[34:35], s[0:1], 0x1d0
	s_mov_b32 s2, s27
	s_wait_kmcnt 0x0
	s_mov_b32 s3, s11
	s_delay_alu instid0(SALU_CYCLE_1)
	s_cmp_lg_u64 s[2:3], 0
	s_add_nc_u64 s[2:3], s[26:27], 0
	s_cbranch_scc0 .LBB61_303
; %bb.2:
	s_ashr_i32 s4, s11, 31
	s_mov_b32 s15, 0
	s_mov_b32 s5, s4
	s_delay_alu instid0(SALU_CYCLE_1) | instskip(NEXT) | instid1(SALU_CYCLE_1)
	s_add_nc_u64 s[6:7], s[10:11], s[4:5]
	s_xor_b64 s[6:7], s[6:7], s[4:5]
	s_delay_alu instid0(SALU_CYCLE_1) | instskip(SKIP_2) | instid1(SALU_CYCLE_2)
	s_cvt_f32_u32 s9, s6
	s_cvt_f32_u32 s12, s7
	s_sub_nc_u64 s[16:17], 0, s[6:7]
	s_fmamk_f32 s9, s12, 0x4f800000, s9
	s_delay_alu instid0(SALU_CYCLE_3) | instskip(NEXT) | instid1(TRANS32_DEP_1)
	v_s_rcp_f32 s9, s9
	s_mul_f32 s9, s9, 0x5f7ffffc
	s_wait_alu 0xfffe
	s_delay_alu instid0(SALU_CYCLE_2) | instskip(NEXT) | instid1(SALU_CYCLE_3)
	s_mul_f32 s12, s9, 0x2f800000
	s_trunc_f32 s12, s12
	s_delay_alu instid0(SALU_CYCLE_3) | instskip(SKIP_2) | instid1(SALU_CYCLE_1)
	s_fmamk_f32 s9, s12, 0xcf800000, s9
	s_cvt_u32_f32 s13, s12
	s_wait_alu 0xfffe
	s_cvt_u32_f32 s12, s9
	s_delay_alu instid0(SALU_CYCLE_3) | instskip(NEXT) | instid1(SALU_CYCLE_1)
	s_mul_u64 s[18:19], s[16:17], s[12:13]
	s_mul_hi_u32 s21, s12, s19
	s_mul_i32 s20, s12, s19
	s_mul_hi_u32 s14, s12, s18
	s_mul_i32 s22, s13, s18
	s_add_nc_u64 s[20:21], s[14:15], s[20:21]
	s_mul_hi_u32 s9, s13, s18
	s_mul_hi_u32 s23, s13, s19
	s_add_co_u32 s14, s20, s22
	s_wait_alu 0xfffe
	s_add_co_ci_u32 s14, s21, s9
	s_mul_i32 s18, s13, s19
	s_add_co_ci_u32 s19, s23, 0
	s_delay_alu instid0(SALU_CYCLE_1) | instskip(NEXT) | instid1(SALU_CYCLE_1)
	s_add_nc_u64 s[18:19], s[14:15], s[18:19]
	s_add_co_u32 s12, s12, s18
	s_cselect_b32 s9, -1, 0
	s_wait_alu 0xfffe
	s_cmp_lg_u32 s9, 0
	s_add_co_ci_u32 s13, s13, s19
	s_delay_alu instid0(SALU_CYCLE_1) | instskip(NEXT) | instid1(SALU_CYCLE_1)
	s_mul_u64 s[16:17], s[16:17], s[12:13]
	s_mul_hi_u32 s19, s12, s17
	s_mul_i32 s18, s12, s17
	s_mul_hi_u32 s14, s12, s16
	s_mul_i32 s20, s13, s16
	s_add_nc_u64 s[18:19], s[14:15], s[18:19]
	s_mul_hi_u32 s9, s13, s16
	s_mul_hi_u32 s21, s13, s17
	s_add_co_u32 s14, s18, s20
	s_wait_alu 0xfffe
	s_add_co_ci_u32 s14, s19, s9
	s_mul_i32 s16, s13, s17
	s_add_co_ci_u32 s17, s21, 0
	s_delay_alu instid0(SALU_CYCLE_1) | instskip(NEXT) | instid1(SALU_CYCLE_1)
	s_add_nc_u64 s[16:17], s[14:15], s[16:17]
	s_add_co_u32 s9, s12, s16
	s_cselect_b32 s12, -1, 0
	s_delay_alu instid0(SALU_CYCLE_1) | instskip(SKIP_2) | instid1(SALU_CYCLE_1)
	s_cmp_lg_u32 s12, 0
	s_add_co_ci_u32 s18, s13, s17
	s_xor_b64 s[12:13], s[2:3], 0
	s_mul_hi_u32 s17, s12, s18
	s_mul_i32 s16, s12, s18
	s_wait_alu 0xfffe
	s_mul_hi_u32 s14, s12, s9
	s_mul_hi_u32 s20, s13, s9
	s_mul_i32 s9, s13, s9
	s_add_nc_u64 s[16:17], s[14:15], s[16:17]
	s_mul_hi_u32 s19, s13, s18
	s_wait_alu 0xfffe
	s_add_co_u32 s9, s16, s9
	s_add_co_ci_u32 s14, s17, s20
	s_mul_i32 s18, s13, s18
	s_add_co_ci_u32 s19, s19, 0
	s_delay_alu instid0(SALU_CYCLE_1) | instskip(NEXT) | instid1(SALU_CYCLE_1)
	s_add_nc_u64 s[16:17], s[14:15], s[18:19]
	s_mul_u64 s[18:19], s[6:7], s[16:17]
	s_delay_alu instid0(SALU_CYCLE_1)
	s_sub_co_u32 s9, s12, s18
	s_cselect_b32 s12, -1, 0
	s_sub_co_i32 s14, s13, s19
	s_cmp_lg_u32 s12, 0
	s_sub_co_ci_u32 s14, s14, s7
	s_wait_alu 0xfffe
	s_sub_co_u32 s18, s9, s6
	s_cselect_b32 s20, -1, 0
	s_delay_alu instid0(SALU_CYCLE_1) | instskip(SKIP_2) | instid1(SALU_CYCLE_1)
	s_cmp_lg_u32 s20, 0
	s_add_nc_u64 s[20:21], s[16:17], 1
	s_sub_co_ci_u32 s14, s14, 0
	s_cmp_ge_u32 s14, s7
	s_cselect_b32 s22, -1, 0
	s_cmp_ge_u32 s18, s6
	s_cselect_b32 s18, -1, 0
	s_cmp_eq_u32 s14, s7
	s_cselect_b32 s14, s18, s22
	s_add_nc_u64 s[22:23], s[16:17], 2
	s_cmp_lg_u32 s14, 0
	s_cselect_b32 s14, s22, s20
	s_cselect_b32 s18, s23, s21
	s_cmp_lg_u32 s12, 0
	s_sub_co_ci_u32 s12, s13, s19
	s_delay_alu instid0(SALU_CYCLE_1)
	s_cmp_ge_u32 s12, s7
	s_cselect_b32 s13, -1, 0
	s_cmp_ge_u32 s9, s6
	s_cselect_b32 s6, -1, 0
	s_cmp_eq_u32 s12, s7
	s_cselect_b32 s6, s6, s13
	s_delay_alu instid0(SALU_CYCLE_1) | instskip(SKIP_3) | instid1(SALU_CYCLE_1)
	s_cmp_lg_u32 s6, 0
	s_cselect_b32 s7, s18, s17
	s_cselect_b32 s6, s14, s16
	s_xor_b64 s[4:5], 0, s[4:5]
	s_xor_b64 s[6:7], s[6:7], s[4:5]
	s_delay_alu instid0(SALU_CYCLE_1)
	s_sub_nc_u64 s[12:13], s[6:7], s[4:5]
	s_cbranch_execnz .LBB61_4
.LBB61_3:
	v_cvt_f32_u32_e32 v1, s10
	s_sub_co_i32 s5, 0, s10
	s_mov_b32 s13, 0
	s_delay_alu instid0(VALU_DEP_1) | instskip(NEXT) | instid1(TRANS32_DEP_1)
	v_rcp_iflag_f32_e32 v1, v1
	v_mul_f32_e32 v1, 0x4f7ffffe, v1
	s_delay_alu instid0(VALU_DEP_1) | instskip(NEXT) | instid1(VALU_DEP_1)
	v_cvt_u32_f32_e32 v1, v1
	v_readfirstlane_b32 s4, v1
	s_mul_i32 s5, s5, s4
	s_delay_alu instid0(SALU_CYCLE_1) | instskip(NEXT) | instid1(SALU_CYCLE_1)
	s_mul_hi_u32 s5, s4, s5
	s_add_co_i32 s4, s4, s5
	s_delay_alu instid0(SALU_CYCLE_1) | instskip(NEXT) | instid1(SALU_CYCLE_1)
	s_mul_hi_u32 s4, s26, s4
	s_mul_i32 s5, s4, s10
	s_add_co_i32 s6, s4, 1
	s_sub_co_i32 s5, s26, s5
	s_delay_alu instid0(SALU_CYCLE_1)
	s_sub_co_i32 s7, s5, s10
	s_cmp_ge_u32 s5, s10
	s_cselect_b32 s4, s6, s4
	s_cselect_b32 s5, s7, s5
	s_add_co_i32 s6, s4, 1
	s_cmp_ge_u32 s5, s10
	s_cselect_b32 s12, s6, s4
.LBB61_4:
	s_load_b64 s[40:41], s[0:1], 0x370
	s_mov_b32 s4, 0
	s_mov_b32 s5, s35
	s_delay_alu instid0(SALU_CYCLE_1)
	s_cmp_lg_u64 s[4:5], 0
	s_cbranch_scc0 .LBB61_304
; %bb.5:
	s_ashr_i32 s6, s35, 31
	s_mov_b32 s21, s4
	s_mov_b32 s7, s6
	;; [unrolled: 1-line block ×3, first 2 shown]
	s_add_nc_u64 s[14:15], s[34:35], s[6:7]
	s_delay_alu instid0(SALU_CYCLE_1) | instskip(NEXT) | instid1(SALU_CYCLE_1)
	s_xor_b64 s[14:15], s[14:15], s[6:7]
	s_cvt_f32_u32 s5, s14
	s_cvt_f32_u32 s9, s15
	s_sub_nc_u64 s[18:19], 0, s[14:15]
	s_wait_alu 0xfffe
	s_delay_alu instid0(SALU_CYCLE_1) | instskip(NEXT) | instid1(SALU_CYCLE_3)
	s_fmamk_f32 s5, s9, 0x4f800000, s5
	v_s_rcp_f32 s5, s5
	s_delay_alu instid0(TRANS32_DEP_1) | instskip(SKIP_1) | instid1(SALU_CYCLE_2)
	s_mul_f32 s5, s5, 0x5f7ffffc
	s_wait_alu 0xfffe
	s_mul_f32 s9, s5, 0x2f800000
	s_wait_alu 0xfffe
	s_delay_alu instid0(SALU_CYCLE_2) | instskip(SKIP_1) | instid1(SALU_CYCLE_2)
	s_trunc_f32 s9, s9
	s_wait_alu 0xfffe
	s_fmamk_f32 s5, s9, 0xcf800000, s5
	s_cvt_u32_f32 s17, s9
	s_wait_alu 0xfffe
	s_delay_alu instid0(SALU_CYCLE_1) | instskip(NEXT) | instid1(SALU_CYCLE_3)
	s_cvt_u32_f32 s16, s5
	s_mul_u64 s[22:23], s[18:19], s[16:17]
	s_delay_alu instid0(SALU_CYCLE_1)
	s_mul_hi_u32 s29, s16, s23
	s_mul_i32 s28, s16, s23
	s_mul_hi_u32 s20, s16, s22
	s_mul_i32 s9, s17, s22
	s_add_nc_u64 s[20:21], s[20:21], s[28:29]
	s_mul_hi_u32 s5, s17, s22
	s_mul_hi_u32 s30, s17, s23
	s_wait_alu 0xfffe
	s_add_co_u32 s9, s20, s9
	s_add_co_ci_u32 s24, s21, s5
	s_mul_i32 s22, s17, s23
	s_add_co_ci_u32 s23, s30, 0
	s_delay_alu instid0(SALU_CYCLE_1)
	s_add_nc_u64 s[20:21], s[24:25], s[22:23]
	s_mov_b32 s23, s4
	s_add_co_u32 s16, s16, s20
	s_cselect_b32 s5, -1, 0
	s_wait_alu 0xfffe
	s_cmp_lg_u32 s5, 0
	s_add_co_ci_u32 s17, s17, s21
	s_mov_b32 s21, s4
	s_mul_u64 s[18:19], s[18:19], s[16:17]
	s_delay_alu instid0(SALU_CYCLE_1)
	s_mul_hi_u32 s25, s16, s19
	s_mul_i32 s24, s16, s19
	s_mul_hi_u32 s20, s16, s18
	s_mul_i32 s9, s17, s18
	s_add_nc_u64 s[20:21], s[20:21], s[24:25]
	s_mul_hi_u32 s5, s17, s18
	s_mul_hi_u32 s28, s17, s19
	s_wait_alu 0xfffe
	s_add_co_u32 s9, s20, s9
	s_add_co_ci_u32 s22, s21, s5
	s_mul_i32 s18, s17, s19
	s_add_co_ci_u32 s19, s28, 0
	s_mov_b32 s21, s4
	s_add_nc_u64 s[18:19], s[22:23], s[18:19]
	s_delay_alu instid0(SALU_CYCLE_1)
	s_add_co_u32 s5, s16, s18
	s_cselect_b32 s9, -1, 0
	s_wait_alu 0xfffe
	s_cmp_lg_u32 s9, 0
	s_add_co_ci_u32 s9, s17, s19
	s_xor_b64 s[16:17], s[2:3], 0
	s_mov_b32 s19, s4
	s_wait_alu 0xfffe
	s_mul_hi_u32 s23, s16, s9
	s_mul_i32 s22, s16, s9
	s_mul_hi_u32 s20, s16, s5
	s_mul_hi_u32 s18, s17, s5
	s_mul_i32 s5, s17, s5
	s_add_nc_u64 s[20:21], s[20:21], s[22:23]
	s_mul_hi_u32 s24, s17, s9
	s_wait_alu 0xfffe
	s_add_co_u32 s5, s20, s5
	s_add_co_ci_u32 s18, s21, s18
	s_mul_i32 s22, s17, s9
	s_add_co_ci_u32 s23, s24, 0
	s_delay_alu instid0(SALU_CYCLE_1) | instskip(NEXT) | instid1(SALU_CYCLE_1)
	s_add_nc_u64 s[18:19], s[18:19], s[22:23]
	s_mul_u64 s[20:21], s[14:15], s[18:19]
	s_delay_alu instid0(SALU_CYCLE_1)
	s_sub_co_u32 s5, s16, s20
	s_cselect_b32 s9, -1, 0
	s_sub_co_i32 s16, s17, s21
	s_wait_alu 0xfffe
	s_cmp_lg_u32 s9, 0
	s_sub_co_ci_u32 s16, s16, s15
	s_sub_co_u32 s20, s5, s14
	s_cselect_b32 s22, -1, 0
	s_delay_alu instid0(SALU_CYCLE_1) | instskip(SKIP_2) | instid1(SALU_CYCLE_1)
	s_cmp_lg_u32 s22, 0
	s_add_nc_u64 s[22:23], s[18:19], 1
	s_sub_co_ci_u32 s16, s16, 0
	s_cmp_ge_u32 s16, s15
	s_cselect_b32 s24, -1, 0
	s_cmp_ge_u32 s20, s14
	s_cselect_b32 s20, -1, 0
	s_cmp_eq_u32 s16, s15
	s_cselect_b32 s16, s20, s24
	s_add_nc_u64 s[24:25], s[18:19], 2
	s_cmp_lg_u32 s16, 0
	s_cselect_b32 s16, s24, s22
	s_cselect_b32 s20, s25, s23
	s_cmp_lg_u32 s9, 0
	s_sub_co_ci_u32 s9, s17, s21
	s_wait_alu 0xfffe
	s_cmp_ge_u32 s9, s15
	s_cselect_b32 s17, -1, 0
	s_cmp_ge_u32 s5, s14
	s_cselect_b32 s5, -1, 0
	s_cmp_eq_u32 s9, s15
	s_wait_alu 0xfffe
	s_cselect_b32 s5, s5, s17
	s_wait_alu 0xfffe
	s_cmp_lg_u32 s5, 0
	s_cselect_b32 s15, s20, s19
	s_cselect_b32 s14, s16, s18
	s_xor_b64 s[6:7], 0, s[6:7]
	s_delay_alu instid0(SALU_CYCLE_1) | instskip(NEXT) | instid1(SALU_CYCLE_1)
	s_xor_b64 s[14:15], s[14:15], s[6:7]
	s_sub_nc_u64 s[48:49], s[14:15], s[6:7]
	s_and_not1_b32 vcc_lo, exec_lo, s4
	s_cbranch_vccnz .LBB61_7
.LBB61_6:
	v_cvt_f32_u32_e32 v1, s34
	s_sub_co_i32 s5, 0, s34
	s_mov_b32 s49, 0
	s_delay_alu instid0(VALU_DEP_1) | instskip(NEXT) | instid1(TRANS32_DEP_1)
	v_rcp_iflag_f32_e32 v1, v1
	v_mul_f32_e32 v1, 0x4f7ffffe, v1
	s_delay_alu instid0(VALU_DEP_1) | instskip(NEXT) | instid1(VALU_DEP_1)
	v_cvt_u32_f32_e32 v1, v1
	v_readfirstlane_b32 s4, v1
	s_wait_alu 0xfffe
	s_mul_i32 s5, s5, s4
	s_wait_alu 0xfffe
	s_mul_hi_u32 s5, s4, s5
	s_wait_alu 0xfffe
	s_add_co_i32 s4, s4, s5
	s_wait_alu 0xfffe
	s_mul_hi_u32 s4, s26, s4
	s_wait_alu 0xfffe
	s_mul_i32 s5, s4, s34
	s_add_co_i32 s6, s4, 1
	s_wait_alu 0xfffe
	s_sub_co_i32 s5, s26, s5
	s_wait_alu 0xfffe
	s_sub_co_i32 s7, s5, s34
	s_cmp_ge_u32 s5, s34
	s_cselect_b32 s4, s6, s4
	s_cselect_b32 s5, s7, s5
	s_wait_alu 0xfffe
	s_add_co_i32 s6, s4, 1
	s_cmp_ge_u32 s5, s34
	s_cselect_b32 s48, s6, s4
.LBB61_7:
	s_mov_b32 s4, 0
	s_wait_kmcnt 0x0
	s_mov_b32 s5, s41
	s_wait_alu 0xfffe
	s_cmp_lg_u64 s[4:5], 0
	s_cbranch_scc0 .LBB61_305
; %bb.8:
	s_ashr_i32 s6, s41, 31
	s_mov_b32 s21, s4
	s_mov_b32 s7, s6
	;; [unrolled: 1-line block ×3, first 2 shown]
	s_add_nc_u64 s[14:15], s[40:41], s[6:7]
	s_delay_alu instid0(SALU_CYCLE_1) | instskip(NEXT) | instid1(SALU_CYCLE_1)
	s_xor_b64 s[14:15], s[14:15], s[6:7]
	s_cvt_f32_u32 s5, s14
	s_cvt_f32_u32 s9, s15
	s_sub_nc_u64 s[18:19], 0, s[14:15]
	s_wait_alu 0xfffe
	s_delay_alu instid0(SALU_CYCLE_1) | instskip(SKIP_1) | instid1(SALU_CYCLE_2)
	s_fmamk_f32 s5, s9, 0x4f800000, s5
	s_wait_alu 0xfffe
	v_s_rcp_f32 s5, s5
	s_delay_alu instid0(TRANS32_DEP_1) | instskip(SKIP_1) | instid1(SALU_CYCLE_2)
	s_mul_f32 s5, s5, 0x5f7ffffc
	s_wait_alu 0xfffe
	s_mul_f32 s9, s5, 0x2f800000
	s_wait_alu 0xfffe
	s_delay_alu instid0(SALU_CYCLE_2) | instskip(SKIP_1) | instid1(SALU_CYCLE_2)
	s_trunc_f32 s9, s9
	s_wait_alu 0xfffe
	s_fmamk_f32 s5, s9, 0xcf800000, s5
	s_cvt_u32_f32 s17, s9
	s_wait_alu 0xfffe
	s_delay_alu instid0(SALU_CYCLE_1) | instskip(NEXT) | instid1(SALU_CYCLE_3)
	s_cvt_u32_f32 s16, s5
	s_mul_u64 s[22:23], s[18:19], s[16:17]
	s_delay_alu instid0(SALU_CYCLE_1)
	s_mul_hi_u32 s29, s16, s23
	s_mul_i32 s28, s16, s23
	s_mul_hi_u32 s20, s16, s22
	s_mul_i32 s9, s17, s22
	s_add_nc_u64 s[20:21], s[20:21], s[28:29]
	s_mul_hi_u32 s5, s17, s22
	s_mul_hi_u32 s30, s17, s23
	s_wait_alu 0xfffe
	s_add_co_u32 s9, s20, s9
	s_add_co_ci_u32 s24, s21, s5
	s_mul_i32 s22, s17, s23
	s_add_co_ci_u32 s23, s30, 0
	s_delay_alu instid0(SALU_CYCLE_1)
	s_add_nc_u64 s[20:21], s[24:25], s[22:23]
	s_mov_b32 s23, s4
	s_add_co_u32 s16, s16, s20
	s_cselect_b32 s5, -1, 0
	s_wait_alu 0xfffe
	s_cmp_lg_u32 s5, 0
	s_add_co_ci_u32 s17, s17, s21
	s_mov_b32 s21, s4
	s_mul_u64 s[18:19], s[18:19], s[16:17]
	s_delay_alu instid0(SALU_CYCLE_1)
	s_mul_hi_u32 s25, s16, s19
	s_mul_i32 s24, s16, s19
	s_mul_hi_u32 s20, s16, s18
	s_mul_i32 s9, s17, s18
	s_add_nc_u64 s[20:21], s[20:21], s[24:25]
	s_mul_hi_u32 s5, s17, s18
	s_mul_hi_u32 s28, s17, s19
	s_wait_alu 0xfffe
	s_add_co_u32 s9, s20, s9
	s_add_co_ci_u32 s22, s21, s5
	s_mul_i32 s18, s17, s19
	s_add_co_ci_u32 s19, s28, 0
	s_mov_b32 s21, s4
	s_add_nc_u64 s[18:19], s[22:23], s[18:19]
	s_delay_alu instid0(SALU_CYCLE_1)
	s_add_co_u32 s5, s16, s18
	s_cselect_b32 s9, -1, 0
	s_wait_alu 0xfffe
	s_cmp_lg_u32 s9, 0
	s_add_co_ci_u32 s9, s17, s19
	s_xor_b64 s[2:3], s[2:3], 0
	s_mov_b32 s17, s4
	s_wait_alu 0xfffe
	s_mul_hi_u32 s19, s2, s9
	s_mul_i32 s18, s2, s9
	s_mul_hi_u32 s20, s2, s5
	s_mul_hi_u32 s16, s3, s5
	s_mul_i32 s5, s3, s5
	s_add_nc_u64 s[18:19], s[20:21], s[18:19]
	s_mul_hi_u32 s22, s3, s9
	s_wait_alu 0xfffe
	s_add_co_u32 s5, s18, s5
	s_add_co_ci_u32 s16, s19, s16
	s_mul_i32 s20, s3, s9
	s_add_co_ci_u32 s21, s22, 0
	s_delay_alu instid0(SALU_CYCLE_1) | instskip(NEXT) | instid1(SALU_CYCLE_1)
	s_add_nc_u64 s[16:17], s[16:17], s[20:21]
	s_mul_u64 s[18:19], s[14:15], s[16:17]
	s_delay_alu instid0(SALU_CYCLE_1)
	s_sub_co_u32 s2, s2, s18
	s_cselect_b32 s5, -1, 0
	s_sub_co_i32 s9, s3, s19
	s_wait_alu 0xfffe
	s_cmp_lg_u32 s5, 0
	s_sub_co_ci_u32 s9, s9, s15
	s_sub_co_u32 s18, s2, s14
	s_cselect_b32 s20, -1, 0
	s_delay_alu instid0(SALU_CYCLE_1)
	s_cmp_lg_u32 s20, 0
	s_add_nc_u64 s[20:21], s[16:17], 1
	s_wait_alu 0xfffe
	s_sub_co_ci_u32 s9, s9, 0
	s_wait_alu 0xfffe
	s_cmp_ge_u32 s9, s15
	s_cselect_b32 s22, -1, 0
	s_cmp_ge_u32 s18, s14
	s_cselect_b32 s18, -1, 0
	s_cmp_eq_u32 s9, s15
	s_cselect_b32 s9, s18, s22
	s_add_nc_u64 s[22:23], s[16:17], 2
	s_wait_alu 0xfffe
	s_cmp_lg_u32 s9, 0
	s_cselect_b32 s9, s22, s20
	s_cselect_b32 s18, s23, s21
	s_cmp_lg_u32 s5, 0
	s_sub_co_ci_u32 s3, s3, s19
	s_delay_alu instid0(SALU_CYCLE_1)
	s_cmp_ge_u32 s3, s15
	s_cselect_b32 s5, -1, 0
	s_cmp_ge_u32 s2, s14
	s_cselect_b32 s2, -1, 0
	s_cmp_eq_u32 s3, s15
	s_wait_alu 0xfffe
	s_cselect_b32 s2, s2, s5
	s_delay_alu instid0(SALU_CYCLE_1) | instskip(SKIP_3) | instid1(SALU_CYCLE_1)
	s_cmp_lg_u32 s2, 0
	s_cselect_b32 s3, s18, s17
	s_cselect_b32 s2, s9, s16
	s_xor_b64 s[6:7], 0, s[6:7]
	s_xor_b64 s[2:3], s[2:3], s[6:7]
	s_delay_alu instid0(SALU_CYCLE_1)
	s_sub_nc_u64 s[50:51], s[2:3], s[6:7]
	s_and_not1_b32 vcc_lo, exec_lo, s4
	s_cbranch_vccnz .LBB61_10
.LBB61_9:
	v_cvt_f32_u32_e32 v1, s40
	s_sub_co_i32 s3, 0, s40
	s_mov_b32 s51, 0
	s_delay_alu instid0(VALU_DEP_1) | instskip(NEXT) | instid1(TRANS32_DEP_1)
	v_rcp_iflag_f32_e32 v1, v1
	v_mul_f32_e32 v1, 0x4f7ffffe, v1
	s_delay_alu instid0(VALU_DEP_1) | instskip(NEXT) | instid1(VALU_DEP_1)
	v_cvt_u32_f32_e32 v1, v1
	v_readfirstlane_b32 s2, v1
	s_mul_i32 s3, s3, s2
	s_delay_alu instid0(SALU_CYCLE_1) | instskip(NEXT) | instid1(SALU_CYCLE_1)
	s_mul_hi_u32 s3, s2, s3
	s_add_co_i32 s2, s2, s3
	s_delay_alu instid0(SALU_CYCLE_1) | instskip(NEXT) | instid1(SALU_CYCLE_1)
	s_mul_hi_u32 s2, s26, s2
	s_mul_i32 s3, s2, s40
	s_add_co_i32 s4, s2, 1
	s_sub_co_i32 s3, s26, s3
	s_delay_alu instid0(SALU_CYCLE_1)
	s_sub_co_i32 s5, s3, s40
	s_cmp_ge_u32 s3, s40
	s_wait_alu 0xfffe
	s_cselect_b32 s2, s4, s2
	s_cselect_b32 s3, s5, s3
	s_add_co_i32 s4, s2, 1
	s_cmp_ge_u32 s3, s40
	s_wait_alu 0xfffe
	s_cselect_b32 s50, s4, s2
.LBB61_10:
	s_clause 0x1
	s_load_b128 s[4:7], s[0:1], 0xd0
	s_load_b64 s[16:17], s[0:1], 0x0
	v_cmp_eq_u32_e64 s2, 0, v0
	s_add_nc_u64 s[14:15], s[0:1], 0x500
	s_mov_b32 s25, 0
	s_and_saveexec_b32 s3, s2
	s_cbranch_execz .LBB61_12
; %bb.11:
	v_dual_mov_b32 v1, 0 :: v_dual_mov_b32 v4, s37
	s_delay_alu instid0(VALU_DEP_1)
	v_dual_mov_b32 v3, s36 :: v_dual_mov_b32 v2, v1
	ds_store_b32 v1, v1 offset:5136
	ds_store_b128 v1, v[1:4] offset:5120
.LBB61_12:
	s_or_b32 exec_lo, exec_lo, s3
	v_lshlrev_b32_e32 v39, 3, v0
	v_mad_co_u64_u32 v[4:5], null, s42, v0, 0
	s_clause 0x3
	s_load_b128 s[28:31], s[0:1], 0x430
	s_load_b64 s[18:19], s[0:1], 0x360
	s_load_b128 s[44:47], s[0:1], 0x290
	s_load_b64 s[54:55], s[0:1], 0x1c0
	v_or_b32_e32 v10, 6, v39
	s_mul_u64 s[0:1], s[12:13], s[10:11]
	v_mbcnt_lo_u32_b32 v34, -1, 0
	s_sub_nc_u64 s[0:1], s[26:27], s[0:1]
	s_wait_kmcnt 0x0
	s_mul_u64 s[4:5], s[12:13], s[4:5]
	v_mad_co_u64_u32 v[21:22], null, s42, v10, 0
	v_lshlrev_b32_e32 v35, 1, v0
	v_mov_b32_e32 v1, v5
	s_mul_u64 s[0:1], s[0:1], s[6:7]
	s_wait_alu 0xfffe
	s_lshl_b64 s[10:11], s[4:5], 1
	s_lshl_b64 s[6:7], s[0:1], 1
	v_add_nc_u32_e32 v36, 0xc00, v35
	v_mad_co_u64_u32 v[1:2], null, s43, v0, v[1:2]
	v_cmp_gt_u32_e32 vcc_lo, 32, v0
	v_cmp_gt_i32_e64 s0, 4, v34
	s_wait_alu 0xfffe
	s_add_nc_u64 s[4:5], s[16:17], s[10:11]
	v_dual_mov_b32 v3, 0 :: v_dual_add_nc_u32 v2, 2, v0
	v_dual_mov_b32 v5, v1 :: v_dual_lshlrev_b32 v16, 2, v0
	s_wait_alu 0xfffe
	s_add_nc_u64 s[60:61], s[4:5], s[6:7]
	s_and_b32 s33, vcc_lo, s0
	v_lshlrev_b64_e64 v[8:9], v34, -1
	s_wait_dscnt 0x0
	v_lshlrev_b64_e32 v[6:7], 1, v[4:5]
	s_barrier_signal -1
	s_barrier_wait -1
	global_inv scope:SCOPE_SE
	v_not_b32_e32 v37, v8
	v_not_b32_e32 v8, v0
	v_add_co_u32 v14, vcc_lo, s60, v6
	s_delay_alu instid0(VALU_DEP_1)
	v_add_co_ci_u32_e64 v15, null, s61, v7, vcc_lo
	v_cmp_gt_i64_e32 vcc_lo, s[36:37], v[2:3]
	s_load_b32 s4, s[14:15], 0xc
	v_or_b32_e32 v12, 4, v39
	v_or_b32_e32 v13, 2, v39
	s_add_nc_u64 s[6:7], s[10:11], s[6:7]
                                        ; implicit-def: $vgpr56 : SGPR spill to VGPR lane
	v_cmp_lt_i64_e64 s88, 0x600, s[36:37]
	v_cndmask_b32_e64 v2, v2, s36, vcc_lo
	v_cndmask_b32_e64 v9, 0, s37, vcc_lo
	v_mad_co_u64_u32 v[23:24], null, s42, v12, 0
	v_mad_co_u64_u32 v[25:26], null, s42, v13, 0
	s_delay_alu instid0(VALU_DEP_4) | instskip(SKIP_3) | instid1(VALU_DEP_3)
	v_add_co_u32 v8, vcc_lo, v2, v8
	v_mov_b32_e32 v1, v3
	s_wait_alu 0xfffd
	v_add_co_ci_u32_e64 v9, null, -1, v9, vcc_lo
	v_dual_mov_b32 v17, v3 :: v_dual_and_b32 v18, -2, v8
	s_add_nc_u64 s[66:67], s[16:17], s[6:7]
	v_add_co_u32 v42, s6, s36, v0
	s_delay_alu instid0(VALU_DEP_2)
	v_add_co_u32 v20, vcc_lo, v18, v0
	s_wait_alu 0xfffd
	v_add_co_ci_u32_e64 v2, null, 0, v9, vcc_lo
	v_mov_b32_e32 v2, v22
	s_wait_kmcnt 0x0
	s_and_b32 s56, s4, 0xffff
	s_bfe_u32 s9, s4, 0xb0005
	s_cmp_gt_u32 s56, 31
	s_movk_i32 s4, 0x3e0
	v_mad_co_u64_u32 v[10:11], null, s43, v10, v[2:3]
	s_cselect_b32 s89, -1, 0
	s_cmp_lt_u32 ttmp9, s8
	v_mov_b32_e32 v19, v9
	s_cselect_b32 s24, 12, 18
	s_wait_alu 0xfffe
	s_add_co_i32 s5, s9, -1
	s_bfe_u32 s92, s56, 0x30005
	s_wait_alu 0xfffe
	s_and_b32 s5, s5, 0xffff
	v_and_or_b32 v38, v0, s4, 0xc00
	v_cmp_lt_u64_e64 s4, 1, v[8:9]
	s_wait_alu 0xfffe
	s_cmp_gt_u32 s5, 6
	v_mov_b32_e32 v22, v10
	v_cmp_ne_u64_e64 s5, v[8:9], v[18:19]
	v_dual_mov_b32 v8, v24 :: v_dual_mov_b32 v9, v26
	v_mov_b32_e32 v28, s38
	s_cselect_b32 s93, -1, 0
	s_and_b32 s94, s9, 0x7f8
	s_cmp_lg_u32 s92, 0
	v_mad_co_u64_u32 v[11:12], null, s43, v12, v[8:9]
	v_mad_co_u64_u32 v[8:9], null, s43, v13, v[9:10]
	s_cselect_b32 s95, -1, 0
	s_lshl_b64 s[68:69], s[42:43], 1
	v_add_co_u32 v12, vcc_lo, s66, v6
	v_mul_lo_u32 v45, 0, s68
	v_cmp_gt_i64_e64 s0, s[36:37], v[0:1]
	s_mov_b32 s57, s25
	v_lshlrev_b64_e32 v[26:27], 3, v[4:5]
	v_writelane_b32 v56, s18, 0
	v_cmp_eq_u32_e64 s1, 0, v34
	v_cmp_gt_u32_e64 s3, 2, v0
	v_dual_mov_b32 v40, v11 :: v_dual_mov_b32 v41, v8
	v_mov_b32_e32 v46, 0x8000
	v_add_co_ci_u32_e64 v43, null, s37, 0, s6
	v_lshl_or_b32 v44, v34, 3, 0xc00
	s_wait_alu 0xfffd
	v_add_co_ci_u32_e64 v13, null, s67, v7, vcc_lo
	v_dual_mov_b32 v29, s39 :: v_dual_mov_b32 v48, 0
	v_dual_mov_b32 v24, 0 :: v_dual_mov_b32 v47, 0
	s_add_nc_u64 s[62:63], s[56:57], -1
	s_mul_u64 s[6:7], s[42:43], s[56:57]
	s_add_nc_u64 s[64:65], s[62:63], s[36:37]
	s_mov_b32 s90, s42
	s_mov_b32 s91, s43
	s_lshl_b64 s[70:71], s[42:43], 3
	s_wait_alu 0xfffe
	s_lshl_b64 s[58:59], s[6:7], 1
	s_lshl_b32 s96, s56, 1
	s_mov_b32 s98, 14
	s_movk_i32 s97, 0x3c00
	s_add_nc_u64 s[38:39], s[14:15], s[24:25]
	s_mov_b32 s99, 0
	s_mov_b32 s100, 0
	v_writelane_b32 v56, s19, 1
                                        ; implicit-def: $sgpr104
                                        ; implicit-def: $sgpr52
                                        ; implicit-def: $sgpr101
                                        ; implicit-def: $sgpr103
                                        ; implicit-def: $vcc_hi
                                        ; implicit-def: $sgpr102
	s_branch .LBB61_16
.LBB61_13:                              ;   in Loop: Header=BB61_16 Depth=1
	s_wait_alu 0xfffe
	s_or_b32 exec_lo, exec_lo, s9
	s_delay_alu instid0(SALU_CYCLE_1)
	s_and_b32 s7, s7, exec_lo
	s_and_not1_b32 s22, s22, exec_lo
	s_and_not1_b32 s21, s21, exec_lo
	s_or_not1_b32 s18, s8, exec_lo
.LBB61_14:                              ;   in Loop: Header=BB61_16 Depth=1
	s_wait_alu 0xfffe
	s_or_b32 exec_lo, exec_lo, s6
	s_delay_alu instid0(SALU_CYCLE_1)
	s_and_not1_b32 s6, s102, exec_lo
	s_and_b32 s7, s7, exec_lo
	s_and_not1_b32 s8, s103, exec_lo
	s_wait_alu 0xfffe
	s_or_b32 s102, s6, s7
	s_and_not1_b32 s6, vcc_hi, exec_lo
	s_and_b32 s7, s22, exec_lo
	s_and_b32 s9, s21, exec_lo
	s_wait_alu 0xfffe
	s_or_b32 vcc_hi, s6, s7
	s_or_b32 s103, s8, s9
	s_or_not1_b32 s18, s18, exec_lo
.LBB61_15:                              ;   in Loop: Header=BB61_16 Depth=1
	s_wait_alu 0xfffe
	s_or_b32 exec_lo, exec_lo, s17
	s_delay_alu instid0(SALU_CYCLE_1)
	s_and_b32 s6, exec_lo, s18
	v_dual_mov_b32 v29, v9 :: v_dual_mov_b32 v28, v8
	s_wait_alu 0xfffe
	s_or_b32 s99, s6, s99
	s_and_not1_b32 s6, s101, exec_lo
	s_and_b32 s7, s102, exec_lo
	s_and_not1_b32 s8, s52, exec_lo
	s_wait_alu 0xfffe
	s_or_b32 s101, s6, s7
	s_and_b32 s6, vcc_hi, exec_lo
	s_and_not1_b32 s7, s104, exec_lo
	s_and_b32 s9, s103, exec_lo
	s_wait_alu 0xfffe
	s_or_b32 s52, s8, s6
	s_or_b32 s104, s7, s9
	s_and_not1_b32 exec_lo, exec_lo, s99
	s_cbranch_execz .LBB61_286
.LBB61_16:                              ; =>This Loop Header: Depth=1
                                        ;     Child Loop BB61_21 Depth 2
                                        ;     Child Loop BB61_35 Depth 2
	;; [unrolled: 1-line block ×17, first 2 shown]
	ds_load_b128 v[4:7], v3 offset:5120
	s_wait_dscnt 0x0
	v_readfirstlane_b32 s73, v5
	v_readfirstlane_b32 s72, v4
	s_wait_alu 0xf1ff
	s_delay_alu instid0(VALU_DEP_1)
	v_cmp_gt_i64_e64 s6, s[72:73], 0
	s_and_b32 vcc_lo, exec_lo, s6
	s_wait_alu 0xfffe
	s_cbranch_vccnz .LBB61_48
; %bb.17:                               ;   in Loop: Header=BB61_16 Depth=1
	s_and_b32 vcc_lo, exec_lo, s88
	s_wait_alu 0xfffe
	s_cbranch_vccz .LBB61_29
; %bb.18:                               ;   in Loop: Header=BB61_16 Depth=1
	v_cmp_gt_i64_e32 vcc_lo, 0x601, v[6:7]
	s_mov_b32 s8, 0
	s_mov_b32 s6, 0
	s_cbranch_vccz .LBB61_30
; %bb.19:                               ;   in Loop: Header=BB61_16 Depth=1
	global_load_u16 v2, v3, s[38:39]
	global_load_u16 v8, v[14:15], off
	s_mov_b32 s9, 0
	s_wait_loadcnt 0x1
	v_and_b32_e32 v2, 0xffff, v2
	s_delay_alu instid0(VALU_DEP_1) | instskip(SKIP_3) | instid1(VALU_DEP_3)
	v_add_co_u32 v4, s6, v0, v2
	s_wait_alu 0xf1fe
	v_add_co_ci_u32_e64 v5, null, 0, 0, s6
	v_mul_lo_u32 v6, v2, s69
	v_mul_lo_u32 v10, s69, v4
	v_mul_hi_u32 v11, v2, s68
	s_delay_alu instid0(VALU_DEP_4) | instskip(SKIP_2) | instid1(VALU_DEP_2)
	v_mul_lo_u32 v7, s68, v5
	v_mad_co_u64_u32 v[4:5], null, s68, v4, s[66:67]
	v_add_nc_u32_e32 v6, v6, v45
	v_add3_u32 v5, v10, v5, v7
	s_delay_alu instid0(VALU_DEP_2)
	v_dual_mov_b32 v7, v1 :: v_dual_add_nc_u32 v10, v6, v11
	v_mul_lo_u32 v9, v2, s68
	v_mov_b32_e32 v6, v0
	s_branch .LBB61_21
.LBB61_20:                              ;   in Loop: Header=BB61_21 Depth=2
	s_wait_alu 0xfffe
	s_or_b32 exec_lo, exec_lo, s7
	v_add_co_u32 v4, vcc_lo, v4, v9
	s_wait_alu 0xfffd
	v_add_co_ci_u32_e64 v5, null, v5, v10, vcc_lo
	v_mov_b32_e32 v8, v11
	s_and_not1_b32 exec_lo, exec_lo, s9
	s_cbranch_execz .LBB61_82
.LBB61_21:                              ;   Parent Loop BB61_16 Depth=1
                                        ; =>  This Inner Loop Header: Depth=2
	s_delay_alu instid0(VALU_DEP_1)
	v_add_co_u32 v6, vcc_lo, v6, v2
	s_wait_alu 0xfffd
	v_add_co_ci_u32_e64 v7, null, 0, v7, vcc_lo
	s_wait_dscnt 0x0
	v_dual_mov_b32 v30, 0 :: v_dual_mov_b32 v11, 0
	s_mov_b32 s7, exec_lo
	s_delay_alu instid0(VALU_DEP_2)
	v_cmp_le_i64_e32 vcc_lo, s[36:37], v[6:7]
	v_cmpx_gt_i64_e64 s[36:37], v[6:7]
	s_cbranch_execz .LBB61_23
; %bb.22:                               ;   in Loop: Header=BB61_21 Depth=2
	global_load_u16 v11, v[4:5], off
.LBB61_23:                              ;   in Loop: Header=BB61_21 Depth=2
	s_wait_alu 0xfffe
	s_or_b32 exec_lo, exec_lo, s7
	s_wait_loadcnt 0x0
	v_cmp_lt_i16_e64 s6, -1, v8
	v_and_b32_e32 v31, 0xffff, v8
	s_wait_alu 0xf1ff
	s_delay_alu instid0(VALU_DEP_2) | instskip(SKIP_1) | instid1(VALU_DEP_2)
	v_cndmask_b32_e64 v32, 0xffff, v46, s6
	v_cmp_o_f16_e64 s6, v8, v8
	v_xor_b32_e32 v31, v32, v31
	s_wait_alu 0xf1ff
	s_delay_alu instid0(VALU_DEP_1) | instskip(NEXT) | instid1(VALU_DEP_1)
	v_cndmask_b32_e64 v31, 0xffff, v31, s6
	v_and_b32_e32 v31, v31, v47
	s_delay_alu instid0(VALU_DEP_1)
	v_cmp_eq_u32_e64 s6, v31, v24
	s_cmp_lg_u32 s6, 0
	s_cselect_b32 s7, -1, 0
	s_wait_alu 0xfffe
	s_and_b32 s7, s1, s7
	s_wait_alu 0xfffe
	s_and_saveexec_b32 s10, s7
	s_cbranch_execz .LBB61_27
; %bb.24:                               ;   in Loop: Header=BB61_21 Depth=2
	s_mov_b32 s13, exec_lo
	s_bcnt1_i32_b32 s11, s6
	s_wait_alu 0xfffe
	v_mbcnt_lo_u32_b32 v30, s13, 0
	s_mov_b32 s12, exec_lo
                                        ; implicit-def: $vgpr31
	s_delay_alu instid0(VALU_DEP_1)
	v_cmpx_eq_u32_e32 0, v30
; %bb.25:                               ;   in Loop: Header=BB61_21 Depth=2
	s_bcnt1_i32_b32 s7, s13
	s_wait_alu 0xfffe
	s_mul_i32 s7, s11, s7
	s_wait_alu 0xfffe
	v_mov_b32_e32 v31, s7
	ds_add_rtn_u32 v31, v3, v31 offset:5136
; %bb.26:                               ;   in Loop: Header=BB61_21 Depth=2
	s_or_b32 exec_lo, exec_lo, s12
	s_wait_dscnt 0x0
	v_readfirstlane_b32 s7, v31
	s_wait_alu 0xf1ff
	s_delay_alu instid0(VALU_DEP_1)
	v_mad_u32_u24 v30, s11, v30, s7
.LBB61_27:                              ;   in Loop: Header=BB61_21 Depth=2
	s_wait_alu 0xfffe
	s_or_b32 exec_lo, exec_lo, s10
	ds_bpermute_b32 v30, v3, v30
	s_and_b32 s7, exec_lo, vcc_lo
	s_wait_alu 0xfffe
	s_or_b32 s9, s7, s9
	s_and_saveexec_b32 s7, s6
	s_cbranch_execz .LBB61_20
; %bb.28:                               ;   in Loop: Header=BB61_21 Depth=2
	v_and_b32_e32 v31, s6, v37
	s_delay_alu instid0(VALU_DEP_1) | instskip(NEXT) | instid1(VALU_DEP_1)
	v_bcnt_u32_b32 v31, v31, 0
	v_lshlrev_b32_e32 v31, 1, v31
	s_wait_dscnt 0x0
	s_delay_alu instid0(VALU_DEP_1)
	v_lshl_add_u32 v30, v30, 1, v31
	ds_store_b16 v30, v8
	s_branch .LBB61_20
.LBB61_29:                              ;   in Loop: Header=BB61_16 Depth=1
	s_mov_b32 s8, -1
	s_mov_b32 s6, 0
.LBB61_30:                              ;   in Loop: Header=BB61_16 Depth=1
	s_wait_alu 0xfffe
	s_and_b32 vcc_lo, exec_lo, s8
	s_wait_alu 0xfffe
	s_cbranch_vccz .LBB61_46
.LBB61_31:                              ;   in Loop: Header=BB61_16 Depth=1
	s_and_saveexec_b32 s7, s0
	s_cbranch_execz .LBB61_43
; %bb.32:                               ;   in Loop: Header=BB61_16 Depth=1
	global_load_u16 v4, v3, s[38:39]
	global_load_u16 v30, v[14:15], off
	v_mov_b32_e32 v6, v0
	s_mov_b32 s12, exec_lo
	s_wait_loadcnt 0x1
	v_and_b32_e32 v2, 0xffff, v4
	v_readfirstlane_b32 s6, v4
	s_delay_alu instid0(VALU_DEP_2) | instskip(NEXT) | instid1(VALU_DEP_1)
	v_add_nc_u32_e32 v2, v2, v0
	v_cmpx_gt_i64_e64 s[36:37], v[2:3]
	s_cbranch_execz .LBB61_42
; %bb.33:                               ;   in Loop: Header=BB61_16 Depth=1
	s_and_b32 s24, s6, 0xffff
	v_dual_mov_b32 v9, v1 :: v_dual_mov_b32 v8, v0
	s_wait_alu 0xfffe
	s_cmp_eq_u32 s24, 1
	v_dual_mov_b32 v5, v3 :: v_dual_mov_b32 v4, v2
	s_cselect_b32 s6, -1, 0
                                        ; implicit-def: $vgpr6_vgpr7
	s_wait_alu 0xfffe
	s_and_b32 s9, s4, s6
	s_mov_b32 s6, -1
	s_wait_alu 0xfffe
	s_and_saveexec_b32 s8, s9
	s_cbranch_execz .LBB61_37
; %bb.34:                               ;   in Loop: Header=BB61_16 Depth=1
	v_add_co_u32 v4, s6, v2, 1
	s_wait_alu 0xf1ff
	v_add_co_ci_u32_e64 v5, null, 0, 0, s6
	s_wait_loadcnt 0x0
	v_dual_mov_b32 v8, v18 :: v_dual_lshlrev_b32 v11, 16, v30
	v_dual_mov_b32 v9, v19 :: v_dual_mov_b32 v10, v35
	s_delay_alu instid0(VALU_DEP_3)
	v_mov_b32_e32 v7, v5
	v_dual_mov_b32 v6, v4 :: v_dual_mov_b32 v5, v3
	v_mov_b32_e32 v4, v2
	s_mov_b32 s9, 0
.LBB61_35:                              ;   Parent Loop BB61_16 Depth=1
                                        ; =>  This Inner Loop Header: Depth=2
	s_delay_alu instid0(VALU_DEP_2) | instskip(NEXT) | instid1(VALU_DEP_2)
	v_mul_lo_u32 v49, v5, s90
	v_mul_lo_u32 v50, v4, s91
	v_mad_co_u64_u32 v[30:31], null, v4, s90, 0
	v_mul_lo_u32 v51, v7, s42
	v_mul_lo_u32 v52, v6, s43
	v_mad_co_u64_u32 v[32:33], null, v6, s42, 0
	s_delay_alu instid0(VALU_DEP_4) | instskip(NEXT) | instid1(VALU_DEP_2)
	v_add3_u32 v31, v31, v50, v49
	v_add3_u32 v33, v33, v52, v51
	s_delay_alu instid0(VALU_DEP_2) | instskip(NEXT) | instid1(VALU_DEP_2)
	v_lshlrev_b64_e32 v[30:31], 1, v[30:31]
	v_lshlrev_b64_e32 v[32:33], 1, v[32:33]
	s_delay_alu instid0(VALU_DEP_2) | instskip(SKIP_1) | instid1(VALU_DEP_3)
	v_add_co_u32 v30, vcc_lo, s60, v30
	s_wait_alu 0xfffd
	v_add_co_ci_u32_e64 v31, null, s61, v31, vcc_lo
	s_delay_alu instid0(VALU_DEP_3)
	v_add_co_u32 v32, vcc_lo, s60, v32
	s_wait_alu 0xfffd
	v_add_co_ci_u32_e64 v33, null, s61, v33, vcc_lo
	s_clause 0x1
	global_load_u16 v31, v[30:31], off
	global_load_u16 v30, v[32:33], off
	v_add_co_u32 v8, vcc_lo, v8, -2
	s_wait_alu 0xfffd
	v_add_co_ci_u32_e64 v9, null, -1, v9, vcc_lo
	v_add_co_u32 v6, vcc_lo, v6, 2
	s_wait_alu 0xfffd
	v_add_co_ci_u32_e64 v7, null, 0, v7, vcc_lo
	s_delay_alu instid0(VALU_DEP_3) | instskip(SKIP_4) | instid1(VALU_DEP_3)
	v_cmp_eq_u64_e64 s6, 0, v[8:9]
	v_add_co_u32 v4, vcc_lo, v4, 2
	s_wait_alu 0xfffd
	v_add_co_ci_u32_e64 v5, null, 0, v5, vcc_lo
	s_wait_alu 0xfffe
	s_or_b32 s9, s6, s9
	s_wait_loadcnt 0x1
	v_alignbit_b32 v11, v31, v11, 16
	s_wait_loadcnt 0x0
	v_perm_b32 v31, v30, v31, 0x5040100
	ds_store_b32 v10, v11
	v_dual_mov_b32 v11, v31 :: v_dual_add_nc_u32 v10, 4, v10
	s_wait_alu 0xfffe
	s_and_not1_b32 exec_lo, exec_lo, s9
	s_cbranch_execnz .LBB61_35
; %bb.36:                               ;   in Loop: Header=BB61_16 Depth=1
	s_or_b32 exec_lo, exec_lo, s9
	v_add_co_u32 v4, vcc_lo, v2, v18
	s_wait_alu 0xfffd
	v_add_co_ci_u32_e64 v5, null, 0, v19, vcc_lo
	v_dual_mov_b32 v8, v20 :: v_dual_mov_b32 v9, v21
	s_delay_alu instid0(VALU_DEP_3)
	v_add_co_u32 v6, vcc_lo, v4, -1
	s_or_not1_b32 s6, s5, exec_lo
	s_wait_alu 0xfffd
	v_add_co_ci_u32_e64 v2, null, -1, v5, vcc_lo
.LBB61_37:                              ;   in Loop: Header=BB61_16 Depth=1
	s_wait_alu 0xfffe
	s_or_b32 exec_lo, exec_lo, s8
	s_and_saveexec_b32 s13, s6
	s_cbranch_execz .LBB61_41
; %bb.38:                               ;   in Loop: Header=BB61_16 Depth=1
	v_mad_co_u64_u32 v[10:11], null, s68, v4, s[66:67]
	v_mul_lo_u32 v2, s68, v5
	v_mul_lo_u32 v6, s69, v4
	s_sub_nc_u64 s[8:9], 0, s[24:25]
	s_mul_u64 s[10:11], s[68:69], s[24:25]
	s_mov_b32 s14, 0
	s_delay_alu instid0(VALU_DEP_1)
	v_add3_u32 v11, v6, v11, v2
.LBB61_39:                              ;   Parent Loop BB61_16 Depth=1
                                        ; =>  This Inner Loop Header: Depth=2
	s_wait_loadcnt 0x0
	v_mov_b32_e32 v2, v30
	global_load_u16 v30, v[10:11], off
	v_dual_mov_b32 v32, v5 :: v_dual_lshlrev_b32 v7, 1, v8
	v_mov_b32_e32 v31, v4
	ds_store_b16 v7, v2
	v_add_co_u32 v4, vcc_lo, v31, s24
	s_wait_alu 0xfffd
	v_add_co_ci_u32_e64 v5, null, 0, v32, vcc_lo
	s_wait_alu 0xfffe
	v_add_co_u32 v10, vcc_lo, v10, s10
	s_wait_alu 0xfffd
	v_add_co_ci_u32_e64 v11, null, s11, v11, vcc_lo
	v_cmp_le_i64_e32 vcc_lo, s[36:37], v[4:5]
	v_add_co_u32 v6, s6, s8, v4
	s_wait_alu 0xf1ff
	v_add_co_ci_u32_e64 v8, null, s9, v5, s6
	v_dual_mov_b32 v8, v31 :: v_dual_mov_b32 v9, v32
	s_or_b32 s14, vcc_lo, s14
	s_wait_alu 0xfffe
	s_and_not1_b32 exec_lo, exec_lo, s14
	s_cbranch_execnz .LBB61_39
; %bb.40:                               ;   in Loop: Header=BB61_16 Depth=1
	s_or_b32 exec_lo, exec_lo, s14
.LBB61_41:                              ;   in Loop: Header=BB61_16 Depth=1
	s_wait_alu 0xfffe
	s_or_b32 exec_lo, exec_lo, s13
.LBB61_42:                              ;   in Loop: Header=BB61_16 Depth=1
	s_wait_alu 0xfffe
	s_or_b32 exec_lo, exec_lo, s12
	v_lshlrev_b32_e32 v2, 1, v6
	s_wait_loadcnt 0x0
	ds_store_b16 v2, v30
.LBB61_43:                              ;   in Loop: Header=BB61_16 Depth=1
	s_wait_alu 0xfffe
	s_or_b32 exec_lo, exec_lo, s7
	s_wait_loadcnt_dscnt 0x0
	s_barrier_signal -1
	s_barrier_wait -1
	global_inv scope:SCOPE_SE
	s_and_saveexec_b32 s6, s2
; %bb.44:                               ;   in Loop: Header=BB61_16 Depth=1
	v_dual_mov_b32 v4, s36 :: v_dual_mov_b32 v5, s37
	ds_store_b64 v3, v[4:5] offset:5120
; %bb.45:                               ;   in Loop: Header=BB61_16 Depth=1
	s_wait_alu 0xfffe
	s_or_b32 exec_lo, exec_lo, s6
	s_mov_b32 s6, -1
	s_wait_loadcnt_dscnt 0x0
	s_barrier_signal -1
	s_barrier_wait -1
.LBB61_46:                              ;   in Loop: Header=BB61_16 Depth=1
	s_wait_alu 0xfffe
	s_and_b32 vcc_lo, exec_lo, s6
	s_wait_alu 0xfffe
	s_cbranch_vccz .LBB61_48
; %bb.47:                               ;   in Loop: Header=BB61_16 Depth=1
	s_wait_loadcnt 0x0
	global_inv scope:SCOPE_SE
	ds_load_b64 v[4:5], v3 offset:5120
	s_wait_dscnt 0x0
	v_readfirstlane_b32 s72, v4
.LBB61_48:                              ;   in Loop: Header=BB61_16 Depth=1
	s_delay_alu instid0(VALU_DEP_1)
	s_cmp_lt_i32 s72, 1
	s_mov_b32 s6, -1
                                        ; implicit-def: $vgpr4_vgpr5
                                        ; implicit-def: $vgpr8_vgpr9
	s_cbranch_scc1 .LBB61_58
; %bb.49:                               ;   in Loop: Header=BB61_16 Depth=1
	s_wait_alu 0xfffe
	s_and_b32 vcc_lo, exec_lo, s6
	s_wait_alu 0xfffe
	s_cbranch_vccnz .LBB61_72
.LBB61_50:                              ;   in Loop: Header=BB61_16 Depth=1
	s_lshl_b32 s6, s100, 7
	s_and_saveexec_b32 s7, s1
	s_cbranch_execz .LBB61_52
.LBB61_51:                              ;   in Loop: Header=BB61_16 Depth=1
	s_wait_alu 0xfffe
	v_lshl_add_u32 v2, s6, 3, v38
	ds_store_b128 v2, v[4:7]
	ds_store_b128 v2, v[8:11] offset:16
.LBB61_52:                              ;   in Loop: Header=BB61_16 Depth=1
	s_wait_alu 0xfffe
	s_or_b32 exec_lo, exec_lo, s7
	s_wait_loadcnt_dscnt 0x0
	s_barrier_signal -1
	s_barrier_wait -1
	global_inv scope:SCOPE_SE
	s_and_saveexec_b32 s7, s33
	s_cbranch_execz .LBB61_89
; %bb.53:                               ;   in Loop: Header=BB61_16 Depth=1
	v_mov_b32_e32 v4, 0
	v_mov_b32_e32 v5, 0
	s_and_not1_b32 vcc_lo, exec_lo, s89
	s_wait_alu 0xfffe
	s_cbranch_vccnz .LBB61_88
; %bb.54:                               ;   in Loop: Header=BB61_16 Depth=1
	v_mov_b32_e32 v4, 0
	v_mov_b32_e32 v5, 0
	s_and_not1_b32 vcc_lo, exec_lo, s93
	s_wait_alu 0xfffe
	s_cbranch_vccnz .LBB61_85
; %bb.55:                               ;   in Loop: Header=BB61_16 Depth=1
	v_lshl_add_u32 v2, s100, 10, v44
	s_mov_b32 s8, 0
.LBB61_56:                              ;   Parent Loop BB61_16 Depth=1
                                        ; =>  This Inner Loop Header: Depth=2
	ds_load_2addr_b64 v[6:9], v2 offset1:4
	ds_load_2addr_b64 v[30:33], v2 offset0:8 offset1:12
	ds_load_2addr_b64 v[49:52], v2 offset0:16 offset1:20
	s_wait_alu 0xfffe
	s_add_co_i32 s8, s8, 8
	s_wait_alu 0xfffe
	s_cmp_eq_u32 s94, s8
	s_wait_dscnt 0x2
	v_add_co_u32 v4, vcc_lo, v6, v4
	s_wait_alu 0xfffd
	v_add_co_ci_u32_e64 v5, null, v7, v5, vcc_lo
	s_delay_alu instid0(VALU_DEP_2) | instskip(SKIP_1) | instid1(VALU_DEP_2)
	v_add_co_u32 v8, vcc_lo, v8, v4
	s_wait_alu 0xfffd
	v_add_co_ci_u32_e64 v9, null, v9, v5, vcc_lo
	ds_load_2addr_b64 v[4:7], v2 offset0:24 offset1:28
	s_wait_dscnt 0x2
	v_add_co_u32 v8, vcc_lo, v30, v8
	s_wait_alu 0xfffd
	v_add_co_ci_u32_e64 v9, null, v31, v9, vcc_lo
	v_add_nc_u32_e32 v2, 0x100, v2
	s_delay_alu instid0(VALU_DEP_3) | instskip(SKIP_1) | instid1(VALU_DEP_3)
	v_add_co_u32 v8, vcc_lo, v32, v8
	s_wait_alu 0xfffd
	v_add_co_ci_u32_e64 v9, null, v33, v9, vcc_lo
	s_wait_dscnt 0x1
	s_delay_alu instid0(VALU_DEP_2) | instskip(SKIP_1) | instid1(VALU_DEP_2)
	v_add_co_u32 v8, vcc_lo, v49, v8
	s_wait_alu 0xfffd
	v_add_co_ci_u32_e64 v9, null, v50, v9, vcc_lo
	s_delay_alu instid0(VALU_DEP_2) | instskip(SKIP_1) | instid1(VALU_DEP_2)
	v_add_co_u32 v8, vcc_lo, v51, v8
	s_wait_alu 0xfffd
	v_add_co_ci_u32_e64 v9, null, v52, v9, vcc_lo
	s_wait_dscnt 0x0
	s_delay_alu instid0(VALU_DEP_2) | instskip(SKIP_1) | instid1(VALU_DEP_2)
	v_add_co_u32 v4, vcc_lo, v4, v8
	s_wait_alu 0xfffd
	v_add_co_ci_u32_e64 v5, null, v5, v9, vcc_lo
	s_delay_alu instid0(VALU_DEP_2) | instskip(SKIP_1) | instid1(VALU_DEP_2)
	v_add_co_u32 v4, vcc_lo, v6, v4
	s_wait_alu 0xfffd
	v_add_co_ci_u32_e64 v5, null, v7, v5, vcc_lo
	s_cbranch_scc0 .LBB61_56
; %bb.57:                               ;   in Loop: Header=BB61_16 Depth=1
	s_mov_b32 s8, s94
	s_and_not1_b32 vcc_lo, exec_lo, s95
	s_wait_alu 0xfffe
	s_cbranch_vccz .LBB61_86
	s_branch .LBB61_88
.LBB61_58:                              ;   in Loop: Header=BB61_16 Depth=1
	global_load_u16 v2, v3, s[38:39]
	s_mov_b32 s7, s37
	s_wait_loadcnt 0x0
	v_readfirstlane_b32 s6, v2
	s_wait_alu 0xfffe
	s_and_b32 s8, 0xffff, s6
	s_mov_b32 s6, s25
	s_wait_alu 0xfffe
	s_lshl_b32 s74, s8, 2
	s_cmp_lg_u64 s[6:7], 0
	s_cbranch_scc0 .LBB61_81
; %bb.59:                               ;   in Loop: Header=BB61_16 Depth=1
	s_mov_b32 s75, s25
	s_wait_alu 0xfffe
	s_add_nc_u64 s[6:7], s[74:75], 0
	s_wait_alu 0xfffe
	s_xor_b64 s[6:7], s[6:7], 0
	s_wait_alu 0xfffe
	s_cvt_f32_u32 s8, s6
	s_cvt_f32_u32 s9, s7
	s_sub_nc_u64 s[10:11], 0, s[6:7]
	s_wait_alu 0xfffe
	s_delay_alu instid0(SALU_CYCLE_1) | instskip(SKIP_1) | instid1(SALU_CYCLE_2)
	s_fmamk_f32 s8, s9, 0x4f800000, s8
	s_wait_alu 0xfffe
	v_s_rcp_f32 s8, s8
	s_delay_alu instid0(TRANS32_DEP_1) | instskip(SKIP_1) | instid1(SALU_CYCLE_2)
	s_mul_f32 s8, s8, 0x5f7ffffc
	s_wait_alu 0xfffe
	s_mul_f32 s9, s8, 0x2f800000
	s_wait_alu 0xfffe
	s_delay_alu instid0(SALU_CYCLE_2) | instskip(SKIP_1) | instid1(SALU_CYCLE_2)
	s_trunc_f32 s9, s9
	s_wait_alu 0xfffe
	s_fmamk_f32 s8, s9, 0xcf800000, s8
	s_cvt_u32_f32 s9, s9
	s_wait_alu 0xfffe
	s_delay_alu instid0(SALU_CYCLE_1) | instskip(SKIP_1) | instid1(SALU_CYCLE_2)
	s_cvt_u32_f32 s8, s8
	s_wait_alu 0xfffe
	s_mul_u64 s[12:13], s[10:11], s[8:9]
	s_wait_alu 0xfffe
	s_mul_hi_u32 s15, s8, s13
	s_mul_i32 s14, s8, s13
	s_mul_hi_u32 s24, s8, s12
	s_mul_i32 s17, s9, s12
	s_wait_alu 0xfffe
	s_add_nc_u64 s[14:15], s[24:25], s[14:15]
	s_mul_hi_u32 s16, s9, s12
	s_mul_hi_u32 s18, s9, s13
	s_mul_i32 s12, s9, s13
	s_wait_alu 0xfffe
	s_add_co_u32 s13, s14, s17
	s_add_co_ci_u32 s24, s15, s16
	s_add_co_ci_u32 s13, s18, 0
	s_wait_alu 0xfffe
	s_add_nc_u64 s[12:13], s[24:25], s[12:13]
	s_wait_alu 0xfffe
	s_add_co_u32 s8, s8, s12
	s_cselect_b32 s12, -1, 0
	s_wait_alu 0xfffe
	s_cmp_lg_u32 s12, 0
	s_add_co_ci_u32 s9, s9, s13
	s_wait_alu 0xfffe
	s_mul_u64 s[10:11], s[10:11], s[8:9]
	s_wait_alu 0xfffe
	s_mul_hi_u32 s13, s8, s11
	s_mul_i32 s12, s8, s11
	s_mul_hi_u32 s24, s8, s10
	s_mul_i32 s15, s9, s10
	s_wait_alu 0xfffe
	s_add_nc_u64 s[12:13], s[24:25], s[12:13]
	s_mul_hi_u32 s14, s9, s10
	s_mul_hi_u32 s16, s9, s11
	s_mul_i32 s10, s9, s11
	s_wait_alu 0xfffe
	s_add_co_u32 s11, s12, s15
	s_add_co_ci_u32 s24, s13, s14
	s_add_co_ci_u32 s11, s16, 0
	s_wait_alu 0xfffe
	s_add_nc_u64 s[10:11], s[24:25], s[10:11]
	s_wait_alu 0xfffe
	s_add_co_u32 s14, s8, s10
	s_cselect_b32 s8, -1, 0
	s_wait_alu 0xfffe
	s_cmp_lg_u32 s8, 0
	s_add_co_ci_u32 s15, s9, s11
	s_ashr_i32 s8, s37, 31
	s_wait_alu 0xfffe
	s_mov_b32 s9, s8
	s_wait_alu 0xfffe
	s_add_nc_u64 s[10:11], s[36:37], s[8:9]
	s_wait_alu 0xfffe
	s_xor_b64 s[10:11], s[10:11], s[8:9]
	s_wait_alu 0xfffe
	s_mul_hi_u32 s13, s10, s15
	s_mul_i32 s12, s10, s15
	s_mul_hi_u32 s24, s10, s14
	s_mul_i32 s18, s11, s14
	s_wait_alu 0xfffe
	s_add_nc_u64 s[12:13], s[24:25], s[12:13]
	s_mul_hi_u32 s17, s11, s14
	s_mul_hi_u32 s16, s11, s15
	s_wait_alu 0xfffe
	s_add_co_u32 s12, s12, s18
	s_add_co_ci_u32 s24, s13, s17
	s_mul_i32 s14, s11, s15
	s_add_co_ci_u32 s15, s16, 0
	s_wait_alu 0xfffe
	s_add_nc_u64 s[12:13], s[24:25], s[14:15]
	s_wait_alu 0xfffe
	s_mul_u64 s[12:13], s[6:7], s[12:13]
	s_wait_alu 0xfffe
	s_sub_co_u32 s10, s10, s12
	s_cselect_b32 s12, -1, 0
	s_sub_co_i32 s14, s11, s13
	s_wait_alu 0xfffe
	s_cmp_lg_u32 s12, 0
	s_sub_co_ci_u32 s14, s14, s7
	s_sub_co_u32 s15, s10, s6
	s_cselect_b32 s16, -1, 0
	s_wait_alu 0xfffe
	s_cmp_lg_u32 s16, 0
	s_sub_co_ci_u32 s17, s14, 0
	s_wait_alu 0xfffe
	s_cmp_ge_u32 s17, s7
	s_cselect_b32 s18, -1, 0
	s_cmp_ge_u32 s15, s6
	s_cselect_b32 s19, -1, 0
	s_cmp_eq_u32 s17, s7
	s_wait_alu 0xfffe
	s_cselect_b32 s18, s19, s18
	s_cmp_lg_u32 s16, 0
	s_sub_co_ci_u32 s14, s14, s7
	s_sub_co_u32 s16, s15, s6
	s_cselect_b32 s19, -1, 0
	s_wait_alu 0xfffe
	s_cmp_lg_u32 s19, 0
	s_sub_co_ci_u32 s14, s14, 0
	s_cmp_lg_u32 s18, 0
	s_cselect_b32 s15, s16, s15
	s_wait_alu 0xfffe
	s_cselect_b32 s14, s14, s17
	s_cmp_lg_u32 s12, 0
	s_sub_co_ci_u32 s11, s11, s13
	s_wait_alu 0xfffe
	s_cmp_ge_u32 s11, s7
	s_cselect_b32 s12, -1, 0
	s_cmp_ge_u32 s10, s6
	s_cselect_b32 s6, -1, 0
	s_cmp_eq_u32 s11, s7
	s_wait_alu 0xfffe
	s_cselect_b32 s6, s6, s12
	s_wait_alu 0xfffe
	s_cmp_lg_u32 s6, 0
	s_cselect_b32 s7, s14, s11
	s_cselect_b32 s6, s15, s10
	s_wait_alu 0xfffe
	s_xor_b64 s[6:7], s[6:7], s[8:9]
	s_wait_alu 0xfffe
	s_sub_nc_u64 s[76:77], s[6:7], s[8:9]
	s_cbranch_execnz .LBB61_61
.LBB61_60:                              ;   in Loop: Header=BB61_16 Depth=1
	s_wait_alu 0xfffe
	v_cvt_f32_u32_e32 v4, s74
	s_sub_co_i32 s7, 0, s74
	s_delay_alu instid0(VALU_DEP_1) | instskip(NEXT) | instid1(TRANS32_DEP_1)
	v_rcp_iflag_f32_e32 v4, v4
	v_mul_f32_e32 v4, 0x4f7ffffe, v4
	s_delay_alu instid0(VALU_DEP_1) | instskip(NEXT) | instid1(VALU_DEP_1)
	v_cvt_u32_f32_e32 v4, v4
	v_readfirstlane_b32 s6, v4
	s_wait_alu 0xfffe
	s_mul_i32 s7, s7, s6
	s_wait_alu 0xfffe
	s_mul_hi_u32 s7, s6, s7
	s_wait_alu 0xfffe
	s_add_co_i32 s6, s6, s7
	s_wait_alu 0xfffe
	s_mul_hi_u32 s6, s36, s6
	s_wait_alu 0xfffe
	s_mul_i32 s6, s6, s74
	s_wait_alu 0xfffe
	s_sub_co_i32 s6, s36, s6
	s_wait_alu 0xfffe
	s_sub_co_i32 s7, s6, s74
	s_cmp_ge_u32 s6, s74
	s_wait_alu 0xfffe
	s_cselect_b32 s6, s7, s6
	s_wait_alu 0xfffe
	s_sub_co_i32 s7, s6, s74
	s_cmp_ge_u32 s6, s74
	s_wait_alu 0xfffe
	s_cselect_b32 s24, s7, s6
	s_wait_alu 0xfffe
	s_mov_b64 s[76:77], s[24:25]
.LBB61_61:                              ;   in Loop: Header=BB61_16 Depth=1
	v_mov_b32_e32 v4, 0
	v_dual_mov_b32 v8, 0 :: v_dual_mov_b32 v5, 0
	v_dual_mov_b32 v6, 0 :: v_dual_mov_b32 v9, 0
	;; [unrolled: 1-line block ×3, first 2 shown]
	v_dual_mov_b32 v11, 0 :: v_dual_and_b32 v2, 0xffff, v2
	s_wait_alu 0xfffe
	s_sub_nc_u64 s[78:79], s[36:37], s[76:77]
	s_mov_b32 s53, exec_lo
	s_wait_alu 0xfffe
	v_cmpx_gt_i64_e64 s[78:79], v[16:17]
	s_cbranch_execz .LBB61_65
; %bb.62:                               ;   in Loop: Header=BB61_16 Depth=1
	v_mul_lo_u32 v4, v2, s71
	v_mul_lo_u32 v5, 0, s70
	v_mul_hi_u32 v6, v2, s70
	v_mul_lo_u32 v49, v2, s70
	v_dual_mov_b32 v30, s60 :: v_dual_mov_b32 v33, v17
	v_mov_b32_e32 v32, v16
	s_mov_b64 s[80:81], 0
	v_dual_mov_b32 v31, s61 :: v_dual_add_nc_u32 v4, v4, v5
	s_mov_b32 s73, 0
	s_mov_b64 s[82:83], 0
	s_mov_b64 s[84:85], 0
	;; [unrolled: 1-line block ×3, first 2 shown]
	v_add_nc_u32_e32 v50, v4, v6
.LBB61_63:                              ;   Parent Loop BB61_16 Depth=1
                                        ; =>  This Inner Loop Header: Depth=2
	v_add_co_u32 v4, vcc_lo, v30, v26
	s_wait_alu 0xfffd
	v_add_co_ci_u32_e64 v5, null, v31, v27, vcc_lo
	global_load_u16 v6, v[4:5], off
	v_add_co_u32 v4, vcc_lo, v30, v25
	s_wait_alu 0xfffd
	v_add_co_ci_u32_e64 v5, null, v31, v41, vcc_lo
	global_load_u16 v7, v[4:5], off
	;; [unrolled: 4-line block ×4, first 2 shown]
	s_wait_loadcnt 0x3
	v_cmp_lt_i16_e32 vcc_lo, -1, v6
	v_cmp_o_f16_e64 s6, v6, v6
	v_and_b32_e32 v5, 0xffff, v6
	s_wait_alu 0xfffd
	v_cndmask_b32_e32 v6, 0xffff, v46, vcc_lo
	s_wait_loadcnt 0x2
	v_cmp_lt_i16_e32 vcc_lo, -1, v7
	v_cmp_o_f16_e64 s7, v7, v7
	s_delay_alu instid0(VALU_DEP_3) | instskip(SKIP_3) | instid1(VALU_DEP_2)
	v_xor_b32_e32 v5, v6, v5
	s_wait_alu 0xfffd
	v_dual_cndmask_b32 v7, 0xffff, v46 :: v_dual_and_b32 v6, 0xffff, v7
	s_wait_alu 0xf1ff
	v_cndmask_b32_e64 v5, 0xffff, v5, s6
	s_wait_loadcnt 0x1
	v_cmp_lt_i16_e32 vcc_lo, -1, v8
	v_cmp_o_f16_e64 s8, v8, v8
	v_xor_b32_e32 v6, v7, v6
	s_wait_alu 0xfffd
	v_dual_cndmask_b32 v8, 0xffff, v46 :: v_dual_and_b32 v7, 0xffff, v8
	s_delay_alu instid0(VALU_DEP_2)
	v_cndmask_b32_e64 v6, 0xffff, v6, s7
	s_wait_loadcnt 0x0
	v_cmp_lt_i16_e32 vcc_lo, -1, v4
	v_cmp_o_f16_e64 s9, v4, v4
	v_xor_b32_e32 v7, v8, v7
	v_and_b32_e32 v4, 0xffff, v4
	s_wait_alu 0xfffd
	v_cndmask_b32_e32 v8, 0xffff, v46, vcc_lo
	s_wait_alu 0xf1ff
	v_cndmask_b32_e64 v7, 0xffff, v7, s8
	s_delay_alu instid0(VALU_DEP_2) | instskip(SKIP_2) | instid1(VALU_DEP_3)
	v_xor_b32_e32 v4, v8, v4
	v_and_b32_e32 v8, v5, v47
	v_bfe_u32 v5, v5, s98, 2
	v_cndmask_b32_e64 v4, 0xffff, v4, s9
	s_delay_alu instid0(VALU_DEP_3) | instskip(SKIP_1) | instid1(VALU_DEP_4)
	v_cmp_eq_u32_e32 vcc_lo, v8, v24
	v_and_b32_e32 v8, v6, v47
	v_cmp_eq_u32_e64 s9, 0, v5
	v_cmp_eq_u32_e64 s10, 1, v5
	v_cmp_eq_u32_e64 s11, 2, v5
	v_cmp_eq_u32_e64 s12, 3, v5
	v_cmp_eq_u32_e64 s6, v8, v24
	v_and_b32_e32 v8, v7, v47
	v_bfe_u32 v5, v6, s98, 2
	s_and_b32 s9, vcc_lo, s9
	s_and_b32 s10, vcc_lo, s10
	;; [unrolled: 1-line block ×3, first 2 shown]
	v_cmp_eq_u32_e64 s7, v8, v24
	v_and_b32_e32 v8, v4, v47
	v_bfe_u32 v4, v4, s98, 2
	v_cmp_eq_u32_e64 s13, 0, v5
	v_cmp_eq_u32_e64 s14, 1, v5
	;; [unrolled: 1-line block ×4, first 2 shown]
	v_bfe_u32 v5, v7, s98, 2
	v_cmp_eq_u32_e64 s21, 0, v4
	v_cmp_eq_u32_e64 s22, 1, v4
	;; [unrolled: 1-line block ×4, first 2 shown]
	s_wait_alu 0xfffe
	v_cndmask_b32_e64 v4, 0, 1, s9
	v_cmp_eq_u32_e64 s17, 0, v5
	s_and_b32 s13, s6, s13
	v_cmp_eq_u32_e64 s8, v8, v24
	v_cmp_eq_u32_e64 s18, 1, v5
	v_cmp_ne_u32_e64 s9, 0, v4
	s_wait_alu 0xfffe
	v_cndmask_b32_e64 v4, 0, 1, s13
	s_and_b32 s17, s7, s17
	s_and_b32 s21, s8, s21
	;; [unrolled: 1-line block ×4, first 2 shown]
	v_cmp_ne_u32_e64 s13, 0, v4
	s_wait_alu 0xfffe
	v_cndmask_b32_e64 v4, 0, 1, s17
	s_and_b32 s22, s8, s22
	v_cmp_eq_u32_e64 s19, 2, v5
	s_and_b32 s15, s6, s15
	s_and_b32 s23, s8, s23
	v_cmp_ne_u32_e64 s17, 0, v4
	v_cndmask_b32_e64 v4, 0, 1, s21
	s_and_b32 s19, s7, s19
	s_and_b32 s12, vcc_lo, s12
	v_cmp_eq_u32_e64 s20, 3, v5
	s_and_b32 s6, s6, s16
	v_cmp_ne_u32_e64 s21, 0, v4
	v_cndmask_b32_e64 v4, 0, 1, s10
	s_and_b32 s8, s8, s24
	s_and_b32 s7, s7, s20
	v_add_co_u32 v30, s16, v30, v49
	s_delay_alu instid0(VALU_DEP_2) | instskip(SKIP_4) | instid1(VALU_DEP_2)
	v_cmp_ne_u32_e64 s10, 0, v4
	v_cndmask_b32_e64 v4, 0, 1, s14
	s_bcnt1_i32_b32 s9, s9
	s_bcnt1_i32_b32 s13, s13
	v_add_co_ci_u32_e64 v31, null, v31, v50, s16
	v_cmp_ne_u32_e64 s14, 0, v4
	v_cndmask_b32_e64 v4, 0, 1, s18
	s_bcnt1_i32_b32 s16, s17
	s_bcnt1_i32_b32 s10, s10
	s_wait_alu 0xfffe
	s_add_co_i32 s9, s13, s9
	s_bcnt1_i32_b32 s14, s14
	v_cmp_ne_u32_e64 s18, 0, v4
	v_cndmask_b32_e64 v4, 0, 1, s22
	s_bcnt1_i32_b32 s17, s21
	s_wait_alu 0xfffe
	s_add_co_i32 s10, s14, s10
	s_add_co_i32 s9, s9, s16
	s_bcnt1_i32_b32 s18, s18
	v_cmp_ne_u32_e64 s22, 0, v4
	v_cndmask_b32_e64 v4, 0, 1, s11
	s_wait_alu 0xfffe
	s_add_co_i32 s10, s10, s18
	s_add_co_i32 s24, s9, s17
	s_bcnt1_i32_b32 s20, s22
	v_cmp_ne_u32_e64 s11, 0, v4
	v_cndmask_b32_e64 v4, 0, 1, s15
	s_wait_alu 0xfffe
	s_add_nc_u64 s[86:87], s[86:87], s[24:25]
	s_add_co_i32 s24, s10, s20
	s_bcnt1_i32_b32 s11, s11
	v_cmp_ne_u32_e64 s15, 0, v4
	v_cndmask_b32_e64 v4, 0, 1, s19
	s_wait_alu 0xfffe
	s_add_nc_u64 s[84:85], s[84:85], s[24:25]
	s_wait_alu 0xfffe
	v_mov_b32_e32 v6, s84
	s_bcnt1_i32_b32 s15, s15
	v_cmp_ne_u32_e64 s19, 0, v4
	v_cndmask_b32_e64 v4, 0, 1, s23
	s_wait_alu 0xfffe
	s_add_co_i32 s11, s15, s11
	v_mov_b32_e32 v7, s85
	s_bcnt1_i32_b32 s19, s19
	v_cmp_ne_u32_e64 s23, 0, v4
	v_cndmask_b32_e64 v4, 0, 1, s12
	v_add_co_u32 v32, s12, v32, s74
	s_wait_alu 0xfffe
	s_add_co_i32 s11, s11, s19
	s_bcnt1_i32_b32 s21, s23
	v_cmp_ne_u32_e32 vcc_lo, 0, v4
	v_cndmask_b32_e64 v4, 0, 1, s6
	v_add_co_ci_u32_e64 v33, null, 0, v33, s12
	s_wait_alu 0xfffe
	s_add_co_i32 s24, s11, s21
	s_bcnt1_i32_b32 s22, vcc_lo
	v_cmp_ne_u32_e64 s6, 0, v4
	v_cndmask_b32_e64 v4, 0, 1, s7
	s_wait_alu 0xfffe
	s_add_nc_u64 s[82:83], s[82:83], s[24:25]
	v_cmp_le_i64_e64 s12, s[78:79], v[32:33]
	s_wait_alu 0xfffe
	v_mov_b32_e32 v8, s82
	s_bcnt1_i32_b32 s6, s6
	v_cmp_ne_u32_e64 s7, 0, v4
	v_cndmask_b32_e64 v4, 0, 1, s8
	s_wait_alu 0xfffe
	s_add_co_i32 s6, s6, s22
	v_mov_b32_e32 v9, s83
	s_bcnt1_i32_b32 s7, s7
	v_cmp_ne_u32_e64 s8, 0, v4
	s_wait_alu 0xfffe
	s_add_co_i32 s6, s6, s7
	v_dual_mov_b32 v4, s86 :: v_dual_mov_b32 v5, s87
	s_bcnt1_i32_b32 s8, s8
	s_wait_alu 0xfffe
	s_add_co_i32 s24, s6, s8
	s_or_b32 s73, s12, s73
	s_wait_alu 0xfffe
	s_add_nc_u64 s[80:81], s[80:81], s[24:25]
	s_wait_alu 0xfffe
	v_dual_mov_b32 v10, s80 :: v_dual_mov_b32 v11, s81
	s_and_not1_b32 exec_lo, exec_lo, s73
	s_cbranch_execnz .LBB61_63
; %bb.64:                               ;   in Loop: Header=BB61_16 Depth=1
	s_or_b32 exec_lo, exec_lo, s73
.LBB61_65:                              ;   in Loop: Header=BB61_16 Depth=1
	s_delay_alu instid0(SALU_CYCLE_1)
	s_or_b32 exec_lo, exec_lo, s53
	v_add_co_u32 v30, s6, s78, v0
	s_wait_alu 0xf1ff
	v_add_co_ci_u32_e64 v31, null, s79, 0, s6
	s_mov_b32 s10, exec_lo
	v_cmpx_gt_i64_e64 s[36:37], v[30:31]
	s_cbranch_execz .LBB61_71
; %bb.66:                               ;   in Loop: Header=BB61_16 Depth=1
	v_mul_lo_u32 v49, v31, s42
	v_mul_lo_u32 v50, v30, s43
	v_mad_co_u64_u32 v[32:33], null, v30, s42, 0
	v_mul_hi_u32 v53, v2, s68
	s_mov_b32 s11, 0
	s_delay_alu instid0(VALU_DEP_2) | instskip(SKIP_1) | instid1(VALU_DEP_2)
	v_add3_u32 v33, v33, v50, v49
	v_mul_lo_u32 v49, v2, s69
	v_lshlrev_b64_e32 v[32:33], 1, v[32:33]
	s_delay_alu instid0(VALU_DEP_2) | instskip(SKIP_1) | instid1(VALU_DEP_3)
	v_add_nc_u32_e32 v54, v49, v45
	v_mul_lo_u32 v49, v2, s68
	v_add_co_u32 v32, vcc_lo, s60, v32
	s_wait_alu 0xfffd
	s_delay_alu instid0(VALU_DEP_4) | instskip(SKIP_4) | instid1(VALU_DEP_2)
	v_add_co_ci_u32_e64 v33, null, s61, v33, vcc_lo
	global_load_u16 v52, v[32:33], off
	v_add_co_u32 v32, vcc_lo, v42, v2
	s_wait_alu 0xfffd
	v_add_co_ci_u32_e64 v33, null, 0, v43, vcc_lo
	v_sub_co_u32 v32, vcc_lo, v32, s76
	s_wait_alu 0xfffd
	s_delay_alu instid0(VALU_DEP_2) | instskip(NEXT) | instid1(VALU_DEP_2)
	v_subrev_co_ci_u32_e64 v33, null, s77, v33, vcc_lo
	v_mul_lo_u32 v51, s69, v32
	s_delay_alu instid0(VALU_DEP_2) | instskip(SKIP_1) | instid1(VALU_DEP_1)
	v_mul_lo_u32 v50, s68, v33
	v_mad_co_u64_u32 v[32:33], null, s68, v32, s[66:67]
	v_add3_u32 v33, v51, v33, v50
	v_add_nc_u32_e32 v50, v54, v53
	s_branch .LBB61_68
.LBB61_67:                              ;   in Loop: Header=BB61_68 Depth=2
	s_wait_alu 0xfffe
	s_or_b32 exec_lo, exec_lo, s7
	s_wait_loadcnt 0x0
	v_cmp_lt_i16_e64 s6, -1, v52
	v_and_b32_e32 v53, 0xffff, v52
	s_and_b32 s7, exec_lo, vcc_lo
	s_wait_alu 0xfffe
	s_or_b32 s11, s7, s11
	v_cndmask_b32_e64 v54, 0xffff, v46, s6
	v_cmp_o_f16_e64 s6, v52, v52
	s_delay_alu instid0(VALU_DEP_2) | instskip(SKIP_1) | instid1(VALU_DEP_1)
	v_xor_b32_e32 v53, v54, v53
	s_wait_alu 0xf1ff
	v_cndmask_b32_e64 v52, 0xffff, v53, s6
	s_delay_alu instid0(VALU_DEP_1) | instskip(SKIP_1) | instid1(VALU_DEP_2)
	v_and_b32_e32 v53, v52, v47
	v_bfe_u32 v52, v52, s98, 2
	v_cmp_eq_u32_e32 vcc_lo, v53, v24
	s_delay_alu instid0(VALU_DEP_2)
	v_cmp_eq_u32_e64 s6, 0, v52
	v_cmp_eq_u32_e64 s7, 1, v52
	;; [unrolled: 1-line block ×4, first 2 shown]
	s_and_b32 s6, vcc_lo, s6
	s_wait_alu 0xfffe
	v_cndmask_b32_e64 v52, 0, 1, s6
	s_and_b32 s6, vcc_lo, s7
	s_wait_alu 0xfffe
	v_cndmask_b32_e64 v53, 0, 1, s6
	;; [unrolled: 3-line block ×3, first 2 shown]
	s_and_b32 s6, vcc_lo, s9
	v_cmp_ne_u32_e32 vcc_lo, 0, v52
	s_wait_alu 0xfffe
	v_cndmask_b32_e64 v55, 0, 1, s6
	v_cmp_ne_u32_e64 s6, 0, v53
	v_cmp_ne_u32_e64 s7, 0, v54
	v_mov_b32_e32 v52, v51
	s_bcnt1_i32_b32 s9, vcc_lo
	v_cmp_ne_u32_e64 s8, 0, v55
	s_bcnt1_i32_b32 s6, s6
	s_wait_alu 0xfffe
	v_add_co_u32 v4, vcc_lo, v4, s9
	s_bcnt1_i32_b32 s7, s7
	s_wait_alu 0xfffd
	v_add_co_ci_u32_e64 v5, null, 0, v5, vcc_lo
	v_add_co_u32 v6, vcc_lo, v6, s6
	s_wait_alu 0xfffd
	v_add_co_ci_u32_e64 v7, null, 0, v7, vcc_lo
	s_wait_alu 0xfffe
	v_add_co_u32 v8, vcc_lo, v8, s7
	s_bcnt1_i32_b32 s6, s8
	s_wait_alu 0xfffd
	v_add_co_ci_u32_e64 v9, null, 0, v9, vcc_lo
	s_wait_alu 0xfffe
	v_add_co_u32 v10, vcc_lo, v10, s6
	s_wait_alu 0xfffd
	v_add_co_ci_u32_e64 v11, null, 0, v11, vcc_lo
	v_add_co_u32 v32, vcc_lo, v32, v49
	s_wait_alu 0xfffd
	v_add_co_ci_u32_e64 v33, null, v33, v50, vcc_lo
	s_and_not1_b32 exec_lo, exec_lo, s11
	s_cbranch_execz .LBB61_70
.LBB61_68:                              ;   Parent Loop BB61_16 Depth=1
                                        ; =>  This Inner Loop Header: Depth=2
	v_add_co_u32 v30, vcc_lo, v30, v2
	s_wait_alu 0xfffd
	v_add_co_ci_u32_e64 v31, null, 0, v31, vcc_lo
	v_mov_b32_e32 v51, 0
	s_mov_b32 s7, exec_lo
	s_delay_alu instid0(VALU_DEP_2)
	v_cmp_le_i64_e32 vcc_lo, s[36:37], v[30:31]
	v_cmpx_gt_i64_e64 s[36:37], v[30:31]
	s_cbranch_execz .LBB61_67
; %bb.69:                               ;   in Loop: Header=BB61_68 Depth=2
	global_load_u16 v51, v[32:33], off
	s_branch .LBB61_67
.LBB61_70:                              ;   in Loop: Header=BB61_16 Depth=1
	s_or_b32 exec_lo, exec_lo, s11
.LBB61_71:                              ;   in Loop: Header=BB61_16 Depth=1
	s_wait_alu 0xfffe
	s_or_b32 exec_lo, exec_lo, s10
	s_branch .LBB61_50
.LBB61_72:                              ;   in Loop: Header=BB61_16 Depth=1
	global_load_u16 v2, v3, s[38:39]
	v_mov_b32_e32 v6, 0
	v_mov_b32_e32 v8, 0
	v_dual_mov_b32 v10, 0 :: v_dual_mov_b32 v9, 0
	v_mov_b32_e32 v11, 0
	s_mov_b32 s79, exec_lo
	v_mov_b32_e32 v7, 0
	s_wait_loadcnt 0x0
	v_readfirstlane_b32 s6, v2
	v_and_b32_e32 v2, 0xffff, v2
	s_and_b32 s53, 0xffff, s6
	s_delay_alu instid0(SALU_CYCLE_1) | instskip(SKIP_4) | instid1(SALU_CYCLE_1)
	s_lshl_b32 s78, s53, 2
	s_wait_alu 0xfffe
	s_cvt_f32_u32 s6, s78
	s_sub_co_i32 s7, 0, s78
	s_wait_alu 0xfffe
	v_rcp_iflag_f32_e32 v4, s6
	s_delay_alu instid0(TRANS32_DEP_1) | instskip(SKIP_2) | instid1(SALU_CYCLE_2)
	v_readfirstlane_b32 s6, v4
	s_mul_f32 s6, s6, 0x4f7ffffe
	s_wait_alu 0xfffe
	s_cvt_u32_f32 s6, s6
	s_wait_alu 0xfffe
	s_delay_alu instid0(SALU_CYCLE_2)
	s_mul_i32 s7, s7, s6
	s_wait_alu 0xfffe
	s_mul_hi_u32 s7, s6, s7
	s_wait_alu 0xfffe
	s_add_co_i32 s6, s6, s7
	s_wait_alu 0xfffe
	s_mul_hi_u32 s6, s72, s6
	s_wait_alu 0xfffe
	s_mul_i32 s7, s6, s78
	s_add_co_i32 s8, s6, 1
	s_wait_alu 0xfffe
	s_sub_co_i32 s7, s72, s7
	s_wait_alu 0xfffe
	s_sub_co_i32 s9, s7, s78
	s_cmp_ge_u32 s7, s78
	s_cselect_b32 s6, s8, s6
	s_wait_alu 0xfffe
	s_cselect_b32 s7, s9, s7
	s_add_co_i32 s8, s6, 1
	s_wait_alu 0xfffe
	s_cmp_ge_u32 s7, s78
	s_cselect_b32 s73, s8, s6
	s_wait_alu 0xfffe
	v_mul_hi_u32 v5, s73, v2
	v_mul_lo_u32 v4, s73, v2
	s_delay_alu instid0(VALU_DEP_1) | instskip(SKIP_2) | instid1(VALU_DEP_3)
	v_lshlrev_b64_e32 v[30:31], 2, v[4:5]
	v_mov_b32_e32 v4, 0
	v_mov_b32_e32 v5, 0
	v_cmpx_gt_u64_e64 v[30:31], v[16:17]
	s_cbranch_execz .LBB61_76
; %bb.73:                               ;   in Loop: Header=BB61_16 Depth=1
	v_mov_b32_e32 v33, v17
	v_dual_mov_b32 v49, v39 :: v_dual_mov_b32 v32, v16
	s_lshl_b32 s80, s53, 3
	s_mov_b64 s[20:21], 0
	s_mov_b32 s81, 0
	s_mov_b64 s[22:23], 0
	s_mov_b64 s[74:75], 0
	;; [unrolled: 1-line block ×3, first 2 shown]
.LBB61_74:                              ;   Parent Loop BB61_16 Depth=1
                                        ; =>  This Inner Loop Header: Depth=2
	ds_load_b64 v[4:5], v49
	v_add_co_u32 v32, vcc_lo, v32, s78
	s_wait_alu 0xfffd
	v_add_co_ci_u32_e64 v33, null, 0, v33, vcc_lo
	s_delay_alu instid0(VALU_DEP_1)
	v_cmp_ge_u64_e32 vcc_lo, v[32:33], v[30:31]
	s_wait_dscnt 0x0
	v_cmp_lt_i16_e64 s6, -1, v4
	v_lshrrev_b32_e32 v6, 16, v4
	v_lshrrev_b32_e32 v11, 16, v5
	v_and_b32_e32 v7, 0xffff, v4
	v_and_b32_e32 v9, 0xffff, v5
	s_wait_alu 0xf1ff
	v_cndmask_b32_e64 v8, 0xffff, v46, s6
	v_cmp_lt_i16_e64 s6, -1, v5
	v_cmp_lt_i16_e64 s7, -1, v11
	s_delay_alu instid0(VALU_DEP_3) | instskip(SKIP_1) | instid1(VALU_DEP_3)
	v_xor_b32_e32 v7, v8, v7
	s_wait_alu 0xf1ff
	v_cndmask_b32_e64 v10, 0xffff, v46, s6
	v_cmp_lt_i16_e64 s6, -1, v6
	s_delay_alu instid0(VALU_DEP_2) | instskip(SKIP_1) | instid1(VALU_DEP_2)
	v_xor_b32_e32 v9, v10, v9
	s_wait_alu 0xf1ff
	v_cndmask_b32_e64 v8, 0xffff, v46, s6
	v_cmp_o_f16_e64 s6, v5, v5
	v_cndmask_b32_e64 v5, 0xffff, v46, s7
	v_cmp_o_f16_e64 s7, v4, v4
	s_delay_alu instid0(VALU_DEP_2) | instskip(SKIP_1) | instid1(VALU_DEP_2)
	v_xor_b32_e32 v5, v5, v11
	s_wait_alu 0xf1ff
	v_cndmask_b32_e64 v4, 0xffff, v7, s7
	v_xor_b32_e32 v7, v8, v6
	v_cmp_o_f16_e64 s7, v6, v6
	v_cndmask_b32_e64 v8, 0xffff, v9, s6
	v_cmp_o_f16_e64 s6, v11, v11
	s_wait_alu 0xf1ff
	s_delay_alu instid0(VALU_DEP_3)
	v_cndmask_b32_e64 v6, 0xffff, v7, s7
	v_and_b32_e32 v7, v4, v47
	v_bfe_u32 v4, v4, s98, 2
	v_and_b32_e32 v9, v8, v47
	v_bfe_u32 v8, v8, s98, 2
	v_cndmask_b32_e64 v5, 0xffff, v5, s6
	v_cmp_eq_u32_e64 s6, v7, v24
	v_cmp_eq_u32_e64 s8, 0, v4
	v_and_b32_e32 v7, v6, v47
	v_cmp_eq_u32_e64 s7, v9, v24
	v_bfe_u32 v6, v6, s98, 2
	v_cmp_eq_u32_e64 s9, 0, v8
	v_cmp_eq_u32_e64 s10, 1, v4
	;; [unrolled: 1-line block ×3, first 2 shown]
	v_and_b32_e32 v9, v5, v47
	v_bfe_u32 v5, v5, s98, 2
	v_cmp_eq_u32_e64 s11, 1, v8
	v_cmp_eq_u32_e64 s13, 2, v8
	;; [unrolled: 1-line block ×3, first 2 shown]
	s_and_b32 s8, s6, s8
	v_cmp_eq_u32_e64 s15, 3, v8
	v_cmp_eq_u32_e64 s16, v7, v24
	;; [unrolled: 1-line block ×3, first 2 shown]
	s_wait_alu 0xfffe
	v_cndmask_b32_e64 v4, 0, 1, s8
	s_and_b32 s8, s7, s9
	s_and_b32 s10, s6, s10
	;; [unrolled: 1-line block ×3, first 2 shown]
	v_cmp_eq_u32_e64 s17, v9, v24
	v_cmp_eq_u32_e64 s19, 0, v5
	s_wait_alu 0xfffe
	v_cndmask_b32_e64 v7, 0, 1, s8
	v_cmp_eq_u32_e64 s8, 1, v6
	v_cndmask_b32_e64 v8, 0, 1, s10
	s_and_b32 s10, s7, s11
	v_cndmask_b32_e64 v10, 0, 1, s12
	s_and_b32 s12, s7, s13
	s_and_b32 s6, s6, s14
	v_cmp_eq_u32_e64 s9, 1, v5
	s_wait_alu 0xfffe
	v_cndmask_b32_e64 v9, 0, 1, s10
	v_cmp_eq_u32_e64 s10, 2, v6
	v_cmp_eq_u32_e64 s11, 2, v5
	v_cndmask_b32_e64 v11, 0, 1, s12
	v_cmp_eq_u32_e64 s12, 3, v6
	v_cmp_eq_u32_e64 s13, 3, v5
	v_cndmask_b32_e64 v5, 0, 1, s6
	s_and_b32 s6, s7, s15
	s_and_b32 s7, s16, s18
	s_wait_alu 0xfffe
	v_cndmask_b32_e64 v6, 0, 1, s6
	v_cmp_ne_u32_e64 s6, 0, v4
	v_cndmask_b32_e64 v4, 0, 1, s7
	s_and_b32 s14, s17, s19
	s_and_b32 s8, s16, s8
	v_cmp_ne_u32_e64 s7, 0, v7
	s_wait_alu 0xfffe
	v_cndmask_b32_e64 v7, 0, 1, s14
	v_cmp_ne_u32_e64 s14, 0, v8
	v_cndmask_b32_e64 v8, 0, 1, s8
	s_and_b32 s9, s17, s9
	s_and_b32 s10, s16, s10
	;; [unrolled: 1-line block ×4, first 2 shown]
	v_cmp_ne_u32_e64 s8, 0, v9
	s_wait_alu 0xfffe
	v_cndmask_b32_e64 v9, 0, 1, s9
	v_cmp_ne_u32_e64 s9, 0, v10
	v_cndmask_b32_e64 v10, 0, 1, s10
	v_cmp_ne_u32_e64 s10, 0, v11
	;; [unrolled: 2-line block ×3, first 2 shown]
	v_cndmask_b32_e64 v5, 0, 1, s12
	s_and_b32 s13, s17, s13
	s_bcnt1_i32_b32 s15, s6
	v_cmp_ne_u32_e64 s6, 0, v4
	v_cmp_ne_u32_e64 s12, 0, v6
	s_wait_alu 0xfffe
	v_cndmask_b32_e64 v6, 0, 1, s13
	v_cmp_ne_u32_e64 s13, 0, v8
	s_bcnt1_i32_b32 s16, s7
	v_cmp_ne_u32_e64 s7, 0, v7
	s_bcnt1_i32_b32 s18, s9
	v_cmp_ne_u32_e64 s9, 0, v10
	s_bcnt1_i32_b32 s24, s11
	v_cmp_ne_u32_e64 s11, 0, v5
	s_bcnt1_i32_b32 s6, s6
	s_bcnt1_i32_b32 s17, s8
	v_cmp_ne_u32_e64 s8, 0, v9
	s_bcnt1_i32_b32 s14, s14
	s_bcnt1_i32_b32 s13, s13
	s_wait_alu 0xfffe
	s_add_co_i32 s6, s6, s15
	s_bcnt1_i32_b32 s19, s10
	v_cmp_ne_u32_e64 s10, 0, v11
	s_bcnt1_i32_b32 s7, s7
	s_bcnt1_i32_b32 s9, s9
	;; [unrolled: 1-line block ×3, first 2 shown]
	s_add_co_i32 s13, s13, s14
	s_wait_alu 0xfffe
	s_add_co_i32 s6, s6, s16
	s_bcnt1_i32_b32 s82, s12
	v_cmp_ne_u32_e64 s12, 0, v6
	s_bcnt1_i32_b32 s8, s8
	s_add_co_i32 s9, s9, s18
	s_add_co_i32 s11, s11, s24
	;; [unrolled: 1-line block ×3, first 2 shown]
	s_wait_alu 0xfffe
	s_add_co_i32 s24, s6, s7
	s_bcnt1_i32_b32 s10, s10
	s_add_co_i32 s9, s9, s19
	s_wait_alu 0xfffe
	s_add_nc_u64 s[76:77], s[76:77], s[24:25]
	s_add_co_i32 s24, s13, s8
	s_bcnt1_i32_b32 s12, s12
	s_add_co_i32 s11, s11, s82
	s_wait_alu 0xfffe
	s_add_nc_u64 s[74:75], s[74:75], s[24:25]
	s_add_co_i32 s24, s9, s10
	v_dual_mov_b32 v4, s76 :: v_dual_add_nc_u32 v49, s80, v49
	s_wait_alu 0xfffe
	s_add_nc_u64 s[22:23], s[22:23], s[24:25]
	s_add_co_i32 s24, s11, s12
	v_mov_b32_e32 v6, s74
	s_wait_alu 0xfffe
	s_add_nc_u64 s[20:21], s[20:21], s[24:25]
	v_mov_b32_e32 v8, s22
	s_wait_alu 0xfffe
	v_dual_mov_b32 v10, s20 :: v_dual_mov_b32 v5, s77
	v_mov_b32_e32 v7, s75
	v_mov_b32_e32 v9, s23
	;; [unrolled: 1-line block ×3, first 2 shown]
	s_or_b32 s81, vcc_lo, s81
	s_wait_alu 0xfffe
	s_and_not1_b32 exec_lo, exec_lo, s81
	s_cbranch_execnz .LBB61_74
; %bb.75:                               ;   in Loop: Header=BB61_16 Depth=1
	s_or_b32 exec_lo, exec_lo, s81
.LBB61_76:                              ;   in Loop: Header=BB61_16 Depth=1
	s_delay_alu instid0(SALU_CYCLE_1)
	s_or_b32 exec_lo, exec_lo, s79
	v_add_co_u32 v30, vcc_lo, v30, v0
	s_wait_alu 0xfffd
	v_add_co_ci_u32_e64 v31, null, 0, v31, vcc_lo
	s_and_b32 s24, s72, 0x7fffffff
	s_mov_b32 s11, exec_lo
	s_wait_alu 0xfffe
	v_cmpx_gt_u64_e64 s[24:25], v[30:31]
	s_cbranch_execz .LBB61_80
; %bb.77:                               ;   in Loop: Header=BB61_16 Depth=1
	s_mul_i32 s73, s73, s53
	s_lshl_b32 s13, s53, 1
	s_wait_alu 0xfffe
	v_lshl_add_u32 v32, s73, 3, v35
	s_mov_b32 s12, 0
.LBB61_78:                              ;   Parent Loop BB61_16 Depth=1
                                        ; =>  This Inner Loop Header: Depth=2
	ds_load_u16 v33, v32
	v_add_co_u32 v30, vcc_lo, v30, v2
	s_wait_alu 0xfffd
	v_add_co_ci_u32_e64 v31, null, 0, v31, vcc_lo
	v_add_nc_u32_e32 v32, s13, v32
	s_delay_alu instid0(VALU_DEP_2) | instskip(SKIP_4) | instid1(VALU_DEP_2)
	v_cmp_le_u64_e32 vcc_lo, s[24:25], v[30:31]
	s_wait_dscnt 0x0
	v_cmp_lt_i16_e64 s6, -1, v33
	v_and_b32_e32 v49, 0xffff, v33
	s_wait_alu 0xf1ff
	v_cndmask_b32_e64 v50, 0xffff, v46, s6
	v_cmp_o_f16_e64 s6, v33, v33
	s_delay_alu instid0(VALU_DEP_2) | instskip(SKIP_1) | instid1(VALU_DEP_1)
	v_xor_b32_e32 v49, v50, v49
	s_wait_alu 0xf1ff
	v_cndmask_b32_e64 v33, 0xffff, v49, s6
	s_delay_alu instid0(VALU_DEP_1) | instskip(SKIP_1) | instid1(VALU_DEP_2)
	v_and_b32_e32 v49, v33, v47
	v_bfe_u32 v33, v33, s98, 2
	v_cmp_eq_u32_e64 s6, v49, v24
	s_delay_alu instid0(VALU_DEP_2)
	v_cmp_eq_u32_e64 s7, 0, v33
	v_cmp_eq_u32_e64 s8, 1, v33
	;; [unrolled: 1-line block ×4, first 2 shown]
	s_and_b32 s7, s6, s7
	s_wait_alu 0xfffe
	v_cndmask_b32_e64 v33, 0, 1, s7
	s_and_b32 s7, s6, s8
	s_wait_alu 0xfffe
	v_cndmask_b32_e64 v49, 0, 1, s7
	s_and_b32 s7, s6, s9
	s_and_b32 s6, s6, s10
	s_wait_alu 0xfffe
	v_cndmask_b32_e64 v50, 0, 1, s7
	v_cndmask_b32_e64 v51, 0, 1, s6
	v_cmp_ne_u32_e64 s6, 0, v33
	v_cmp_ne_u32_e64 s7, 0, v49
	s_delay_alu instid0(VALU_DEP_4) | instskip(NEXT) | instid1(VALU_DEP_4)
	v_cmp_ne_u32_e64 s8, 0, v50
	v_cmp_ne_u32_e64 s9, 0, v51
	s_bcnt1_i32_b32 s6, s6
	s_bcnt1_i32_b32 s7, s7
	s_wait_alu 0xfffe
	v_add_co_u32 v4, s6, v4, s6
	s_bcnt1_i32_b32 s8, s8
	v_add_co_ci_u32_e64 v5, null, 0, v5, s6
	v_add_co_u32 v6, s6, v6, s7
	s_bcnt1_i32_b32 s9, s9
	v_add_co_ci_u32_e64 v7, null, 0, v7, s6
	s_wait_alu 0xfffe
	v_add_co_u32 v8, s6, v8, s8
	s_wait_alu 0xf1ff
	v_add_co_ci_u32_e64 v9, null, 0, v9, s6
	v_add_co_u32 v10, s6, v10, s9
	s_wait_alu 0xf1ff
	v_add_co_ci_u32_e64 v11, null, 0, v11, s6
	s_or_b32 s12, vcc_lo, s12
	s_wait_alu 0xfffe
	s_and_not1_b32 exec_lo, exec_lo, s12
	s_cbranch_execnz .LBB61_78
; %bb.79:                               ;   in Loop: Header=BB61_16 Depth=1
	s_or_b32 exec_lo, exec_lo, s12
.LBB61_80:                              ;   in Loop: Header=BB61_16 Depth=1
	s_delay_alu instid0(SALU_CYCLE_1)
	s_or_b32 exec_lo, exec_lo, s11
	s_lshl_b32 s6, s100, 7
	s_and_saveexec_b32 s7, s1
	s_cbranch_execnz .LBB61_51
	s_branch .LBB61_52
.LBB61_81:                              ;   in Loop: Header=BB61_16 Depth=1
                                        ; implicit-def: $sgpr76_sgpr77
	s_branch .LBB61_60
.LBB61_82:                              ;   in Loop: Header=BB61_16 Depth=1
	s_or_b32 exec_lo, exec_lo, s9
	s_wait_dscnt 0x0
	s_barrier_signal -1
	s_barrier_wait -1
	global_inv scope:SCOPE_SE
	s_and_saveexec_b32 s6, s2
	s_cbranch_execz .LBB61_84
; %bb.83:                               ;   in Loop: Header=BB61_16 Depth=1
	ds_load_b32 v4, v3 offset:5136
	s_wait_dscnt 0x0
	v_ashrrev_i32_e32 v5, 31, v4
	ds_store_b64 v3, v[4:5] offset:5120
.LBB61_84:                              ;   in Loop: Header=BB61_16 Depth=1
	s_wait_alu 0xfffe
	s_or_b32 exec_lo, exec_lo, s6
	s_wait_loadcnt_dscnt 0x0
	s_barrier_signal -1
	s_mov_b32 s6, -1
	s_barrier_wait -1
	s_and_b32 vcc_lo, exec_lo, s8
	s_wait_alu 0xfffe
	s_cbranch_vccnz .LBB61_31
	s_branch .LBB61_46
.LBB61_85:                              ;   in Loop: Header=BB61_16 Depth=1
	s_mov_b32 s8, 0
	s_and_not1_b32 vcc_lo, exec_lo, s95
	s_wait_alu 0xfffe
	s_cbranch_vccnz .LBB61_88
.LBB61_86:                              ;   in Loop: Header=BB61_16 Depth=1
	s_lshl_b32 s9, s100, 10
	s_lshl_b32 s8, s8, 5
	s_wait_alu 0xfffe
	v_add3_u32 v2, s9, s8, v44
	s_mov_b32 s8, s92
.LBB61_87:                              ;   Parent Loop BB61_16 Depth=1
                                        ; =>  This Inner Loop Header: Depth=2
	ds_load_b64 v[6:7], v2
	v_add_nc_u32_e32 v2, 32, v2
	s_wait_alu 0xfffe
	s_add_co_i32 s8, s8, -1
	s_wait_alu 0xfffe
	s_cmp_lg_u32 s8, 0
	s_wait_dscnt 0x0
	v_add_co_u32 v4, vcc_lo, v6, v4
	s_wait_alu 0xfffd
	v_add_co_ci_u32_e64 v5, null, v7, v5, vcc_lo
	s_cbranch_scc1 .LBB61_87
.LBB61_88:                              ;   in Loop: Header=BB61_16 Depth=1
	v_add_lshl_u32 v2, s6, v34, 3
	ds_store_b64 v2, v[4:5] offset:3072
.LBB61_89:                              ;   in Loop: Header=BB61_16 Depth=1
	s_wait_alu 0xfffe
	s_or_b32 exec_lo, exec_lo, s7
	s_lshl_b32 s6, s6, 3
	s_wait_loadcnt_dscnt 0x0
	s_wait_alu 0xfffe
	v_mov_b32_e32 v2, s6
	s_barrier_signal -1
	s_barrier_wait -1
	global_inv scope:SCOPE_SE
	v_cmp_eq_u64_e32 vcc_lo, 1, v[28:29]
	ds_load_b128 v[4:7], v2 offset:3072
	ds_load_b128 v[8:11], v2 offset:3088
	s_lshl_b32 s16, 3, s98
	s_mov_b32 s18, -1
	s_wait_alu 0xfffe
	s_not_b32 s20, s16
                                        ; implicit-def: $sgpr22
                                        ; implicit-def: $sgpr21
	s_wait_dscnt 0x1
	v_cmp_eq_u64_e64 s6, 1, v[4:5]
	s_wait_dscnt 0x0
	v_readfirstlane_b32 s10, v8
	v_readfirstlane_b32 s11, v9
	;; [unrolled: 1-line block ×4, first 2 shown]
	s_and_b32 s19, s6, vcc_lo
	s_mov_b32 s6, -1
	s_wait_alu 0xfffe
	s_and_saveexec_b32 s17, s19
	s_cbranch_execz .LBB61_123
; %bb.90:                               ;   in Loop: Header=BB61_16 Depth=1
	ds_load_b64 v[8:9], v3 offset:5120
	s_wait_loadcnt_dscnt 0x0
	s_barrier_signal -1
	s_barrier_wait -1
	global_inv scope:SCOPE_SE
	v_readfirstlane_b32 s12, v8
	v_readfirstlane_b32 s13, v9
	s_and_saveexec_b32 s6, s3
; %bb.91:                               ;   in Loop: Header=BB61_16 Depth=1
	ds_store_b16 v36, v3
; %bb.92:                               ;   in Loop: Header=BB61_16 Depth=1
	s_wait_alu 0xfffe
	s_or_b32 exec_lo, exec_lo, s6
	v_cmp_lt_i64_e64 s6, s[12:13], 1
	v_and_b32_e32 v24, s20, v24
	v_or_b32_e32 v47, s16, v47
	s_mov_b32 s21, -1
	s_mov_b32 s22, 0
	s_mov_b32 s23, 0
	s_and_b32 vcc_lo, exec_lo, s6
	s_mov_b32 s7, -1
	s_wait_loadcnt_dscnt 0x0
	s_barrier_signal -1
	s_barrier_wait -1
	global_inv scope:SCOPE_SE
                                        ; implicit-def: $vgpr48
	s_wait_alu 0xfffe
	s_cbranch_vccz .LBB61_107
; %bb.93:                               ;   in Loop: Header=BB61_16 Depth=1
	s_mov_b32 s6, s25
	s_mov_b32 s7, s65
	s_wait_alu 0xfffe
	s_cmp_lg_u64 s[6:7], 0
	s_cbranch_scc0 .LBB61_150
; %bb.94:                               ;   in Loop: Header=BB61_16 Depth=1
	s_add_nc_u64 s[6:7], s[56:57], 0
	s_wait_alu 0xfffe
	s_xor_b64 s[6:7], s[6:7], 0
	s_wait_alu 0xfffe
	s_cvt_f32_u32 s14, s6
	s_cvt_f32_u32 s15, s7
	s_sub_nc_u64 s[72:73], 0, s[6:7]
	s_wait_alu 0xfffe
	s_delay_alu instid0(SALU_CYCLE_1) | instskip(SKIP_1) | instid1(SALU_CYCLE_2)
	s_fmamk_f32 s14, s15, 0x4f800000, s14
	s_wait_alu 0xfffe
	v_s_rcp_f32 s14, s14
	s_delay_alu instid0(TRANS32_DEP_1) | instskip(SKIP_1) | instid1(SALU_CYCLE_2)
	s_mul_f32 s14, s14, 0x5f7ffffc
	s_wait_alu 0xfffe
	s_mul_f32 s15, s14, 0x2f800000
	s_wait_alu 0xfffe
	s_delay_alu instid0(SALU_CYCLE_2) | instskip(SKIP_1) | instid1(SALU_CYCLE_2)
	s_trunc_f32 s15, s15
	s_wait_alu 0xfffe
	s_fmamk_f32 s14, s15, 0xcf800000, s14
	s_cvt_u32_f32 s15, s15
	s_wait_alu 0xfffe
	s_delay_alu instid0(SALU_CYCLE_1) | instskip(SKIP_1) | instid1(SALU_CYCLE_2)
	s_cvt_u32_f32 s14, s14
	s_wait_alu 0xfffe
	s_mul_u64 s[74:75], s[72:73], s[14:15]
	s_wait_alu 0xfffe
	s_mul_hi_u32 s77, s14, s75
	s_mul_i32 s76, s14, s75
	s_mul_hi_u32 s24, s14, s74
	s_mul_i32 s53, s15, s74
	s_wait_alu 0xfffe
	s_add_nc_u64 s[76:77], s[24:25], s[76:77]
	s_mul_hi_u32 s23, s15, s74
	s_mul_hi_u32 s78, s15, s75
	s_wait_alu 0xfffe
	s_add_co_u32 s24, s76, s53
	s_add_co_ci_u32 s24, s77, s23
	s_mul_i32 s74, s15, s75
	s_add_co_ci_u32 s75, s78, 0
	s_wait_alu 0xfffe
	s_add_nc_u64 s[74:75], s[24:25], s[74:75]
	s_wait_alu 0xfffe
	s_add_co_u32 s14, s14, s74
	s_cselect_b32 s23, -1, 0
	s_wait_alu 0xfffe
	s_cmp_lg_u32 s23, 0
	s_add_co_ci_u32 s15, s15, s75
	s_wait_alu 0xfffe
	s_mul_u64 s[72:73], s[72:73], s[14:15]
	s_wait_alu 0xfffe
	s_mul_hi_u32 s75, s14, s73
	s_mul_i32 s74, s14, s73
	s_mul_hi_u32 s24, s14, s72
	s_mul_i32 s53, s15, s72
	s_wait_alu 0xfffe
	s_add_nc_u64 s[74:75], s[24:25], s[74:75]
	s_mul_hi_u32 s23, s15, s72
	s_mul_hi_u32 s76, s15, s73
	s_wait_alu 0xfffe
	s_add_co_u32 s24, s74, s53
	s_add_co_ci_u32 s24, s75, s23
	s_mul_i32 s72, s15, s73
	s_add_co_ci_u32 s73, s76, 0
	s_wait_alu 0xfffe
	s_add_nc_u64 s[72:73], s[24:25], s[72:73]
	s_wait_alu 0xfffe
	s_add_co_u32 s23, s14, s72
	s_cselect_b32 s14, -1, 0
	s_wait_alu 0xfffe
	s_cmp_lg_u32 s14, 0
	s_add_co_ci_u32 s53, s15, s73
	s_ashr_i32 s14, s65, 31
	s_wait_alu 0xfffe
	s_mov_b32 s15, s14
	s_wait_alu 0xfffe
	s_add_nc_u64 s[72:73], s[64:65], s[14:15]
	s_wait_alu 0xfffe
	s_xor_b64 s[72:73], s[72:73], s[14:15]
	s_wait_alu 0xfffe
	s_mul_hi_u32 s75, s72, s53
	s_mul_i32 s74, s72, s53
	s_mul_hi_u32 s24, s72, s23
	s_mul_hi_u32 s78, s73, s23
	s_mul_i32 s23, s73, s23
	s_wait_alu 0xfffe
	s_add_nc_u64 s[74:75], s[24:25], s[74:75]
	s_mul_hi_u32 s77, s73, s53
	s_wait_alu 0xfffe
	s_add_co_u32 s23, s74, s23
	s_add_co_ci_u32 s24, s75, s78
	s_mul_i32 s76, s73, s53
	s_add_co_ci_u32 s77, s77, 0
	s_wait_alu 0xfffe
	s_add_nc_u64 s[74:75], s[24:25], s[76:77]
	s_wait_alu 0xfffe
	s_mul_u64 s[74:75], s[6:7], s[74:75]
	s_wait_alu 0xfffe
	s_sub_co_u32 s23, s72, s74
	s_cselect_b32 s24, -1, 0
	s_sub_co_i32 s53, s73, s75
	s_wait_alu 0xfffe
	s_cmp_lg_u32 s24, 0
	s_sub_co_ci_u32 s53, s53, s7
	s_sub_co_u32 s72, s23, s6
	s_cselect_b32 s74, -1, 0
	s_wait_alu 0xfffe
	s_cmp_lg_u32 s74, 0
	s_sub_co_ci_u32 s76, s53, 0
	s_wait_alu 0xfffe
	s_cmp_ge_u32 s76, s7
	s_cselect_b32 s77, -1, 0
	s_cmp_ge_u32 s72, s6
	s_cselect_b32 s78, -1, 0
	s_cmp_eq_u32 s76, s7
	s_wait_alu 0xfffe
	s_cselect_b32 s77, s78, s77
	s_cmp_lg_u32 s74, 0
	s_sub_co_ci_u32 s53, s53, s7
	s_sub_co_u32 s74, s72, s6
	s_cselect_b32 s78, -1, 0
	s_wait_alu 0xfffe
	s_cmp_lg_u32 s78, 0
	s_sub_co_ci_u32 s53, s53, 0
	s_cmp_lg_u32 s77, 0
	s_cselect_b32 s72, s74, s72
	s_cselect_b32 s53, s53, s76
	s_cmp_lg_u32 s24, 0
	s_sub_co_ci_u32 s24, s73, s75
	s_wait_alu 0xfffe
	s_cmp_ge_u32 s24, s7
	s_cselect_b32 s73, -1, 0
	s_cmp_ge_u32 s23, s6
	s_cselect_b32 s6, -1, 0
	s_cmp_eq_u32 s24, s7
	s_wait_alu 0xfffe
	s_cselect_b32 s6, s6, s73
	s_wait_alu 0xfffe
	s_cmp_lg_u32 s6, 0
	s_cselect_b32 s7, s53, s24
	s_cselect_b32 s6, s72, s23
	s_wait_alu 0xfffe
	s_xor_b64 s[6:7], s[6:7], s[14:15]
	s_wait_alu 0xfffe
	s_sub_nc_u64 s[6:7], s[6:7], s[14:15]
	s_cbranch_execnz .LBB61_96
.LBB61_95:                              ;   in Loop: Header=BB61_16 Depth=1
	v_cvt_f32_u32_e32 v2, s56
	s_sub_co_i32 s7, 0, s56
	s_delay_alu instid0(VALU_DEP_1) | instskip(NEXT) | instid1(TRANS32_DEP_1)
	v_rcp_iflag_f32_e32 v2, v2
	v_mul_f32_e32 v2, 0x4f7ffffe, v2
	s_delay_alu instid0(VALU_DEP_1) | instskip(NEXT) | instid1(VALU_DEP_1)
	v_cvt_u32_f32_e32 v2, v2
	v_readfirstlane_b32 s6, v2
	s_wait_alu 0xfffe
	s_mul_i32 s7, s7, s6
	s_wait_alu 0xfffe
	s_mul_hi_u32 s7, s6, s7
	s_wait_alu 0xfffe
	s_add_co_i32 s6, s6, s7
	s_wait_alu 0xfffe
	s_mul_hi_u32 s6, s64, s6
	s_wait_alu 0xfffe
	s_mul_i32 s6, s6, s56
	s_wait_alu 0xfffe
	s_sub_co_i32 s6, s64, s6
	s_wait_alu 0xfffe
	s_sub_co_i32 s7, s6, s56
	s_cmp_ge_u32 s6, s56
	s_wait_alu 0xfffe
	s_cselect_b32 s6, s7, s6
	s_wait_alu 0xfffe
	s_sub_co_i32 s7, s6, s56
	s_cmp_ge_u32 s6, s56
	s_wait_alu 0xfffe
	s_cselect_b32 s24, s7, s6
	s_wait_alu 0xfffe
	s_mov_b64 s[6:7], s[24:25]
.LBB61_96:                              ;   in Loop: Header=BB61_16 Depth=1
	s_wait_alu 0xfffe
	s_sub_nc_u64 s[14:15], s[64:65], s[6:7]
	s_mov_b32 s7, 0
	s_mov_b32 s23, 0
	s_mov_b32 s24, exec_lo
                                        ; implicit-def: $vgpr48
	s_wait_alu 0xfffe
	v_cmpx_gt_i64_e64 s[14:15], v[0:1]
	s_cbranch_execz .LBB61_106
; %bb.97:                               ;   in Loop: Header=BB61_16 Depth=1
	v_dual_mov_b32 v8, v12 :: v_dual_mov_b32 v9, v13
	v_dual_mov_b32 v11, v1 :: v_dual_mov_b32 v10, v0
                                        ; implicit-def: $sgpr53
	s_branch .LBB61_101
.LBB61_98:                              ;   in Loop: Header=BB61_101 Depth=2
	s_wait_alu 0xfffe
	s_or_b32 exec_lo, exec_lo, s6
	s_wait_loadcnt_dscnt 0x0
	s_barrier_signal -1
	s_barrier_wait -1
	global_inv scope:SCOPE_SE
	ds_load_b32 v2, v3 offset:3072
	s_wait_loadcnt_dscnt 0x0
	s_barrier_signal -1
	s_barrier_wait -1
	global_inv scope:SCOPE_SE
	v_cmp_neq_f16_e32 vcc_lo, 0, v2
	s_cbranch_vccnz .LBB61_104
; %bb.99:                               ;   in Loop: Header=BB61_101 Depth=2
	v_add_co_u32 v10, vcc_lo, v10, s56
	s_wait_alu 0xfffd
	v_add_co_ci_u32_e64 v11, null, 0, v11, vcc_lo
	v_add_co_u32 v8, s6, v8, s58
	s_wait_alu 0xf1ff
	v_add_co_ci_u32_e64 v9, null, s59, v9, s6
	s_delay_alu instid0(VALU_DEP_3)
	v_cmp_le_i64_e32 vcc_lo, s[14:15], v[10:11]
	s_mov_b32 s6, 0
	s_or_not1_b32 s72, vcc_lo, exec_lo
.LBB61_100:                             ;   in Loop: Header=BB61_101 Depth=2
	s_wait_alu 0xfffe
	s_and_b32 s72, exec_lo, s72
	s_wait_alu 0xfffe
	s_or_b32 s23, s72, s23
	s_and_not1_b32 s53, s53, exec_lo
	s_and_b32 s6, s6, exec_lo
	s_wait_alu 0xfffe
	s_or_b32 s53, s53, s6
	s_and_not1_b32 exec_lo, exec_lo, s23
	s_cbranch_execz .LBB61_105
.LBB61_101:                             ;   Parent Loop BB61_16 Depth=1
                                        ; =>  This Inner Loop Header: Depth=2
	s_mov_b32 s6, exec_lo
	s_delay_alu instid0(VALU_DEP_1)
	v_cmpx_gt_i64_e64 s[36:37], v[10:11]
	s_cbranch_execz .LBB61_98
; %bb.102:                              ;   in Loop: Header=BB61_101 Depth=2
	global_load_u16 v2, v[8:9], off
	s_wait_loadcnt 0x0
	v_cmp_lt_i16_e32 vcc_lo, -1, v2
	v_and_b32_e32 v30, 0xffff, v2
	s_wait_alu 0xfffd
	v_cndmask_b32_e32 v31, 0xffff, v46, vcc_lo
	v_cmp_o_f16_e32 vcc_lo, v2, v2
	s_delay_alu instid0(VALU_DEP_2) | instskip(SKIP_1) | instid1(VALU_DEP_1)
	v_xor_b32_e32 v30, v31, v30
	s_wait_alu 0xfffd
	v_cndmask_b32_e32 v30, 0xffff, v30, vcc_lo
	s_delay_alu instid0(VALU_DEP_1) | instskip(NEXT) | instid1(VALU_DEP_1)
	v_and_b32_e32 v30, v30, v47
	v_cmp_eq_u32_e32 vcc_lo, v30, v24
	s_and_b32 exec_lo, exec_lo, vcc_lo
	s_cbranch_execz .LBB61_98
; %bb.103:                              ;   in Loop: Header=BB61_101 Depth=2
	v_perm_b32 v2, v2, s97, 0x5040100
	ds_store_b32 v3, v2 offset:3072
	s_branch .LBB61_98
.LBB61_104:                             ;   in Loop: Header=BB61_101 Depth=2
	s_mov_b32 s72, -1
	s_mov_b32 s6, -1
                                        ; implicit-def: $vgpr10_vgpr11
                                        ; implicit-def: $vgpr8_vgpr9
	s_branch .LBB61_100
.LBB61_105:                             ;   in Loop: Header=BB61_16 Depth=1
	s_or_b32 exec_lo, exec_lo, s23
	v_lshrrev_b32_e32 v48, 16, v2
	s_and_b32 s23, s53, exec_lo
.LBB61_106:                             ;   in Loop: Header=BB61_16 Depth=1
	s_or_b32 exec_lo, exec_lo, s24
.LBB61_107:                             ;   in Loop: Header=BB61_16 Depth=1
	s_delay_alu instid0(SALU_CYCLE_1)
	s_and_b32 vcc_lo, exec_lo, s7
	s_wait_alu 0xfffe
	s_cbranch_vccz .LBB61_122
; %bb.108:                              ;   in Loop: Header=BB61_16 Depth=1
	s_add_nc_u64 s[6:7], s[12:13], s[62:63]
	s_mov_b32 s14, s25
	s_wait_alu 0xfffe
	s_mov_b32 s15, s7
	s_wait_alu 0xfffe
	s_cmp_lg_u64 s[14:15], 0
	s_cbranch_scc0 .LBB61_151
; %bb.109:                              ;   in Loop: Header=BB61_16 Depth=1
	s_add_nc_u64 s[14:15], s[56:57], 0
	s_wait_alu 0xfffe
	s_xor_b64 s[14:15], s[14:15], 0
	s_wait_alu 0xfffe
	s_cvt_f32_u32 s21, s14
	s_cvt_f32_u32 s22, s15
	s_sub_nc_u64 s[74:75], 0, s[14:15]
	s_wait_alu 0xfffe
	s_delay_alu instid0(SALU_CYCLE_1) | instskip(SKIP_1) | instid1(SALU_CYCLE_2)
	s_fmamk_f32 s21, s22, 0x4f800000, s21
	s_wait_alu 0xfffe
	v_s_rcp_f32 s21, s21
	s_delay_alu instid0(TRANS32_DEP_1) | instskip(SKIP_1) | instid1(SALU_CYCLE_2)
	s_mul_f32 s21, s21, 0x5f7ffffc
	s_wait_alu 0xfffe
	s_mul_f32 s22, s21, 0x2f800000
	s_wait_alu 0xfffe
	s_delay_alu instid0(SALU_CYCLE_2) | instskip(SKIP_1) | instid1(SALU_CYCLE_2)
	s_trunc_f32 s22, s22
	s_wait_alu 0xfffe
	s_fmamk_f32 s21, s22, 0xcf800000, s21
	s_cvt_u32_f32 s73, s22
	s_wait_alu 0xfffe
	s_delay_alu instid0(SALU_CYCLE_1) | instskip(SKIP_1) | instid1(SALU_CYCLE_2)
	s_cvt_u32_f32 s72, s21
	s_wait_alu 0xfffe
	s_mul_u64 s[76:77], s[74:75], s[72:73]
	s_wait_alu 0xfffe
	s_mul_hi_u32 s79, s72, s77
	s_mul_i32 s78, s72, s77
	s_mul_hi_u32 s24, s72, s76
	s_mul_i32 s22, s73, s76
	s_wait_alu 0xfffe
	s_add_nc_u64 s[78:79], s[24:25], s[78:79]
	s_mul_hi_u32 s21, s73, s76
	s_mul_hi_u32 s53, s73, s77
	s_wait_alu 0xfffe
	s_add_co_u32 s22, s78, s22
	s_add_co_ci_u32 s24, s79, s21
	s_mul_i32 s76, s73, s77
	s_add_co_ci_u32 s77, s53, 0
	s_wait_alu 0xfffe
	s_add_nc_u64 s[76:77], s[24:25], s[76:77]
	s_wait_alu 0xfffe
	s_add_co_u32 s72, s72, s76
	s_cselect_b32 s21, -1, 0
	s_wait_alu 0xfffe
	s_cmp_lg_u32 s21, 0
	s_add_co_ci_u32 s73, s73, s77
	s_wait_alu 0xfffe
	s_mul_u64 s[74:75], s[74:75], s[72:73]
	s_wait_alu 0xfffe
	s_mul_hi_u32 s77, s72, s75
	s_mul_i32 s76, s72, s75
	s_mul_hi_u32 s24, s72, s74
	s_mul_i32 s22, s73, s74
	s_wait_alu 0xfffe
	s_add_nc_u64 s[76:77], s[24:25], s[76:77]
	s_mul_hi_u32 s21, s73, s74
	s_mul_hi_u32 s53, s73, s75
	s_wait_alu 0xfffe
	s_add_co_u32 s22, s76, s22
	s_add_co_ci_u32 s24, s77, s21
	s_mul_i32 s74, s73, s75
	s_add_co_ci_u32 s75, s53, 0
	s_wait_alu 0xfffe
	s_add_nc_u64 s[74:75], s[24:25], s[74:75]
	s_wait_alu 0xfffe
	s_add_co_u32 s21, s72, s74
	s_cselect_b32 s22, -1, 0
	s_wait_alu 0xfffe
	s_cmp_lg_u32 s22, 0
	s_add_co_ci_u32 s22, s73, s75
	s_ashr_i32 s72, s7, 31
	s_wait_alu 0xfffe
	s_mov_b32 s73, s72
	s_wait_alu 0xfffe
	s_add_nc_u64 s[74:75], s[6:7], s[72:73]
	s_wait_alu 0xfffe
	s_xor_b64 s[74:75], s[74:75], s[72:73]
	s_wait_alu 0xfffe
	s_mul_hi_u32 s77, s74, s22
	s_mul_i32 s76, s74, s22
	s_mul_hi_u32 s24, s74, s21
	s_mul_hi_u32 s79, s75, s21
	s_mul_i32 s21, s75, s21
	s_wait_alu 0xfffe
	s_add_nc_u64 s[76:77], s[24:25], s[76:77]
	s_mul_hi_u32 s53, s75, s22
	s_wait_alu 0xfffe
	s_add_co_u32 s21, s76, s21
	s_add_co_ci_u32 s24, s77, s79
	s_mul_i32 s78, s75, s22
	s_add_co_ci_u32 s79, s53, 0
	s_wait_alu 0xfffe
	s_add_nc_u64 s[76:77], s[24:25], s[78:79]
	s_wait_alu 0xfffe
	s_mul_u64 s[76:77], s[14:15], s[76:77]
	s_wait_alu 0xfffe
	s_sub_co_u32 s21, s74, s76
	s_cselect_b32 s22, -1, 0
	s_sub_co_i32 s24, s75, s77
	s_wait_alu 0xfffe
	s_cmp_lg_u32 s22, 0
	s_sub_co_ci_u32 s24, s24, s15
	s_sub_co_u32 s53, s21, s14
	s_cselect_b32 s74, -1, 0
	s_wait_alu 0xfffe
	s_cmp_lg_u32 s74, 0
	s_sub_co_ci_u32 s76, s24, 0
	s_wait_alu 0xfffe
	s_cmp_ge_u32 s76, s15
	s_cselect_b32 s78, -1, 0
	s_cmp_ge_u32 s53, s14
	s_cselect_b32 s79, -1, 0
	s_cmp_eq_u32 s76, s15
	s_wait_alu 0xfffe
	s_cselect_b32 s78, s79, s78
	s_cmp_lg_u32 s74, 0
	s_sub_co_ci_u32 s24, s24, s15
	s_sub_co_u32 s74, s53, s14
	s_cselect_b32 s79, -1, 0
	s_wait_alu 0xfffe
	s_cmp_lg_u32 s79, 0
	s_sub_co_ci_u32 s24, s24, 0
	s_cmp_lg_u32 s78, 0
	s_cselect_b32 s53, s74, s53
	s_wait_alu 0xfffe
	s_cselect_b32 s24, s24, s76
	s_cmp_lg_u32 s22, 0
	s_sub_co_ci_u32 s22, s75, s77
	s_wait_alu 0xfffe
	s_cmp_ge_u32 s22, s15
	s_cselect_b32 s74, -1, 0
	s_cmp_ge_u32 s21, s14
	s_cselect_b32 s14, -1, 0
	s_cmp_eq_u32 s22, s15
	s_wait_alu 0xfffe
	s_cselect_b32 s14, s14, s74
	s_wait_alu 0xfffe
	s_cmp_lg_u32 s14, 0
	s_cselect_b32 s15, s24, s22
	s_cselect_b32 s14, s53, s21
	s_wait_alu 0xfffe
	s_xor_b64 s[14:15], s[14:15], s[72:73]
	s_wait_alu 0xfffe
	s_sub_nc_u64 s[14:15], s[14:15], s[72:73]
	s_cbranch_execnz .LBB61_111
.LBB61_110:                             ;   in Loop: Header=BB61_16 Depth=1
	v_cvt_f32_u32_e32 v2, s56
	s_sub_co_i32 s15, 0, s56
	s_delay_alu instid0(VALU_DEP_1) | instskip(NEXT) | instid1(TRANS32_DEP_1)
	v_rcp_iflag_f32_e32 v2, v2
	v_mul_f32_e32 v2, 0x4f7ffffe, v2
	s_delay_alu instid0(VALU_DEP_1) | instskip(NEXT) | instid1(VALU_DEP_1)
	v_cvt_u32_f32_e32 v2, v2
	v_readfirstlane_b32 s14, v2
	s_wait_alu 0xfffe
	s_mul_i32 s15, s15, s14
	s_wait_alu 0xfffe
	s_mul_hi_u32 s15, s14, s15
	s_wait_alu 0xfffe
	s_add_co_i32 s14, s14, s15
	s_wait_alu 0xfffe
	s_mul_hi_u32 s14, s6, s14
	s_wait_alu 0xfffe
	s_mul_i32 s14, s14, s56
	s_wait_alu 0xfffe
	s_sub_co_i32 s14, s6, s14
	s_wait_alu 0xfffe
	s_sub_co_i32 s15, s14, s56
	s_cmp_ge_u32 s14, s56
	s_wait_alu 0xfffe
	s_cselect_b32 s14, s15, s14
	s_wait_alu 0xfffe
	s_sub_co_i32 s15, s14, s56
	s_cmp_ge_u32 s14, s56
	s_wait_alu 0xfffe
	s_cselect_b32 s24, s15, s14
	s_wait_alu 0xfffe
	s_mov_b64 s[14:15], s[24:25]
.LBB61_111:                             ;   in Loop: Header=BB61_16 Depth=1
	s_wait_alu 0xfffe
	s_sub_nc_u64 s[6:7], s[6:7], s[14:15]
	s_mov_b32 s14, exec_lo
                                        ; implicit-def: $vgpr48
	s_wait_alu 0xfffe
	v_cmpx_gt_i64_e64 s[6:7], v[0:1]
	s_cbranch_execz .LBB61_121
; %bb.112:                              ;   in Loop: Header=BB61_16 Depth=1
	v_dual_mov_b32 v2, v35 :: v_dual_mov_b32 v9, v1
	v_mov_b32_e32 v8, v0
	s_mov_b32 s15, 0
                                        ; implicit-def: $sgpr21
	s_branch .LBB61_116
.LBB61_113:                             ;   in Loop: Header=BB61_116 Depth=2
	s_wait_alu 0xfffe
	s_or_b32 exec_lo, exec_lo, s22
	s_wait_loadcnt_dscnt 0x0
	s_barrier_signal -1
	s_barrier_wait -1
	global_inv scope:SCOPE_SE
	ds_load_b32 v10, v3 offset:3072
	s_wait_loadcnt_dscnt 0x0
	s_barrier_signal -1
	s_barrier_wait -1
	global_inv scope:SCOPE_SE
	v_cmp_neq_f16_e32 vcc_lo, 0, v10
	s_cbranch_vccnz .LBB61_119
; %bb.114:                              ;   in Loop: Header=BB61_116 Depth=2
	v_add_co_u32 v8, vcc_lo, v8, s56
	s_wait_alu 0xfffd
	v_add_co_ci_u32_e64 v9, null, 0, v9, vcc_lo
	v_add_nc_u32_e32 v2, s96, v2
	s_mov_b32 s22, 0
	s_delay_alu instid0(VALU_DEP_2)
	v_cmp_le_i64_e32 vcc_lo, s[6:7], v[8:9]
	s_or_not1_b32 s24, vcc_lo, exec_lo
.LBB61_115:                             ;   in Loop: Header=BB61_116 Depth=2
	s_wait_alu 0xfffe
	s_and_b32 s24, exec_lo, s24
	s_wait_alu 0xfffe
	s_or_b32 s15, s24, s15
	s_and_not1_b32 s21, s21, exec_lo
	s_and_b32 s22, s22, exec_lo
	s_wait_alu 0xfffe
	s_or_b32 s21, s21, s22
	s_and_not1_b32 exec_lo, exec_lo, s15
	s_cbranch_execz .LBB61_120
.LBB61_116:                             ;   Parent Loop BB61_16 Depth=1
                                        ; =>  This Inner Loop Header: Depth=2
	s_mov_b32 s22, exec_lo
	s_delay_alu instid0(VALU_DEP_1)
	v_cmpx_gt_u64_e64 s[12:13], v[8:9]
	s_cbranch_execz .LBB61_113
; %bb.117:                              ;   in Loop: Header=BB61_116 Depth=2
	ds_load_u16 v10, v2
	s_wait_dscnt 0x0
	v_cmp_lt_i16_e32 vcc_lo, -1, v10
	v_and_b32_e32 v11, 0xffff, v10
	s_wait_alu 0xfffd
	v_cndmask_b32_e32 v30, 0xffff, v46, vcc_lo
	v_cmp_o_f16_e32 vcc_lo, v10, v10
	s_delay_alu instid0(VALU_DEP_2) | instskip(SKIP_1) | instid1(VALU_DEP_1)
	v_xor_b32_e32 v11, v30, v11
	s_wait_alu 0xfffd
	v_cndmask_b32_e32 v11, 0xffff, v11, vcc_lo
	s_delay_alu instid0(VALU_DEP_1) | instskip(NEXT) | instid1(VALU_DEP_1)
	v_and_b32_e32 v11, v11, v47
	v_cmp_eq_u32_e32 vcc_lo, v11, v24
	s_and_b32 exec_lo, exec_lo, vcc_lo
	s_cbranch_execz .LBB61_113
; %bb.118:                              ;   in Loop: Header=BB61_116 Depth=2
	v_perm_b32 v10, v10, s97, 0x5040100
	ds_store_b32 v3, v10 offset:3072
	s_branch .LBB61_113
.LBB61_119:                             ;   in Loop: Header=BB61_116 Depth=2
	s_mov_b32 s24, -1
	s_mov_b32 s22, -1
                                        ; implicit-def: $vgpr8_vgpr9
                                        ; implicit-def: $vgpr2
	s_branch .LBB61_115
.LBB61_120:                             ;   in Loop: Header=BB61_16 Depth=1
	s_or_b32 exec_lo, exec_lo, s15
	v_lshrrev_b32_e32 v48, 16, v10
	s_and_not1_b32 s6, s23, exec_lo
	s_wait_alu 0xfffe
	s_and_b32 s7, s21, exec_lo
	s_wait_alu 0xfffe
	s_or_b32 s23, s6, s7
.LBB61_121:                             ;   in Loop: Header=BB61_16 Depth=1
	s_or_b32 exec_lo, exec_lo, s14
	s_mov_b32 s21, 0
	s_mov_b32 s22, -1
.LBB61_122:                             ;   in Loop: Header=BB61_16 Depth=1
	s_wait_alu 0xfffe
	s_or_not1_b32 s6, s23, exec_lo
.LBB61_123:                             ;   in Loop: Header=BB61_16 Depth=1
	s_wait_alu 0xfffe
	s_or_b32 exec_lo, exec_lo, s17
	s_delay_alu instid0(SALU_CYCLE_1)
	s_and_not1_b32 s7, vcc_hi, exec_lo
	s_and_b32 s12, s22, exec_lo
	s_and_not1_b32 s13, s103, exec_lo
	s_and_b32 s14, s21, exec_lo
	s_and_not1_b32 s102, s102, exec_lo
	s_wait_alu 0xfffe
	s_or_b32 vcc_hi, s7, s12
	s_or_b32 s103, s13, s14
                                        ; implicit-def: $vgpr8_vgpr9
	s_and_saveexec_b32 s17, s6
	s_cbranch_execz .LBB61_15
; %bb.124:                              ;   in Loop: Header=BB61_16 Depth=1
	v_mov_b32_e32 v8, 1
	v_dual_mov_b32 v9, 0 :: v_dual_mov_b32 v2, 1
	s_xor_b32 s12, s19, -1
	s_mov_b32 s7, 0
	s_wait_alu 0xfffe
	s_and_saveexec_b32 s6, s12
	s_cbranch_execz .LBB61_133
; %bb.125:                              ;   in Loop: Header=BB61_16 Depth=1
	s_mov_b32 s7, exec_lo
	v_cmpx_le_i64_e64 v[28:29], v[4:5]
	s_wait_alu 0xfffe
	s_xor_b32 s7, exec_lo, s7
	s_cbranch_execz .LBB61_130
; %bb.126:                              ;   in Loop: Header=BB61_16 Depth=1
	ds_load_b64 v[8:9], v3 offset:5120
	v_and_b32_e32 v24, s20, v24
	v_or_b32_e32 v47, s16, v47
	s_wait_dscnt 0x0
	v_cmp_ne_u64_e32 vcc_lo, 0, v[8:9]
	s_cbranch_vccnz .LBB61_130
; %bb.127:                              ;   in Loop: Header=BB61_16 Depth=1
	s_and_saveexec_b32 s12, s2
; %bb.128:                              ;   in Loop: Header=BB61_16 Depth=1
	ds_store_b64 v3, v[4:5] offset:5128
; %bb.129:                              ;   in Loop: Header=BB61_16 Depth=1
	s_wait_alu 0xfffe
	s_or_b32 exec_lo, exec_lo, s12
	s_wait_loadcnt_dscnt 0x0
	s_barrier_signal -1
	s_barrier_wait -1
	global_inv scope:SCOPE_SE
.LBB61_130:                             ;   in Loop: Header=BB61_16 Depth=1
	s_wait_alu 0xfffe
	s_or_saveexec_b32 s7, s7
	v_mov_b32_e32 v2, 8
	s_mov_b32 s12, 0
	s_wait_alu 0xfffe
	s_xor_b32 exec_lo, exec_lo, s7
; %bb.131:                              ;   in Loop: Header=BB61_16 Depth=1
	v_sub_co_u32 v28, vcc_lo, v28, v4
	s_wait_alu 0xfffd
	v_sub_co_ci_u32_e64 v29, null, v29, v5, vcc_lo
	v_mov_b32_e32 v2, 0
	s_mov_b32 s12, exec_lo
; %bb.132:                              ;   in Loop: Header=BB61_16 Depth=1
	s_or_b32 exec_lo, exec_lo, s7
	s_delay_alu instid0(VALU_DEP_2)
	v_dual_mov_b32 v8, v28 :: v_dual_mov_b32 v9, v29
	s_wait_alu 0xfffe
	s_and_b32 s7, s12, exec_lo
.LBB61_133:                             ;   in Loop: Header=BB61_16 Depth=1
	s_wait_alu 0xfffe
	s_or_b32 exec_lo, exec_lo, s6
	s_mov_b32 s18, -1
	s_mov_b32 s6, -1
                                        ; implicit-def: $sgpr21
                                        ; implicit-def: $sgpr22
	s_and_saveexec_b32 s12, s7
	s_wait_alu 0xfffe
	s_xor_b32 s19, exec_lo, s12
	s_cbranch_execz .LBB61_281
; %bb.134:                              ;   in Loop: Header=BB61_16 Depth=1
	v_cmp_eq_u64_e32 vcc_lo, 1, v[6:7]
	v_cmp_eq_u64_e64 s6, 1, v[8:9]
                                        ; implicit-def: $sgpr22
                                        ; implicit-def: $sgpr21
	s_and_b32 s53, vcc_lo, s6
	s_mov_b32 s6, -1
	s_and_saveexec_b32 s23, s53
	s_cbranch_execz .LBB61_170
; %bb.135:                              ;   in Loop: Header=BB61_16 Depth=1
	ds_load_b64 v[4:5], v3 offset:5120
	s_wait_loadcnt_dscnt 0x0
	s_barrier_signal -1
	s_barrier_wait -1
	global_inv scope:SCOPE_SE
	v_readfirstlane_b32 s12, v4
	v_readfirstlane_b32 s13, v5
	s_and_saveexec_b32 s6, s3
; %bb.136:                              ;   in Loop: Header=BB61_16 Depth=1
	ds_store_b16 v36, v3
; %bb.137:                              ;   in Loop: Header=BB61_16 Depth=1
	s_wait_alu 0xfffe
	s_or_b32 exec_lo, exec_lo, s6
	s_lshl_b32 s6, 1, s98
	v_or_b32_e32 v47, s16, v47
	s_wait_alu 0xfffe
	v_and_or_b32 v24, v24, s20, s6
	v_cmp_gt_i64_e64 s6, s[12:13], 0
	s_mov_b32 s21, -1
	s_mov_b32 s22, 0
	s_mov_b32 s72, 0
	s_mov_b32 s7, -1
	s_wait_loadcnt_dscnt 0x0
	s_and_b32 vcc_lo, exec_lo, s6
	s_barrier_signal -1
	s_barrier_wait -1
	global_inv scope:SCOPE_SE
                                        ; implicit-def: $vgpr48
	s_wait_alu 0xfffe
	s_cbranch_vccnz .LBB61_154
; %bb.138:                              ;   in Loop: Header=BB61_16 Depth=1
	s_mov_b32 s6, s25
	s_mov_b32 s7, s65
	s_wait_alu 0xfffe
	s_cmp_lg_u64 s[6:7], 0
	s_cbranch_scc0 .LBB61_198
; %bb.139:                              ;   in Loop: Header=BB61_16 Depth=1
	s_add_nc_u64 s[6:7], s[56:57], 0
	s_wait_alu 0xfffe
	s_xor_b64 s[6:7], s[6:7], 0
	s_wait_alu 0xfffe
	s_cvt_f32_u32 s14, s6
	s_cvt_f32_u32 s15, s7
	s_sub_nc_u64 s[72:73], 0, s[6:7]
	s_wait_alu 0xfffe
	s_delay_alu instid0(SALU_CYCLE_1) | instskip(SKIP_1) | instid1(SALU_CYCLE_2)
	s_fmamk_f32 s14, s15, 0x4f800000, s14
	s_wait_alu 0xfffe
	v_s_rcp_f32 s14, s14
	s_delay_alu instid0(TRANS32_DEP_1) | instskip(SKIP_1) | instid1(SALU_CYCLE_2)
	s_mul_f32 s14, s14, 0x5f7ffffc
	s_wait_alu 0xfffe
	s_mul_f32 s15, s14, 0x2f800000
	s_wait_alu 0xfffe
	s_delay_alu instid0(SALU_CYCLE_2) | instskip(SKIP_1) | instid1(SALU_CYCLE_2)
	s_trunc_f32 s15, s15
	s_wait_alu 0xfffe
	s_fmamk_f32 s14, s15, 0xcf800000, s14
	s_cvt_u32_f32 s15, s15
	s_wait_alu 0xfffe
	s_delay_alu instid0(SALU_CYCLE_1) | instskip(SKIP_1) | instid1(SALU_CYCLE_2)
	s_cvt_u32_f32 s14, s14
	s_wait_alu 0xfffe
	s_mul_u64 s[74:75], s[72:73], s[14:15]
	s_wait_alu 0xfffe
	s_mul_hi_u32 s77, s14, s75
	s_mul_i32 s76, s14, s75
	s_mul_hi_u32 s24, s14, s74
	s_mul_i32 s79, s15, s74
	s_wait_alu 0xfffe
	s_add_nc_u64 s[76:77], s[24:25], s[76:77]
	s_mul_hi_u32 s78, s15, s74
	s_mul_hi_u32 s80, s15, s75
	s_wait_alu 0xfffe
	s_add_co_u32 s24, s76, s79
	s_add_co_ci_u32 s24, s77, s78
	s_mul_i32 s74, s15, s75
	s_add_co_ci_u32 s75, s80, 0
	s_wait_alu 0xfffe
	s_add_nc_u64 s[74:75], s[24:25], s[74:75]
	s_wait_alu 0xfffe
	s_add_co_u32 s14, s14, s74
	s_cselect_b32 s24, -1, 0
	s_wait_alu 0xfffe
	s_cmp_lg_u32 s24, 0
	s_add_co_ci_u32 s15, s15, s75
	s_wait_alu 0xfffe
	s_mul_u64 s[72:73], s[72:73], s[14:15]
	s_wait_alu 0xfffe
	s_mul_hi_u32 s75, s14, s73
	s_mul_i32 s74, s14, s73
	s_mul_hi_u32 s24, s14, s72
	s_mul_i32 s77, s15, s72
	s_wait_alu 0xfffe
	s_add_nc_u64 s[74:75], s[24:25], s[74:75]
	s_mul_hi_u32 s76, s15, s72
	s_mul_hi_u32 s78, s15, s73
	s_wait_alu 0xfffe
	s_add_co_u32 s24, s74, s77
	s_add_co_ci_u32 s24, s75, s76
	s_mul_i32 s72, s15, s73
	s_add_co_ci_u32 s73, s78, 0
	s_wait_alu 0xfffe
	s_add_nc_u64 s[72:73], s[24:25], s[72:73]
	s_wait_alu 0xfffe
	s_add_co_u32 s76, s14, s72
	s_cselect_b32 s14, -1, 0
	s_wait_alu 0xfffe
	s_cmp_lg_u32 s14, 0
	s_add_co_ci_u32 s77, s15, s73
	s_ashr_i32 s14, s65, 31
	s_wait_alu 0xfffe
	s_mov_b32 s15, s14
	s_wait_alu 0xfffe
	s_add_nc_u64 s[72:73], s[64:65], s[14:15]
	s_wait_alu 0xfffe
	s_xor_b64 s[72:73], s[72:73], s[14:15]
	s_wait_alu 0xfffe
	s_mul_hi_u32 s75, s72, s77
	s_mul_i32 s74, s72, s77
	s_mul_hi_u32 s24, s72, s76
	s_mul_i32 s80, s73, s76
	s_wait_alu 0xfffe
	s_add_nc_u64 s[74:75], s[24:25], s[74:75]
	s_mul_hi_u32 s79, s73, s76
	s_mul_hi_u32 s78, s73, s77
	s_wait_alu 0xfffe
	s_add_co_u32 s24, s74, s80
	s_add_co_ci_u32 s24, s75, s79
	s_mul_i32 s76, s73, s77
	s_add_co_ci_u32 s77, s78, 0
	s_wait_alu 0xfffe
	s_add_nc_u64 s[74:75], s[24:25], s[76:77]
	s_wait_alu 0xfffe
	s_mul_u64 s[74:75], s[6:7], s[74:75]
	s_wait_alu 0xfffe
	s_sub_co_u32 s24, s72, s74
	s_cselect_b32 s72, -1, 0
	s_sub_co_i32 s74, s73, s75
	s_wait_alu 0xfffe
	s_cmp_lg_u32 s72, 0
	s_sub_co_ci_u32 s74, s74, s7
	s_sub_co_u32 s76, s24, s6
	s_cselect_b32 s77, -1, 0
	s_wait_alu 0xfffe
	s_cmp_lg_u32 s77, 0
	s_sub_co_ci_u32 s78, s74, 0
	s_wait_alu 0xfffe
	s_cmp_ge_u32 s78, s7
	s_cselect_b32 s79, -1, 0
	s_cmp_ge_u32 s76, s6
	s_cselect_b32 s80, -1, 0
	s_cmp_eq_u32 s78, s7
	s_wait_alu 0xfffe
	s_cselect_b32 s79, s80, s79
	s_cmp_lg_u32 s77, 0
	s_sub_co_ci_u32 s74, s74, s7
	s_sub_co_u32 s77, s76, s6
	s_cselect_b32 s80, -1, 0
	s_wait_alu 0xfffe
	s_cmp_lg_u32 s80, 0
	s_sub_co_ci_u32 s74, s74, 0
	s_cmp_lg_u32 s79, 0
	s_cselect_b32 s76, s77, s76
	s_wait_alu 0xfffe
	s_cselect_b32 s74, s74, s78
	s_cmp_lg_u32 s72, 0
	s_sub_co_ci_u32 s72, s73, s75
	s_wait_alu 0xfffe
	s_cmp_ge_u32 s72, s7
	s_cselect_b32 s73, -1, 0
	s_cmp_ge_u32 s24, s6
	s_cselect_b32 s6, -1, 0
	s_cmp_eq_u32 s72, s7
	s_wait_alu 0xfffe
	s_cselect_b32 s6, s6, s73
	s_wait_alu 0xfffe
	s_cmp_lg_u32 s6, 0
	s_cselect_b32 s7, s74, s72
	s_cselect_b32 s6, s76, s24
	s_wait_alu 0xfffe
	s_xor_b64 s[6:7], s[6:7], s[14:15]
	s_wait_alu 0xfffe
	s_sub_nc_u64 s[6:7], s[6:7], s[14:15]
	s_cbranch_execnz .LBB61_141
.LBB61_140:                             ;   in Loop: Header=BB61_16 Depth=1
	v_cvt_f32_u32_e32 v4, s56
	s_sub_co_i32 s7, 0, s56
	s_delay_alu instid0(VALU_DEP_1) | instskip(NEXT) | instid1(TRANS32_DEP_1)
	v_rcp_iflag_f32_e32 v4, v4
	v_mul_f32_e32 v4, 0x4f7ffffe, v4
	s_delay_alu instid0(VALU_DEP_1) | instskip(NEXT) | instid1(VALU_DEP_1)
	v_cvt_u32_f32_e32 v4, v4
	v_readfirstlane_b32 s6, v4
	s_wait_alu 0xfffe
	s_mul_i32 s7, s7, s6
	s_wait_alu 0xfffe
	s_mul_hi_u32 s7, s6, s7
	s_wait_alu 0xfffe
	s_add_co_i32 s6, s6, s7
	s_wait_alu 0xfffe
	s_mul_hi_u32 s6, s64, s6
	s_wait_alu 0xfffe
	s_mul_i32 s6, s6, s56
	s_wait_alu 0xfffe
	s_sub_co_i32 s6, s64, s6
	s_wait_alu 0xfffe
	s_sub_co_i32 s7, s6, s56
	s_cmp_ge_u32 s6, s56
	s_wait_alu 0xfffe
	s_cselect_b32 s6, s7, s6
	s_wait_alu 0xfffe
	s_sub_co_i32 s7, s6, s56
	s_cmp_ge_u32 s6, s56
	s_wait_alu 0xfffe
	s_cselect_b32 s24, s7, s6
	s_wait_alu 0xfffe
	s_mov_b64 s[6:7], s[24:25]
.LBB61_141:                             ;   in Loop: Header=BB61_16 Depth=1
	s_wait_alu 0xfffe
	s_sub_nc_u64 s[14:15], s[64:65], s[6:7]
	s_mov_b32 s7, 0
	s_mov_b32 s72, 0
	s_mov_b32 s24, exec_lo
                                        ; implicit-def: $vgpr48
	s_wait_alu 0xfffe
	v_cmpx_gt_i64_e64 s[14:15], v[0:1]
	s_cbranch_execz .LBB61_153
; %bb.142:                              ;   in Loop: Header=BB61_16 Depth=1
	v_dual_mov_b32 v4, v12 :: v_dual_mov_b32 v5, v13
	v_dual_mov_b32 v11, v1 :: v_dual_mov_b32 v10, v0
                                        ; implicit-def: $sgpr73
	s_branch .LBB61_146
.LBB61_143:                             ;   in Loop: Header=BB61_146 Depth=2
	s_wait_alu 0xfffe
	s_or_b32 exec_lo, exec_lo, s6
	s_wait_loadcnt_dscnt 0x0
	s_barrier_signal -1
	s_barrier_wait -1
	global_inv scope:SCOPE_SE
	ds_load_b32 v28, v3 offset:3072
	s_wait_loadcnt_dscnt 0x0
	s_barrier_signal -1
	s_barrier_wait -1
	global_inv scope:SCOPE_SE
	v_cmp_neq_f16_e32 vcc_lo, 0, v28
	s_cbranch_vccnz .LBB61_149
; %bb.144:                              ;   in Loop: Header=BB61_146 Depth=2
	v_add_co_u32 v10, vcc_lo, v10, s56
	s_wait_alu 0xfffd
	v_add_co_ci_u32_e64 v11, null, 0, v11, vcc_lo
	v_add_co_u32 v4, s6, v4, s58
	s_wait_alu 0xf1ff
	v_add_co_ci_u32_e64 v5, null, s59, v5, s6
	s_delay_alu instid0(VALU_DEP_3)
	v_cmp_le_i64_e32 vcc_lo, s[14:15], v[10:11]
	s_mov_b32 s6, 0
	s_or_not1_b32 s74, vcc_lo, exec_lo
.LBB61_145:                             ;   in Loop: Header=BB61_146 Depth=2
	s_wait_alu 0xfffe
	s_and_b32 s74, exec_lo, s74
	s_wait_alu 0xfffe
	s_or_b32 s72, s74, s72
	s_and_not1_b32 s73, s73, exec_lo
	s_and_b32 s6, s6, exec_lo
	s_wait_alu 0xfffe
	s_or_b32 s73, s73, s6
	s_and_not1_b32 exec_lo, exec_lo, s72
	s_cbranch_execz .LBB61_152
.LBB61_146:                             ;   Parent Loop BB61_16 Depth=1
                                        ; =>  This Inner Loop Header: Depth=2
	s_mov_b32 s6, exec_lo
	s_delay_alu instid0(VALU_DEP_1)
	v_cmpx_gt_i64_e64 s[36:37], v[10:11]
	s_cbranch_execz .LBB61_143
; %bb.147:                              ;   in Loop: Header=BB61_146 Depth=2
	global_load_u16 v28, v[4:5], off
	s_wait_loadcnt 0x0
	v_cmp_lt_i16_e32 vcc_lo, -1, v28
	s_wait_alu 0xfffd
	v_dual_cndmask_b32 v30, 0xffff, v46 :: v_dual_and_b32 v29, 0xffff, v28
	v_cmp_o_f16_e32 vcc_lo, v28, v28
	s_delay_alu instid0(VALU_DEP_2) | instskip(SKIP_1) | instid1(VALU_DEP_1)
	v_xor_b32_e32 v29, v30, v29
	s_wait_alu 0xfffd
	v_cndmask_b32_e32 v29, 0xffff, v29, vcc_lo
	s_delay_alu instid0(VALU_DEP_1) | instskip(NEXT) | instid1(VALU_DEP_1)
	v_and_b32_e32 v29, v29, v47
	v_cmp_eq_u32_e32 vcc_lo, v29, v24
	s_and_b32 exec_lo, exec_lo, vcc_lo
	s_cbranch_execz .LBB61_143
; %bb.148:                              ;   in Loop: Header=BB61_146 Depth=2
	v_perm_b32 v28, v28, s97, 0x5040100
	ds_store_b32 v3, v28 offset:3072
	s_branch .LBB61_143
.LBB61_149:                             ;   in Loop: Header=BB61_146 Depth=2
	s_mov_b32 s74, -1
	s_mov_b32 s6, -1
                                        ; implicit-def: $vgpr10_vgpr11
                                        ; implicit-def: $vgpr4_vgpr5
	s_branch .LBB61_145
.LBB61_150:                             ;   in Loop: Header=BB61_16 Depth=1
                                        ; implicit-def: $sgpr6_sgpr7
	s_branch .LBB61_95
.LBB61_151:                             ;   in Loop: Header=BB61_16 Depth=1
                                        ; implicit-def: $sgpr14_sgpr15
	s_branch .LBB61_110
.LBB61_152:                             ;   in Loop: Header=BB61_16 Depth=1
	s_or_b32 exec_lo, exec_lo, s72
	v_lshrrev_b32_e32 v48, 16, v28
	s_wait_alu 0xfffe
	s_and_b32 s72, s73, exec_lo
.LBB61_153:                             ;   in Loop: Header=BB61_16 Depth=1
	s_or_b32 exec_lo, exec_lo, s24
.LBB61_154:                             ;   in Loop: Header=BB61_16 Depth=1
	s_delay_alu instid0(SALU_CYCLE_1)
	s_and_b32 vcc_lo, exec_lo, s7
	s_wait_alu 0xfffe
	s_cbranch_vccz .LBB61_169
; %bb.155:                              ;   in Loop: Header=BB61_16 Depth=1
	s_add_nc_u64 s[6:7], s[12:13], s[62:63]
	s_mov_b32 s14, s25
	s_wait_alu 0xfffe
	s_mov_b32 s15, s7
	s_wait_alu 0xfffe
	s_cmp_lg_u64 s[14:15], 0
	s_cbranch_scc0 .LBB61_199
; %bb.156:                              ;   in Loop: Header=BB61_16 Depth=1
	s_add_nc_u64 s[14:15], s[56:57], 0
	s_wait_alu 0xfffe
	s_xor_b64 s[14:15], s[14:15], 0
	s_wait_alu 0xfffe
	s_cvt_f32_u32 s21, s14
	s_cvt_f32_u32 s22, s15
	s_sub_nc_u64 s[76:77], 0, s[14:15]
	s_wait_alu 0xfffe
	s_delay_alu instid0(SALU_CYCLE_1) | instskip(SKIP_1) | instid1(SALU_CYCLE_2)
	s_fmamk_f32 s21, s22, 0x4f800000, s21
	s_wait_alu 0xfffe
	v_s_rcp_f32 s21, s21
	s_delay_alu instid0(TRANS32_DEP_1) | instskip(SKIP_1) | instid1(SALU_CYCLE_2)
	s_mul_f32 s21, s21, 0x5f7ffffc
	s_wait_alu 0xfffe
	s_mul_f32 s22, s21, 0x2f800000
	s_wait_alu 0xfffe
	s_delay_alu instid0(SALU_CYCLE_2) | instskip(SKIP_1) | instid1(SALU_CYCLE_2)
	s_trunc_f32 s22, s22
	s_wait_alu 0xfffe
	s_fmamk_f32 s21, s22, 0xcf800000, s21
	s_cvt_u32_f32 s75, s22
	s_wait_alu 0xfffe
	s_delay_alu instid0(SALU_CYCLE_1) | instskip(SKIP_1) | instid1(SALU_CYCLE_2)
	s_cvt_u32_f32 s74, s21
	s_wait_alu 0xfffe
	s_mul_u64 s[78:79], s[76:77], s[74:75]
	s_wait_alu 0xfffe
	s_mul_hi_u32 s81, s74, s79
	s_mul_i32 s80, s74, s79
	s_mul_hi_u32 s24, s74, s78
	s_mul_i32 s22, s75, s78
	s_wait_alu 0xfffe
	s_add_nc_u64 s[80:81], s[24:25], s[80:81]
	s_mul_hi_u32 s21, s75, s78
	s_mul_hi_u32 s73, s75, s79
	s_wait_alu 0xfffe
	s_add_co_u32 s22, s80, s22
	s_add_co_ci_u32 s24, s81, s21
	s_mul_i32 s78, s75, s79
	s_add_co_ci_u32 s79, s73, 0
	s_wait_alu 0xfffe
	s_add_nc_u64 s[78:79], s[24:25], s[78:79]
	s_wait_alu 0xfffe
	s_add_co_u32 s74, s74, s78
	s_cselect_b32 s21, -1, 0
	s_wait_alu 0xfffe
	s_cmp_lg_u32 s21, 0
	s_add_co_ci_u32 s75, s75, s79
	s_wait_alu 0xfffe
	s_mul_u64 s[76:77], s[76:77], s[74:75]
	s_wait_alu 0xfffe
	s_mul_hi_u32 s79, s74, s77
	s_mul_i32 s78, s74, s77
	s_mul_hi_u32 s24, s74, s76
	s_mul_i32 s22, s75, s76
	s_wait_alu 0xfffe
	s_add_nc_u64 s[78:79], s[24:25], s[78:79]
	s_mul_hi_u32 s21, s75, s76
	s_mul_hi_u32 s73, s75, s77
	s_wait_alu 0xfffe
	s_add_co_u32 s22, s78, s22
	s_add_co_ci_u32 s24, s79, s21
	s_mul_i32 s76, s75, s77
	s_add_co_ci_u32 s77, s73, 0
	s_wait_alu 0xfffe
	s_add_nc_u64 s[76:77], s[24:25], s[76:77]
	s_wait_alu 0xfffe
	s_add_co_u32 s21, s74, s76
	s_cselect_b32 s22, -1, 0
	s_wait_alu 0xfffe
	s_cmp_lg_u32 s22, 0
	s_add_co_ci_u32 s22, s75, s77
	s_ashr_i32 s74, s7, 31
	s_wait_alu 0xfffe
	s_mov_b32 s75, s74
	s_wait_alu 0xfffe
	s_add_nc_u64 s[76:77], s[6:7], s[74:75]
	s_wait_alu 0xfffe
	s_xor_b64 s[76:77], s[76:77], s[74:75]
	s_wait_alu 0xfffe
	s_mul_hi_u32 s79, s76, s22
	s_mul_i32 s78, s76, s22
	s_mul_hi_u32 s24, s76, s21
	s_mul_hi_u32 s81, s77, s21
	s_mul_i32 s21, s77, s21
	s_wait_alu 0xfffe
	s_add_nc_u64 s[78:79], s[24:25], s[78:79]
	s_mul_hi_u32 s73, s77, s22
	s_wait_alu 0xfffe
	s_add_co_u32 s21, s78, s21
	s_add_co_ci_u32 s24, s79, s81
	s_mul_i32 s80, s77, s22
	s_add_co_ci_u32 s81, s73, 0
	s_wait_alu 0xfffe
	s_add_nc_u64 s[78:79], s[24:25], s[80:81]
	s_wait_alu 0xfffe
	s_mul_u64 s[78:79], s[14:15], s[78:79]
	s_wait_alu 0xfffe
	s_sub_co_u32 s21, s76, s78
	s_cselect_b32 s22, -1, 0
	s_sub_co_i32 s24, s77, s79
	s_wait_alu 0xfffe
	s_cmp_lg_u32 s22, 0
	s_sub_co_ci_u32 s24, s24, s15
	s_sub_co_u32 s73, s21, s14
	s_cselect_b32 s76, -1, 0
	s_wait_alu 0xfffe
	s_cmp_lg_u32 s76, 0
	s_sub_co_ci_u32 s78, s24, 0
	s_wait_alu 0xfffe
	s_cmp_ge_u32 s78, s15
	s_cselect_b32 s80, -1, 0
	s_cmp_ge_u32 s73, s14
	s_cselect_b32 s81, -1, 0
	s_cmp_eq_u32 s78, s15
	s_wait_alu 0xfffe
	s_cselect_b32 s80, s81, s80
	s_cmp_lg_u32 s76, 0
	s_sub_co_ci_u32 s24, s24, s15
	s_sub_co_u32 s76, s73, s14
	s_cselect_b32 s81, -1, 0
	s_wait_alu 0xfffe
	s_cmp_lg_u32 s81, 0
	s_sub_co_ci_u32 s24, s24, 0
	s_cmp_lg_u32 s80, 0
	s_cselect_b32 s73, s76, s73
	s_wait_alu 0xfffe
	s_cselect_b32 s24, s24, s78
	s_cmp_lg_u32 s22, 0
	s_sub_co_ci_u32 s22, s77, s79
	s_wait_alu 0xfffe
	s_cmp_ge_u32 s22, s15
	s_cselect_b32 s76, -1, 0
	s_cmp_ge_u32 s21, s14
	s_cselect_b32 s14, -1, 0
	s_cmp_eq_u32 s22, s15
	s_wait_alu 0xfffe
	s_cselect_b32 s14, s14, s76
	s_wait_alu 0xfffe
	s_cmp_lg_u32 s14, 0
	s_cselect_b32 s15, s24, s22
	s_cselect_b32 s14, s73, s21
	s_wait_alu 0xfffe
	s_xor_b64 s[14:15], s[14:15], s[74:75]
	s_wait_alu 0xfffe
	s_sub_nc_u64 s[14:15], s[14:15], s[74:75]
	s_cbranch_execnz .LBB61_158
.LBB61_157:                             ;   in Loop: Header=BB61_16 Depth=1
	v_cvt_f32_u32_e32 v4, s56
	s_sub_co_i32 s15, 0, s56
	s_delay_alu instid0(VALU_DEP_1) | instskip(NEXT) | instid1(TRANS32_DEP_1)
	v_rcp_iflag_f32_e32 v4, v4
	v_mul_f32_e32 v4, 0x4f7ffffe, v4
	s_delay_alu instid0(VALU_DEP_1) | instskip(NEXT) | instid1(VALU_DEP_1)
	v_cvt_u32_f32_e32 v4, v4
	v_readfirstlane_b32 s14, v4
	s_wait_alu 0xfffe
	s_mul_i32 s15, s15, s14
	s_wait_alu 0xfffe
	s_mul_hi_u32 s15, s14, s15
	s_wait_alu 0xfffe
	s_add_co_i32 s14, s14, s15
	s_wait_alu 0xfffe
	s_mul_hi_u32 s14, s6, s14
	s_wait_alu 0xfffe
	s_mul_i32 s14, s14, s56
	s_wait_alu 0xfffe
	s_sub_co_i32 s14, s6, s14
	s_wait_alu 0xfffe
	s_sub_co_i32 s15, s14, s56
	s_cmp_ge_u32 s14, s56
	s_wait_alu 0xfffe
	s_cselect_b32 s14, s15, s14
	s_wait_alu 0xfffe
	s_sub_co_i32 s15, s14, s56
	s_cmp_ge_u32 s14, s56
	s_wait_alu 0xfffe
	s_cselect_b32 s24, s15, s14
	s_wait_alu 0xfffe
	s_mov_b64 s[14:15], s[24:25]
.LBB61_158:                             ;   in Loop: Header=BB61_16 Depth=1
	s_wait_alu 0xfffe
	s_sub_nc_u64 s[6:7], s[6:7], s[14:15]
	s_mov_b32 s14, exec_lo
                                        ; implicit-def: $vgpr48
	s_wait_alu 0xfffe
	v_cmpx_gt_i64_e64 s[6:7], v[0:1]
	s_cbranch_execz .LBB61_168
; %bb.159:                              ;   in Loop: Header=BB61_16 Depth=1
	v_dual_mov_b32 v10, v35 :: v_dual_mov_b32 v5, v1
	v_mov_b32_e32 v4, v0
	s_mov_b32 s15, 0
                                        ; implicit-def: $sgpr21
	s_branch .LBB61_163
.LBB61_160:                             ;   in Loop: Header=BB61_163 Depth=2
	s_wait_alu 0xfffe
	s_or_b32 exec_lo, exec_lo, s22
	s_wait_loadcnt_dscnt 0x0
	s_barrier_signal -1
	s_barrier_wait -1
	global_inv scope:SCOPE_SE
	ds_load_b32 v11, v3 offset:3072
	s_wait_loadcnt_dscnt 0x0
	s_barrier_signal -1
	s_barrier_wait -1
	global_inv scope:SCOPE_SE
	v_cmp_eq_f16_e32 vcc_lo, 0, v11
	s_cbranch_vccz .LBB61_166
; %bb.161:                              ;   in Loop: Header=BB61_163 Depth=2
	v_add_co_u32 v4, vcc_lo, v4, s56
	s_wait_alu 0xfffd
	v_add_co_ci_u32_e64 v5, null, 0, v5, vcc_lo
	v_add_nc_u32_e32 v10, s96, v10
	s_mov_b32 s22, 0
	s_delay_alu instid0(VALU_DEP_2)
	v_cmp_le_i64_e32 vcc_lo, s[6:7], v[4:5]
	s_or_not1_b32 s24, vcc_lo, exec_lo
.LBB61_162:                             ;   in Loop: Header=BB61_163 Depth=2
	s_wait_alu 0xfffe
	s_and_b32 s24, exec_lo, s24
	s_wait_alu 0xfffe
	s_or_b32 s15, s24, s15
	s_and_not1_b32 s21, s21, exec_lo
	s_and_b32 s22, s22, exec_lo
	s_wait_alu 0xfffe
	s_or_b32 s21, s21, s22
	s_and_not1_b32 exec_lo, exec_lo, s15
	s_cbranch_execz .LBB61_167
.LBB61_163:                             ;   Parent Loop BB61_16 Depth=1
                                        ; =>  This Inner Loop Header: Depth=2
	s_mov_b32 s22, exec_lo
	s_delay_alu instid0(VALU_DEP_1)
	v_cmpx_gt_u64_e64 s[12:13], v[4:5]
	s_cbranch_execz .LBB61_160
; %bb.164:                              ;   in Loop: Header=BB61_163 Depth=2
	ds_load_u16 v11, v10
	s_wait_dscnt 0x0
	v_cmp_lt_i16_e32 vcc_lo, -1, v11
	s_wait_alu 0xfffd
	v_dual_cndmask_b32 v29, 0xffff, v46 :: v_dual_and_b32 v28, 0xffff, v11
	v_cmp_o_f16_e32 vcc_lo, v11, v11
	s_delay_alu instid0(VALU_DEP_2) | instskip(SKIP_1) | instid1(VALU_DEP_1)
	v_xor_b32_e32 v28, v29, v28
	s_wait_alu 0xfffd
	v_cndmask_b32_e32 v28, 0xffff, v28, vcc_lo
	s_delay_alu instid0(VALU_DEP_1) | instskip(NEXT) | instid1(VALU_DEP_1)
	v_and_b32_e32 v28, v28, v47
	v_cmp_eq_u32_e32 vcc_lo, v28, v24
	s_and_b32 exec_lo, exec_lo, vcc_lo
	s_cbranch_execz .LBB61_160
; %bb.165:                              ;   in Loop: Header=BB61_163 Depth=2
	v_perm_b32 v11, v11, s97, 0x5040100
	ds_store_b32 v3, v11 offset:3072
	s_branch .LBB61_160
.LBB61_166:                             ;   in Loop: Header=BB61_163 Depth=2
	s_mov_b32 s24, -1
	s_mov_b32 s22, -1
                                        ; implicit-def: $vgpr4_vgpr5
                                        ; implicit-def: $vgpr10
	s_branch .LBB61_162
.LBB61_167:                             ;   in Loop: Header=BB61_16 Depth=1
	s_or_b32 exec_lo, exec_lo, s15
	v_lshrrev_b32_e32 v48, 16, v11
	s_and_not1_b32 s6, s72, exec_lo
	s_wait_alu 0xfffe
	s_and_b32 s7, s21, exec_lo
	s_wait_alu 0xfffe
	s_or_b32 s72, s6, s7
.LBB61_168:                             ;   in Loop: Header=BB61_16 Depth=1
	s_or_b32 exec_lo, exec_lo, s14
	s_mov_b32 s21, 0
	s_mov_b32 s22, -1
.LBB61_169:                             ;   in Loop: Header=BB61_16 Depth=1
	s_wait_alu 0xfffe
	s_or_not1_b32 s6, s72, exec_lo
.LBB61_170:                             ;   in Loop: Header=BB61_16 Depth=1
	s_wait_alu 0xfffe
	s_or_b32 exec_lo, exec_lo, s23
	s_mov_b32 s7, 0
	s_and_saveexec_b32 s23, s6
	s_cbranch_execz .LBB61_280
; %bb.171:                              ;   in Loop: Header=BB61_16 Depth=1
	v_mov_b32_e32 v4, 1
	v_dual_mov_b32 v5, 0 :: v_dual_mov_b32 v2, 1
	s_xor_b32 s12, s53, -1
	s_wait_alu 0xfffe
	s_and_saveexec_b32 s6, s12
	s_cbranch_execz .LBB61_181
; %bb.172:                              ;   in Loop: Header=BB61_16 Depth=1
	s_mov_b32 s7, exec_lo
	v_cmpx_le_i64_e64 v[8:9], v[6:7]
	s_wait_alu 0xfffe
	s_xor_b32 s7, exec_lo, s7
	s_cbranch_execz .LBB61_178
; %bb.173:                              ;   in Loop: Header=BB61_16 Depth=1
	ds_load_b64 v[4:5], v3 offset:5120
	s_lshl_b32 s12, 1, s98
	v_or_b32_e32 v47, s16, v47
	s_wait_alu 0xfffe
	v_and_or_b32 v24, v24, s20, s12
	s_wait_dscnt 0x0
	v_cmp_ne_u64_e32 vcc_lo, 0, v[4:5]
	s_cbranch_vccnz .LBB61_177
; %bb.174:                              ;   in Loop: Header=BB61_16 Depth=1
	s_and_saveexec_b32 s12, s2
; %bb.175:                              ;   in Loop: Header=BB61_16 Depth=1
	ds_store_b64 v3, v[6:7] offset:5128
; %bb.176:                              ;   in Loop: Header=BB61_16 Depth=1
	s_wait_alu 0xfffe
	s_or_b32 exec_lo, exec_lo, s12
	s_wait_loadcnt_dscnt 0x0
	s_barrier_signal -1
	s_barrier_wait -1
	global_inv scope:SCOPE_SE
.LBB61_177:                             ;   in Loop: Header=BB61_16 Depth=1
                                        ; implicit-def: $vgpr4_vgpr5_vgpr6_vgpr7
.LBB61_178:                             ;   in Loop: Header=BB61_16 Depth=1
	s_wait_alu 0xfffe
	s_or_saveexec_b32 s7, s7
	v_mov_b32_e32 v2, 8
	s_mov_b32 s12, 0
	s_wait_alu 0xfffe
	s_xor_b32 exec_lo, exec_lo, s7
; %bb.179:                              ;   in Loop: Header=BB61_16 Depth=1
	v_sub_co_u32 v8, vcc_lo, v8, v6
	s_wait_alu 0xfffd
	v_sub_co_ci_u32_e64 v9, null, v9, v7, vcc_lo
	v_mov_b32_e32 v2, 0
	s_mov_b32 s12, exec_lo
; %bb.180:                              ;   in Loop: Header=BB61_16 Depth=1
	s_or_b32 exec_lo, exec_lo, s7
	s_delay_alu instid0(VALU_DEP_2)
	v_dual_mov_b32 v4, v8 :: v_dual_mov_b32 v5, v9
	s_wait_alu 0xfffe
	s_and_b32 s7, s12, exec_lo
.LBB61_181:                             ;   in Loop: Header=BB61_16 Depth=1
	s_wait_alu 0xfffe
	s_or_b32 exec_lo, exec_lo, s6
	s_mov_b32 s6, -1
                                        ; implicit-def: $sgpr72
                                        ; implicit-def: $sgpr73
	s_and_saveexec_b32 s53, s7
	s_cbranch_execz .LBB61_279
; %bb.182:                              ;   in Loop: Header=BB61_16 Depth=1
	v_cmp_eq_u64_e32 vcc_lo, 1, v[4:5]
	s_cmp_eq_u64 s[10:11], 1
                                        ; implicit-def: $sgpr73
                                        ; implicit-def: $sgpr72
	s_cselect_b32 s6, -1, 0
	s_wait_alu 0xfffe
	s_and_b32 s74, s6, vcc_lo
	s_mov_b32 s6, -1
	s_wait_alu 0xfffe
	s_and_saveexec_b32 s75, s74
	s_cbranch_execz .LBB61_218
; %bb.183:                              ;   in Loop: Header=BB61_16 Depth=1
	ds_load_b64 v[6:7], v3 offset:5120
	s_wait_loadcnt_dscnt 0x0
	s_barrier_signal -1
	s_barrier_wait -1
	global_inv scope:SCOPE_SE
	v_readfirstlane_b32 s12, v6
	v_readfirstlane_b32 s13, v7
	s_and_saveexec_b32 s6, s3
; %bb.184:                              ;   in Loop: Header=BB61_16 Depth=1
	ds_store_b16 v36, v3
; %bb.185:                              ;   in Loop: Header=BB61_16 Depth=1
	s_wait_alu 0xfffe
	s_or_b32 exec_lo, exec_lo, s6
	s_lshl_b32 s6, 2, s98
	v_or_b32_e32 v47, s16, v47
	s_wait_alu 0xfffe
	v_and_or_b32 v24, v24, s20, s6
	v_cmp_gt_i64_e64 s6, s[12:13], 0
	s_mov_b32 s72, -1
	s_mov_b32 s73, 0
	s_mov_b32 s76, 0
	s_mov_b32 s7, -1
	s_wait_loadcnt_dscnt 0x0
	s_and_b32 vcc_lo, exec_lo, s6
	s_barrier_signal -1
	s_barrier_wait -1
	global_inv scope:SCOPE_SE
                                        ; implicit-def: $vgpr48
	s_wait_alu 0xfffe
	s_cbranch_vccnz .LBB61_202
; %bb.186:                              ;   in Loop: Header=BB61_16 Depth=1
	s_mov_b32 s6, s25
	s_mov_b32 s7, s65
	s_wait_alu 0xfffe
	s_cmp_lg_u64 s[6:7], 0
	s_cbranch_scc0 .LBB61_245
; %bb.187:                              ;   in Loop: Header=BB61_16 Depth=1
	s_add_nc_u64 s[6:7], s[56:57], 0
	s_wait_alu 0xfffe
	s_xor_b64 s[6:7], s[6:7], 0
	s_wait_alu 0xfffe
	s_cvt_f32_u32 s14, s6
	s_cvt_f32_u32 s15, s7
	s_sub_nc_u64 s[76:77], 0, s[6:7]
	s_wait_alu 0xfffe
	s_delay_alu instid0(SALU_CYCLE_1) | instskip(SKIP_1) | instid1(SALU_CYCLE_2)
	s_fmamk_f32 s14, s15, 0x4f800000, s14
	s_wait_alu 0xfffe
	v_s_rcp_f32 s14, s14
	s_delay_alu instid0(TRANS32_DEP_1) | instskip(SKIP_1) | instid1(SALU_CYCLE_2)
	s_mul_f32 s14, s14, 0x5f7ffffc
	s_wait_alu 0xfffe
	s_mul_f32 s15, s14, 0x2f800000
	s_wait_alu 0xfffe
	s_delay_alu instid0(SALU_CYCLE_2) | instskip(SKIP_1) | instid1(SALU_CYCLE_2)
	s_trunc_f32 s15, s15
	s_wait_alu 0xfffe
	s_fmamk_f32 s14, s15, 0xcf800000, s14
	s_cvt_u32_f32 s15, s15
	s_wait_alu 0xfffe
	s_delay_alu instid0(SALU_CYCLE_1) | instskip(SKIP_1) | instid1(SALU_CYCLE_2)
	s_cvt_u32_f32 s14, s14
	s_wait_alu 0xfffe
	s_mul_u64 s[78:79], s[76:77], s[14:15]
	s_wait_alu 0xfffe
	s_mul_hi_u32 s81, s14, s79
	s_mul_i32 s80, s14, s79
	s_mul_hi_u32 s24, s14, s78
	s_mul_i32 s83, s15, s78
	s_wait_alu 0xfffe
	s_add_nc_u64 s[80:81], s[24:25], s[80:81]
	s_mul_hi_u32 s82, s15, s78
	s_mul_hi_u32 s84, s15, s79
	s_wait_alu 0xfffe
	s_add_co_u32 s24, s80, s83
	s_add_co_ci_u32 s24, s81, s82
	s_mul_i32 s78, s15, s79
	s_add_co_ci_u32 s79, s84, 0
	s_wait_alu 0xfffe
	s_add_nc_u64 s[78:79], s[24:25], s[78:79]
	s_wait_alu 0xfffe
	s_add_co_u32 s14, s14, s78
	s_cselect_b32 s24, -1, 0
	s_wait_alu 0xfffe
	s_cmp_lg_u32 s24, 0
	s_add_co_ci_u32 s15, s15, s79
	s_wait_alu 0xfffe
	s_mul_u64 s[76:77], s[76:77], s[14:15]
	s_wait_alu 0xfffe
	s_mul_hi_u32 s79, s14, s77
	s_mul_i32 s78, s14, s77
	s_mul_hi_u32 s24, s14, s76
	s_mul_i32 s81, s15, s76
	s_wait_alu 0xfffe
	s_add_nc_u64 s[78:79], s[24:25], s[78:79]
	s_mul_hi_u32 s80, s15, s76
	s_mul_hi_u32 s82, s15, s77
	s_wait_alu 0xfffe
	s_add_co_u32 s24, s78, s81
	s_add_co_ci_u32 s24, s79, s80
	s_mul_i32 s76, s15, s77
	s_add_co_ci_u32 s77, s82, 0
	s_wait_alu 0xfffe
	s_add_nc_u64 s[76:77], s[24:25], s[76:77]
	s_wait_alu 0xfffe
	s_add_co_u32 s80, s14, s76
	s_cselect_b32 s14, -1, 0
	s_wait_alu 0xfffe
	s_cmp_lg_u32 s14, 0
	s_add_co_ci_u32 s81, s15, s77
	s_ashr_i32 s14, s65, 31
	s_wait_alu 0xfffe
	s_mov_b32 s15, s14
	s_wait_alu 0xfffe
	s_add_nc_u64 s[76:77], s[64:65], s[14:15]
	s_wait_alu 0xfffe
	s_xor_b64 s[76:77], s[76:77], s[14:15]
	s_wait_alu 0xfffe
	s_mul_hi_u32 s79, s76, s81
	s_mul_i32 s78, s76, s81
	s_mul_hi_u32 s24, s76, s80
	s_mul_i32 s84, s77, s80
	s_wait_alu 0xfffe
	s_add_nc_u64 s[78:79], s[24:25], s[78:79]
	s_mul_hi_u32 s83, s77, s80
	s_mul_hi_u32 s82, s77, s81
	s_wait_alu 0xfffe
	s_add_co_u32 s24, s78, s84
	s_add_co_ci_u32 s24, s79, s83
	s_mul_i32 s80, s77, s81
	s_add_co_ci_u32 s81, s82, 0
	s_wait_alu 0xfffe
	s_add_nc_u64 s[78:79], s[24:25], s[80:81]
	s_wait_alu 0xfffe
	s_mul_u64 s[78:79], s[6:7], s[78:79]
	s_wait_alu 0xfffe
	s_sub_co_u32 s24, s76, s78
	s_cselect_b32 s76, -1, 0
	s_sub_co_i32 s78, s77, s79
	s_wait_alu 0xfffe
	s_cmp_lg_u32 s76, 0
	s_sub_co_ci_u32 s78, s78, s7
	s_sub_co_u32 s80, s24, s6
	s_cselect_b32 s81, -1, 0
	s_wait_alu 0xfffe
	s_cmp_lg_u32 s81, 0
	s_sub_co_ci_u32 s82, s78, 0
	s_wait_alu 0xfffe
	s_cmp_ge_u32 s82, s7
	s_cselect_b32 s83, -1, 0
	s_cmp_ge_u32 s80, s6
	s_cselect_b32 s84, -1, 0
	s_cmp_eq_u32 s82, s7
	s_wait_alu 0xfffe
	s_cselect_b32 s83, s84, s83
	s_cmp_lg_u32 s81, 0
	s_sub_co_ci_u32 s78, s78, s7
	s_sub_co_u32 s81, s80, s6
	s_cselect_b32 s84, -1, 0
	s_wait_alu 0xfffe
	s_cmp_lg_u32 s84, 0
	s_sub_co_ci_u32 s78, s78, 0
	s_cmp_lg_u32 s83, 0
	s_cselect_b32 s80, s81, s80
	s_wait_alu 0xfffe
	s_cselect_b32 s78, s78, s82
	s_cmp_lg_u32 s76, 0
	s_sub_co_ci_u32 s76, s77, s79
	s_wait_alu 0xfffe
	s_cmp_ge_u32 s76, s7
	s_cselect_b32 s77, -1, 0
	s_cmp_ge_u32 s24, s6
	s_cselect_b32 s6, -1, 0
	s_cmp_eq_u32 s76, s7
	s_wait_alu 0xfffe
	s_cselect_b32 s6, s6, s77
	s_wait_alu 0xfffe
	s_cmp_lg_u32 s6, 0
	s_cselect_b32 s7, s78, s76
	s_cselect_b32 s6, s80, s24
	s_wait_alu 0xfffe
	s_xor_b64 s[6:7], s[6:7], s[14:15]
	s_wait_alu 0xfffe
	s_sub_nc_u64 s[6:7], s[6:7], s[14:15]
	s_cbranch_execnz .LBB61_189
.LBB61_188:                             ;   in Loop: Header=BB61_16 Depth=1
	v_cvt_f32_u32_e32 v6, s56
	s_sub_co_i32 s7, 0, s56
	s_delay_alu instid0(VALU_DEP_1) | instskip(NEXT) | instid1(TRANS32_DEP_1)
	v_rcp_iflag_f32_e32 v6, v6
	v_mul_f32_e32 v6, 0x4f7ffffe, v6
	s_delay_alu instid0(VALU_DEP_1) | instskip(NEXT) | instid1(VALU_DEP_1)
	v_cvt_u32_f32_e32 v6, v6
	v_readfirstlane_b32 s6, v6
	s_wait_alu 0xfffe
	s_mul_i32 s7, s7, s6
	s_wait_alu 0xfffe
	s_mul_hi_u32 s7, s6, s7
	s_wait_alu 0xfffe
	s_add_co_i32 s6, s6, s7
	s_wait_alu 0xfffe
	s_mul_hi_u32 s6, s64, s6
	s_wait_alu 0xfffe
	s_mul_i32 s6, s6, s56
	s_wait_alu 0xfffe
	s_sub_co_i32 s6, s64, s6
	s_wait_alu 0xfffe
	s_sub_co_i32 s7, s6, s56
	s_cmp_ge_u32 s6, s56
	s_wait_alu 0xfffe
	s_cselect_b32 s6, s7, s6
	s_wait_alu 0xfffe
	s_sub_co_i32 s7, s6, s56
	s_cmp_ge_u32 s6, s56
	s_wait_alu 0xfffe
	s_cselect_b32 s24, s7, s6
	s_wait_alu 0xfffe
	s_mov_b64 s[6:7], s[24:25]
.LBB61_189:                             ;   in Loop: Header=BB61_16 Depth=1
	s_wait_alu 0xfffe
	s_sub_nc_u64 s[14:15], s[64:65], s[6:7]
	s_mov_b32 s7, 0
	s_mov_b32 s76, 0
	s_mov_b32 s24, exec_lo
                                        ; implicit-def: $vgpr48
	s_wait_alu 0xfffe
	v_cmpx_gt_i64_e64 s[14:15], v[0:1]
	s_cbranch_execz .LBB61_201
; %bb.190:                              ;   in Loop: Header=BB61_16 Depth=1
	v_dual_mov_b32 v6, v12 :: v_dual_mov_b32 v7, v13
	v_dual_mov_b32 v9, v1 :: v_dual_mov_b32 v8, v0
                                        ; implicit-def: $sgpr77
	s_branch .LBB61_194
.LBB61_191:                             ;   in Loop: Header=BB61_194 Depth=2
	s_wait_alu 0xfffe
	s_or_b32 exec_lo, exec_lo, s6
	s_wait_loadcnt_dscnt 0x0
	s_barrier_signal -1
	s_barrier_wait -1
	global_inv scope:SCOPE_SE
	ds_load_b32 v10, v3 offset:3072
	s_wait_loadcnt_dscnt 0x0
	s_barrier_signal -1
	s_barrier_wait -1
	global_inv scope:SCOPE_SE
	v_cmp_neq_f16_e32 vcc_lo, 0, v10
	s_cbranch_vccnz .LBB61_197
; %bb.192:                              ;   in Loop: Header=BB61_194 Depth=2
	v_add_co_u32 v8, vcc_lo, v8, s56
	s_wait_alu 0xfffd
	v_add_co_ci_u32_e64 v9, null, 0, v9, vcc_lo
	v_add_co_u32 v6, s6, v6, s58
	s_wait_alu 0xf1ff
	v_add_co_ci_u32_e64 v7, null, s59, v7, s6
	s_delay_alu instid0(VALU_DEP_3)
	v_cmp_le_i64_e32 vcc_lo, s[14:15], v[8:9]
	s_mov_b32 s6, 0
	s_or_not1_b32 s78, vcc_lo, exec_lo
.LBB61_193:                             ;   in Loop: Header=BB61_194 Depth=2
	s_wait_alu 0xfffe
	s_and_b32 s78, exec_lo, s78
	s_wait_alu 0xfffe
	s_or_b32 s76, s78, s76
	s_and_not1_b32 s77, s77, exec_lo
	s_and_b32 s6, s6, exec_lo
	s_wait_alu 0xfffe
	s_or_b32 s77, s77, s6
	s_and_not1_b32 exec_lo, exec_lo, s76
	s_cbranch_execz .LBB61_200
.LBB61_194:                             ;   Parent Loop BB61_16 Depth=1
                                        ; =>  This Inner Loop Header: Depth=2
	s_mov_b32 s6, exec_lo
	s_delay_alu instid0(VALU_DEP_1)
	v_cmpx_gt_i64_e64 s[36:37], v[8:9]
	s_cbranch_execz .LBB61_191
; %bb.195:                              ;   in Loop: Header=BB61_194 Depth=2
	global_load_u16 v10, v[6:7], off
	s_wait_loadcnt 0x0
	v_cmp_lt_i16_e32 vcc_lo, -1, v10
	v_and_b32_e32 v11, 0xffff, v10
	s_wait_alu 0xfffd
	v_cndmask_b32_e32 v28, 0xffff, v46, vcc_lo
	v_cmp_o_f16_e32 vcc_lo, v10, v10
	s_delay_alu instid0(VALU_DEP_2) | instskip(SKIP_1) | instid1(VALU_DEP_1)
	v_xor_b32_e32 v11, v28, v11
	s_wait_alu 0xfffd
	v_cndmask_b32_e32 v11, 0xffff, v11, vcc_lo
	s_delay_alu instid0(VALU_DEP_1) | instskip(NEXT) | instid1(VALU_DEP_1)
	v_and_b32_e32 v11, v11, v47
	v_cmp_eq_u32_e32 vcc_lo, v11, v24
	s_and_b32 exec_lo, exec_lo, vcc_lo
	s_cbranch_execz .LBB61_191
; %bb.196:                              ;   in Loop: Header=BB61_194 Depth=2
	v_perm_b32 v10, v10, s97, 0x5040100
	ds_store_b32 v3, v10 offset:3072
	s_branch .LBB61_191
.LBB61_197:                             ;   in Loop: Header=BB61_194 Depth=2
	s_mov_b32 s78, -1
	s_mov_b32 s6, -1
                                        ; implicit-def: $vgpr8_vgpr9
                                        ; implicit-def: $vgpr6_vgpr7
	s_branch .LBB61_193
.LBB61_198:                             ;   in Loop: Header=BB61_16 Depth=1
                                        ; implicit-def: $sgpr6_sgpr7
	s_branch .LBB61_140
.LBB61_199:                             ;   in Loop: Header=BB61_16 Depth=1
                                        ; implicit-def: $sgpr14_sgpr15
	s_branch .LBB61_157
.LBB61_200:                             ;   in Loop: Header=BB61_16 Depth=1
	s_or_b32 exec_lo, exec_lo, s76
	v_lshrrev_b32_e32 v48, 16, v10
	s_wait_alu 0xfffe
	s_and_b32 s76, s77, exec_lo
.LBB61_201:                             ;   in Loop: Header=BB61_16 Depth=1
	s_or_b32 exec_lo, exec_lo, s24
.LBB61_202:                             ;   in Loop: Header=BB61_16 Depth=1
	s_delay_alu instid0(SALU_CYCLE_1)
	s_and_b32 vcc_lo, exec_lo, s7
	s_wait_alu 0xfffe
	s_cbranch_vccz .LBB61_217
; %bb.203:                              ;   in Loop: Header=BB61_16 Depth=1
	s_add_nc_u64 s[6:7], s[12:13], s[62:63]
	s_mov_b32 s14, s25
	s_wait_alu 0xfffe
	s_mov_b32 s15, s7
	s_wait_alu 0xfffe
	s_cmp_lg_u64 s[14:15], 0
	s_cbranch_scc0 .LBB61_246
; %bb.204:                              ;   in Loop: Header=BB61_16 Depth=1
	s_add_nc_u64 s[14:15], s[56:57], 0
	s_wait_alu 0xfffe
	s_xor_b64 s[14:15], s[14:15], 0
	s_wait_alu 0xfffe
	s_cvt_f32_u32 s24, s14
	s_cvt_f32_u32 s72, s15
	s_sub_nc_u64 s[78:79], 0, s[14:15]
	s_wait_alu 0xfffe
	s_delay_alu instid0(SALU_CYCLE_1) | instskip(SKIP_1) | instid1(SALU_CYCLE_2)
	s_fmamk_f32 s24, s72, 0x4f800000, s24
	s_wait_alu 0xfffe
	v_s_rcp_f32 s24, s24
	s_delay_alu instid0(TRANS32_DEP_1) | instskip(SKIP_1) | instid1(SALU_CYCLE_2)
	s_mul_f32 s24, s24, 0x5f7ffffc
	s_wait_alu 0xfffe
	s_mul_f32 s72, s24, 0x2f800000
	s_wait_alu 0xfffe
	s_delay_alu instid0(SALU_CYCLE_2) | instskip(SKIP_1) | instid1(SALU_CYCLE_2)
	s_trunc_f32 s72, s72
	s_wait_alu 0xfffe
	s_fmamk_f32 s24, s72, 0xcf800000, s24
	s_cvt_u32_f32 s73, s72
	s_wait_alu 0xfffe
	s_delay_alu instid0(SALU_CYCLE_1) | instskip(SKIP_1) | instid1(SALU_CYCLE_2)
	s_cvt_u32_f32 s72, s24
	s_wait_alu 0xfffe
	s_mul_u64 s[80:81], s[78:79], s[72:73]
	s_wait_alu 0xfffe
	s_mul_hi_u32 s83, s72, s81
	s_mul_i32 s82, s72, s81
	s_mul_hi_u32 s24, s72, s80
	s_mul_i32 s84, s73, s80
	s_wait_alu 0xfffe
	s_add_nc_u64 s[82:83], s[24:25], s[82:83]
	s_mul_hi_u32 s77, s73, s80
	s_mul_hi_u32 s85, s73, s81
	s_wait_alu 0xfffe
	s_add_co_u32 s24, s82, s84
	s_add_co_ci_u32 s24, s83, s77
	s_mul_i32 s80, s73, s81
	s_add_co_ci_u32 s81, s85, 0
	s_wait_alu 0xfffe
	s_add_nc_u64 s[80:81], s[24:25], s[80:81]
	s_wait_alu 0xfffe
	s_add_co_u32 s72, s72, s80
	s_cselect_b32 s24, -1, 0
	s_wait_alu 0xfffe
	s_cmp_lg_u32 s24, 0
	s_add_co_ci_u32 s73, s73, s81
	s_wait_alu 0xfffe
	s_mul_u64 s[78:79], s[78:79], s[72:73]
	s_wait_alu 0xfffe
	s_mul_hi_u32 s81, s72, s79
	s_mul_i32 s80, s72, s79
	s_mul_hi_u32 s24, s72, s78
	s_mul_i32 s82, s73, s78
	s_wait_alu 0xfffe
	s_add_nc_u64 s[80:81], s[24:25], s[80:81]
	s_mul_hi_u32 s77, s73, s78
	s_mul_hi_u32 s83, s73, s79
	s_wait_alu 0xfffe
	s_add_co_u32 s24, s80, s82
	s_add_co_ci_u32 s24, s81, s77
	s_mul_i32 s78, s73, s79
	s_add_co_ci_u32 s79, s83, 0
	s_wait_alu 0xfffe
	s_add_nc_u64 s[78:79], s[24:25], s[78:79]
	s_wait_alu 0xfffe
	s_add_co_u32 s77, s72, s78
	s_cselect_b32 s24, -1, 0
	s_wait_alu 0xfffe
	s_cmp_lg_u32 s24, 0
	s_add_co_ci_u32 s82, s73, s79
	s_ashr_i32 s72, s7, 31
	s_wait_alu 0xfffe
	s_mov_b32 s73, s72
	s_wait_alu 0xfffe
	s_add_nc_u64 s[78:79], s[6:7], s[72:73]
	s_wait_alu 0xfffe
	s_xor_b64 s[78:79], s[78:79], s[72:73]
	s_wait_alu 0xfffe
	s_mul_hi_u32 s81, s78, s82
	s_mul_i32 s80, s78, s82
	s_mul_hi_u32 s24, s78, s77
	s_mul_hi_u32 s84, s79, s77
	s_mul_i32 s77, s79, s77
	s_wait_alu 0xfffe
	s_add_nc_u64 s[80:81], s[24:25], s[80:81]
	s_mul_hi_u32 s83, s79, s82
	s_wait_alu 0xfffe
	s_add_co_u32 s24, s80, s77
	s_add_co_ci_u32 s24, s81, s84
	s_mul_i32 s82, s79, s82
	s_add_co_ci_u32 s83, s83, 0
	s_wait_alu 0xfffe
	s_add_nc_u64 s[80:81], s[24:25], s[82:83]
	s_wait_alu 0xfffe
	s_mul_u64 s[80:81], s[14:15], s[80:81]
	s_wait_alu 0xfffe
	s_sub_co_u32 s24, s78, s80
	s_cselect_b32 s77, -1, 0
	s_sub_co_i32 s78, s79, s81
	s_wait_alu 0xfffe
	s_cmp_lg_u32 s77, 0
	s_sub_co_ci_u32 s78, s78, s15
	s_sub_co_u32 s80, s24, s14
	s_cselect_b32 s82, -1, 0
	s_wait_alu 0xfffe
	s_cmp_lg_u32 s82, 0
	s_sub_co_ci_u32 s83, s78, 0
	s_wait_alu 0xfffe
	s_cmp_ge_u32 s83, s15
	s_cselect_b32 s84, -1, 0
	s_cmp_ge_u32 s80, s14
	s_cselect_b32 s85, -1, 0
	s_cmp_eq_u32 s83, s15
	s_wait_alu 0xfffe
	s_cselect_b32 s84, s85, s84
	s_cmp_lg_u32 s82, 0
	s_sub_co_ci_u32 s78, s78, s15
	s_sub_co_u32 s82, s80, s14
	s_cselect_b32 s85, -1, 0
	s_wait_alu 0xfffe
	s_cmp_lg_u32 s85, 0
	s_sub_co_ci_u32 s78, s78, 0
	s_cmp_lg_u32 s84, 0
	s_cselect_b32 s80, s82, s80
	s_wait_alu 0xfffe
	s_cselect_b32 s78, s78, s83
	s_cmp_lg_u32 s77, 0
	s_sub_co_ci_u32 s77, s79, s81
	s_wait_alu 0xfffe
	s_cmp_ge_u32 s77, s15
	s_cselect_b32 s79, -1, 0
	s_cmp_ge_u32 s24, s14
	s_cselect_b32 s14, -1, 0
	s_cmp_eq_u32 s77, s15
	s_wait_alu 0xfffe
	s_cselect_b32 s14, s14, s79
	s_wait_alu 0xfffe
	s_cmp_lg_u32 s14, 0
	s_cselect_b32 s15, s78, s77
	s_cselect_b32 s14, s80, s24
	s_wait_alu 0xfffe
	s_xor_b64 s[14:15], s[14:15], s[72:73]
	s_wait_alu 0xfffe
	s_sub_nc_u64 s[14:15], s[14:15], s[72:73]
	s_cbranch_execnz .LBB61_206
.LBB61_205:                             ;   in Loop: Header=BB61_16 Depth=1
	v_cvt_f32_u32_e32 v6, s56
	s_sub_co_i32 s15, 0, s56
	s_delay_alu instid0(VALU_DEP_1) | instskip(NEXT) | instid1(TRANS32_DEP_1)
	v_rcp_iflag_f32_e32 v6, v6
	v_mul_f32_e32 v6, 0x4f7ffffe, v6
	s_delay_alu instid0(VALU_DEP_1) | instskip(NEXT) | instid1(VALU_DEP_1)
	v_cvt_u32_f32_e32 v6, v6
	v_readfirstlane_b32 s14, v6
	s_wait_alu 0xfffe
	s_mul_i32 s15, s15, s14
	s_wait_alu 0xfffe
	s_mul_hi_u32 s15, s14, s15
	s_wait_alu 0xfffe
	s_add_co_i32 s14, s14, s15
	s_wait_alu 0xfffe
	s_mul_hi_u32 s14, s6, s14
	s_wait_alu 0xfffe
	s_mul_i32 s14, s14, s56
	s_wait_alu 0xfffe
	s_sub_co_i32 s14, s6, s14
	s_wait_alu 0xfffe
	s_sub_co_i32 s15, s14, s56
	s_cmp_ge_u32 s14, s56
	s_wait_alu 0xfffe
	s_cselect_b32 s14, s15, s14
	s_wait_alu 0xfffe
	s_sub_co_i32 s15, s14, s56
	s_cmp_ge_u32 s14, s56
	s_wait_alu 0xfffe
	s_cselect_b32 s24, s15, s14
	s_wait_alu 0xfffe
	s_mov_b64 s[14:15], s[24:25]
.LBB61_206:                             ;   in Loop: Header=BB61_16 Depth=1
	s_wait_alu 0xfffe
	s_sub_nc_u64 s[6:7], s[6:7], s[14:15]
	s_mov_b32 s14, exec_lo
                                        ; implicit-def: $vgpr48
	s_wait_alu 0xfffe
	v_cmpx_gt_i64_e64 s[6:7], v[0:1]
	s_cbranch_execz .LBB61_216
; %bb.207:                              ;   in Loop: Header=BB61_16 Depth=1
	v_dual_mov_b32 v8, v35 :: v_dual_mov_b32 v7, v1
	v_mov_b32_e32 v6, v0
	s_mov_b32 s15, 0
                                        ; implicit-def: $sgpr24
	s_branch .LBB61_211
.LBB61_208:                             ;   in Loop: Header=BB61_211 Depth=2
	s_wait_alu 0xfffe
	s_or_b32 exec_lo, exec_lo, s72
	s_wait_loadcnt_dscnt 0x0
	s_barrier_signal -1
	s_barrier_wait -1
	global_inv scope:SCOPE_SE
	ds_load_b32 v9, v3 offset:3072
	s_wait_loadcnt_dscnt 0x0
	s_barrier_signal -1
	s_barrier_wait -1
	global_inv scope:SCOPE_SE
	v_cmp_eq_f16_e32 vcc_lo, 0, v9
	s_cbranch_vccz .LBB61_214
; %bb.209:                              ;   in Loop: Header=BB61_211 Depth=2
	v_add_co_u32 v6, vcc_lo, v6, s56
	s_wait_alu 0xfffd
	v_add_co_ci_u32_e64 v7, null, 0, v7, vcc_lo
	v_add_nc_u32_e32 v8, s96, v8
	s_mov_b32 s72, 0
	s_delay_alu instid0(VALU_DEP_2)
	v_cmp_le_i64_e32 vcc_lo, s[6:7], v[6:7]
	s_or_not1_b32 s73, vcc_lo, exec_lo
.LBB61_210:                             ;   in Loop: Header=BB61_211 Depth=2
	s_wait_alu 0xfffe
	s_and_b32 s73, exec_lo, s73
	s_wait_alu 0xfffe
	s_or_b32 s15, s73, s15
	s_and_not1_b32 s24, s24, exec_lo
	s_and_b32 s72, s72, exec_lo
	s_wait_alu 0xfffe
	s_or_b32 s24, s24, s72
	s_and_not1_b32 exec_lo, exec_lo, s15
	s_cbranch_execz .LBB61_215
.LBB61_211:                             ;   Parent Loop BB61_16 Depth=1
                                        ; =>  This Inner Loop Header: Depth=2
	s_mov_b32 s72, exec_lo
	s_delay_alu instid0(VALU_DEP_1)
	v_cmpx_gt_u64_e64 s[12:13], v[6:7]
	s_cbranch_execz .LBB61_208
; %bb.212:                              ;   in Loop: Header=BB61_211 Depth=2
	ds_load_u16 v9, v8
	s_wait_dscnt 0x0
	v_cmp_lt_i16_e32 vcc_lo, -1, v9
	s_wait_alu 0xfffd
	v_dual_cndmask_b32 v11, 0xffff, v46 :: v_dual_and_b32 v10, 0xffff, v9
	v_cmp_o_f16_e32 vcc_lo, v9, v9
	s_delay_alu instid0(VALU_DEP_2) | instskip(SKIP_1) | instid1(VALU_DEP_1)
	v_xor_b32_e32 v10, v11, v10
	s_wait_alu 0xfffd
	v_cndmask_b32_e32 v10, 0xffff, v10, vcc_lo
	s_delay_alu instid0(VALU_DEP_1) | instskip(NEXT) | instid1(VALU_DEP_1)
	v_and_b32_e32 v10, v10, v47
	v_cmp_eq_u32_e32 vcc_lo, v10, v24
	s_and_b32 exec_lo, exec_lo, vcc_lo
	s_cbranch_execz .LBB61_208
; %bb.213:                              ;   in Loop: Header=BB61_211 Depth=2
	v_perm_b32 v9, v9, s97, 0x5040100
	ds_store_b32 v3, v9 offset:3072
	s_branch .LBB61_208
.LBB61_214:                             ;   in Loop: Header=BB61_211 Depth=2
	s_mov_b32 s73, -1
	s_mov_b32 s72, -1
                                        ; implicit-def: $vgpr6_vgpr7
                                        ; implicit-def: $vgpr8
	s_branch .LBB61_210
.LBB61_215:                             ;   in Loop: Header=BB61_16 Depth=1
	s_or_b32 exec_lo, exec_lo, s15
	v_lshrrev_b32_e32 v48, 16, v9
	s_and_not1_b32 s6, s76, exec_lo
	s_wait_alu 0xfffe
	s_and_b32 s7, s24, exec_lo
	s_wait_alu 0xfffe
	s_or_b32 s76, s6, s7
.LBB61_216:                             ;   in Loop: Header=BB61_16 Depth=1
	s_or_b32 exec_lo, exec_lo, s14
	s_mov_b32 s72, 0
	s_mov_b32 s73, -1
.LBB61_217:                             ;   in Loop: Header=BB61_16 Depth=1
	s_wait_alu 0xfffe
	s_or_not1_b32 s6, s76, exec_lo
.LBB61_218:                             ;   in Loop: Header=BB61_16 Depth=1
	s_wait_alu 0xfffe
	s_or_b32 exec_lo, exec_lo, s75
	s_mov_b32 s7, 0
	s_and_saveexec_b32 s14, s6
	s_cbranch_execz .LBB61_278
; %bb.219:                              ;   in Loop: Header=BB61_16 Depth=1
	v_mov_b32_e32 v6, 1
	v_dual_mov_b32 v7, 0 :: v_dual_mov_b32 v2, 1
	s_xor_b32 s12, s74, -1
	s_wait_alu 0xfffe
	s_and_saveexec_b32 s6, s12
	s_cbranch_execz .LBB61_228
; %bb.220:                              ;   in Loop: Header=BB61_16 Depth=1
	s_mov_b32 s7, exec_lo
	v_cmpx_ge_i64_e64 s[10:11], v[4:5]
	s_wait_alu 0xfffe
	s_xor_b32 s7, exec_lo, s7
	s_cbranch_execz .LBB61_225
; %bb.221:                              ;   in Loop: Header=BB61_16 Depth=1
	ds_load_b64 v[6:7], v3 offset:5120
	s_lshl_b32 s12, 2, s98
	v_or_b32_e32 v47, s16, v47
	s_wait_alu 0xfffe
	v_and_or_b32 v24, v24, s20, s12
	s_wait_dscnt 0x0
	v_cmp_ne_u64_e32 vcc_lo, 0, v[6:7]
	s_cbranch_vccnz .LBB61_225
; %bb.222:                              ;   in Loop: Header=BB61_16 Depth=1
	s_and_saveexec_b32 s12, s2
; %bb.223:                              ;   in Loop: Header=BB61_16 Depth=1
	v_dual_mov_b32 v6, s10 :: v_dual_mov_b32 v7, s11
	ds_store_b64 v3, v[6:7] offset:5128
; %bb.224:                              ;   in Loop: Header=BB61_16 Depth=1
	s_wait_alu 0xfffe
	s_or_b32 exec_lo, exec_lo, s12
	s_wait_loadcnt_dscnt 0x0
	s_barrier_signal -1
	s_barrier_wait -1
	global_inv scope:SCOPE_SE
.LBB61_225:                             ;   in Loop: Header=BB61_16 Depth=1
	s_wait_alu 0xfffe
	s_or_saveexec_b32 s7, s7
	v_mov_b32_e32 v2, 8
	s_mov_b32 s12, 0
	s_wait_alu 0xfffe
	s_xor_b32 exec_lo, exec_lo, s7
; %bb.226:                              ;   in Loop: Header=BB61_16 Depth=1
	v_sub_co_u32 v4, vcc_lo, v4, s10
	s_wait_alu 0xfffd
	v_subrev_co_ci_u32_e64 v5, null, s11, v5, vcc_lo
	v_mov_b32_e32 v2, 0
	s_mov_b32 s12, exec_lo
; %bb.227:                              ;   in Loop: Header=BB61_16 Depth=1
	s_or_b32 exec_lo, exec_lo, s7
	s_delay_alu instid0(VALU_DEP_2)
	v_dual_mov_b32 v7, v5 :: v_dual_mov_b32 v6, v4
	s_wait_alu 0xfffe
	s_and_b32 s7, s12, exec_lo
.LBB61_228:                             ;   in Loop: Header=BB61_16 Depth=1
	s_wait_alu 0xfffe
	s_or_b32 exec_lo, exec_lo, s6
	s_mov_b32 s6, -1
                                        ; implicit-def: $sgpr76
                                        ; implicit-def: $sgpr75
	s_and_saveexec_b32 s15, s7
	s_cbranch_execz .LBB61_277
; %bb.229:                              ;   in Loop: Header=BB61_16 Depth=1
	v_cmp_eq_u64_e32 vcc_lo, 1, v[6:7]
	s_cmp_eq_u64 s[8:9], 1
	s_mov_b32 s7, -1
	s_cselect_b32 s6, -1, 0
                                        ; implicit-def: $sgpr76
                                        ; implicit-def: $sgpr75
	s_wait_alu 0xfffe
	s_and_b32 s20, s6, vcc_lo
	s_wait_alu 0xfffe
	s_and_saveexec_b32 s74, s20
	s_cbranch_execz .LBB61_265
; %bb.230:                              ;   in Loop: Header=BB61_16 Depth=1
	ds_load_b64 v[4:5], v3 offset:5120
	s_wait_loadcnt_dscnt 0x0
	s_barrier_signal -1
	s_barrier_wait -1
	global_inv scope:SCOPE_SE
	v_readfirstlane_b32 s10, v4
	v_readfirstlane_b32 s11, v5
	s_and_saveexec_b32 s6, s3
; %bb.231:                              ;   in Loop: Header=BB61_16 Depth=1
	ds_store_b16 v36, v3
; %bb.232:                              ;   in Loop: Header=BB61_16 Depth=1
	s_wait_alu 0xfffe
	s_or_b32 exec_lo, exec_lo, s6
	v_cmp_gt_i64_e64 s6, s[10:11], 0
	v_or_b32_e32 v24, s16, v24
	v_or_b32_e32 v47, s16, v47
	s_mov_b32 s75, -1
	s_mov_b32 s76, 0
	s_mov_b32 s77, 0
	s_and_b32 vcc_lo, exec_lo, s6
	s_wait_loadcnt_dscnt 0x0
	s_barrier_signal -1
	s_barrier_wait -1
	global_inv scope:SCOPE_SE
                                        ; implicit-def: $vgpr48
	s_wait_alu 0xfffe
	s_cbranch_vccnz .LBB61_249
; %bb.233:                              ;   in Loop: Header=BB61_16 Depth=1
	s_mov_b32 s6, s25
	s_mov_b32 s7, s65
	s_wait_alu 0xfffe
	s_cmp_lg_u64 s[6:7], 0
	s_cbranch_scc0 .LBB61_284
; %bb.234:                              ;   in Loop: Header=BB61_16 Depth=1
	s_add_nc_u64 s[6:7], s[56:57], 0
	s_wait_alu 0xfffe
	s_xor_b64 s[6:7], s[6:7], 0
	s_wait_alu 0xfffe
	s_cvt_f32_u32 s12, s6
	s_cvt_f32_u32 s13, s7
	s_sub_nc_u64 s[78:79], 0, s[6:7]
	s_wait_alu 0xfffe
	s_delay_alu instid0(SALU_CYCLE_1) | instskip(SKIP_1) | instid1(SALU_CYCLE_2)
	s_fmamk_f32 s12, s13, 0x4f800000, s12
	s_wait_alu 0xfffe
	v_s_rcp_f32 s12, s12
	s_delay_alu instid0(TRANS32_DEP_1) | instskip(SKIP_1) | instid1(SALU_CYCLE_2)
	s_mul_f32 s12, s12, 0x5f7ffffc
	s_wait_alu 0xfffe
	s_mul_f32 s13, s12, 0x2f800000
	s_wait_alu 0xfffe
	s_delay_alu instid0(SALU_CYCLE_2) | instskip(SKIP_1) | instid1(SALU_CYCLE_2)
	s_trunc_f32 s13, s13
	s_wait_alu 0xfffe
	s_fmamk_f32 s12, s13, 0xcf800000, s12
	s_cvt_u32_f32 s13, s13
	s_wait_alu 0xfffe
	s_delay_alu instid0(SALU_CYCLE_1) | instskip(SKIP_1) | instid1(SALU_CYCLE_2)
	s_cvt_u32_f32 s12, s12
	s_wait_alu 0xfffe
	s_mul_u64 s[80:81], s[78:79], s[12:13]
	s_wait_alu 0xfffe
	s_mul_hi_u32 s83, s12, s81
	s_mul_i32 s82, s12, s81
	s_mul_hi_u32 s24, s12, s80
	s_mul_i32 s84, s13, s80
	s_wait_alu 0xfffe
	s_add_nc_u64 s[82:83], s[24:25], s[82:83]
	s_mul_hi_u32 s77, s13, s80
	s_mul_hi_u32 s85, s13, s81
	s_wait_alu 0xfffe
	s_add_co_u32 s24, s82, s84
	s_add_co_ci_u32 s24, s83, s77
	s_mul_i32 s80, s13, s81
	s_add_co_ci_u32 s81, s85, 0
	s_wait_alu 0xfffe
	s_add_nc_u64 s[80:81], s[24:25], s[80:81]
	s_wait_alu 0xfffe
	s_add_co_u32 s12, s12, s80
	s_cselect_b32 s24, -1, 0
	s_wait_alu 0xfffe
	s_cmp_lg_u32 s24, 0
	s_add_co_ci_u32 s13, s13, s81
	s_wait_alu 0xfffe
	s_mul_u64 s[78:79], s[78:79], s[12:13]
	s_wait_alu 0xfffe
	s_mul_hi_u32 s81, s12, s79
	s_mul_i32 s80, s12, s79
	s_mul_hi_u32 s24, s12, s78
	s_mul_i32 s82, s13, s78
	s_wait_alu 0xfffe
	s_add_nc_u64 s[80:81], s[24:25], s[80:81]
	s_mul_hi_u32 s77, s13, s78
	s_mul_hi_u32 s83, s13, s79
	s_wait_alu 0xfffe
	s_add_co_u32 s24, s80, s82
	s_add_co_ci_u32 s24, s81, s77
	s_mul_i32 s78, s13, s79
	s_add_co_ci_u32 s79, s83, 0
	s_wait_alu 0xfffe
	s_add_nc_u64 s[78:79], s[24:25], s[78:79]
	s_wait_alu 0xfffe
	s_add_co_u32 s77, s12, s78
	s_cselect_b32 s12, -1, 0
	s_wait_alu 0xfffe
	s_cmp_lg_u32 s12, 0
	s_add_co_ci_u32 s82, s13, s79
	s_ashr_i32 s12, s65, 31
	s_wait_alu 0xfffe
	s_mov_b32 s13, s12
	s_wait_alu 0xfffe
	s_add_nc_u64 s[78:79], s[64:65], s[12:13]
	s_wait_alu 0xfffe
	s_xor_b64 s[78:79], s[78:79], s[12:13]
	s_wait_alu 0xfffe
	s_mul_hi_u32 s81, s78, s82
	s_mul_i32 s80, s78, s82
	s_mul_hi_u32 s24, s78, s77
	s_mul_hi_u32 s84, s79, s77
	s_mul_i32 s77, s79, s77
	s_wait_alu 0xfffe
	s_add_nc_u64 s[80:81], s[24:25], s[80:81]
	s_mul_hi_u32 s83, s79, s82
	s_wait_alu 0xfffe
	s_add_co_u32 s24, s80, s77
	s_add_co_ci_u32 s24, s81, s84
	s_mul_i32 s82, s79, s82
	s_add_co_ci_u32 s83, s83, 0
	s_wait_alu 0xfffe
	s_add_nc_u64 s[80:81], s[24:25], s[82:83]
	s_wait_alu 0xfffe
	s_mul_u64 s[80:81], s[6:7], s[80:81]
	s_wait_alu 0xfffe
	s_sub_co_u32 s24, s78, s80
	s_cselect_b32 s77, -1, 0
	s_sub_co_i32 s78, s79, s81
	s_wait_alu 0xfffe
	s_cmp_lg_u32 s77, 0
	s_sub_co_ci_u32 s78, s78, s7
	s_sub_co_u32 s80, s24, s6
	s_cselect_b32 s82, -1, 0
	s_wait_alu 0xfffe
	s_cmp_lg_u32 s82, 0
	s_sub_co_ci_u32 s83, s78, 0
	s_wait_alu 0xfffe
	s_cmp_ge_u32 s83, s7
	s_cselect_b32 s84, -1, 0
	s_cmp_ge_u32 s80, s6
	s_cselect_b32 s85, -1, 0
	s_cmp_eq_u32 s83, s7
	s_wait_alu 0xfffe
	s_cselect_b32 s84, s85, s84
	s_cmp_lg_u32 s82, 0
	s_sub_co_ci_u32 s78, s78, s7
	s_sub_co_u32 s82, s80, s6
	s_cselect_b32 s85, -1, 0
	s_wait_alu 0xfffe
	s_cmp_lg_u32 s85, 0
	s_sub_co_ci_u32 s78, s78, 0
	s_cmp_lg_u32 s84, 0
	s_cselect_b32 s80, s82, s80
	s_wait_alu 0xfffe
	s_cselect_b32 s78, s78, s83
	s_cmp_lg_u32 s77, 0
	s_sub_co_ci_u32 s77, s79, s81
	s_wait_alu 0xfffe
	s_cmp_ge_u32 s77, s7
	s_cselect_b32 s79, -1, 0
	s_cmp_ge_u32 s24, s6
	s_cselect_b32 s6, -1, 0
	s_cmp_eq_u32 s77, s7
	s_wait_alu 0xfffe
	s_cselect_b32 s6, s6, s79
	s_wait_alu 0xfffe
	s_cmp_lg_u32 s6, 0
	s_cselect_b32 s7, s78, s77
	s_cselect_b32 s6, s80, s24
	s_wait_alu 0xfffe
	s_xor_b64 s[6:7], s[6:7], s[12:13]
	s_wait_alu 0xfffe
	s_sub_nc_u64 s[6:7], s[6:7], s[12:13]
	s_cbranch_execnz .LBB61_236
.LBB61_235:                             ;   in Loop: Header=BB61_16 Depth=1
	v_cvt_f32_u32_e32 v4, s56
	s_sub_co_i32 s7, 0, s56
	s_delay_alu instid0(VALU_DEP_1) | instskip(NEXT) | instid1(TRANS32_DEP_1)
	v_rcp_iflag_f32_e32 v4, v4
	v_mul_f32_e32 v4, 0x4f7ffffe, v4
	s_delay_alu instid0(VALU_DEP_1) | instskip(NEXT) | instid1(VALU_DEP_1)
	v_cvt_u32_f32_e32 v4, v4
	v_readfirstlane_b32 s6, v4
	s_wait_alu 0xfffe
	s_mul_i32 s7, s7, s6
	s_wait_alu 0xfffe
	s_mul_hi_u32 s7, s6, s7
	s_wait_alu 0xfffe
	s_add_co_i32 s6, s6, s7
	s_wait_alu 0xfffe
	s_mul_hi_u32 s6, s64, s6
	s_wait_alu 0xfffe
	s_mul_i32 s6, s6, s56
	s_wait_alu 0xfffe
	s_sub_co_i32 s6, s64, s6
	s_wait_alu 0xfffe
	s_sub_co_i32 s7, s6, s56
	s_cmp_ge_u32 s6, s56
	s_wait_alu 0xfffe
	s_cselect_b32 s6, s7, s6
	s_wait_alu 0xfffe
	s_sub_co_i32 s7, s6, s56
	s_cmp_ge_u32 s6, s56
	s_wait_alu 0xfffe
	s_cselect_b32 s24, s7, s6
	s_wait_alu 0xfffe
	s_mov_b64 s[6:7], s[24:25]
.LBB61_236:                             ;   in Loop: Header=BB61_16 Depth=1
	s_wait_alu 0xfffe
	s_sub_nc_u64 s[12:13], s[64:65], s[6:7]
	s_mov_b32 s7, 0
	s_mov_b32 s77, 0
	s_mov_b32 s24, exec_lo
                                        ; implicit-def: $vgpr48
	s_wait_alu 0xfffe
	v_cmpx_gt_i64_e64 s[12:13], v[0:1]
	s_cbranch_execz .LBB61_248
; %bb.237:                              ;   in Loop: Header=BB61_16 Depth=1
	v_dual_mov_b32 v4, v12 :: v_dual_mov_b32 v5, v13
	v_dual_mov_b32 v9, v1 :: v_dual_mov_b32 v8, v0
                                        ; implicit-def: $sgpr78
	s_branch .LBB61_241
.LBB61_238:                             ;   in Loop: Header=BB61_241 Depth=2
	s_wait_alu 0xfffe
	s_or_b32 exec_lo, exec_lo, s6
	s_wait_loadcnt_dscnt 0x0
	s_barrier_signal -1
	s_barrier_wait -1
	global_inv scope:SCOPE_SE
	ds_load_b32 v10, v3 offset:3072
	s_wait_loadcnt_dscnt 0x0
	s_barrier_signal -1
	s_barrier_wait -1
	global_inv scope:SCOPE_SE
	v_cmp_neq_f16_e32 vcc_lo, 0, v10
	s_cbranch_vccnz .LBB61_244
; %bb.239:                              ;   in Loop: Header=BB61_241 Depth=2
	v_add_co_u32 v8, vcc_lo, v8, s56
	s_wait_alu 0xfffd
	v_add_co_ci_u32_e64 v9, null, 0, v9, vcc_lo
	v_add_co_u32 v4, s6, v4, s58
	s_wait_alu 0xf1ff
	v_add_co_ci_u32_e64 v5, null, s59, v5, s6
	s_delay_alu instid0(VALU_DEP_3)
	v_cmp_le_i64_e32 vcc_lo, s[12:13], v[8:9]
	s_mov_b32 s6, 0
	s_or_not1_b32 s79, vcc_lo, exec_lo
.LBB61_240:                             ;   in Loop: Header=BB61_241 Depth=2
	s_wait_alu 0xfffe
	s_and_b32 s79, exec_lo, s79
	s_wait_alu 0xfffe
	s_or_b32 s77, s79, s77
	s_and_not1_b32 s78, s78, exec_lo
	s_and_b32 s6, s6, exec_lo
	s_wait_alu 0xfffe
	s_or_b32 s78, s78, s6
	s_and_not1_b32 exec_lo, exec_lo, s77
	s_cbranch_execz .LBB61_247
.LBB61_241:                             ;   Parent Loop BB61_16 Depth=1
                                        ; =>  This Inner Loop Header: Depth=2
	s_mov_b32 s6, exec_lo
	s_delay_alu instid0(VALU_DEP_1)
	v_cmpx_gt_i64_e64 s[36:37], v[8:9]
	s_cbranch_execz .LBB61_238
; %bb.242:                              ;   in Loop: Header=BB61_241 Depth=2
	global_load_u16 v10, v[4:5], off
	s_wait_loadcnt 0x0
	v_cmp_lt_i16_e32 vcc_lo, -1, v10
	v_and_b32_e32 v11, 0xffff, v10
	s_wait_alu 0xfffd
	v_cndmask_b32_e32 v28, 0xffff, v46, vcc_lo
	v_cmp_o_f16_e32 vcc_lo, v10, v10
	s_delay_alu instid0(VALU_DEP_2) | instskip(SKIP_1) | instid1(VALU_DEP_1)
	v_xor_b32_e32 v11, v28, v11
	s_wait_alu 0xfffd
	v_cndmask_b32_e32 v11, 0xffff, v11, vcc_lo
	s_delay_alu instid0(VALU_DEP_1) | instskip(NEXT) | instid1(VALU_DEP_1)
	v_and_b32_e32 v11, v11, v47
	v_cmp_eq_u32_e32 vcc_lo, v11, v24
	s_and_b32 exec_lo, exec_lo, vcc_lo
	s_cbranch_execz .LBB61_238
; %bb.243:                              ;   in Loop: Header=BB61_241 Depth=2
	v_perm_b32 v10, v10, s97, 0x5040100
	ds_store_b32 v3, v10 offset:3072
	s_branch .LBB61_238
.LBB61_244:                             ;   in Loop: Header=BB61_241 Depth=2
	s_mov_b32 s79, -1
	s_mov_b32 s6, -1
                                        ; implicit-def: $vgpr8_vgpr9
                                        ; implicit-def: $vgpr4_vgpr5
	s_branch .LBB61_240
.LBB61_245:                             ;   in Loop: Header=BB61_16 Depth=1
                                        ; implicit-def: $sgpr6_sgpr7
	s_branch .LBB61_188
.LBB61_246:                             ;   in Loop: Header=BB61_16 Depth=1
                                        ; implicit-def: $sgpr14_sgpr15
	s_branch .LBB61_205
.LBB61_247:                             ;   in Loop: Header=BB61_16 Depth=1
	s_or_b32 exec_lo, exec_lo, s77
	v_lshrrev_b32_e32 v48, 16, v10
	s_wait_alu 0xfffe
	s_and_b32 s77, s78, exec_lo
.LBB61_248:                             ;   in Loop: Header=BB61_16 Depth=1
	s_or_b32 exec_lo, exec_lo, s24
.LBB61_249:                             ;   in Loop: Header=BB61_16 Depth=1
	s_delay_alu instid0(SALU_CYCLE_1)
	s_and_b32 vcc_lo, exec_lo, s7
	s_wait_alu 0xfffe
	s_cbranch_vccz .LBB61_264
; %bb.250:                              ;   in Loop: Header=BB61_16 Depth=1
	s_add_nc_u64 s[6:7], s[10:11], s[62:63]
	s_mov_b32 s12, s25
	s_wait_alu 0xfffe
	s_mov_b32 s13, s7
	s_wait_alu 0xfffe
	s_cmp_lg_u64 s[12:13], 0
	s_cbranch_scc0 .LBB61_285
; %bb.251:                              ;   in Loop: Header=BB61_16 Depth=1
	s_add_nc_u64 s[12:13], s[56:57], 0
	s_wait_alu 0xfffe
	s_xor_b64 s[12:13], s[12:13], 0
	s_wait_alu 0xfffe
	s_cvt_f32_u32 s24, s12
	s_cvt_f32_u32 s75, s13
	s_sub_nc_u64 s[80:81], 0, s[12:13]
	s_wait_alu 0xfffe
	s_delay_alu instid0(SALU_CYCLE_1) | instskip(SKIP_1) | instid1(SALU_CYCLE_2)
	s_fmamk_f32 s24, s75, 0x4f800000, s24
	s_wait_alu 0xfffe
	v_s_rcp_f32 s24, s24
	s_delay_alu instid0(TRANS32_DEP_1) | instskip(SKIP_1) | instid1(SALU_CYCLE_2)
	s_mul_f32 s24, s24, 0x5f7ffffc
	s_wait_alu 0xfffe
	s_mul_f32 s75, s24, 0x2f800000
	s_wait_alu 0xfffe
	s_delay_alu instid0(SALU_CYCLE_2) | instskip(SKIP_1) | instid1(SALU_CYCLE_2)
	s_trunc_f32 s75, s75
	s_wait_alu 0xfffe
	s_fmamk_f32 s24, s75, 0xcf800000, s24
	s_cvt_u32_f32 s79, s75
	s_wait_alu 0xfffe
	s_delay_alu instid0(SALU_CYCLE_1) | instskip(SKIP_1) | instid1(SALU_CYCLE_2)
	s_cvt_u32_f32 s78, s24
	s_wait_alu 0xfffe
	s_mul_u64 s[82:83], s[80:81], s[78:79]
	s_wait_alu 0xfffe
	s_mul_hi_u32 s85, s78, s83
	s_mul_i32 s84, s78, s83
	s_mul_hi_u32 s24, s78, s82
	s_mul_i32 s76, s79, s82
	s_wait_alu 0xfffe
	s_add_nc_u64 s[84:85], s[24:25], s[84:85]
	s_mul_hi_u32 s75, s79, s82
	s_mul_hi_u32 s86, s79, s83
	s_wait_alu 0xfffe
	s_add_co_u32 s24, s84, s76
	s_add_co_ci_u32 s24, s85, s75
	s_mul_i32 s82, s79, s83
	s_add_co_ci_u32 s83, s86, 0
	s_wait_alu 0xfffe
	s_add_nc_u64 s[82:83], s[24:25], s[82:83]
	s_wait_alu 0xfffe
	s_add_co_u32 s78, s78, s82
	s_cselect_b32 s24, -1, 0
	s_wait_alu 0xfffe
	s_cmp_lg_u32 s24, 0
	s_add_co_ci_u32 s79, s79, s83
	s_wait_alu 0xfffe
	s_mul_u64 s[80:81], s[80:81], s[78:79]
	s_wait_alu 0xfffe
	s_mul_hi_u32 s83, s78, s81
	s_mul_i32 s82, s78, s81
	s_mul_hi_u32 s24, s78, s80
	s_mul_i32 s76, s79, s80
	s_wait_alu 0xfffe
	s_add_nc_u64 s[82:83], s[24:25], s[82:83]
	s_mul_hi_u32 s75, s79, s80
	s_mul_hi_u32 s84, s79, s81
	s_wait_alu 0xfffe
	s_add_co_u32 s24, s82, s76
	s_add_co_ci_u32 s24, s83, s75
	s_mul_i32 s80, s79, s81
	s_add_co_ci_u32 s81, s84, 0
	s_wait_alu 0xfffe
	s_add_nc_u64 s[80:81], s[24:25], s[80:81]
	s_wait_alu 0xfffe
	s_add_co_u32 s75, s78, s80
	s_cselect_b32 s24, -1, 0
	s_wait_alu 0xfffe
	s_cmp_lg_u32 s24, 0
	s_add_co_ci_u32 s76, s79, s81
	s_ashr_i32 s78, s7, 31
	s_wait_alu 0xfffe
	s_mov_b32 s79, s78
	s_wait_alu 0xfffe
	s_add_nc_u64 s[80:81], s[6:7], s[78:79]
	s_wait_alu 0xfffe
	s_xor_b64 s[80:81], s[80:81], s[78:79]
	s_wait_alu 0xfffe
	s_mul_hi_u32 s83, s80, s76
	s_mul_i32 s82, s80, s76
	s_mul_hi_u32 s24, s80, s75
	s_mul_hi_u32 s86, s81, s75
	s_mul_i32 s75, s81, s75
	s_wait_alu 0xfffe
	s_add_nc_u64 s[82:83], s[24:25], s[82:83]
	s_mul_hi_u32 s85, s81, s76
	s_wait_alu 0xfffe
	s_add_co_u32 s24, s82, s75
	s_add_co_ci_u32 s24, s83, s86
	s_mul_i32 s84, s81, s76
	s_add_co_ci_u32 s85, s85, 0
	s_wait_alu 0xfffe
	s_add_nc_u64 s[82:83], s[24:25], s[84:85]
	s_wait_alu 0xfffe
	s_mul_u64 s[82:83], s[12:13], s[82:83]
	s_wait_alu 0xfffe
	s_sub_co_u32 s24, s80, s82
	s_cselect_b32 s75, -1, 0
	s_sub_co_i32 s76, s81, s83
	s_wait_alu 0xfffe
	s_cmp_lg_u32 s75, 0
	s_sub_co_ci_u32 s76, s76, s13
	s_sub_co_u32 s80, s24, s12
	s_cselect_b32 s82, -1, 0
	s_wait_alu 0xfffe
	s_cmp_lg_u32 s82, 0
	s_sub_co_ci_u32 s84, s76, 0
	s_wait_alu 0xfffe
	s_cmp_ge_u32 s84, s13
	s_cselect_b32 s85, -1, 0
	s_cmp_ge_u32 s80, s12
	s_cselect_b32 s86, -1, 0
	s_cmp_eq_u32 s84, s13
	s_wait_alu 0xfffe
	s_cselect_b32 s85, s86, s85
	s_cmp_lg_u32 s82, 0
	s_sub_co_ci_u32 s76, s76, s13
	s_sub_co_u32 s82, s80, s12
	s_cselect_b32 s86, -1, 0
	s_wait_alu 0xfffe
	s_cmp_lg_u32 s86, 0
	s_sub_co_ci_u32 s76, s76, 0
	s_cmp_lg_u32 s85, 0
	s_cselect_b32 s80, s82, s80
	s_wait_alu 0xfffe
	s_cselect_b32 s76, s76, s84
	s_cmp_lg_u32 s75, 0
	s_sub_co_ci_u32 s75, s81, s83
	s_wait_alu 0xfffe
	s_cmp_ge_u32 s75, s13
	s_cselect_b32 s81, -1, 0
	s_cmp_ge_u32 s24, s12
	s_cselect_b32 s12, -1, 0
	s_cmp_eq_u32 s75, s13
	s_wait_alu 0xfffe
	s_cselect_b32 s12, s12, s81
	s_wait_alu 0xfffe
	s_cmp_lg_u32 s12, 0
	s_cselect_b32 s13, s76, s75
	s_cselect_b32 s12, s80, s24
	s_wait_alu 0xfffe
	s_xor_b64 s[12:13], s[12:13], s[78:79]
	s_wait_alu 0xfffe
	s_sub_nc_u64 s[12:13], s[12:13], s[78:79]
	s_cbranch_execnz .LBB61_253
.LBB61_252:                             ;   in Loop: Header=BB61_16 Depth=1
	v_cvt_f32_u32_e32 v4, s56
	s_sub_co_i32 s13, 0, s56
	s_delay_alu instid0(VALU_DEP_1) | instskip(NEXT) | instid1(TRANS32_DEP_1)
	v_rcp_iflag_f32_e32 v4, v4
	v_mul_f32_e32 v4, 0x4f7ffffe, v4
	s_delay_alu instid0(VALU_DEP_1) | instskip(NEXT) | instid1(VALU_DEP_1)
	v_cvt_u32_f32_e32 v4, v4
	v_readfirstlane_b32 s12, v4
	s_wait_alu 0xfffe
	s_mul_i32 s13, s13, s12
	s_wait_alu 0xfffe
	s_mul_hi_u32 s13, s12, s13
	s_wait_alu 0xfffe
	s_add_co_i32 s12, s12, s13
	s_wait_alu 0xfffe
	s_mul_hi_u32 s12, s6, s12
	s_wait_alu 0xfffe
	s_mul_i32 s12, s12, s56
	s_wait_alu 0xfffe
	s_sub_co_i32 s12, s6, s12
	s_wait_alu 0xfffe
	s_sub_co_i32 s13, s12, s56
	s_cmp_ge_u32 s12, s56
	s_wait_alu 0xfffe
	s_cselect_b32 s12, s13, s12
	s_wait_alu 0xfffe
	s_sub_co_i32 s13, s12, s56
	s_cmp_ge_u32 s12, s56
	s_wait_alu 0xfffe
	s_cselect_b32 s24, s13, s12
	s_wait_alu 0xfffe
	s_mov_b64 s[12:13], s[24:25]
.LBB61_253:                             ;   in Loop: Header=BB61_16 Depth=1
	s_wait_alu 0xfffe
	s_sub_nc_u64 s[6:7], s[6:7], s[12:13]
	s_mov_b32 s12, exec_lo
                                        ; implicit-def: $vgpr48
	s_wait_alu 0xfffe
	v_cmpx_gt_i64_e64 s[6:7], v[0:1]
	s_cbranch_execz .LBB61_263
; %bb.254:                              ;   in Loop: Header=BB61_16 Depth=1
	v_dual_mov_b32 v8, v35 :: v_dual_mov_b32 v5, v1
	v_mov_b32_e32 v4, v0
	s_mov_b32 s13, 0
                                        ; implicit-def: $sgpr24
	s_branch .LBB61_258
.LBB61_255:                             ;   in Loop: Header=BB61_258 Depth=2
	s_wait_alu 0xfffe
	s_or_b32 exec_lo, exec_lo, s75
	s_wait_loadcnt_dscnt 0x0
	s_barrier_signal -1
	s_barrier_wait -1
	global_inv scope:SCOPE_SE
	ds_load_b32 v9, v3 offset:3072
	s_wait_loadcnt_dscnt 0x0
	s_barrier_signal -1
	s_barrier_wait -1
	global_inv scope:SCOPE_SE
	v_cmp_eq_f16_e32 vcc_lo, 0, v9
	s_cbranch_vccz .LBB61_261
; %bb.256:                              ;   in Loop: Header=BB61_258 Depth=2
	v_add_co_u32 v4, vcc_lo, v4, s56
	s_wait_alu 0xfffd
	v_add_co_ci_u32_e64 v5, null, 0, v5, vcc_lo
	v_add_nc_u32_e32 v8, s96, v8
	s_mov_b32 s75, 0
	s_delay_alu instid0(VALU_DEP_2)
	v_cmp_le_i64_e32 vcc_lo, s[6:7], v[4:5]
	s_or_not1_b32 s76, vcc_lo, exec_lo
.LBB61_257:                             ;   in Loop: Header=BB61_258 Depth=2
	s_wait_alu 0xfffe
	s_and_b32 s76, exec_lo, s76
	s_wait_alu 0xfffe
	s_or_b32 s13, s76, s13
	s_and_not1_b32 s24, s24, exec_lo
	s_and_b32 s75, s75, exec_lo
	s_wait_alu 0xfffe
	s_or_b32 s24, s24, s75
	s_and_not1_b32 exec_lo, exec_lo, s13
	s_cbranch_execz .LBB61_262
.LBB61_258:                             ;   Parent Loop BB61_16 Depth=1
                                        ; =>  This Inner Loop Header: Depth=2
	s_mov_b32 s75, exec_lo
	s_delay_alu instid0(VALU_DEP_1)
	v_cmpx_gt_u64_e64 s[10:11], v[4:5]
	s_cbranch_execz .LBB61_255
; %bb.259:                              ;   in Loop: Header=BB61_258 Depth=2
	ds_load_u16 v9, v8
	s_wait_dscnt 0x0
	v_cmp_lt_i16_e32 vcc_lo, -1, v9
	s_wait_alu 0xfffd
	v_dual_cndmask_b32 v11, 0xffff, v46 :: v_dual_and_b32 v10, 0xffff, v9
	v_cmp_o_f16_e32 vcc_lo, v9, v9
	s_delay_alu instid0(VALU_DEP_2) | instskip(SKIP_1) | instid1(VALU_DEP_1)
	v_xor_b32_e32 v10, v11, v10
	s_wait_alu 0xfffd
	v_cndmask_b32_e32 v10, 0xffff, v10, vcc_lo
	s_delay_alu instid0(VALU_DEP_1) | instskip(NEXT) | instid1(VALU_DEP_1)
	v_and_b32_e32 v10, v10, v47
	v_cmp_eq_u32_e32 vcc_lo, v10, v24
	s_and_b32 exec_lo, exec_lo, vcc_lo
	s_cbranch_execz .LBB61_255
; %bb.260:                              ;   in Loop: Header=BB61_258 Depth=2
	v_perm_b32 v9, v9, s97, 0x5040100
	ds_store_b32 v3, v9 offset:3072
	s_branch .LBB61_255
.LBB61_261:                             ;   in Loop: Header=BB61_258 Depth=2
	s_mov_b32 s76, -1
	s_mov_b32 s75, -1
                                        ; implicit-def: $vgpr4_vgpr5
                                        ; implicit-def: $vgpr8
	s_branch .LBB61_257
.LBB61_262:                             ;   in Loop: Header=BB61_16 Depth=1
	s_or_b32 exec_lo, exec_lo, s13
	v_lshrrev_b32_e32 v48, 16, v9
	s_and_not1_b32 s6, s77, exec_lo
	s_wait_alu 0xfffe
	s_and_b32 s7, s24, exec_lo
	s_wait_alu 0xfffe
	s_or_b32 s77, s6, s7
.LBB61_263:                             ;   in Loop: Header=BB61_16 Depth=1
	s_or_b32 exec_lo, exec_lo, s12
	s_mov_b32 s75, 0
	s_mov_b32 s76, -1
.LBB61_264:                             ;   in Loop: Header=BB61_16 Depth=1
	s_wait_alu 0xfffe
	s_or_not1_b32 s7, s77, exec_lo
.LBB61_265:                             ;   in Loop: Header=BB61_16 Depth=1
	s_wait_alu 0xfffe
	s_or_b32 exec_lo, exec_lo, s74
	s_mov_b32 s10, 0
	s_and_saveexec_b32 s6, s7
	s_cbranch_execz .LBB61_276
; %bb.266:                              ;   in Loop: Header=BB61_16 Depth=1
	v_mov_b32_e32 v4, 1
	v_dual_mov_b32 v5, 0 :: v_dual_mov_b32 v2, 1
	s_xor_b32 s10, s20, -1
	s_wait_alu 0xfffe
	s_and_saveexec_b32 s7, s10
	s_cbranch_execz .LBB61_275
; %bb.267:                              ;   in Loop: Header=BB61_16 Depth=1
	s_mov_b32 s10, exec_lo
	v_cmpx_ge_i64_e64 s[8:9], v[6:7]
	s_wait_alu 0xfffe
	s_xor_b32 s10, exec_lo, s10
	s_cbranch_execz .LBB61_272
; %bb.268:                              ;   in Loop: Header=BB61_16 Depth=1
	ds_load_b64 v[4:5], v3 offset:5120
	v_or_b32_e32 v24, s16, v24
	v_or_b32_e32 v47, s16, v47
	s_wait_dscnt 0x0
	v_cmp_ne_u64_e32 vcc_lo, 0, v[4:5]
	s_cbranch_vccnz .LBB61_272
; %bb.269:                              ;   in Loop: Header=BB61_16 Depth=1
	s_and_saveexec_b32 s11, s2
; %bb.270:                              ;   in Loop: Header=BB61_16 Depth=1
	v_dual_mov_b32 v4, s8 :: v_dual_mov_b32 v5, s9
	ds_store_b64 v3, v[4:5] offset:5128
; %bb.271:                              ;   in Loop: Header=BB61_16 Depth=1
	s_wait_alu 0xfffe
	s_or_b32 exec_lo, exec_lo, s11
	s_wait_loadcnt_dscnt 0x0
	s_barrier_signal -1
	s_barrier_wait -1
	global_inv scope:SCOPE_SE
.LBB61_272:                             ;   in Loop: Header=BB61_16 Depth=1
	s_wait_alu 0xfffe
	s_and_not1_saveexec_b32 s10, s10
; %bb.273:                              ;   in Loop: Header=BB61_16 Depth=1
	v_sub_co_u32 v6, vcc_lo, v6, s8
	s_wait_alu 0xfffd
	v_subrev_co_ci_u32_e64 v7, null, s9, v7, vcc_lo
; %bb.274:                              ;   in Loop: Header=BB61_16 Depth=1
	s_wait_alu 0xfffe
	s_or_b32 exec_lo, exec_lo, s10
	v_mov_b32_e32 v4, v6
	s_delay_alu instid0(VALU_DEP_2)
	v_dual_mov_b32 v2, 8 :: v_dual_mov_b32 v5, v7
.LBB61_275:                             ;   in Loop: Header=BB61_16 Depth=1
	s_wait_alu 0xfffe
	s_or_b32 exec_lo, exec_lo, s7
	s_delay_alu instid0(VALU_DEP_1)
	v_dual_mov_b32 v7, v5 :: v_dual_mov_b32 v6, v4
	s_mov_b32 s10, exec_lo
.LBB61_276:                             ;   in Loop: Header=BB61_16 Depth=1
	s_wait_alu 0xfffe
	s_or_b32 exec_lo, exec_lo, s6
	s_delay_alu instid0(SALU_CYCLE_1)
	s_or_not1_b32 s6, s10, exec_lo
.LBB61_277:                             ;   in Loop: Header=BB61_16 Depth=1
	s_wait_alu 0xfffe
	s_or_b32 exec_lo, exec_lo, s15
	v_dual_mov_b32 v4, v6 :: v_dual_mov_b32 v5, v7
	s_and_not1_b32 s7, s73, exec_lo
	s_and_b32 s8, s76, exec_lo
	s_and_not1_b32 s9, s72, exec_lo
	s_and_b32 s10, s75, exec_lo
	s_wait_alu 0xfffe
	s_or_b32 s73, s7, s8
	s_or_b32 s72, s9, s10
	s_and_b32 s7, s6, exec_lo
.LBB61_278:                             ;   in Loop: Header=BB61_16 Depth=1
	s_wait_alu 0xfffe
	s_or_b32 exec_lo, exec_lo, s14
	s_delay_alu instid0(SALU_CYCLE_1)
	s_or_not1_b32 s6, s7, exec_lo
.LBB61_279:                             ;   in Loop: Header=BB61_16 Depth=1
	s_or_b32 exec_lo, exec_lo, s53
	v_dual_mov_b32 v9, v5 :: v_dual_mov_b32 v8, v4
	s_and_not1_b32 s7, s22, exec_lo
	s_and_b32 s8, s73, exec_lo
	s_and_not1_b32 s9, s21, exec_lo
	s_and_b32 s10, s72, exec_lo
	s_wait_alu 0xfffe
	s_or_b32 s22, s7, s8
	s_or_b32 s21, s9, s10
	s_and_b32 s7, s6, exec_lo
.LBB61_280:                             ;   in Loop: Header=BB61_16 Depth=1
	s_wait_alu 0xfffe
	s_or_b32 exec_lo, exec_lo, s23
	s_delay_alu instid0(SALU_CYCLE_1)
	s_or_not1_b32 s6, s7, exec_lo
.LBB61_281:                             ;   in Loop: Header=BB61_16 Depth=1
	s_wait_alu 0xfffe
	s_or_b32 exec_lo, exec_lo, s19
	s_mov_b32 s7, 0
	s_and_saveexec_b32 s8, s6
	s_wait_alu 0xfffe
	s_xor_b32 s6, exec_lo, s8
	s_cbranch_execz .LBB61_14
; %bb.282:                              ;   in Loop: Header=BB61_16 Depth=1
	v_and_b32_e32 v2, 7, v2
	s_mov_b32 s8, -1
	s_mov_b32 s7, -1
	s_mov_b32 s9, exec_lo
	s_delay_alu instid0(VALU_DEP_1)
	v_cmpx_eq_u32_e32 0, v2
	s_cbranch_execz .LBB61_13
; %bb.283:                              ;   in Loop: Header=BB61_16 Depth=1
	s_xor_b32 s100, s100, 1
	s_add_co_i32 s10, s98, -2
	s_cmp_eq_u32 s98, 0
	s_wait_alu 0xfffe
	s_mov_b32 s98, s10
	s_cselect_b32 s8, -1, 0
	s_xor_b32 s7, exec_lo, -1
	s_wait_alu 0xfffe
	s_or_not1_b32 s8, s8, exec_lo
	s_branch .LBB61_13
.LBB61_284:                             ;   in Loop: Header=BB61_16 Depth=1
                                        ; implicit-def: $sgpr6_sgpr7
	s_branch .LBB61_235
.LBB61_285:                             ;   in Loop: Header=BB61_16 Depth=1
                                        ; implicit-def: $sgpr12_sgpr13
	s_branch .LBB61_252
.LBB61_286:
	s_or_b32 exec_lo, exec_lo, s99
	s_xor_b32 s5, s52, -1
	s_xor_b32 s1, s104, -1
	;; [unrolled: 1-line block ×3, first 2 shown]
	s_mov_b32 s3, 0
	s_and_saveexec_b32 s6, s1
	s_wait_alu 0xfffe
	s_xor_b32 s1, exec_lo, s6
	s_cbranch_execnz .LBB61_291
; %bb.287:
	s_and_not1_saveexec_b32 s0, s1
	s_cbranch_execnz .LBB61_316
.LBB61_288:
	s_wait_alu 0xfffe
	s_or_b32 exec_lo, exec_lo, s0
	s_and_saveexec_b32 s0, s3
.LBB61_289:
	; divergent unreachable
.LBB61_290:
	s_endpgm
.LBB61_291:
	s_and_saveexec_b32 s3, s5
	s_delay_alu instid0(SALU_CYCLE_1)
	s_xor_b32 s3, exec_lo, s3
	s_cbranch_execz .LBB61_314
; %bb.292:
	s_and_saveexec_b32 s5, s4
	s_wait_alu 0xfffe
	s_xor_b32 s4, exec_lo, s5
; %bb.293:
	v_and_b32_e32 v2, 0x8000, v24
	v_mov_b32_e32 v3, 0xffff
	s_delay_alu instid0(VALU_DEP_2) | instskip(SKIP_1) | instid1(VALU_DEP_2)
	v_cmp_eq_u32_e32 vcc_lo, 0, v2
	s_wait_alu 0xfffd
	v_cndmask_b32_e32 v2, 0x8000, v3, vcc_lo
	s_delay_alu instid0(VALU_DEP_1)
	v_xor_b32_e32 v48, v2, v24
; %bb.294:
	s_wait_alu 0xfffe
	s_or_b32 exec_lo, exec_lo, s4
	s_and_saveexec_b32 s4, s2
; %bb.295:
	v_dual_mov_b32 v2, 0 :: v_dual_mov_b32 v3, s36
	ds_store_b32 v2, v3 offset:5140
; %bb.296:
	s_wait_alu 0xfffe
	s_or_b32 exec_lo, exec_lo, s4
	s_wait_loadcnt_dscnt 0x0
	s_barrier_signal -1
	s_barrier_wait -1
	global_inv scope:SCOPE_SE
	s_and_saveexec_b32 s4, s0
	s_cbranch_execz .LBB61_311
; %bb.297:
	v_mov_b32_e32 v2, 0
	v_cmp_u_f16_e32 vcc_lo, v48, v48
	s_mov_b32 s5, 0
                                        ; implicit-def: $sgpr7
                                        ; implicit-def: $sgpr8
                                        ; implicit-def: $sgpr9
	ds_load_b32 v4, v2 offset:5140
	s_xor_b32 s6, vcc_lo, -1
	s_wait_dscnt 0x0
	v_ashrrev_i32_e32 v5, 31, v4
	s_branch .LBB61_300
.LBB61_298:                             ;   in Loop: Header=BB61_300 Depth=1
	s_wait_alu 0xfffe
	s_or_b32 exec_lo, exec_lo, s13
	s_delay_alu instid0(SALU_CYCLE_1)
	s_and_not1_b32 s0, s9, exec_lo
	s_and_b32 s9, s11, exec_lo
	s_and_not1_b32 s8, s8, exec_lo
	s_and_b32 s11, s12, exec_lo
	s_wait_alu 0xfffe
	s_or_b32 s9, s0, s9
	s_or_b32 s8, s8, s11
.LBB61_299:                             ;   in Loop: Header=BB61_300 Depth=1
	s_wait_alu 0xfffe
	s_or_b32 exec_lo, exec_lo, s10
	s_delay_alu instid0(SALU_CYCLE_1)
	s_and_b32 s0, exec_lo, s8
	s_wait_alu 0xfffe
	s_or_b32 s5, s0, s5
	s_and_not1_b32 s0, s7, exec_lo
	s_and_b32 s7, s9, exec_lo
	s_wait_alu 0xfffe
	s_or_b32 s7, s0, s7
	s_and_not1_b32 exec_lo, exec_lo, s5
	s_cbranch_execz .LBB61_306
.LBB61_300:                             ; =>This Inner Loop Header: Depth=1
	v_dual_mov_b32 v3, v1 :: v_dual_mov_b32 v2, v0
	s_or_b32 s9, s9, exec_lo
	s_or_b32 s8, s8, exec_lo
	s_mov_b32 s10, exec_lo
                                        ; implicit-def: $vgpr0_vgpr1
	s_delay_alu instid0(VALU_DEP_1)
	v_cmpx_lt_i64_e64 v[2:3], v[4:5]
	s_cbranch_execz .LBB61_299
; %bb.301:                              ;   in Loop: Header=BB61_300 Depth=1
	global_load_u16 v0, v[12:13], off
	s_mov_b32 s12, -1
	s_wait_loadcnt 0x0
	v_cmp_o_f16_e32 vcc_lo, v0, v0
	v_cmp_neq_f16_e64 s0, v0, v48
                                        ; implicit-def: $vgpr0_vgpr1
	s_wait_alu 0xfffe
	s_or_b32 s11, s6, vcc_lo
	s_wait_alu 0xfffe
	s_and_b32 s0, s0, s11
	s_mov_b32 s11, 0
	s_wait_alu 0xfffe
	s_and_saveexec_b32 s13, s0
	s_cbranch_execz .LBB61_298
; %bb.302:                              ;   in Loop: Header=BB61_300 Depth=1
	v_add_co_u32 v0, vcc_lo, v2, s56
	s_wait_alu 0xfffd
	v_add_co_ci_u32_e64 v1, null, 0, v3, vcc_lo
	v_add_co_u32 v12, s0, v12, s58
	s_wait_alu 0xf1ff
	v_add_co_ci_u32_e64 v13, null, s59, v13, s0
	s_delay_alu instid0(VALU_DEP_3)
	v_cmp_le_i64_e32 vcc_lo, s[36:37], v[0:1]
	s_mov_b32 s11, exec_lo
	s_or_not1_b32 s12, vcc_lo, exec_lo
	s_branch .LBB61_298
.LBB61_303:
                                        ; implicit-def: $sgpr12_sgpr13
	s_branch .LBB61_3
.LBB61_304:
                                        ; implicit-def: $sgpr48_sgpr49
	s_branch .LBB61_6
.LBB61_305:
                                        ; implicit-def: $sgpr50_sgpr51
	s_branch .LBB61_9
.LBB61_306:
	s_or_b32 exec_lo, exec_lo, s5
	s_wait_alu 0xfffe
	s_xor_b32 s0, s7, -1
	s_wait_alu 0xfffe
	s_and_saveexec_b32 s5, s0
	s_wait_alu 0xfffe
	s_xor_b32 s5, exec_lo, s5
	s_cbranch_execz .LBB61_311
; %bb.307:
	s_mov_b32 s5, exec_lo
	s_brev_b32 s0, -2
.LBB61_308:                             ; =>This Inner Loop Header: Depth=1
	s_wait_alu 0xfffe
	s_ctz_i32_b32 s6, s5
	s_wait_alu 0xfffe
	v_readlane_b32 s7, v2, s6
	s_lshl_b32 s6, 1, s6
	s_wait_alu 0xfffe
	s_and_not1_b32 s5, s5, s6
	s_min_i32 s0, s0, s7
	s_wait_alu 0xfffe
	s_cmp_lg_u32 s5, 0
	s_cbranch_scc1 .LBB61_308
; %bb.309:
	v_mbcnt_lo_u32_b32 v0, exec_lo, 0
	s_mov_b32 s5, exec_lo
	s_delay_alu instid0(VALU_DEP_1)
	v_cmpx_eq_u32_e32 0, v0
	s_wait_alu 0xfffe
	s_xor_b32 s5, exec_lo, s5
; %bb.310:
	v_dual_mov_b32 v0, 0 :: v_dual_mov_b32 v1, s0
	ds_min_i32 v0, v1 offset:5140
.LBB61_311:
	s_wait_alu 0xfffe
	s_or_b32 exec_lo, exec_lo, s4
	s_wait_loadcnt_dscnt 0x0
	s_barrier_signal -1
	s_barrier_wait -1
	global_inv scope:SCOPE_SE
	s_and_saveexec_b32 s0, s2
	s_cbranch_execz .LBB61_313
; %bb.312:
	v_mov_b32_e32 v2, 0
	s_mul_u64 s[8:9], s[50:51], s[40:41]
	v_readlane_b32 s12, v56, 0
	s_mul_u64 s[4:5], s[48:49], s[34:35]
	v_readlane_b32 s13, v56, 1
	ds_load_b32 v0, v2 offset:5140
	s_mul_u64 s[10:11], s[50:51], s[28:29]
	s_wait_alu 0xfffe
	s_sub_nc_u64 s[8:9], s[26:27], s[8:9]
	s_mul_u64 s[6:7], s[48:49], s[44:45]
	s_sub_nc_u64 s[4:5], s[26:27], s[4:5]
	s_lshl_b64 s[10:11], s[10:11], 3
	s_wait_alu 0xfffe
	s_mul_u64 s[8:9], s[8:9], s[30:31]
	s_lshl_b64 s[6:7], s[6:7], 1
	s_mul_u64 s[4:5], s[4:5], s[46:47]
	s_add_nc_u64 s[10:11], s[12:13], s[10:11]
	s_wait_alu 0xfffe
	s_lshl_b64 s[8:9], s[8:9], 3
	s_add_nc_u64 s[6:7], s[54:55], s[6:7]
	s_lshl_b64 s[4:5], s[4:5], 1
	s_wait_alu 0xfffe
	s_add_nc_u64 s[8:9], s[10:11], s[8:9]
	s_add_nc_u64 s[4:5], s[6:7], s[4:5]
	s_wait_dscnt 0x0
	v_ashrrev_i32_e32 v1, 31, v0
	s_clause 0x1
	global_store_b64 v2, v[0:1], s[8:9]
	global_store_b16 v2, v48, s[4:5]
.LBB61_313:
	s_wait_alu 0xfffe
	s_or_b32 exec_lo, exec_lo, s0
.LBB61_314:
	s_or_saveexec_b32 s0, s3
	s_mov_b32 s2, 0
	s_wait_alu 0xfffe
	s_xor_b32 exec_lo, exec_lo, s0
	s_cbranch_execnz .LBB61_317
.LBB61_315:
	s_or_b32 exec_lo, exec_lo, s0
	s_delay_alu instid0(SALU_CYCLE_1)
	s_and_b32 s3, s2, exec_lo
	s_and_not1_saveexec_b32 s0, s1
	s_cbranch_execz .LBB61_288
.LBB61_316:
	s_or_b32 s3, s3, exec_lo
	s_trap 2
	s_wait_alu 0xfffe
	s_or_b32 exec_lo, exec_lo, s0
	s_and_saveexec_b32 s0, s3
	s_cbranch_execnz .LBB61_289
	s_branch .LBB61_290
.LBB61_317:
	s_mov_b32 s2, exec_lo
	s_trap 2
	s_branch .LBB61_315
	.section	.rodata,"a",@progbits
	.p2align	6, 0x0
	.amdhsa_kernel _ZN2at6native12_GLOBAL__N_114gatherKthValueIN3c104HalfElLi2EEEvNS_4cuda6detail10TensorInfoIKT_T0_EESA_SA_SA_SA_NS7_IS8_SA_EENS7_IlSA_EE
		.amdhsa_group_segment_fixed_size 5144
		.amdhsa_private_segment_fixed_size 0
		.amdhsa_kernarg_size 1536
		.amdhsa_user_sgpr_count 2
		.amdhsa_user_sgpr_dispatch_ptr 0
		.amdhsa_user_sgpr_queue_ptr 0
		.amdhsa_user_sgpr_kernarg_segment_ptr 1
		.amdhsa_user_sgpr_dispatch_id 0
		.amdhsa_user_sgpr_private_segment_size 0
		.amdhsa_wavefront_size32 1
		.amdhsa_uses_dynamic_stack 0
		.amdhsa_enable_private_segment 0
		.amdhsa_system_sgpr_workgroup_id_x 1
		.amdhsa_system_sgpr_workgroup_id_y 1
		.amdhsa_system_sgpr_workgroup_id_z 1
		.amdhsa_system_sgpr_workgroup_info 0
		.amdhsa_system_vgpr_workitem_id 0
		.amdhsa_next_free_vgpr 57
		.amdhsa_next_free_sgpr 105
		.amdhsa_reserve_vcc 1
		.amdhsa_float_round_mode_32 0
		.amdhsa_float_round_mode_16_64 0
		.amdhsa_float_denorm_mode_32 3
		.amdhsa_float_denorm_mode_16_64 3
		.amdhsa_fp16_overflow 0
		.amdhsa_workgroup_processor_mode 1
		.amdhsa_memory_ordered 1
		.amdhsa_forward_progress 1
		.amdhsa_inst_pref_size 174
		.amdhsa_round_robin_scheduling 0
		.amdhsa_exception_fp_ieee_invalid_op 0
		.amdhsa_exception_fp_denorm_src 0
		.amdhsa_exception_fp_ieee_div_zero 0
		.amdhsa_exception_fp_ieee_overflow 0
		.amdhsa_exception_fp_ieee_underflow 0
		.amdhsa_exception_fp_ieee_inexact 0
		.amdhsa_exception_int_div_zero 0
	.end_amdhsa_kernel
	.section	.text._ZN2at6native12_GLOBAL__N_114gatherKthValueIN3c104HalfElLi2EEEvNS_4cuda6detail10TensorInfoIKT_T0_EESA_SA_SA_SA_NS7_IS8_SA_EENS7_IlSA_EE,"axG",@progbits,_ZN2at6native12_GLOBAL__N_114gatherKthValueIN3c104HalfElLi2EEEvNS_4cuda6detail10TensorInfoIKT_T0_EESA_SA_SA_SA_NS7_IS8_SA_EENS7_IlSA_EE,comdat
.Lfunc_end61:
	.size	_ZN2at6native12_GLOBAL__N_114gatherKthValueIN3c104HalfElLi2EEEvNS_4cuda6detail10TensorInfoIKT_T0_EESA_SA_SA_SA_NS7_IS8_SA_EENS7_IlSA_EE, .Lfunc_end61-_ZN2at6native12_GLOBAL__N_114gatherKthValueIN3c104HalfElLi2EEEvNS_4cuda6detail10TensorInfoIKT_T0_EESA_SA_SA_SA_NS7_IS8_SA_EENS7_IlSA_EE
                                        ; -- End function
	.set _ZN2at6native12_GLOBAL__N_114gatherKthValueIN3c104HalfElLi2EEEvNS_4cuda6detail10TensorInfoIKT_T0_EESA_SA_SA_SA_NS7_IS8_SA_EENS7_IlSA_EE.num_vgpr, 57
	.set _ZN2at6native12_GLOBAL__N_114gatherKthValueIN3c104HalfElLi2EEEvNS_4cuda6detail10TensorInfoIKT_T0_EESA_SA_SA_SA_NS7_IS8_SA_EENS7_IlSA_EE.num_agpr, 0
	.set _ZN2at6native12_GLOBAL__N_114gatherKthValueIN3c104HalfElLi2EEEvNS_4cuda6detail10TensorInfoIKT_T0_EESA_SA_SA_SA_NS7_IS8_SA_EENS7_IlSA_EE.numbered_sgpr, 105
	.set _ZN2at6native12_GLOBAL__N_114gatherKthValueIN3c104HalfElLi2EEEvNS_4cuda6detail10TensorInfoIKT_T0_EESA_SA_SA_SA_NS7_IS8_SA_EENS7_IlSA_EE.num_named_barrier, 0
	.set _ZN2at6native12_GLOBAL__N_114gatherKthValueIN3c104HalfElLi2EEEvNS_4cuda6detail10TensorInfoIKT_T0_EESA_SA_SA_SA_NS7_IS8_SA_EENS7_IlSA_EE.private_seg_size, 0
	.set _ZN2at6native12_GLOBAL__N_114gatherKthValueIN3c104HalfElLi2EEEvNS_4cuda6detail10TensorInfoIKT_T0_EESA_SA_SA_SA_NS7_IS8_SA_EENS7_IlSA_EE.uses_vcc, 1
	.set _ZN2at6native12_GLOBAL__N_114gatherKthValueIN3c104HalfElLi2EEEvNS_4cuda6detail10TensorInfoIKT_T0_EESA_SA_SA_SA_NS7_IS8_SA_EENS7_IlSA_EE.uses_flat_scratch, 0
	.set _ZN2at6native12_GLOBAL__N_114gatherKthValueIN3c104HalfElLi2EEEvNS_4cuda6detail10TensorInfoIKT_T0_EESA_SA_SA_SA_NS7_IS8_SA_EENS7_IlSA_EE.has_dyn_sized_stack, 0
	.set _ZN2at6native12_GLOBAL__N_114gatherKthValueIN3c104HalfElLi2EEEvNS_4cuda6detail10TensorInfoIKT_T0_EESA_SA_SA_SA_NS7_IS8_SA_EENS7_IlSA_EE.has_recursion, 0
	.set _ZN2at6native12_GLOBAL__N_114gatherKthValueIN3c104HalfElLi2EEEvNS_4cuda6detail10TensorInfoIKT_T0_EESA_SA_SA_SA_NS7_IS8_SA_EENS7_IlSA_EE.has_indirect_call, 0
	.section	.AMDGPU.csdata,"",@progbits
; Kernel info:
; codeLenInByte = 22260
; TotalNumSgprs: 107
; NumVgprs: 57
; ScratchSize: 0
; MemoryBound: 0
; FloatMode: 240
; IeeeMode: 1
; LDSByteSize: 5144 bytes/workgroup (compile time only)
; SGPRBlocks: 0
; VGPRBlocks: 7
; NumSGPRsForWavesPerEU: 107
; NumVGPRsForWavesPerEU: 57
; Occupancy: 16
; WaveLimiterHint : 1
; COMPUTE_PGM_RSRC2:SCRATCH_EN: 0
; COMPUTE_PGM_RSRC2:USER_SGPR: 2
; COMPUTE_PGM_RSRC2:TRAP_HANDLER: 0
; COMPUTE_PGM_RSRC2:TGID_X_EN: 1
; COMPUTE_PGM_RSRC2:TGID_Y_EN: 1
; COMPUTE_PGM_RSRC2:TGID_Z_EN: 1
; COMPUTE_PGM_RSRC2:TIDIG_COMP_CNT: 0
	.section	.text._ZN2at6native12_GLOBAL__N_114gatherKthValueIN3c104HalfElLi3EEEvNS_4cuda6detail10TensorInfoIKT_T0_EESA_SA_SA_SA_NS7_IS8_SA_EENS7_IlSA_EE,"axG",@progbits,_ZN2at6native12_GLOBAL__N_114gatherKthValueIN3c104HalfElLi3EEEvNS_4cuda6detail10TensorInfoIKT_T0_EESA_SA_SA_SA_NS7_IS8_SA_EENS7_IlSA_EE,comdat
	.globl	_ZN2at6native12_GLOBAL__N_114gatherKthValueIN3c104HalfElLi3EEEvNS_4cuda6detail10TensorInfoIKT_T0_EESA_SA_SA_SA_NS7_IS8_SA_EENS7_IlSA_EE ; -- Begin function _ZN2at6native12_GLOBAL__N_114gatherKthValueIN3c104HalfElLi3EEEvNS_4cuda6detail10TensorInfoIKT_T0_EESA_SA_SA_SA_NS7_IS8_SA_EENS7_IlSA_EE
	.p2align	8
	.type	_ZN2at6native12_GLOBAL__N_114gatherKthValueIN3c104HalfElLi3EEEvNS_4cuda6detail10TensorInfoIKT_T0_EESA_SA_SA_SA_NS7_IS8_SA_EENS7_IlSA_EE,@function
_ZN2at6native12_GLOBAL__N_114gatherKthValueIN3c104HalfElLi3EEEvNS_4cuda6detail10TensorInfoIKT_T0_EESA_SA_SA_SA_NS7_IS8_SA_EENS7_IlSA_EE: ; @_ZN2at6native12_GLOBAL__N_114gatherKthValueIN3c104HalfElLi3EEEvNS_4cuda6detail10TensorInfoIKT_T0_EESA_SA_SA_SA_NS7_IS8_SA_EENS7_IlSA_EE
; %bb.0:
	s_clause 0x1
	s_load_b64 s[12:13], s[0:1], 0x500
	s_load_b256 s[36:43], s[0:1], 0x1a0
	s_lshr_b32 s2, ttmp7, 16
	s_and_b32 s3, ttmp7, 0xffff
	s_mov_b32 s27, 0
	s_wait_kmcnt 0x0
	s_mul_i32 s2, s13, s2
	s_delay_alu instid0(SALU_CYCLE_1) | instskip(NEXT) | instid1(SALU_CYCLE_1)
	s_add_co_i32 s2, s2, s3
	s_mul_i32 s2, s2, s12
	s_delay_alu instid0(SALU_CYCLE_1) | instskip(NEXT) | instid1(SALU_CYCLE_1)
	s_add_co_i32 s26, s2, ttmp9
	v_cmp_le_i64_e64 s2, s[40:41], s[26:27]
	s_and_b32 vcc_lo, exec_lo, s2
	s_cbranch_vccnz .LBB62_306
; %bb.1:
	s_load_b128 s[4:7], s[0:1], 0x10
	s_mov_b32 s2, s27
	s_wait_kmcnt 0x0
	s_mov_b32 s3, s7
	s_delay_alu instid0(SALU_CYCLE_1)
	s_cmp_lg_u64 s[2:3], 0
	s_add_nc_u64 s[2:3], s[26:27], 0
	s_cbranch_scc0 .LBB62_18
; %bb.2:
	s_ashr_i32 s8, s7, 31
	s_mov_b32 s17, 0
	s_mov_b32 s9, s8
	s_delay_alu instid0(SALU_CYCLE_1) | instskip(NEXT) | instid1(SALU_CYCLE_1)
	s_add_nc_u64 s[10:11], s[6:7], s[8:9]
	s_xor_b64 s[10:11], s[10:11], s[8:9]
	s_delay_alu instid0(SALU_CYCLE_1) | instskip(SKIP_2) | instid1(SALU_CYCLE_2)
	s_cvt_f32_u32 s13, s10
	s_cvt_f32_u32 s14, s11
	s_sub_nc_u64 s[18:19], 0, s[10:11]
	s_fmamk_f32 s13, s14, 0x4f800000, s13
	s_delay_alu instid0(SALU_CYCLE_3) | instskip(NEXT) | instid1(TRANS32_DEP_1)
	v_s_rcp_f32 s13, s13
	s_mul_f32 s13, s13, 0x5f7ffffc
	s_wait_alu 0xfffe
	s_delay_alu instid0(SALU_CYCLE_2) | instskip(NEXT) | instid1(SALU_CYCLE_3)
	s_mul_f32 s14, s13, 0x2f800000
	s_trunc_f32 s14, s14
	s_delay_alu instid0(SALU_CYCLE_3) | instskip(SKIP_2) | instid1(SALU_CYCLE_1)
	s_fmamk_f32 s13, s14, 0xcf800000, s13
	s_cvt_u32_f32 s15, s14
	s_wait_alu 0xfffe
	s_cvt_u32_f32 s14, s13
	s_delay_alu instid0(SALU_CYCLE_3) | instskip(NEXT) | instid1(SALU_CYCLE_1)
	s_mul_u64 s[20:21], s[18:19], s[14:15]
	s_mul_hi_u32 s23, s14, s21
	s_mul_i32 s22, s14, s21
	s_mul_hi_u32 s16, s14, s20
	s_mul_i32 s24, s15, s20
	s_add_nc_u64 s[22:23], s[16:17], s[22:23]
	s_mul_hi_u32 s13, s15, s20
	s_mul_hi_u32 s25, s15, s21
	s_add_co_u32 s16, s22, s24
	s_wait_alu 0xfffe
	s_add_co_ci_u32 s16, s23, s13
	s_mul_i32 s20, s15, s21
	s_add_co_ci_u32 s21, s25, 0
	s_delay_alu instid0(SALU_CYCLE_1) | instskip(NEXT) | instid1(SALU_CYCLE_1)
	s_add_nc_u64 s[20:21], s[16:17], s[20:21]
	s_add_co_u32 s14, s14, s20
	s_cselect_b32 s13, -1, 0
	s_wait_alu 0xfffe
	s_cmp_lg_u32 s13, 0
	s_add_co_ci_u32 s15, s15, s21
	s_delay_alu instid0(SALU_CYCLE_1) | instskip(NEXT) | instid1(SALU_CYCLE_1)
	s_mul_u64 s[18:19], s[18:19], s[14:15]
	s_mul_hi_u32 s21, s14, s19
	s_mul_i32 s20, s14, s19
	s_mul_hi_u32 s16, s14, s18
	s_mul_i32 s22, s15, s18
	s_add_nc_u64 s[20:21], s[16:17], s[20:21]
	s_mul_hi_u32 s13, s15, s18
	s_mul_hi_u32 s23, s15, s19
	s_add_co_u32 s16, s20, s22
	s_wait_alu 0xfffe
	s_add_co_ci_u32 s16, s21, s13
	s_mul_i32 s18, s15, s19
	s_add_co_ci_u32 s19, s23, 0
	s_delay_alu instid0(SALU_CYCLE_1) | instskip(NEXT) | instid1(SALU_CYCLE_1)
	s_add_nc_u64 s[18:19], s[16:17], s[18:19]
	s_add_co_u32 s13, s14, s18
	s_cselect_b32 s14, -1, 0
	s_delay_alu instid0(SALU_CYCLE_1) | instskip(SKIP_2) | instid1(SALU_CYCLE_1)
	s_cmp_lg_u32 s14, 0
	s_add_co_ci_u32 s20, s15, s19
	s_xor_b64 s[14:15], s[2:3], 0
	s_mul_hi_u32 s19, s14, s20
	s_mul_i32 s18, s14, s20
	s_wait_alu 0xfffe
	s_mul_hi_u32 s16, s14, s13
	s_mul_hi_u32 s22, s15, s13
	s_mul_i32 s13, s15, s13
	s_add_nc_u64 s[18:19], s[16:17], s[18:19]
	s_mul_hi_u32 s21, s15, s20
	s_wait_alu 0xfffe
	s_add_co_u32 s13, s18, s13
	s_add_co_ci_u32 s16, s19, s22
	s_mul_i32 s20, s15, s20
	s_add_co_ci_u32 s21, s21, 0
	s_delay_alu instid0(SALU_CYCLE_1) | instskip(NEXT) | instid1(SALU_CYCLE_1)
	s_add_nc_u64 s[18:19], s[16:17], s[20:21]
	s_mul_u64 s[20:21], s[10:11], s[18:19]
	s_delay_alu instid0(SALU_CYCLE_1)
	s_sub_co_u32 s13, s14, s20
	s_cselect_b32 s14, -1, 0
	s_sub_co_i32 s16, s15, s21
	s_cmp_lg_u32 s14, 0
	s_sub_co_ci_u32 s16, s16, s11
	s_wait_alu 0xfffe
	s_sub_co_u32 s20, s13, s10
	s_cselect_b32 s22, -1, 0
	s_delay_alu instid0(SALU_CYCLE_1) | instskip(SKIP_2) | instid1(SALU_CYCLE_1)
	s_cmp_lg_u32 s22, 0
	s_add_nc_u64 s[22:23], s[18:19], 1
	s_sub_co_ci_u32 s16, s16, 0
	s_cmp_ge_u32 s16, s11
	s_cselect_b32 s24, -1, 0
	s_cmp_ge_u32 s20, s10
	s_cselect_b32 s20, -1, 0
	s_cmp_eq_u32 s16, s11
	s_cselect_b32 s16, s20, s24
	s_add_nc_u64 s[24:25], s[18:19], 2
	s_cmp_lg_u32 s16, 0
	s_cselect_b32 s16, s24, s22
	s_cselect_b32 s20, s25, s23
	s_cmp_lg_u32 s14, 0
	s_sub_co_ci_u32 s14, s15, s21
	s_delay_alu instid0(SALU_CYCLE_1)
	s_cmp_ge_u32 s14, s11
	s_cselect_b32 s15, -1, 0
	s_cmp_ge_u32 s13, s10
	s_cselect_b32 s10, -1, 0
	s_cmp_eq_u32 s14, s11
	s_cselect_b32 s10, s10, s15
	s_delay_alu instid0(SALU_CYCLE_1) | instskip(SKIP_3) | instid1(SALU_CYCLE_1)
	s_cmp_lg_u32 s10, 0
	s_cselect_b32 s11, s20, s19
	s_cselect_b32 s10, s16, s18
	s_xor_b64 s[8:9], 0, s[8:9]
	s_xor_b64 s[10:11], s[10:11], s[8:9]
	s_delay_alu instid0(SALU_CYCLE_1)
	s_sub_nc_u64 s[14:15], s[10:11], s[8:9]
	s_cbranch_execnz .LBB62_4
.LBB62_3:
	v_cvt_f32_u32_e32 v1, s6
	s_sub_co_i32 s9, 0, s6
	s_mov_b32 s15, 0
	s_delay_alu instid0(VALU_DEP_1) | instskip(NEXT) | instid1(TRANS32_DEP_1)
	v_rcp_iflag_f32_e32 v1, v1
	v_mul_f32_e32 v1, 0x4f7ffffe, v1
	s_delay_alu instid0(VALU_DEP_1) | instskip(NEXT) | instid1(VALU_DEP_1)
	v_cvt_u32_f32_e32 v1, v1
	v_readfirstlane_b32 s8, v1
	s_mul_i32 s9, s9, s8
	s_delay_alu instid0(SALU_CYCLE_1) | instskip(NEXT) | instid1(SALU_CYCLE_1)
	s_mul_hi_u32 s9, s8, s9
	s_add_co_i32 s8, s8, s9
	s_delay_alu instid0(SALU_CYCLE_1) | instskip(NEXT) | instid1(SALU_CYCLE_1)
	s_mul_hi_u32 s8, s26, s8
	s_mul_i32 s9, s8, s6
	s_add_co_i32 s10, s8, 1
	s_sub_co_i32 s9, s26, s9
	s_delay_alu instid0(SALU_CYCLE_1)
	s_sub_co_i32 s11, s9, s6
	s_cmp_ge_u32 s9, s6
	s_cselect_b32 s8, s10, s8
	s_cselect_b32 s9, s11, s9
	s_add_co_i32 s10, s8, 1
	s_cmp_ge_u32 s9, s6
	s_cselect_b32 s14, s10, s8
.LBB62_4:
	s_delay_alu instid0(SALU_CYCLE_1) | instskip(SKIP_1) | instid1(SALU_CYCLE_1)
	s_or_b64 s[8:9], s[14:15], s[4:5]
	s_mov_b32 s8, 0
	s_cmp_lg_u64 s[8:9], 0
	s_cbranch_scc0 .LBB62_19
; %bb.5:
	s_ashr_i32 s10, s5, 31
	s_mov_b32 s23, s8
	s_mov_b32 s11, s10
	;; [unrolled: 1-line block ×3, first 2 shown]
	s_add_nc_u64 s[16:17], s[4:5], s[10:11]
	s_delay_alu instid0(SALU_CYCLE_1) | instskip(NEXT) | instid1(SALU_CYCLE_1)
	s_xor_b64 s[16:17], s[16:17], s[10:11]
	s_cvt_f32_u32 s9, s16
	s_cvt_f32_u32 s13, s17
	s_sub_nc_u64 s[20:21], 0, s[16:17]
	s_wait_alu 0xfffe
	s_delay_alu instid0(SALU_CYCLE_1) | instskip(NEXT) | instid1(SALU_CYCLE_3)
	s_fmamk_f32 s9, s13, 0x4f800000, s9
	v_s_rcp_f32 s9, s9
	s_delay_alu instid0(TRANS32_DEP_1) | instskip(SKIP_1) | instid1(SALU_CYCLE_2)
	s_mul_f32 s9, s9, 0x5f7ffffc
	s_wait_alu 0xfffe
	s_mul_f32 s13, s9, 0x2f800000
	s_wait_alu 0xfffe
	s_delay_alu instid0(SALU_CYCLE_2) | instskip(SKIP_1) | instid1(SALU_CYCLE_2)
	s_trunc_f32 s13, s13
	s_wait_alu 0xfffe
	s_fmamk_f32 s9, s13, 0xcf800000, s9
	s_cvt_u32_f32 s19, s13
	s_wait_alu 0xfffe
	s_delay_alu instid0(SALU_CYCLE_1) | instskip(NEXT) | instid1(SALU_CYCLE_3)
	s_cvt_u32_f32 s18, s9
	s_mul_u64 s[24:25], s[20:21], s[18:19]
	s_delay_alu instid0(SALU_CYCLE_1)
	s_mul_hi_u32 s31, s18, s25
	s_mul_i32 s30, s18, s25
	s_mul_hi_u32 s22, s18, s24
	s_mul_i32 s13, s19, s24
	s_add_nc_u64 s[22:23], s[22:23], s[30:31]
	s_mul_hi_u32 s9, s19, s24
	s_mul_hi_u32 s33, s19, s25
	s_wait_alu 0xfffe
	s_add_co_u32 s13, s22, s13
	s_add_co_ci_u32 s28, s23, s9
	s_mul_i32 s24, s19, s25
	s_add_co_ci_u32 s25, s33, 0
	s_delay_alu instid0(SALU_CYCLE_1)
	s_add_nc_u64 s[22:23], s[28:29], s[24:25]
	s_mov_b32 s25, s8
	s_add_co_u32 s18, s18, s22
	s_cselect_b32 s9, -1, 0
	s_wait_alu 0xfffe
	s_cmp_lg_u32 s9, 0
	s_add_co_ci_u32 s19, s19, s23
	s_mov_b32 s23, s8
	s_mul_u64 s[20:21], s[20:21], s[18:19]
	s_delay_alu instid0(SALU_CYCLE_1)
	s_mul_hi_u32 s29, s18, s21
	s_mul_i32 s28, s18, s21
	s_mul_hi_u32 s22, s18, s20
	s_mul_i32 s13, s19, s20
	s_add_nc_u64 s[22:23], s[22:23], s[28:29]
	s_mul_hi_u32 s9, s19, s20
	s_mul_hi_u32 s30, s19, s21
	s_wait_alu 0xfffe
	s_add_co_u32 s13, s22, s13
	s_add_co_ci_u32 s24, s23, s9
	s_mul_i32 s20, s19, s21
	s_add_co_ci_u32 s21, s30, 0
	s_mov_b32 s23, s8
	s_add_nc_u64 s[20:21], s[24:25], s[20:21]
	s_delay_alu instid0(SALU_CYCLE_1)
	s_add_co_u32 s9, s18, s20
	s_cselect_b32 s13, -1, 0
	s_wait_alu 0xfffe
	s_cmp_lg_u32 s13, 0
	s_add_co_ci_u32 s13, s19, s21
	s_ashr_i32 s18, s15, 31
	s_delay_alu instid0(SALU_CYCLE_1) | instskip(NEXT) | instid1(SALU_CYCLE_1)
	s_mov_b32 s19, s18
	s_add_nc_u64 s[20:21], s[14:15], s[18:19]
	s_delay_alu instid0(SALU_CYCLE_1)
	s_xor_b64 s[20:21], s[20:21], s[18:19]
	s_wait_alu 0xfffe
	s_mul_hi_u32 s29, s20, s13
	s_mul_i32 s28, s20, s13
	s_mul_hi_u32 s22, s20, s9
	s_mul_hi_u32 s24, s21, s9
	s_mul_i32 s9, s21, s9
	s_add_nc_u64 s[22:23], s[22:23], s[28:29]
	s_mul_hi_u32 s30, s21, s13
	s_wait_alu 0xfffe
	s_add_co_u32 s9, s22, s9
	s_add_co_ci_u32 s24, s23, s24
	s_mul_i32 s28, s21, s13
	s_add_co_ci_u32 s29, s30, 0
	s_delay_alu instid0(SALU_CYCLE_1) | instskip(NEXT) | instid1(SALU_CYCLE_1)
	s_add_nc_u64 s[22:23], s[24:25], s[28:29]
	s_mul_u64 s[24:25], s[16:17], s[22:23]
	s_delay_alu instid0(SALU_CYCLE_1)
	s_sub_co_u32 s9, s20, s24
	s_cselect_b32 s13, -1, 0
	s_sub_co_i32 s20, s21, s25
	s_wait_alu 0xfffe
	s_cmp_lg_u32 s13, 0
	s_sub_co_ci_u32 s20, s20, s17
	s_sub_co_u32 s24, s9, s16
	s_cselect_b32 s28, -1, 0
	s_delay_alu instid0(SALU_CYCLE_1) | instskip(SKIP_2) | instid1(SALU_CYCLE_1)
	s_cmp_lg_u32 s28, 0
	s_add_nc_u64 s[28:29], s[22:23], 1
	s_sub_co_ci_u32 s20, s20, 0
	s_cmp_ge_u32 s20, s17
	s_cselect_b32 s30, -1, 0
	s_cmp_ge_u32 s24, s16
	s_cselect_b32 s24, -1, 0
	s_cmp_eq_u32 s20, s17
	s_cselect_b32 s20, s24, s30
	s_add_nc_u64 s[30:31], s[22:23], 2
	s_cmp_lg_u32 s20, 0
	s_cselect_b32 s20, s30, s28
	s_cselect_b32 s24, s31, s29
	s_cmp_lg_u32 s13, 0
	s_sub_co_ci_u32 s13, s21, s25
	s_wait_alu 0xfffe
	s_cmp_ge_u32 s13, s17
	s_cselect_b32 s21, -1, 0
	s_cmp_ge_u32 s9, s16
	s_cselect_b32 s9, -1, 0
	s_cmp_eq_u32 s13, s17
	s_wait_alu 0xfffe
	s_cselect_b32 s9, s9, s21
	s_wait_alu 0xfffe
	s_cmp_lg_u32 s9, 0
	s_cselect_b32 s17, s24, s23
	s_cselect_b32 s16, s20, s22
	s_xor_b64 s[10:11], s[18:19], s[10:11]
	s_delay_alu instid0(SALU_CYCLE_1) | instskip(NEXT) | instid1(SALU_CYCLE_1)
	s_xor_b64 s[16:17], s[16:17], s[10:11]
	s_sub_nc_u64 s[16:17], s[16:17], s[10:11]
	s_load_b128 s[28:31], s[0:1], 0x1d0
	s_and_not1_b32 vcc_lo, exec_lo, s8
	s_cbranch_vccnz .LBB62_7
.LBB62_6:
	v_cvt_f32_u32_e32 v1, s4
	s_sub_co_i32 s9, 0, s4
	s_mov_b32 s17, 0
	s_delay_alu instid0(VALU_DEP_1) | instskip(NEXT) | instid1(TRANS32_DEP_1)
	v_rcp_iflag_f32_e32 v1, v1
	v_mul_f32_e32 v1, 0x4f7ffffe, v1
	s_delay_alu instid0(VALU_DEP_1) | instskip(NEXT) | instid1(VALU_DEP_1)
	v_cvt_u32_f32_e32 v1, v1
	v_readfirstlane_b32 s8, v1
	s_wait_alu 0xfffe
	s_mul_i32 s9, s9, s8
	s_wait_alu 0xfffe
	s_mul_hi_u32 s9, s8, s9
	s_wait_alu 0xfffe
	s_add_co_i32 s8, s8, s9
	s_wait_alu 0xfffe
	s_mul_hi_u32 s8, s14, s8
	s_wait_alu 0xfffe
	s_mul_i32 s9, s8, s4
	s_add_co_i32 s10, s8, 1
	s_wait_alu 0xfffe
	s_sub_co_i32 s9, s14, s9
	s_wait_alu 0xfffe
	s_sub_co_i32 s11, s9, s4
	s_cmp_ge_u32 s9, s4
	s_cselect_b32 s8, s10, s8
	s_cselect_b32 s9, s11, s9
	s_wait_alu 0xfffe
	s_add_co_i32 s10, s8, 1
	s_cmp_ge_u32 s9, s4
	s_cselect_b32 s16, s10, s8
.LBB62_7:
	s_mov_b32 s8, 0
	s_wait_kmcnt 0x0
	s_mov_b32 s9, s31
	s_wait_alu 0xfffe
	s_cmp_lg_u64 s[8:9], 0
	s_cbranch_scc0 .LBB62_20
; %bb.8:
	s_ashr_i32 s10, s31, 31
	s_mov_b32 s25, s8
	s_mov_b32 s11, s10
	;; [unrolled: 1-line block ×3, first 2 shown]
	s_add_nc_u64 s[18:19], s[30:31], s[10:11]
	s_delay_alu instid0(SALU_CYCLE_1) | instskip(NEXT) | instid1(SALU_CYCLE_1)
	s_xor_b64 s[18:19], s[18:19], s[10:11]
	s_cvt_f32_u32 s9, s18
	s_cvt_f32_u32 s13, s19
	s_sub_nc_u64 s[22:23], 0, s[18:19]
	s_wait_alu 0xfffe
	s_delay_alu instid0(SALU_CYCLE_1) | instskip(SKIP_1) | instid1(SALU_CYCLE_2)
	s_fmamk_f32 s9, s13, 0x4f800000, s9
	s_wait_alu 0xfffe
	v_s_rcp_f32 s9, s9
	s_delay_alu instid0(TRANS32_DEP_1) | instskip(SKIP_1) | instid1(SALU_CYCLE_2)
	s_mul_f32 s9, s9, 0x5f7ffffc
	s_wait_alu 0xfffe
	s_mul_f32 s13, s9, 0x2f800000
	s_wait_alu 0xfffe
	s_delay_alu instid0(SALU_CYCLE_2) | instskip(SKIP_1) | instid1(SALU_CYCLE_2)
	s_trunc_f32 s13, s13
	s_wait_alu 0xfffe
	s_fmamk_f32 s9, s13, 0xcf800000, s9
	s_cvt_u32_f32 s21, s13
	s_wait_alu 0xfffe
	s_delay_alu instid0(SALU_CYCLE_1) | instskip(NEXT) | instid1(SALU_CYCLE_3)
	s_cvt_u32_f32 s20, s9
	s_mul_u64 s[34:35], s[22:23], s[20:21]
	s_delay_alu instid0(SALU_CYCLE_1)
	s_mul_hi_u32 s45, s20, s35
	s_mul_i32 s44, s20, s35
	s_mul_hi_u32 s24, s20, s34
	s_mul_i32 s13, s21, s34
	s_add_nc_u64 s[24:25], s[24:25], s[44:45]
	s_mul_hi_u32 s9, s21, s34
	s_mul_hi_u32 s33, s21, s35
	s_wait_alu 0xfffe
	s_add_co_u32 s13, s24, s13
	s_add_co_ci_u32 s40, s25, s9
	s_mul_i32 s34, s21, s35
	s_add_co_ci_u32 s35, s33, 0
	s_wait_alu 0xfffe
	s_add_nc_u64 s[24:25], s[40:41], s[34:35]
	s_mov_b32 s35, s8
	s_add_co_u32 s20, s20, s24
	s_cselect_b32 s9, -1, 0
	s_wait_alu 0xfffe
	s_cmp_lg_u32 s9, 0
	s_add_co_ci_u32 s21, s21, s25
	s_mov_b32 s25, s8
	s_mul_u64 s[22:23], s[22:23], s[20:21]
	s_delay_alu instid0(SALU_CYCLE_1)
	s_mul_hi_u32 s41, s20, s23
	s_mul_i32 s40, s20, s23
	s_mul_hi_u32 s24, s20, s22
	s_mul_i32 s13, s21, s22
	s_wait_alu 0xfffe
	s_add_nc_u64 s[24:25], s[24:25], s[40:41]
	s_mul_hi_u32 s9, s21, s22
	s_mul_hi_u32 s33, s21, s23
	s_add_co_u32 s13, s24, s13
	s_wait_alu 0xfffe
	s_add_co_ci_u32 s34, s25, s9
	s_mul_i32 s22, s21, s23
	s_add_co_ci_u32 s23, s33, 0
	s_mov_b32 s25, s8
	s_add_nc_u64 s[22:23], s[34:35], s[22:23]
	s_delay_alu instid0(SALU_CYCLE_1)
	s_add_co_u32 s9, s20, s22
	s_cselect_b32 s13, -1, 0
	s_wait_alu 0xfffe
	s_cmp_lg_u32 s13, 0
	s_add_co_ci_u32 s13, s21, s23
	s_xor_b64 s[20:21], s[2:3], 0
	s_mov_b32 s23, s8
	s_wait_alu 0xfffe
	s_mul_hi_u32 s35, s20, s13
	s_mul_i32 s34, s20, s13
	s_mul_hi_u32 s24, s20, s9
	s_mul_hi_u32 s22, s21, s9
	s_mul_i32 s9, s21, s9
	s_add_nc_u64 s[24:25], s[24:25], s[34:35]
	s_mul_hi_u32 s33, s21, s13
	s_wait_alu 0xfffe
	s_add_co_u32 s9, s24, s9
	s_add_co_ci_u32 s22, s25, s22
	s_mul_i32 s34, s21, s13
	s_add_co_ci_u32 s35, s33, 0
	s_delay_alu instid0(SALU_CYCLE_1) | instskip(NEXT) | instid1(SALU_CYCLE_1)
	s_add_nc_u64 s[22:23], s[22:23], s[34:35]
	s_mul_u64 s[24:25], s[18:19], s[22:23]
	s_add_nc_u64 s[34:35], s[22:23], 1
	s_sub_co_u32 s9, s20, s24
	s_cselect_b32 s13, -1, 0
	s_sub_co_i32 s20, s21, s25
	s_wait_alu 0xfffe
	s_cmp_lg_u32 s13, 0
	s_add_nc_u64 s[40:41], s[22:23], 2
	s_sub_co_ci_u32 s20, s20, s19
	s_sub_co_u32 s24, s9, s18
	s_cselect_b32 s33, -1, 0
	s_delay_alu instid0(SALU_CYCLE_1) | instskip(SKIP_1) | instid1(SALU_CYCLE_1)
	s_cmp_lg_u32 s33, 0
	s_sub_co_ci_u32 s20, s20, 0
	s_cmp_ge_u32 s20, s19
	s_cselect_b32 s33, -1, 0
	s_cmp_ge_u32 s24, s18
	s_cselect_b32 s24, -1, 0
	s_cmp_eq_u32 s20, s19
	s_cselect_b32 s20, s24, s33
	s_delay_alu instid0(SALU_CYCLE_1)
	s_cmp_lg_u32 s20, 0
	s_wait_alu 0xfffe
	s_cselect_b32 s20, s40, s34
	s_cselect_b32 s24, s41, s35
	s_cmp_lg_u32 s13, 0
	s_sub_co_ci_u32 s13, s21, s25
	s_wait_alu 0xfffe
	s_cmp_ge_u32 s13, s19
	s_cselect_b32 s21, -1, 0
	s_cmp_ge_u32 s9, s18
	s_cselect_b32 s9, -1, 0
	s_cmp_eq_u32 s13, s19
	s_wait_alu 0xfffe
	s_cselect_b32 s9, s9, s21
	s_wait_alu 0xfffe
	s_cmp_lg_u32 s9, 0
	s_cselect_b32 s19, s24, s23
	s_cselect_b32 s18, s20, s22
	s_xor_b64 s[10:11], 0, s[10:11]
	s_delay_alu instid0(SALU_CYCLE_1) | instskip(NEXT) | instid1(SALU_CYCLE_1)
	s_xor_b64 s[18:19], s[18:19], s[10:11]
	s_sub_nc_u64 s[34:35], s[18:19], s[10:11]
	s_and_not1_b32 vcc_lo, exec_lo, s8
	s_cbranch_vccnz .LBB62_10
.LBB62_9:
	v_cvt_f32_u32_e32 v1, s30
	s_sub_co_i32 s9, 0, s30
	s_mov_b32 s35, 0
	s_delay_alu instid0(VALU_DEP_1) | instskip(NEXT) | instid1(TRANS32_DEP_1)
	v_rcp_iflag_f32_e32 v1, v1
	v_mul_f32_e32 v1, 0x4f7ffffe, v1
	s_delay_alu instid0(VALU_DEP_1) | instskip(NEXT) | instid1(VALU_DEP_1)
	v_cvt_u32_f32_e32 v1, v1
	v_readfirstlane_b32 s8, v1
	s_wait_alu 0xfffe
	s_mul_i32 s9, s9, s8
	s_wait_alu 0xfffe
	s_mul_hi_u32 s9, s8, s9
	s_wait_alu 0xfffe
	s_add_co_i32 s8, s8, s9
	s_wait_alu 0xfffe
	s_mul_hi_u32 s8, s26, s8
	s_wait_alu 0xfffe
	s_mul_i32 s9, s8, s30
	s_add_co_i32 s10, s8, 1
	s_wait_alu 0xfffe
	s_sub_co_i32 s9, s26, s9
	s_wait_alu 0xfffe
	s_sub_co_i32 s11, s9, s30
	s_cmp_ge_u32 s9, s30
	s_cselect_b32 s8, s10, s8
	s_cselect_b32 s9, s11, s9
	s_wait_alu 0xfffe
	s_add_co_i32 s10, s8, 1
	s_cmp_ge_u32 s9, s30
	s_cselect_b32 s34, s10, s8
.LBB62_10:
	s_delay_alu instid0(SALU_CYCLE_1)
	s_or_b64 s[8:9], s[34:35], s[28:29]
	s_mov_b32 s8, 0
	s_wait_alu 0xfffe
	s_cmp_lg_u64 s[8:9], 0
	s_cbranch_scc0 .LBB62_21
; %bb.11:
	s_ashr_i32 s10, s29, 31
	s_mov_b32 s25, s8
	s_mov_b32 s11, s10
	;; [unrolled: 1-line block ×3, first 2 shown]
	s_add_nc_u64 s[18:19], s[28:29], s[10:11]
	s_delay_alu instid0(SALU_CYCLE_1) | instskip(NEXT) | instid1(SALU_CYCLE_1)
	s_xor_b64 s[18:19], s[18:19], s[10:11]
	s_cvt_f32_u32 s9, s18
	s_cvt_f32_u32 s13, s19
	s_sub_nc_u64 s[22:23], 0, s[18:19]
	s_wait_alu 0xfffe
	s_delay_alu instid0(SALU_CYCLE_1) | instskip(SKIP_1) | instid1(SALU_CYCLE_2)
	s_fmamk_f32 s9, s13, 0x4f800000, s9
	s_wait_alu 0xfffe
	v_s_rcp_f32 s9, s9
	s_delay_alu instid0(TRANS32_DEP_1) | instskip(SKIP_1) | instid1(SALU_CYCLE_2)
	s_mul_f32 s9, s9, 0x5f7ffffc
	s_wait_alu 0xfffe
	s_mul_f32 s13, s9, 0x2f800000
	s_wait_alu 0xfffe
	s_delay_alu instid0(SALU_CYCLE_2) | instskip(SKIP_1) | instid1(SALU_CYCLE_2)
	s_trunc_f32 s13, s13
	s_wait_alu 0xfffe
	s_fmamk_f32 s9, s13, 0xcf800000, s9
	s_cvt_u32_f32 s21, s13
	s_wait_alu 0xfffe
	s_delay_alu instid0(SALU_CYCLE_1) | instskip(NEXT) | instid1(SALU_CYCLE_3)
	s_cvt_u32_f32 s20, s9
	s_mul_u64 s[40:41], s[22:23], s[20:21]
	s_wait_alu 0xfffe
	s_mul_hi_u32 s47, s20, s41
	s_mul_i32 s46, s20, s41
	s_mul_hi_u32 s24, s20, s40
	s_mul_i32 s13, s21, s40
	s_add_nc_u64 s[24:25], s[24:25], s[46:47]
	s_mul_hi_u32 s9, s21, s40
	s_mul_hi_u32 s33, s21, s41
	s_wait_alu 0xfffe
	s_add_co_u32 s13, s24, s13
	s_add_co_ci_u32 s44, s25, s9
	s_mul_i32 s40, s21, s41
	s_add_co_ci_u32 s41, s33, 0
	s_wait_alu 0xfffe
	s_add_nc_u64 s[24:25], s[44:45], s[40:41]
	s_mov_b32 s41, s8
	s_add_co_u32 s20, s20, s24
	s_cselect_b32 s9, -1, 0
	s_wait_alu 0xfffe
	s_cmp_lg_u32 s9, 0
	s_add_co_ci_u32 s21, s21, s25
	s_mov_b32 s25, s8
	s_mul_u64 s[22:23], s[22:23], s[20:21]
	s_delay_alu instid0(SALU_CYCLE_1)
	s_mul_hi_u32 s45, s20, s23
	s_mul_i32 s44, s20, s23
	s_mul_hi_u32 s24, s20, s22
	s_mul_i32 s13, s21, s22
	s_add_nc_u64 s[24:25], s[24:25], s[44:45]
	s_mul_hi_u32 s9, s21, s22
	s_mul_hi_u32 s33, s21, s23
	s_wait_alu 0xfffe
	s_add_co_u32 s13, s24, s13
	s_add_co_ci_u32 s40, s25, s9
	s_mul_i32 s22, s21, s23
	s_add_co_ci_u32 s23, s33, 0
	s_mov_b32 s25, s8
	s_wait_alu 0xfffe
	s_add_nc_u64 s[22:23], s[40:41], s[22:23]
	s_delay_alu instid0(SALU_CYCLE_1)
	s_add_co_u32 s9, s20, s22
	s_cselect_b32 s13, -1, 0
	s_wait_alu 0xfffe
	s_cmp_lg_u32 s13, 0
	s_add_co_ci_u32 s13, s21, s23
	s_ashr_i32 s20, s35, 31
	s_delay_alu instid0(SALU_CYCLE_1) | instskip(NEXT) | instid1(SALU_CYCLE_1)
	s_mov_b32 s21, s20
	s_add_nc_u64 s[22:23], s[34:35], s[20:21]
	s_delay_alu instid0(SALU_CYCLE_1)
	s_xor_b64 s[22:23], s[22:23], s[20:21]
	s_wait_alu 0xfffe
	s_mul_hi_u32 s45, s22, s13
	s_mul_i32 s44, s22, s13
	s_mul_hi_u32 s24, s22, s9
	s_mul_hi_u32 s40, s23, s9
	s_mul_i32 s9, s23, s9
	s_add_nc_u64 s[24:25], s[24:25], s[44:45]
	s_mul_hi_u32 s33, s23, s13
	s_wait_alu 0xfffe
	s_add_co_u32 s9, s24, s9
	s_add_co_ci_u32 s40, s25, s40
	s_mul_i32 s44, s23, s13
	s_add_co_ci_u32 s45, s33, 0
	s_wait_alu 0xfffe
	s_add_nc_u64 s[24:25], s[40:41], s[44:45]
	s_delay_alu instid0(SALU_CYCLE_1)
	s_mul_u64 s[40:41], s[18:19], s[24:25]
	s_add_nc_u64 s[44:45], s[24:25], 1
	s_wait_alu 0xfffe
	s_sub_co_u32 s9, s22, s40
	s_cselect_b32 s13, -1, 0
	s_sub_co_i32 s22, s23, s41
	s_wait_alu 0xfffe
	s_cmp_lg_u32 s13, 0
	s_add_nc_u64 s[46:47], s[24:25], 2
	s_sub_co_ci_u32 s22, s22, s19
	s_sub_co_u32 s33, s9, s18
	s_cselect_b32 s40, -1, 0
	s_wait_alu 0xfffe
	s_cmp_lg_u32 s40, 0
	s_sub_co_ci_u32 s22, s22, 0
	s_delay_alu instid0(SALU_CYCLE_1)
	s_cmp_ge_u32 s22, s19
	s_cselect_b32 s40, -1, 0
	s_cmp_ge_u32 s33, s18
	s_cselect_b32 s33, -1, 0
	s_cmp_eq_u32 s22, s19
	s_wait_alu 0xfffe
	s_cselect_b32 s22, s33, s40
	s_delay_alu instid0(SALU_CYCLE_1)
	s_cmp_lg_u32 s22, 0
	s_cselect_b32 s22, s46, s44
	s_cselect_b32 s33, s47, s45
	s_cmp_lg_u32 s13, 0
	s_sub_co_ci_u32 s13, s23, s41
	s_wait_alu 0xfffe
	s_cmp_ge_u32 s13, s19
	s_cselect_b32 s23, -1, 0
	s_cmp_ge_u32 s9, s18
	s_cselect_b32 s9, -1, 0
	s_cmp_eq_u32 s13, s19
	s_wait_alu 0xfffe
	s_cselect_b32 s9, s9, s23
	s_wait_alu 0xfffe
	s_cmp_lg_u32 s9, 0
	s_cselect_b32 s19, s33, s25
	s_cselect_b32 s18, s22, s24
	s_xor_b64 s[10:11], s[20:21], s[10:11]
	s_delay_alu instid0(SALU_CYCLE_1) | instskip(NEXT) | instid1(SALU_CYCLE_1)
	s_xor_b64 s[18:19], s[18:19], s[10:11]
	s_sub_nc_u64 s[40:41], s[18:19], s[10:11]
	s_load_b128 s[44:47], s[0:1], 0x370
	s_and_not1_b32 vcc_lo, exec_lo, s8
	s_cbranch_vccnz .LBB62_13
.LBB62_12:
	v_cvt_f32_u32_e32 v1, s28
	s_sub_co_i32 s9, 0, s28
	s_mov_b32 s41, 0
	s_delay_alu instid0(VALU_DEP_1) | instskip(NEXT) | instid1(TRANS32_DEP_1)
	v_rcp_iflag_f32_e32 v1, v1
	v_mul_f32_e32 v1, 0x4f7ffffe, v1
	s_delay_alu instid0(VALU_DEP_1) | instskip(NEXT) | instid1(VALU_DEP_1)
	v_cvt_u32_f32_e32 v1, v1
	v_readfirstlane_b32 s8, v1
	s_wait_alu 0xfffe
	s_mul_i32 s9, s9, s8
	s_wait_alu 0xfffe
	s_mul_hi_u32 s9, s8, s9
	s_wait_alu 0xfffe
	s_add_co_i32 s8, s8, s9
	s_wait_alu 0xfffe
	s_mul_hi_u32 s8, s34, s8
	s_wait_alu 0xfffe
	s_mul_i32 s9, s8, s28
	s_add_co_i32 s10, s8, 1
	s_wait_alu 0xfffe
	s_sub_co_i32 s9, s34, s9
	s_wait_alu 0xfffe
	s_sub_co_i32 s11, s9, s28
	s_cmp_ge_u32 s9, s28
	s_cselect_b32 s8, s10, s8
	s_cselect_b32 s9, s11, s9
	s_wait_alu 0xfffe
	s_add_co_i32 s10, s8, 1
	s_cmp_ge_u32 s9, s28
	s_cselect_b32 s40, s10, s8
.LBB62_13:
	s_mov_b32 s8, 0
	s_wait_kmcnt 0x0
	s_mov_b32 s9, s47
	s_wait_alu 0xfffe
	s_cmp_lg_u64 s[8:9], 0
	s_cbranch_scc0 .LBB62_22
; %bb.14:
	s_ashr_i32 s10, s47, 31
	s_mov_b32 s25, s8
	s_mov_b32 s11, s10
	;; [unrolled: 1-line block ×3, first 2 shown]
	s_add_nc_u64 s[18:19], s[46:47], s[10:11]
	s_delay_alu instid0(SALU_CYCLE_1) | instskip(NEXT) | instid1(SALU_CYCLE_1)
	s_xor_b64 s[18:19], s[18:19], s[10:11]
	s_cvt_f32_u32 s9, s18
	s_cvt_f32_u32 s13, s19
	s_sub_nc_u64 s[22:23], 0, s[18:19]
	s_wait_alu 0xfffe
	s_delay_alu instid0(SALU_CYCLE_1) | instskip(SKIP_1) | instid1(SALU_CYCLE_2)
	s_fmamk_f32 s9, s13, 0x4f800000, s9
	s_wait_alu 0xfffe
	v_s_rcp_f32 s9, s9
	s_delay_alu instid0(TRANS32_DEP_1) | instskip(SKIP_1) | instid1(SALU_CYCLE_2)
	s_mul_f32 s9, s9, 0x5f7ffffc
	s_wait_alu 0xfffe
	s_mul_f32 s13, s9, 0x2f800000
	s_wait_alu 0xfffe
	s_delay_alu instid0(SALU_CYCLE_2) | instskip(SKIP_1) | instid1(SALU_CYCLE_2)
	s_trunc_f32 s13, s13
	s_wait_alu 0xfffe
	s_fmamk_f32 s9, s13, 0xcf800000, s9
	s_cvt_u32_f32 s21, s13
	s_wait_alu 0xfffe
	s_delay_alu instid0(SALU_CYCLE_1) | instskip(NEXT) | instid1(SALU_CYCLE_3)
	s_cvt_u32_f32 s20, s9
	s_mul_u64 s[48:49], s[22:23], s[20:21]
	s_delay_alu instid0(SALU_CYCLE_1)
	s_mul_hi_u32 s53, s20, s49
	s_mul_i32 s52, s20, s49
	s_mul_hi_u32 s24, s20, s48
	s_mul_i32 s13, s21, s48
	s_add_nc_u64 s[24:25], s[24:25], s[52:53]
	s_mul_hi_u32 s9, s21, s48
	s_mul_hi_u32 s33, s21, s49
	s_wait_alu 0xfffe
	s_add_co_u32 s13, s24, s13
	s_add_co_ci_u32 s50, s25, s9
	s_mul_i32 s48, s21, s49
	s_add_co_ci_u32 s49, s33, 0
	s_delay_alu instid0(SALU_CYCLE_1)
	s_add_nc_u64 s[24:25], s[50:51], s[48:49]
	s_mov_b32 s49, s8
	s_add_co_u32 s20, s20, s24
	s_cselect_b32 s9, -1, 0
	s_wait_alu 0xfffe
	s_cmp_lg_u32 s9, 0
	s_add_co_ci_u32 s21, s21, s25
	s_mov_b32 s25, s8
	s_mul_u64 s[22:23], s[22:23], s[20:21]
	s_delay_alu instid0(SALU_CYCLE_1)
	s_mul_hi_u32 s51, s20, s23
	s_mul_i32 s50, s20, s23
	s_mul_hi_u32 s24, s20, s22
	s_mul_i32 s13, s21, s22
	s_add_nc_u64 s[24:25], s[24:25], s[50:51]
	s_mul_hi_u32 s9, s21, s22
	s_mul_hi_u32 s33, s21, s23
	s_wait_alu 0xfffe
	s_add_co_u32 s13, s24, s13
	s_add_co_ci_u32 s48, s25, s9
	s_mul_i32 s22, s21, s23
	s_add_co_ci_u32 s23, s33, 0
	s_mov_b32 s25, s8
	s_add_nc_u64 s[22:23], s[48:49], s[22:23]
	s_delay_alu instid0(SALU_CYCLE_1)
	s_add_co_u32 s9, s20, s22
	s_cselect_b32 s13, -1, 0
	s_wait_alu 0xfffe
	s_cmp_lg_u32 s13, 0
	s_add_co_ci_u32 s13, s21, s23
	s_xor_b64 s[2:3], s[2:3], 0
	s_mov_b32 s21, s8
	s_wait_alu 0xfffe
	s_mul_hi_u32 s23, s2, s13
	s_mul_i32 s22, s2, s13
	s_mul_hi_u32 s24, s2, s9
	s_mul_hi_u32 s20, s3, s9
	s_mul_i32 s9, s3, s9
	s_add_nc_u64 s[22:23], s[24:25], s[22:23]
	s_mul_hi_u32 s33, s3, s13
	s_wait_alu 0xfffe
	s_add_co_u32 s9, s22, s9
	s_add_co_ci_u32 s20, s23, s20
	s_mul_i32 s24, s3, s13
	s_add_co_ci_u32 s25, s33, 0
	s_delay_alu instid0(SALU_CYCLE_1) | instskip(NEXT) | instid1(SALU_CYCLE_1)
	s_add_nc_u64 s[20:21], s[20:21], s[24:25]
	s_mul_u64 s[22:23], s[18:19], s[20:21]
	s_add_nc_u64 s[48:49], s[20:21], 2
	s_sub_co_u32 s2, s2, s22
	s_cselect_b32 s9, -1, 0
	s_sub_co_i32 s13, s3, s23
	s_wait_alu 0xfffe
	s_cmp_lg_u32 s9, 0
	s_sub_co_ci_u32 s13, s13, s19
	s_sub_co_u32 s22, s2, s18
	s_cselect_b32 s24, -1, 0
	s_delay_alu instid0(SALU_CYCLE_1)
	s_cmp_lg_u32 s24, 0
	s_add_nc_u64 s[24:25], s[20:21], 1
	s_wait_alu 0xfffe
	s_sub_co_ci_u32 s13, s13, 0
	s_wait_alu 0xfffe
	s_cmp_ge_u32 s13, s19
	s_cselect_b32 s33, -1, 0
	s_cmp_ge_u32 s22, s18
	s_cselect_b32 s22, -1, 0
	s_cmp_eq_u32 s13, s19
	s_cselect_b32 s13, s22, s33
	s_wait_alu 0xfffe
	s_cmp_lg_u32 s13, 0
	s_cselect_b32 s13, s48, s24
	s_cselect_b32 s22, s49, s25
	s_cmp_lg_u32 s9, 0
	s_sub_co_ci_u32 s3, s3, s23
	s_delay_alu instid0(SALU_CYCLE_1)
	s_cmp_ge_u32 s3, s19
	s_cselect_b32 s9, -1, 0
	s_cmp_ge_u32 s2, s18
	s_cselect_b32 s2, -1, 0
	s_cmp_eq_u32 s3, s19
	s_wait_alu 0xfffe
	s_cselect_b32 s2, s2, s9
	s_delay_alu instid0(SALU_CYCLE_1) | instskip(SKIP_3) | instid1(SALU_CYCLE_1)
	s_cmp_lg_u32 s2, 0
	s_cselect_b32 s3, s22, s21
	s_cselect_b32 s2, s13, s20
	s_xor_b64 s[10:11], 0, s[10:11]
	s_xor_b64 s[2:3], s[2:3], s[10:11]
	s_delay_alu instid0(SALU_CYCLE_1)
	s_sub_nc_u64 s[56:57], s[2:3], s[10:11]
	s_and_not1_b32 vcc_lo, exec_lo, s8
	s_cbranch_vccnz .LBB62_16
.LBB62_15:
	v_cvt_f32_u32_e32 v1, s46
	s_sub_co_i32 s3, 0, s46
	s_mov_b32 s57, 0
	s_delay_alu instid0(VALU_DEP_1) | instskip(NEXT) | instid1(TRANS32_DEP_1)
	v_rcp_iflag_f32_e32 v1, v1
	v_mul_f32_e32 v1, 0x4f7ffffe, v1
	s_delay_alu instid0(VALU_DEP_1) | instskip(NEXT) | instid1(VALU_DEP_1)
	v_cvt_u32_f32_e32 v1, v1
	v_readfirstlane_b32 s2, v1
	s_mul_i32 s3, s3, s2
	s_delay_alu instid0(SALU_CYCLE_1) | instskip(NEXT) | instid1(SALU_CYCLE_1)
	s_mul_hi_u32 s3, s2, s3
	s_add_co_i32 s2, s2, s3
	s_delay_alu instid0(SALU_CYCLE_1) | instskip(NEXT) | instid1(SALU_CYCLE_1)
	s_mul_hi_u32 s2, s26, s2
	s_mul_i32 s3, s2, s46
	s_add_co_i32 s8, s2, 1
	s_sub_co_i32 s3, s26, s3
	s_delay_alu instid0(SALU_CYCLE_1)
	s_sub_co_i32 s9, s3, s46
	s_cmp_ge_u32 s3, s46
	s_wait_alu 0xfffe
	s_cselect_b32 s2, s8, s2
	s_cselect_b32 s3, s9, s3
	s_add_co_i32 s8, s2, 1
	s_cmp_ge_u32 s3, s46
	s_wait_alu 0xfffe
	s_cselect_b32 s56, s8, s2
.LBB62_16:
	s_clause 0x1
	s_load_b64 s[18:19], s[0:1], 0xe0
	s_load_b128 s[8:11], s[0:1], 0xd0
	s_or_b64 s[2:3], s[56:57], s[44:45]
	s_mov_b32 s2, 0
	s_delay_alu instid0(SALU_CYCLE_1)
	s_cmp_lg_u64 s[2:3], 0
	s_cbranch_scc0 .LBB62_23
; %bb.17:
	s_ashr_i32 s20, s45, 31
	s_mov_b32 s51, s2
	s_mov_b32 s21, s20
	;; [unrolled: 1-line block ×3, first 2 shown]
	s_add_nc_u64 s[22:23], s[44:45], s[20:21]
	s_delay_alu instid0(SALU_CYCLE_1) | instskip(NEXT) | instid1(SALU_CYCLE_1)
	s_xor_b64 s[22:23], s[22:23], s[20:21]
	s_cvt_f32_u32 s3, s22
	s_cvt_f32_u32 s13, s23
	s_sub_nc_u64 s[48:49], 0, s[22:23]
	s_wait_alu 0xfffe
	s_delay_alu instid0(SALU_CYCLE_1) | instskip(NEXT) | instid1(SALU_CYCLE_3)
	s_fmamk_f32 s3, s13, 0x4f800000, s3
	v_s_rcp_f32 s3, s3
	s_delay_alu instid0(TRANS32_DEP_1) | instskip(SKIP_1) | instid1(SALU_CYCLE_2)
	s_mul_f32 s3, s3, 0x5f7ffffc
	s_wait_alu 0xfffe
	s_mul_f32 s13, s3, 0x2f800000
	s_wait_alu 0xfffe
	s_delay_alu instid0(SALU_CYCLE_2) | instskip(SKIP_1) | instid1(SALU_CYCLE_2)
	s_trunc_f32 s13, s13
	s_wait_alu 0xfffe
	s_fmamk_f32 s3, s13, 0xcf800000, s3
	s_cvt_u32_f32 s25, s13
	s_wait_alu 0xfffe
	s_delay_alu instid0(SALU_CYCLE_1) | instskip(NEXT) | instid1(SALU_CYCLE_3)
	s_cvt_u32_f32 s24, s3
	s_mul_u64 s[52:53], s[48:49], s[24:25]
	s_delay_alu instid0(SALU_CYCLE_1)
	s_mul_hi_u32 s59, s24, s53
	s_mul_i32 s58, s24, s53
	s_mul_hi_u32 s50, s24, s52
	s_mul_i32 s13, s25, s52
	s_add_nc_u64 s[50:51], s[50:51], s[58:59]
	s_mul_hi_u32 s3, s25, s52
	s_mul_hi_u32 s33, s25, s53
	s_wait_alu 0xfffe
	s_add_co_u32 s13, s50, s13
	s_add_co_ci_u32 s54, s51, s3
	s_mul_i32 s52, s25, s53
	s_add_co_ci_u32 s53, s33, 0
	s_delay_alu instid0(SALU_CYCLE_1)
	s_add_nc_u64 s[50:51], s[54:55], s[52:53]
	s_mov_b32 s53, s2
	s_add_co_u32 s24, s24, s50
	s_cselect_b32 s3, -1, 0
	s_wait_alu 0xfffe
	s_cmp_lg_u32 s3, 0
	s_add_co_ci_u32 s25, s25, s51
	s_mov_b32 s51, s2
	s_mul_u64 s[48:49], s[48:49], s[24:25]
	s_delay_alu instid0(SALU_CYCLE_1)
	s_mul_hi_u32 s55, s24, s49
	s_mul_i32 s54, s24, s49
	s_mul_hi_u32 s50, s24, s48
	s_mul_i32 s13, s25, s48
	s_add_nc_u64 s[50:51], s[50:51], s[54:55]
	s_mul_hi_u32 s3, s25, s48
	s_mul_hi_u32 s33, s25, s49
	s_wait_alu 0xfffe
	s_add_co_u32 s13, s50, s13
	s_add_co_ci_u32 s52, s51, s3
	s_mul_i32 s48, s25, s49
	s_add_co_ci_u32 s49, s33, 0
	s_mov_b32 s51, s2
	s_add_nc_u64 s[48:49], s[52:53], s[48:49]
	s_delay_alu instid0(SALU_CYCLE_1)
	s_add_co_u32 s3, s24, s48
	s_cselect_b32 s13, -1, 0
	s_wait_alu 0xfffe
	s_cmp_lg_u32 s13, 0
	s_add_co_ci_u32 s13, s25, s49
	s_ashr_i32 s24, s57, 31
	s_delay_alu instid0(SALU_CYCLE_1) | instskip(NEXT) | instid1(SALU_CYCLE_1)
	s_mov_b32 s25, s24
	s_add_nc_u64 s[48:49], s[56:57], s[24:25]
	s_delay_alu instid0(SALU_CYCLE_1)
	s_xor_b64 s[48:49], s[48:49], s[24:25]
	s_wait_alu 0xfffe
	s_mul_hi_u32 s55, s48, s13
	s_mul_i32 s54, s48, s13
	s_mul_hi_u32 s50, s48, s3
	s_mul_hi_u32 s52, s49, s3
	s_mul_i32 s3, s49, s3
	s_add_nc_u64 s[50:51], s[50:51], s[54:55]
	s_mul_hi_u32 s33, s49, s13
	s_wait_alu 0xfffe
	s_add_co_u32 s3, s50, s3
	s_add_co_ci_u32 s52, s51, s52
	s_mul_i32 s54, s49, s13
	s_add_co_ci_u32 s55, s33, 0
	s_delay_alu instid0(SALU_CYCLE_1) | instskip(NEXT) | instid1(SALU_CYCLE_1)
	s_add_nc_u64 s[50:51], s[52:53], s[54:55]
	s_mul_u64 s[52:53], s[22:23], s[50:51]
	s_add_nc_u64 s[54:55], s[50:51], 1
	s_sub_co_u32 s3, s48, s52
	s_cselect_b32 s13, -1, 0
	s_sub_co_i32 s33, s49, s53
	s_wait_alu 0xfffe
	s_cmp_lg_u32 s13, 0
	s_add_nc_u64 s[58:59], s[50:51], 2
	s_sub_co_ci_u32 s33, s33, s23
	s_sub_co_u32 s48, s3, s22
	s_cselect_b32 s52, -1, 0
	s_delay_alu instid0(SALU_CYCLE_1) | instskip(SKIP_1) | instid1(SALU_CYCLE_1)
	s_cmp_lg_u32 s52, 0
	s_sub_co_ci_u32 s33, s33, 0
	s_cmp_ge_u32 s33, s23
	s_cselect_b32 s52, -1, 0
	s_cmp_ge_u32 s48, s22
	s_cselect_b32 s48, -1, 0
	s_cmp_eq_u32 s33, s23
	s_cselect_b32 s33, s48, s52
	s_delay_alu instid0(SALU_CYCLE_1)
	s_cmp_lg_u32 s33, 0
	s_cselect_b32 s33, s58, s54
	s_cselect_b32 s48, s59, s55
	s_cmp_lg_u32 s13, 0
	s_sub_co_ci_u32 s13, s49, s53
	s_wait_alu 0xfffe
	s_cmp_ge_u32 s13, s23
	s_cselect_b32 s49, -1, 0
	s_cmp_ge_u32 s3, s22
	s_cselect_b32 s3, -1, 0
	s_cmp_eq_u32 s13, s23
	s_wait_alu 0xfffe
	s_cselect_b32 s3, s3, s49
	s_wait_alu 0xfffe
	s_cmp_lg_u32 s3, 0
	s_cselect_b32 s23, s48, s51
	s_cselect_b32 s22, s33, s50
	s_xor_b64 s[20:21], s[24:25], s[20:21]
	s_delay_alu instid0(SALU_CYCLE_1) | instskip(NEXT) | instid1(SALU_CYCLE_1)
	s_xor_b64 s[22:23], s[22:23], s[20:21]
	s_sub_nc_u64 s[62:63], s[22:23], s[20:21]
	s_branch .LBB62_24
.LBB62_18:
                                        ; implicit-def: $sgpr14_sgpr15
	s_branch .LBB62_3
.LBB62_19:
                                        ; implicit-def: $sgpr16_sgpr17
	s_load_b128 s[28:31], s[0:1], 0x1d0
	s_branch .LBB62_6
.LBB62_20:
                                        ; implicit-def: $sgpr34_sgpr35
	s_branch .LBB62_9
.LBB62_21:
                                        ; implicit-def: $sgpr40_sgpr41
	s_load_b128 s[44:47], s[0:1], 0x370
	s_branch .LBB62_12
.LBB62_22:
                                        ; implicit-def: $sgpr56_sgpr57
	s_branch .LBB62_15
.LBB62_23:
	s_mov_b32 s2, -1
                                        ; implicit-def: $sgpr62_sgpr63
.LBB62_24:
	s_load_b64 s[20:21], s[0:1], 0x440
                                        ; implicit-def: $vgpr56 : SGPR spill to VGPR lane
	s_and_not1_b32 vcc_lo, exec_lo, s2
	s_wait_kmcnt 0x0
	v_writelane_b32 v56, s20, 0
	v_writelane_b32 v56, s21, 1
	s_load_b128 s[20:23], s[0:1], 0x430
	s_wait_kmcnt 0x0
	v_writelane_b32 v56, s20, 2
	v_writelane_b32 v56, s21, 3
	;; [unrolled: 1-line block ×4, first 2 shown]
	s_load_b64 s[20:21], s[0:1], 0x2a0
	s_wait_kmcnt 0x0
	v_writelane_b32 v56, s20, 6
	v_writelane_b32 v56, s21, 7
	s_load_b128 s[20:23], s[0:1], 0x290
	s_wait_kmcnt 0x0
	v_writelane_b32 v56, s20, 8
	v_writelane_b32 v56, s21, 9
	;; [unrolled: 1-line block ×4, first 2 shown]
	s_cbranch_vccnz .LBB62_26
; %bb.25:
	v_cvt_f32_u32_e32 v1, s44
	s_sub_co_i32 s3, 0, s44
	s_mov_b32 s63, 0
	s_delay_alu instid0(VALU_DEP_1) | instskip(NEXT) | instid1(TRANS32_DEP_1)
	v_rcp_iflag_f32_e32 v1, v1
	v_mul_f32_e32 v1, 0x4f7ffffe, v1
	s_delay_alu instid0(VALU_DEP_1) | instskip(NEXT) | instid1(VALU_DEP_1)
	v_cvt_u32_f32_e32 v1, v1
	v_readfirstlane_b32 s2, v1
	s_wait_alu 0xfffe
	s_mul_i32 s3, s3, s2
	s_wait_alu 0xfffe
	s_mul_hi_u32 s3, s2, s3
	s_wait_alu 0xfffe
	s_add_co_i32 s2, s2, s3
	s_wait_alu 0xfffe
	s_mul_hi_u32 s2, s56, s2
	s_wait_alu 0xfffe
	s_mul_i32 s3, s2, s44
	s_add_co_i32 s13, s2, 1
	s_wait_alu 0xfffe
	s_sub_co_i32 s3, s56, s3
	s_wait_alu 0xfffe
	s_sub_co_i32 s20, s3, s44
	s_cmp_ge_u32 s3, s44
	s_cselect_b32 s2, s13, s2
	s_wait_alu 0xfffe
	s_cselect_b32 s3, s20, s3
	s_add_co_i32 s13, s2, 1
	s_wait_alu 0xfffe
	s_cmp_ge_u32 s3, s44
	s_cselect_b32 s62, s13, s2
.LBB62_26:
	s_load_b64 s[22:23], s[0:1], 0x0
	v_cmp_eq_u32_e64 s2, 0, v0
	s_add_nc_u64 s[20:21], s[0:1], 0x500
	s_mov_b32 s25, 0
	s_and_saveexec_b32 s3, s2
	s_cbranch_execz .LBB62_28
; %bb.27:
	v_dual_mov_b32 v1, 0 :: v_dual_mov_b32 v4, s37
	s_delay_alu instid0(VALU_DEP_1)
	v_dual_mov_b32 v3, s36 :: v_dual_mov_b32 v2, v1
	ds_store_b32 v1, v1 offset:5136
	ds_store_b128 v1, v[1:4] offset:5120
.LBB62_28:
	s_wait_alu 0xfffe
	s_or_b32 exec_lo, exec_lo, s3
	s_clause 0x1
	s_load_b64 s[48:49], s[0:1], 0x360
	s_load_b64 s[0:1], s[0:1], 0x1c0
	v_lshlrev_b32_e32 v39, 3, v0
	v_mad_co_u64_u32 v[4:5], null, s42, v0, 0
	s_mul_u64 s[4:5], s[16:17], s[4:5]
	s_mul_u64 s[6:7], s[14:15], s[6:7]
	v_or_b32_e32 v10, 6, v39
	s_wait_alu 0xfffe
	s_sub_nc_u64 s[4:5], s[14:15], s[4:5]
	v_mbcnt_lo_u32_b32 v34, -1, 0
	v_cmp_gt_u32_e32 vcc_lo, 32, v0
	v_dual_mov_b32 v3, 0 :: v_dual_lshlrev_b32 v16, 2, v0
	v_mad_co_u64_u32 v[21:22], null, s42, v10, 0
	v_lshlrev_b32_e32 v35, 1, v0
	v_mov_b32_e32 v1, v5
	v_lshlrev_b64_e64 v[8:9], v34, -1
	s_wait_dscnt 0x0
	s_barrier_signal -1
	s_wait_kmcnt 0x0
	v_writelane_b32 v56, s48, 12
	v_add_nc_u32_e32 v36, 0xc00, v35
	v_mad_co_u64_u32 v[1:2], null, s43, v0, v[1:2]
	v_add_nc_u32_e32 v2, 2, v0
	v_writelane_b32 v56, s49, 13
	v_not_b32_e32 v37, v8
	v_not_b32_e32 v8, v0
	s_barrier_wait -1
	global_inv scope:SCOPE_SE
	v_writelane_b32 v56, s0, 14
	v_mov_b32_e32 v5, v1
	v_or_b32_e32 v12, 4, v39
	v_or_b32_e32 v13, 2, v39
	v_cmp_lt_i64_e64 s100, 0x600, s[36:37]
	v_writelane_b32 v56, s1, 15
	s_wait_alu 0xfffe
	s_mul_u64 s[0:1], s[4:5], s[10:11]
	s_mul_u64 s[4:5], s[16:17], s[8:9]
	v_lshlrev_b64_e32 v[6:7], 1, v[4:5]
	s_wait_alu 0xfffe
	s_lshl_b64 s[8:9], s[4:5], 1
	s_sub_nc_u64 s[4:5], s[26:27], s[6:7]
	s_wait_alu 0xfffe
	s_add_nc_u64 s[10:11], s[22:23], s[8:9]
	s_lshl_b64 s[6:7], s[0:1], 1
	s_mul_u64 s[0:1], s[4:5], s[18:19]
	s_wait_alu 0xfffe
	s_add_nc_u64 s[4:5], s[10:11], s[6:7]
	s_lshl_b64 s[10:11], s[0:1], 1
	v_cmp_gt_i32_e64 s0, 4, v34
	s_wait_alu 0xfffe
	s_add_nc_u64 s[72:73], s[4:5], s[10:11]
	s_load_b32 s4, s[20:21], 0xc
	v_mad_co_u64_u32 v[23:24], null, s42, v12, 0
	s_and_b32 s33, vcc_lo, s0
	v_add_co_u32 v14, vcc_lo, s72, v6
	s_delay_alu instid0(VALU_DEP_1)
	v_add_co_ci_u32_e64 v15, null, s73, v7, vcc_lo
	v_cmp_gt_i64_e32 vcc_lo, s[36:37], v[2:3]
	v_mad_co_u64_u32 v[25:26], null, s42, v13, 0
	v_mov_b32_e32 v17, v3
	s_add_nc_u64 s[8:9], s[8:9], s[10:11]
	s_mov_b32 s69, s25
	s_wait_alu 0xfffd
	v_cndmask_b32_e64 v2, v2, s36, vcc_lo
	v_cndmask_b32_e64 v9, 0, s37, vcc_lo
	s_wait_alu 0xfffe
	s_add_nc_u64 s[6:7], s[8:9], s[6:7]
	v_cmp_eq_u32_e64 s1, 0, v34
	s_wait_alu 0xfffe
	s_add_nc_u64 s[78:79], s[22:23], s[6:7]
	v_add_co_u32 v8, vcc_lo, v2, v8
	v_mov_b32_e32 v1, v3
	s_wait_alu 0xfffd
	v_add_co_ci_u32_e64 v9, null, -1, v9, vcc_lo
	s_delay_alu instid0(VALU_DEP_3)
	v_and_b32_e32 v18, -2, v8
	s_wait_kmcnt 0x0
	s_and_b32 s68, s4, 0xffff
	s_bfe_u32 s13, s4, 0xb0005
	s_cmp_gt_u32 s68, 31
	s_movk_i32 s4, 0x3e0
	v_add_co_u32 v20, vcc_lo, v18, v0
	s_wait_alu 0xfffd
	v_add_co_ci_u32_e64 v2, null, 0, v9, vcc_lo
	v_mov_b32_e32 v2, v22
	s_cselect_b32 s101, -1, 0
	s_cmp_lt_u32 ttmp9, s12
	s_wait_alu 0xfffe
	v_and_or_b32 v38, v0, s4, 0xc00
	s_cselect_b32 s24, 12, 18
	v_mad_co_u64_u32 v[10:11], null, s43, v10, v[2:3]
	v_mov_b32_e32 v19, v9
	s_add_co_i32 s5, s13, -1
	s_bfe_u32 s104, s68, 0x30005
	s_wait_alu 0xfffe
	s_and_b32 s5, s5, 0xffff
	v_cmp_lt_u64_e64 s4, 1, v[8:9]
	s_wait_alu 0xfffe
	s_cmp_gt_u32 s5, 6
	v_mov_b32_e32 v22, v10
	v_cmp_ne_u64_e64 s5, v[8:9], v[18:19]
	v_dual_mov_b32 v8, v24 :: v_dual_mov_b32 v9, v26
	v_mov_b32_e32 v28, s38
	s_cselect_b32 vcc_hi, -1, 0
	s_and_b32 s58, s13, 0x7f8
	s_cmp_lg_u32 s104, 0
	v_mad_co_u64_u32 v[11:12], null, s43, v12, v[8:9]
	v_mad_co_u64_u32 v[8:9], null, s43, v13, v[9:10]
	s_cselect_b32 s59, -1, 0
	s_lshl_b64 s[80:81], s[42:43], 1
	v_add_co_u32 v42, s6, s36, v0
	v_mul_lo_u32 v45, 0, s80
	v_add_co_u32 v12, vcc_lo, s78, v6
	v_cmp_gt_i64_e64 s0, s[36:37], v[0:1]
	v_lshlrev_b64_e32 v[26:27], 3, v[4:5]
	v_cmp_gt_u32_e64 s3, 2, v0
	v_dual_mov_b32 v40, v11 :: v_dual_mov_b32 v41, v8
	v_mov_b32_e32 v46, 0x8000
	s_wait_alu 0xf1ff
	v_add_co_ci_u32_e64 v43, null, s37, 0, s6
	v_lshl_or_b32 v44, v34, 3, 0xc00
	s_wait_alu 0xfffd
	v_add_co_ci_u32_e64 v13, null, s79, v7, vcc_lo
	v_dual_mov_b32 v29, s39 :: v_dual_mov_b32 v48, 0
	v_dual_mov_b32 v24, 0 :: v_dual_mov_b32 v47, 0
	s_add_nc_u64 s[74:75], s[68:69], -1
	s_mul_u64 s[6:7], s[42:43], s[68:69]
	s_add_nc_u64 s[76:77], s[74:75], s[36:37]
	s_mov_b32 s102, s42
	s_mov_b32 s103, s43
	s_lshl_b64 s[82:83], s[42:43], 3
	s_wait_alu 0xfffe
	s_lshl_b64 s[70:71], s[6:7], 1
	s_lshl_b32 s60, s68, 1
	s_mov_b32 s64, 14
	s_movk_i32 s61, 0x3c00
	s_add_nc_u64 s[38:39], s[20:21], s[24:25]
	s_mov_b32 s65, 0
	s_mov_b32 s66, 0
                                        ; implicit-def: $sgpr50
                                        ; implicit-def: $sgpr52
                                        ; implicit-def: $sgpr67
                                        ; implicit-def: $sgpr49
                                        ; implicit-def: $sgpr51
                                        ; implicit-def: $sgpr48
	s_branch .LBB62_32
.LBB62_29:                              ;   in Loop: Header=BB62_32 Depth=1
	s_wait_alu 0xfffe
	s_or_b32 exec_lo, exec_lo, s9
	s_delay_alu instid0(SALU_CYCLE_1)
	s_and_b32 s7, s7, exec_lo
	s_and_not1_b32 s22, s22, exec_lo
	s_and_not1_b32 s21, s21, exec_lo
	s_or_not1_b32 s18, s8, exec_lo
.LBB62_30:                              ;   in Loop: Header=BB62_32 Depth=1
	s_wait_alu 0xfffe
	s_or_b32 exec_lo, exec_lo, s6
	s_delay_alu instid0(SALU_CYCLE_1)
	s_and_not1_b32 s6, s48, exec_lo
	s_and_b32 s7, s7, exec_lo
	s_and_not1_b32 s8, s49, exec_lo
	s_wait_alu 0xfffe
	s_or_b32 s48, s6, s7
	s_and_not1_b32 s6, s51, exec_lo
	s_and_b32 s7, s22, exec_lo
	s_and_b32 s9, s21, exec_lo
	s_wait_alu 0xfffe
	s_or_b32 s51, s6, s7
	s_or_b32 s49, s8, s9
	s_or_not1_b32 s18, s18, exec_lo
.LBB62_31:                              ;   in Loop: Header=BB62_32 Depth=1
	s_wait_alu 0xfffe
	s_or_b32 exec_lo, exec_lo, s17
	s_delay_alu instid0(SALU_CYCLE_1)
	s_and_b32 s6, exec_lo, s18
	v_dual_mov_b32 v29, v9 :: v_dual_mov_b32 v28, v8
	s_wait_alu 0xfffe
	s_or_b32 s65, s6, s65
	s_and_not1_b32 s6, s67, exec_lo
	s_and_b32 s7, s48, exec_lo
	s_and_not1_b32 s8, s52, exec_lo
	s_wait_alu 0xfffe
	s_or_b32 s67, s6, s7
	s_and_b32 s6, s51, exec_lo
	s_and_not1_b32 s7, s50, exec_lo
	s_and_b32 s9, s49, exec_lo
	s_wait_alu 0xfffe
	s_or_b32 s52, s8, s6
	s_or_b32 s50, s7, s9
	s_and_not1_b32 exec_lo, exec_lo, s65
	s_cbranch_execz .LBB62_302
.LBB62_32:                              ; =>This Loop Header: Depth=1
                                        ;     Child Loop BB62_37 Depth 2
                                        ;     Child Loop BB62_51 Depth 2
	;; [unrolled: 1-line block ×17, first 2 shown]
	ds_load_b128 v[4:7], v3 offset:5120
	s_wait_dscnt 0x0
	v_readfirstlane_b32 s85, v5
	v_readfirstlane_b32 s84, v4
	s_wait_alu 0xf1ff
	s_delay_alu instid0(VALU_DEP_1)
	v_cmp_gt_i64_e64 s6, s[84:85], 0
	s_and_b32 vcc_lo, exec_lo, s6
	s_wait_alu 0xfffe
	s_cbranch_vccnz .LBB62_64
; %bb.33:                               ;   in Loop: Header=BB62_32 Depth=1
	s_and_b32 vcc_lo, exec_lo, s100
	s_wait_alu 0xfffe
	s_cbranch_vccz .LBB62_45
; %bb.34:                               ;   in Loop: Header=BB62_32 Depth=1
	v_cmp_gt_i64_e32 vcc_lo, 0x601, v[6:7]
	s_mov_b32 s8, 0
	s_mov_b32 s6, 0
	s_cbranch_vccz .LBB62_46
; %bb.35:                               ;   in Loop: Header=BB62_32 Depth=1
	global_load_u16 v2, v3, s[38:39]
	global_load_u16 v8, v[14:15], off
	s_mov_b32 s9, 0
	s_wait_loadcnt 0x1
	v_and_b32_e32 v2, 0xffff, v2
	s_delay_alu instid0(VALU_DEP_1) | instskip(SKIP_3) | instid1(VALU_DEP_3)
	v_add_co_u32 v4, s6, v0, v2
	s_wait_alu 0xf1fe
	v_add_co_ci_u32_e64 v5, null, 0, 0, s6
	v_mul_lo_u32 v6, v2, s81
	v_mul_lo_u32 v10, s81, v4
	v_mul_hi_u32 v11, v2, s80
	s_delay_alu instid0(VALU_DEP_4) | instskip(SKIP_2) | instid1(VALU_DEP_2)
	v_mul_lo_u32 v7, s80, v5
	v_mad_co_u64_u32 v[4:5], null, s80, v4, s[78:79]
	v_add_nc_u32_e32 v6, v6, v45
	v_add3_u32 v5, v10, v5, v7
	s_delay_alu instid0(VALU_DEP_2)
	v_dual_mov_b32 v7, v1 :: v_dual_add_nc_u32 v10, v6, v11
	v_mul_lo_u32 v9, v2, s80
	v_mov_b32_e32 v6, v0
	s_branch .LBB62_37
.LBB62_36:                              ;   in Loop: Header=BB62_37 Depth=2
	s_wait_alu 0xfffe
	s_or_b32 exec_lo, exec_lo, s7
	v_add_co_u32 v4, vcc_lo, v4, v9
	s_wait_alu 0xfffd
	v_add_co_ci_u32_e64 v5, null, v5, v10, vcc_lo
	v_mov_b32_e32 v8, v11
	s_and_not1_b32 exec_lo, exec_lo, s9
	s_cbranch_execz .LBB62_98
.LBB62_37:                              ;   Parent Loop BB62_32 Depth=1
                                        ; =>  This Inner Loop Header: Depth=2
	s_delay_alu instid0(VALU_DEP_1)
	v_add_co_u32 v6, vcc_lo, v6, v2
	s_wait_alu 0xfffd
	v_add_co_ci_u32_e64 v7, null, 0, v7, vcc_lo
	s_wait_dscnt 0x0
	v_dual_mov_b32 v30, 0 :: v_dual_mov_b32 v11, 0
	s_mov_b32 s7, exec_lo
	s_delay_alu instid0(VALU_DEP_2)
	v_cmp_le_i64_e32 vcc_lo, s[36:37], v[6:7]
	v_cmpx_gt_i64_e64 s[36:37], v[6:7]
	s_cbranch_execz .LBB62_39
; %bb.38:                               ;   in Loop: Header=BB62_37 Depth=2
	global_load_u16 v11, v[4:5], off
.LBB62_39:                              ;   in Loop: Header=BB62_37 Depth=2
	s_wait_alu 0xfffe
	s_or_b32 exec_lo, exec_lo, s7
	s_wait_loadcnt 0x0
	v_cmp_lt_i16_e64 s6, -1, v8
	v_and_b32_e32 v31, 0xffff, v8
	s_wait_alu 0xf1ff
	s_delay_alu instid0(VALU_DEP_2) | instskip(SKIP_1) | instid1(VALU_DEP_2)
	v_cndmask_b32_e64 v32, 0xffff, v46, s6
	v_cmp_o_f16_e64 s6, v8, v8
	v_xor_b32_e32 v31, v32, v31
	s_wait_alu 0xf1ff
	s_delay_alu instid0(VALU_DEP_1) | instskip(NEXT) | instid1(VALU_DEP_1)
	v_cndmask_b32_e64 v31, 0xffff, v31, s6
	v_and_b32_e32 v31, v31, v47
	s_delay_alu instid0(VALU_DEP_1)
	v_cmp_eq_u32_e64 s6, v31, v24
	s_cmp_lg_u32 s6, 0
	s_cselect_b32 s7, -1, 0
	s_wait_alu 0xfffe
	s_and_b32 s7, s1, s7
	s_wait_alu 0xfffe
	s_and_saveexec_b32 s10, s7
	s_cbranch_execz .LBB62_43
; %bb.40:                               ;   in Loop: Header=BB62_37 Depth=2
	s_mov_b32 s13, exec_lo
	s_bcnt1_i32_b32 s11, s6
	s_wait_alu 0xfffe
	v_mbcnt_lo_u32_b32 v30, s13, 0
	s_mov_b32 s12, exec_lo
                                        ; implicit-def: $vgpr31
	s_delay_alu instid0(VALU_DEP_1)
	v_cmpx_eq_u32_e32 0, v30
; %bb.41:                               ;   in Loop: Header=BB62_37 Depth=2
	s_bcnt1_i32_b32 s7, s13
	s_wait_alu 0xfffe
	s_mul_i32 s7, s11, s7
	s_wait_alu 0xfffe
	v_mov_b32_e32 v31, s7
	ds_add_rtn_u32 v31, v3, v31 offset:5136
; %bb.42:                               ;   in Loop: Header=BB62_37 Depth=2
	s_or_b32 exec_lo, exec_lo, s12
	s_wait_dscnt 0x0
	v_readfirstlane_b32 s7, v31
	s_wait_alu 0xf1ff
	s_delay_alu instid0(VALU_DEP_1)
	v_mad_u32_u24 v30, s11, v30, s7
.LBB62_43:                              ;   in Loop: Header=BB62_37 Depth=2
	s_wait_alu 0xfffe
	s_or_b32 exec_lo, exec_lo, s10
	ds_bpermute_b32 v30, v3, v30
	s_and_b32 s7, exec_lo, vcc_lo
	s_wait_alu 0xfffe
	s_or_b32 s9, s7, s9
	s_and_saveexec_b32 s7, s6
	s_cbranch_execz .LBB62_36
; %bb.44:                               ;   in Loop: Header=BB62_37 Depth=2
	v_and_b32_e32 v31, s6, v37
	s_delay_alu instid0(VALU_DEP_1) | instskip(NEXT) | instid1(VALU_DEP_1)
	v_bcnt_u32_b32 v31, v31, 0
	v_lshlrev_b32_e32 v31, 1, v31
	s_wait_dscnt 0x0
	s_delay_alu instid0(VALU_DEP_1)
	v_lshl_add_u32 v30, v30, 1, v31
	ds_store_b16 v30, v8
	s_branch .LBB62_36
.LBB62_45:                              ;   in Loop: Header=BB62_32 Depth=1
	s_mov_b32 s8, -1
	s_mov_b32 s6, 0
.LBB62_46:                              ;   in Loop: Header=BB62_32 Depth=1
	s_wait_alu 0xfffe
	s_and_b32 vcc_lo, exec_lo, s8
	s_wait_alu 0xfffe
	s_cbranch_vccz .LBB62_62
.LBB62_47:                              ;   in Loop: Header=BB62_32 Depth=1
	s_and_saveexec_b32 s7, s0
	s_cbranch_execz .LBB62_59
; %bb.48:                               ;   in Loop: Header=BB62_32 Depth=1
	global_load_u16 v4, v3, s[38:39]
	global_load_u16 v30, v[14:15], off
	v_mov_b32_e32 v6, v0
	s_mov_b32 s12, exec_lo
	s_wait_loadcnt 0x1
	v_and_b32_e32 v2, 0xffff, v4
	v_readfirstlane_b32 s6, v4
	s_delay_alu instid0(VALU_DEP_2) | instskip(NEXT) | instid1(VALU_DEP_1)
	v_add_nc_u32_e32 v2, v2, v0
	v_cmpx_gt_i64_e64 s[36:37], v[2:3]
	s_cbranch_execz .LBB62_58
; %bb.49:                               ;   in Loop: Header=BB62_32 Depth=1
	s_and_b32 s24, s6, 0xffff
	v_dual_mov_b32 v9, v1 :: v_dual_mov_b32 v8, v0
	s_wait_alu 0xfffe
	s_cmp_eq_u32 s24, 1
	v_dual_mov_b32 v5, v3 :: v_dual_mov_b32 v4, v2
	s_cselect_b32 s6, -1, 0
                                        ; implicit-def: $vgpr6_vgpr7
	s_wait_alu 0xfffe
	s_and_b32 s9, s4, s6
	s_mov_b32 s6, -1
	s_wait_alu 0xfffe
	s_and_saveexec_b32 s8, s9
	s_cbranch_execz .LBB62_53
; %bb.50:                               ;   in Loop: Header=BB62_32 Depth=1
	v_add_co_u32 v4, s6, v2, 1
	s_wait_alu 0xf1ff
	v_add_co_ci_u32_e64 v5, null, 0, 0, s6
	s_wait_loadcnt 0x0
	v_dual_mov_b32 v8, v18 :: v_dual_lshlrev_b32 v11, 16, v30
	v_dual_mov_b32 v9, v19 :: v_dual_mov_b32 v10, v35
	s_delay_alu instid0(VALU_DEP_3)
	v_mov_b32_e32 v7, v5
	v_dual_mov_b32 v6, v4 :: v_dual_mov_b32 v5, v3
	v_mov_b32_e32 v4, v2
	s_mov_b32 s9, 0
.LBB62_51:                              ;   Parent Loop BB62_32 Depth=1
                                        ; =>  This Inner Loop Header: Depth=2
	s_delay_alu instid0(VALU_DEP_2) | instskip(NEXT) | instid1(VALU_DEP_2)
	v_mul_lo_u32 v49, v5, s102
	v_mul_lo_u32 v50, v4, s103
	v_mad_co_u64_u32 v[30:31], null, v4, s102, 0
	v_mul_lo_u32 v51, v7, s42
	v_mul_lo_u32 v52, v6, s43
	v_mad_co_u64_u32 v[32:33], null, v6, s42, 0
	s_delay_alu instid0(VALU_DEP_4) | instskip(NEXT) | instid1(VALU_DEP_2)
	v_add3_u32 v31, v31, v50, v49
	v_add3_u32 v33, v33, v52, v51
	s_delay_alu instid0(VALU_DEP_2) | instskip(NEXT) | instid1(VALU_DEP_2)
	v_lshlrev_b64_e32 v[30:31], 1, v[30:31]
	v_lshlrev_b64_e32 v[32:33], 1, v[32:33]
	s_delay_alu instid0(VALU_DEP_2) | instskip(SKIP_1) | instid1(VALU_DEP_3)
	v_add_co_u32 v30, vcc_lo, s72, v30
	s_wait_alu 0xfffd
	v_add_co_ci_u32_e64 v31, null, s73, v31, vcc_lo
	s_delay_alu instid0(VALU_DEP_3)
	v_add_co_u32 v32, vcc_lo, s72, v32
	s_wait_alu 0xfffd
	v_add_co_ci_u32_e64 v33, null, s73, v33, vcc_lo
	s_clause 0x1
	global_load_u16 v31, v[30:31], off
	global_load_u16 v30, v[32:33], off
	v_add_co_u32 v8, vcc_lo, v8, -2
	s_wait_alu 0xfffd
	v_add_co_ci_u32_e64 v9, null, -1, v9, vcc_lo
	v_add_co_u32 v6, vcc_lo, v6, 2
	s_wait_alu 0xfffd
	v_add_co_ci_u32_e64 v7, null, 0, v7, vcc_lo
	s_delay_alu instid0(VALU_DEP_3) | instskip(SKIP_4) | instid1(VALU_DEP_3)
	v_cmp_eq_u64_e64 s6, 0, v[8:9]
	v_add_co_u32 v4, vcc_lo, v4, 2
	s_wait_alu 0xfffd
	v_add_co_ci_u32_e64 v5, null, 0, v5, vcc_lo
	s_wait_alu 0xfffe
	s_or_b32 s9, s6, s9
	s_wait_loadcnt 0x1
	v_alignbit_b32 v11, v31, v11, 16
	s_wait_loadcnt 0x0
	v_perm_b32 v31, v30, v31, 0x5040100
	ds_store_b32 v10, v11
	v_dual_mov_b32 v11, v31 :: v_dual_add_nc_u32 v10, 4, v10
	s_wait_alu 0xfffe
	s_and_not1_b32 exec_lo, exec_lo, s9
	s_cbranch_execnz .LBB62_51
; %bb.52:                               ;   in Loop: Header=BB62_32 Depth=1
	s_or_b32 exec_lo, exec_lo, s9
	v_add_co_u32 v4, vcc_lo, v2, v18
	s_wait_alu 0xfffd
	v_add_co_ci_u32_e64 v5, null, 0, v19, vcc_lo
	v_dual_mov_b32 v8, v20 :: v_dual_mov_b32 v9, v21
	s_delay_alu instid0(VALU_DEP_3)
	v_add_co_u32 v6, vcc_lo, v4, -1
	s_or_not1_b32 s6, s5, exec_lo
	s_wait_alu 0xfffd
	v_add_co_ci_u32_e64 v2, null, -1, v5, vcc_lo
.LBB62_53:                              ;   in Loop: Header=BB62_32 Depth=1
	s_wait_alu 0xfffe
	s_or_b32 exec_lo, exec_lo, s8
	s_and_saveexec_b32 s13, s6
	s_cbranch_execz .LBB62_57
; %bb.54:                               ;   in Loop: Header=BB62_32 Depth=1
	v_mad_co_u64_u32 v[10:11], null, s80, v4, s[78:79]
	v_mul_lo_u32 v2, s80, v5
	v_mul_lo_u32 v6, s81, v4
	s_sub_nc_u64 s[8:9], 0, s[24:25]
	s_mul_u64 s[10:11], s[80:81], s[24:25]
	s_mov_b32 s14, 0
	s_delay_alu instid0(VALU_DEP_1)
	v_add3_u32 v11, v6, v11, v2
.LBB62_55:                              ;   Parent Loop BB62_32 Depth=1
                                        ; =>  This Inner Loop Header: Depth=2
	s_wait_loadcnt 0x0
	v_mov_b32_e32 v2, v30
	global_load_u16 v30, v[10:11], off
	v_dual_mov_b32 v32, v5 :: v_dual_lshlrev_b32 v7, 1, v8
	v_mov_b32_e32 v31, v4
	ds_store_b16 v7, v2
	v_add_co_u32 v4, vcc_lo, v31, s24
	s_wait_alu 0xfffd
	v_add_co_ci_u32_e64 v5, null, 0, v32, vcc_lo
	s_wait_alu 0xfffe
	v_add_co_u32 v10, vcc_lo, v10, s10
	s_wait_alu 0xfffd
	v_add_co_ci_u32_e64 v11, null, s11, v11, vcc_lo
	v_cmp_le_i64_e32 vcc_lo, s[36:37], v[4:5]
	v_add_co_u32 v6, s6, s8, v4
	s_wait_alu 0xf1ff
	v_add_co_ci_u32_e64 v8, null, s9, v5, s6
	v_dual_mov_b32 v8, v31 :: v_dual_mov_b32 v9, v32
	s_or_b32 s14, vcc_lo, s14
	s_wait_alu 0xfffe
	s_and_not1_b32 exec_lo, exec_lo, s14
	s_cbranch_execnz .LBB62_55
; %bb.56:                               ;   in Loop: Header=BB62_32 Depth=1
	s_or_b32 exec_lo, exec_lo, s14
.LBB62_57:                              ;   in Loop: Header=BB62_32 Depth=1
	s_wait_alu 0xfffe
	s_or_b32 exec_lo, exec_lo, s13
.LBB62_58:                              ;   in Loop: Header=BB62_32 Depth=1
	s_wait_alu 0xfffe
	s_or_b32 exec_lo, exec_lo, s12
	v_lshlrev_b32_e32 v2, 1, v6
	s_wait_loadcnt 0x0
	ds_store_b16 v2, v30
.LBB62_59:                              ;   in Loop: Header=BB62_32 Depth=1
	s_wait_alu 0xfffe
	s_or_b32 exec_lo, exec_lo, s7
	s_wait_loadcnt_dscnt 0x0
	s_barrier_signal -1
	s_barrier_wait -1
	global_inv scope:SCOPE_SE
	s_and_saveexec_b32 s6, s2
; %bb.60:                               ;   in Loop: Header=BB62_32 Depth=1
	v_dual_mov_b32 v4, s36 :: v_dual_mov_b32 v5, s37
	ds_store_b64 v3, v[4:5] offset:5120
; %bb.61:                               ;   in Loop: Header=BB62_32 Depth=1
	s_wait_alu 0xfffe
	s_or_b32 exec_lo, exec_lo, s6
	s_mov_b32 s6, -1
	s_wait_loadcnt_dscnt 0x0
	s_barrier_signal -1
	s_barrier_wait -1
.LBB62_62:                              ;   in Loop: Header=BB62_32 Depth=1
	s_wait_alu 0xfffe
	s_and_b32 vcc_lo, exec_lo, s6
	s_wait_alu 0xfffe
	s_cbranch_vccz .LBB62_64
; %bb.63:                               ;   in Loop: Header=BB62_32 Depth=1
	s_wait_loadcnt 0x0
	global_inv scope:SCOPE_SE
	ds_load_b64 v[4:5], v3 offset:5120
	s_wait_dscnt 0x0
	v_readfirstlane_b32 s84, v4
.LBB62_64:                              ;   in Loop: Header=BB62_32 Depth=1
	s_delay_alu instid0(VALU_DEP_1)
	s_cmp_lt_i32 s84, 1
	s_mov_b32 s6, -1
                                        ; implicit-def: $vgpr4_vgpr5
                                        ; implicit-def: $vgpr8_vgpr9
	s_cbranch_scc1 .LBB62_74
; %bb.65:                               ;   in Loop: Header=BB62_32 Depth=1
	s_wait_alu 0xfffe
	s_and_b32 vcc_lo, exec_lo, s6
	s_wait_alu 0xfffe
	s_cbranch_vccnz .LBB62_88
.LBB62_66:                              ;   in Loop: Header=BB62_32 Depth=1
	s_lshl_b32 s6, s66, 7
	s_and_saveexec_b32 s7, s1
	s_cbranch_execz .LBB62_68
.LBB62_67:                              ;   in Loop: Header=BB62_32 Depth=1
	s_wait_alu 0xfffe
	v_lshl_add_u32 v2, s6, 3, v38
	ds_store_b128 v2, v[4:7]
	ds_store_b128 v2, v[8:11] offset:16
.LBB62_68:                              ;   in Loop: Header=BB62_32 Depth=1
	s_wait_alu 0xfffe
	s_or_b32 exec_lo, exec_lo, s7
	s_wait_loadcnt_dscnt 0x0
	s_barrier_signal -1
	s_barrier_wait -1
	global_inv scope:SCOPE_SE
	s_and_saveexec_b32 s7, s33
	s_cbranch_execz .LBB62_105
; %bb.69:                               ;   in Loop: Header=BB62_32 Depth=1
	v_mov_b32_e32 v4, 0
	v_mov_b32_e32 v5, 0
	s_and_not1_b32 vcc_lo, exec_lo, s101
	s_wait_alu 0xfffe
	s_cbranch_vccnz .LBB62_104
; %bb.70:                               ;   in Loop: Header=BB62_32 Depth=1
	v_mov_b32_e32 v4, 0
	v_mov_b32_e32 v5, 0
	s_and_not1_b32 vcc_lo, exec_lo, vcc_hi
	s_wait_alu 0xfffe
	s_cbranch_vccnz .LBB62_101
; %bb.71:                               ;   in Loop: Header=BB62_32 Depth=1
	v_lshl_add_u32 v2, s66, 10, v44
	s_mov_b32 s8, 0
.LBB62_72:                              ;   Parent Loop BB62_32 Depth=1
                                        ; =>  This Inner Loop Header: Depth=2
	ds_load_2addr_b64 v[6:9], v2 offset1:4
	ds_load_2addr_b64 v[30:33], v2 offset0:8 offset1:12
	ds_load_2addr_b64 v[49:52], v2 offset0:16 offset1:20
	s_wait_alu 0xfffe
	s_add_co_i32 s8, s8, 8
	s_wait_alu 0xfffe
	s_cmp_eq_u32 s58, s8
	s_wait_dscnt 0x2
	v_add_co_u32 v4, vcc_lo, v6, v4
	s_wait_alu 0xfffd
	v_add_co_ci_u32_e64 v5, null, v7, v5, vcc_lo
	s_delay_alu instid0(VALU_DEP_2) | instskip(SKIP_1) | instid1(VALU_DEP_2)
	v_add_co_u32 v8, vcc_lo, v8, v4
	s_wait_alu 0xfffd
	v_add_co_ci_u32_e64 v9, null, v9, v5, vcc_lo
	ds_load_2addr_b64 v[4:7], v2 offset0:24 offset1:28
	s_wait_dscnt 0x2
	v_add_co_u32 v8, vcc_lo, v30, v8
	s_wait_alu 0xfffd
	v_add_co_ci_u32_e64 v9, null, v31, v9, vcc_lo
	v_add_nc_u32_e32 v2, 0x100, v2
	s_delay_alu instid0(VALU_DEP_3) | instskip(SKIP_1) | instid1(VALU_DEP_3)
	v_add_co_u32 v8, vcc_lo, v32, v8
	s_wait_alu 0xfffd
	v_add_co_ci_u32_e64 v9, null, v33, v9, vcc_lo
	s_wait_dscnt 0x1
	s_delay_alu instid0(VALU_DEP_2) | instskip(SKIP_1) | instid1(VALU_DEP_2)
	v_add_co_u32 v8, vcc_lo, v49, v8
	s_wait_alu 0xfffd
	v_add_co_ci_u32_e64 v9, null, v50, v9, vcc_lo
	s_delay_alu instid0(VALU_DEP_2) | instskip(SKIP_1) | instid1(VALU_DEP_2)
	v_add_co_u32 v8, vcc_lo, v51, v8
	s_wait_alu 0xfffd
	v_add_co_ci_u32_e64 v9, null, v52, v9, vcc_lo
	s_wait_dscnt 0x0
	s_delay_alu instid0(VALU_DEP_2) | instskip(SKIP_1) | instid1(VALU_DEP_2)
	v_add_co_u32 v4, vcc_lo, v4, v8
	s_wait_alu 0xfffd
	v_add_co_ci_u32_e64 v5, null, v5, v9, vcc_lo
	s_delay_alu instid0(VALU_DEP_2) | instskip(SKIP_1) | instid1(VALU_DEP_2)
	v_add_co_u32 v4, vcc_lo, v6, v4
	s_wait_alu 0xfffd
	v_add_co_ci_u32_e64 v5, null, v7, v5, vcc_lo
	s_cbranch_scc0 .LBB62_72
; %bb.73:                               ;   in Loop: Header=BB62_32 Depth=1
	s_mov_b32 s8, s58
	s_and_not1_b32 vcc_lo, exec_lo, s59
	s_wait_alu 0xfffe
	s_cbranch_vccz .LBB62_102
	s_branch .LBB62_104
.LBB62_74:                              ;   in Loop: Header=BB62_32 Depth=1
	global_load_u16 v2, v3, s[38:39]
	s_mov_b32 s7, s37
	s_wait_loadcnt 0x0
	v_readfirstlane_b32 s6, v2
	s_wait_alu 0xfffe
	s_and_b32 s8, 0xffff, s6
	s_mov_b32 s6, s25
	s_wait_alu 0xfffe
	s_lshl_b32 s86, s8, 2
	s_cmp_lg_u64 s[6:7], 0
	s_cbranch_scc0 .LBB62_97
; %bb.75:                               ;   in Loop: Header=BB62_32 Depth=1
	s_mov_b32 s87, s25
	s_wait_alu 0xfffe
	s_add_nc_u64 s[6:7], s[86:87], 0
	s_wait_alu 0xfffe
	s_xor_b64 s[6:7], s[6:7], 0
	s_wait_alu 0xfffe
	s_cvt_f32_u32 s8, s6
	s_cvt_f32_u32 s9, s7
	s_sub_nc_u64 s[10:11], 0, s[6:7]
	s_wait_alu 0xfffe
	s_delay_alu instid0(SALU_CYCLE_1) | instskip(SKIP_1) | instid1(SALU_CYCLE_2)
	s_fmamk_f32 s8, s9, 0x4f800000, s8
	s_wait_alu 0xfffe
	v_s_rcp_f32 s8, s8
	s_delay_alu instid0(TRANS32_DEP_1) | instskip(SKIP_1) | instid1(SALU_CYCLE_2)
	s_mul_f32 s8, s8, 0x5f7ffffc
	s_wait_alu 0xfffe
	s_mul_f32 s9, s8, 0x2f800000
	s_wait_alu 0xfffe
	s_delay_alu instid0(SALU_CYCLE_2) | instskip(SKIP_1) | instid1(SALU_CYCLE_2)
	s_trunc_f32 s9, s9
	s_wait_alu 0xfffe
	s_fmamk_f32 s8, s9, 0xcf800000, s8
	s_cvt_u32_f32 s9, s9
	s_wait_alu 0xfffe
	s_delay_alu instid0(SALU_CYCLE_1) | instskip(SKIP_1) | instid1(SALU_CYCLE_2)
	s_cvt_u32_f32 s8, s8
	s_wait_alu 0xfffe
	s_mul_u64 s[12:13], s[10:11], s[8:9]
	s_wait_alu 0xfffe
	s_mul_hi_u32 s15, s8, s13
	s_mul_i32 s14, s8, s13
	s_mul_hi_u32 s24, s8, s12
	s_mul_i32 s17, s9, s12
	s_wait_alu 0xfffe
	s_add_nc_u64 s[14:15], s[24:25], s[14:15]
	s_mul_hi_u32 s16, s9, s12
	s_mul_hi_u32 s18, s9, s13
	s_mul_i32 s12, s9, s13
	s_wait_alu 0xfffe
	s_add_co_u32 s13, s14, s17
	s_add_co_ci_u32 s24, s15, s16
	s_add_co_ci_u32 s13, s18, 0
	s_wait_alu 0xfffe
	s_add_nc_u64 s[12:13], s[24:25], s[12:13]
	s_wait_alu 0xfffe
	s_add_co_u32 s8, s8, s12
	s_cselect_b32 s12, -1, 0
	s_wait_alu 0xfffe
	s_cmp_lg_u32 s12, 0
	s_add_co_ci_u32 s9, s9, s13
	s_wait_alu 0xfffe
	s_mul_u64 s[10:11], s[10:11], s[8:9]
	s_wait_alu 0xfffe
	s_mul_hi_u32 s13, s8, s11
	s_mul_i32 s12, s8, s11
	s_mul_hi_u32 s24, s8, s10
	s_mul_i32 s15, s9, s10
	s_wait_alu 0xfffe
	s_add_nc_u64 s[12:13], s[24:25], s[12:13]
	s_mul_hi_u32 s14, s9, s10
	s_mul_hi_u32 s16, s9, s11
	s_mul_i32 s10, s9, s11
	s_wait_alu 0xfffe
	s_add_co_u32 s11, s12, s15
	s_add_co_ci_u32 s24, s13, s14
	s_add_co_ci_u32 s11, s16, 0
	s_wait_alu 0xfffe
	s_add_nc_u64 s[10:11], s[24:25], s[10:11]
	s_wait_alu 0xfffe
	s_add_co_u32 s14, s8, s10
	s_cselect_b32 s8, -1, 0
	s_wait_alu 0xfffe
	s_cmp_lg_u32 s8, 0
	s_add_co_ci_u32 s15, s9, s11
	s_ashr_i32 s8, s37, 31
	s_wait_alu 0xfffe
	s_mov_b32 s9, s8
	s_wait_alu 0xfffe
	s_add_nc_u64 s[10:11], s[36:37], s[8:9]
	s_wait_alu 0xfffe
	s_xor_b64 s[10:11], s[10:11], s[8:9]
	s_wait_alu 0xfffe
	s_mul_hi_u32 s13, s10, s15
	s_mul_i32 s12, s10, s15
	s_mul_hi_u32 s24, s10, s14
	s_mul_i32 s18, s11, s14
	s_wait_alu 0xfffe
	s_add_nc_u64 s[12:13], s[24:25], s[12:13]
	s_mul_hi_u32 s17, s11, s14
	s_mul_hi_u32 s16, s11, s15
	s_wait_alu 0xfffe
	s_add_co_u32 s12, s12, s18
	s_add_co_ci_u32 s24, s13, s17
	s_mul_i32 s14, s11, s15
	s_add_co_ci_u32 s15, s16, 0
	s_wait_alu 0xfffe
	s_add_nc_u64 s[12:13], s[24:25], s[14:15]
	s_wait_alu 0xfffe
	s_mul_u64 s[12:13], s[6:7], s[12:13]
	s_wait_alu 0xfffe
	s_sub_co_u32 s10, s10, s12
	s_cselect_b32 s12, -1, 0
	s_sub_co_i32 s14, s11, s13
	s_wait_alu 0xfffe
	s_cmp_lg_u32 s12, 0
	s_sub_co_ci_u32 s14, s14, s7
	s_sub_co_u32 s15, s10, s6
	s_cselect_b32 s16, -1, 0
	s_wait_alu 0xfffe
	s_cmp_lg_u32 s16, 0
	s_sub_co_ci_u32 s17, s14, 0
	s_wait_alu 0xfffe
	s_cmp_ge_u32 s17, s7
	s_cselect_b32 s18, -1, 0
	s_cmp_ge_u32 s15, s6
	s_cselect_b32 s19, -1, 0
	s_cmp_eq_u32 s17, s7
	s_wait_alu 0xfffe
	s_cselect_b32 s18, s19, s18
	s_cmp_lg_u32 s16, 0
	s_sub_co_ci_u32 s14, s14, s7
	s_sub_co_u32 s16, s15, s6
	s_cselect_b32 s19, -1, 0
	s_wait_alu 0xfffe
	s_cmp_lg_u32 s19, 0
	s_sub_co_ci_u32 s14, s14, 0
	s_cmp_lg_u32 s18, 0
	s_cselect_b32 s15, s16, s15
	s_wait_alu 0xfffe
	s_cselect_b32 s14, s14, s17
	s_cmp_lg_u32 s12, 0
	s_sub_co_ci_u32 s11, s11, s13
	s_wait_alu 0xfffe
	s_cmp_ge_u32 s11, s7
	s_cselect_b32 s12, -1, 0
	s_cmp_ge_u32 s10, s6
	s_cselect_b32 s6, -1, 0
	s_cmp_eq_u32 s11, s7
	s_wait_alu 0xfffe
	s_cselect_b32 s6, s6, s12
	s_wait_alu 0xfffe
	s_cmp_lg_u32 s6, 0
	s_cselect_b32 s7, s14, s11
	s_cselect_b32 s6, s15, s10
	s_wait_alu 0xfffe
	s_xor_b64 s[6:7], s[6:7], s[8:9]
	s_wait_alu 0xfffe
	s_sub_nc_u64 s[88:89], s[6:7], s[8:9]
	s_cbranch_execnz .LBB62_77
.LBB62_76:                              ;   in Loop: Header=BB62_32 Depth=1
	s_wait_alu 0xfffe
	v_cvt_f32_u32_e32 v4, s86
	s_sub_co_i32 s7, 0, s86
	s_delay_alu instid0(VALU_DEP_1) | instskip(NEXT) | instid1(TRANS32_DEP_1)
	v_rcp_iflag_f32_e32 v4, v4
	v_mul_f32_e32 v4, 0x4f7ffffe, v4
	s_delay_alu instid0(VALU_DEP_1) | instskip(NEXT) | instid1(VALU_DEP_1)
	v_cvt_u32_f32_e32 v4, v4
	v_readfirstlane_b32 s6, v4
	s_wait_alu 0xfffe
	s_mul_i32 s7, s7, s6
	s_wait_alu 0xfffe
	s_mul_hi_u32 s7, s6, s7
	s_wait_alu 0xfffe
	s_add_co_i32 s6, s6, s7
	s_wait_alu 0xfffe
	s_mul_hi_u32 s6, s36, s6
	s_wait_alu 0xfffe
	s_mul_i32 s6, s6, s86
	s_wait_alu 0xfffe
	s_sub_co_i32 s6, s36, s6
	s_wait_alu 0xfffe
	s_sub_co_i32 s7, s6, s86
	s_cmp_ge_u32 s6, s86
	s_wait_alu 0xfffe
	s_cselect_b32 s6, s7, s6
	s_wait_alu 0xfffe
	s_sub_co_i32 s7, s6, s86
	s_cmp_ge_u32 s6, s86
	s_wait_alu 0xfffe
	s_cselect_b32 s24, s7, s6
	s_wait_alu 0xfffe
	s_mov_b64 s[88:89], s[24:25]
.LBB62_77:                              ;   in Loop: Header=BB62_32 Depth=1
	v_mov_b32_e32 v4, 0
	v_dual_mov_b32 v8, 0 :: v_dual_mov_b32 v5, 0
	v_dual_mov_b32 v6, 0 :: v_dual_mov_b32 v9, 0
	;; [unrolled: 1-line block ×3, first 2 shown]
	v_dual_mov_b32 v11, 0 :: v_dual_and_b32 v2, 0xffff, v2
	s_wait_alu 0xfffe
	s_sub_nc_u64 s[90:91], s[36:37], s[88:89]
	s_mov_b32 s53, exec_lo
	s_wait_alu 0xfffe
	v_cmpx_gt_i64_e64 s[90:91], v[16:17]
	s_cbranch_execz .LBB62_81
; %bb.78:                               ;   in Loop: Header=BB62_32 Depth=1
	v_mul_lo_u32 v4, v2, s83
	v_mul_lo_u32 v5, 0, s82
	v_mul_hi_u32 v6, v2, s82
	v_mul_lo_u32 v49, v2, s82
	v_dual_mov_b32 v30, s72 :: v_dual_mov_b32 v33, v17
	v_mov_b32_e32 v32, v16
	s_mov_b64 s[92:93], 0
	v_dual_mov_b32 v31, s73 :: v_dual_add_nc_u32 v4, v4, v5
	s_mov_b32 s54, 0
	s_mov_b64 s[94:95], 0
	s_mov_b64 s[96:97], 0
	;; [unrolled: 1-line block ×3, first 2 shown]
	v_add_nc_u32_e32 v50, v4, v6
.LBB62_79:                              ;   Parent Loop BB62_32 Depth=1
                                        ; =>  This Inner Loop Header: Depth=2
	v_add_co_u32 v4, vcc_lo, v30, v26
	s_wait_alu 0xfffd
	v_add_co_ci_u32_e64 v5, null, v31, v27, vcc_lo
	global_load_u16 v6, v[4:5], off
	v_add_co_u32 v4, vcc_lo, v30, v25
	s_wait_alu 0xfffd
	v_add_co_ci_u32_e64 v5, null, v31, v41, vcc_lo
	global_load_u16 v7, v[4:5], off
	;; [unrolled: 4-line block ×4, first 2 shown]
	s_wait_loadcnt 0x3
	v_cmp_lt_i16_e32 vcc_lo, -1, v6
	v_cmp_o_f16_e64 s6, v6, v6
	v_and_b32_e32 v5, 0xffff, v6
	s_wait_alu 0xfffd
	v_cndmask_b32_e32 v6, 0xffff, v46, vcc_lo
	s_wait_loadcnt 0x2
	v_cmp_lt_i16_e32 vcc_lo, -1, v7
	v_cmp_o_f16_e64 s7, v7, v7
	s_delay_alu instid0(VALU_DEP_3) | instskip(SKIP_3) | instid1(VALU_DEP_2)
	v_xor_b32_e32 v5, v6, v5
	s_wait_alu 0xfffd
	v_dual_cndmask_b32 v7, 0xffff, v46 :: v_dual_and_b32 v6, 0xffff, v7
	s_wait_alu 0xf1ff
	v_cndmask_b32_e64 v5, 0xffff, v5, s6
	s_wait_loadcnt 0x1
	v_cmp_lt_i16_e32 vcc_lo, -1, v8
	v_cmp_o_f16_e64 s8, v8, v8
	v_xor_b32_e32 v6, v7, v6
	s_wait_alu 0xfffd
	v_dual_cndmask_b32 v8, 0xffff, v46 :: v_dual_and_b32 v7, 0xffff, v8
	s_delay_alu instid0(VALU_DEP_2)
	v_cndmask_b32_e64 v6, 0xffff, v6, s7
	s_wait_loadcnt 0x0
	v_cmp_lt_i16_e32 vcc_lo, -1, v4
	v_cmp_o_f16_e64 s9, v4, v4
	v_xor_b32_e32 v7, v8, v7
	v_and_b32_e32 v4, 0xffff, v4
	s_wait_alu 0xfffd
	v_cndmask_b32_e32 v8, 0xffff, v46, vcc_lo
	s_wait_alu 0xf1ff
	v_cndmask_b32_e64 v7, 0xffff, v7, s8
	s_delay_alu instid0(VALU_DEP_2) | instskip(SKIP_2) | instid1(VALU_DEP_3)
	v_xor_b32_e32 v4, v8, v4
	v_and_b32_e32 v8, v5, v47
	v_bfe_u32 v5, v5, s64, 2
	v_cndmask_b32_e64 v4, 0xffff, v4, s9
	s_delay_alu instid0(VALU_DEP_3) | instskip(SKIP_1) | instid1(VALU_DEP_4)
	v_cmp_eq_u32_e32 vcc_lo, v8, v24
	v_and_b32_e32 v8, v6, v47
	v_cmp_eq_u32_e64 s9, 0, v5
	v_cmp_eq_u32_e64 s10, 1, v5
	;; [unrolled: 1-line block ×5, first 2 shown]
	v_and_b32_e32 v8, v7, v47
	v_bfe_u32 v5, v6, s64, 2
	s_and_b32 s9, vcc_lo, s9
	s_and_b32 s10, vcc_lo, s10
	;; [unrolled: 1-line block ×3, first 2 shown]
	v_cmp_eq_u32_e64 s7, v8, v24
	v_and_b32_e32 v8, v4, v47
	v_bfe_u32 v4, v4, s64, 2
	v_cmp_eq_u32_e64 s13, 0, v5
	v_cmp_eq_u32_e64 s14, 1, v5
	;; [unrolled: 1-line block ×4, first 2 shown]
	v_bfe_u32 v5, v7, s64, 2
	v_cmp_eq_u32_e64 s21, 0, v4
	v_cmp_eq_u32_e64 s22, 1, v4
	;; [unrolled: 1-line block ×4, first 2 shown]
	s_wait_alu 0xfffe
	v_cndmask_b32_e64 v4, 0, 1, s9
	v_cmp_eq_u32_e64 s17, 0, v5
	s_and_b32 s13, s6, s13
	v_cmp_eq_u32_e64 s8, v8, v24
	v_cmp_eq_u32_e64 s18, 1, v5
	v_cmp_ne_u32_e64 s9, 0, v4
	s_wait_alu 0xfffe
	v_cndmask_b32_e64 v4, 0, 1, s13
	s_and_b32 s17, s7, s17
	s_and_b32 s21, s8, s21
	;; [unrolled: 1-line block ×4, first 2 shown]
	v_cmp_ne_u32_e64 s13, 0, v4
	s_wait_alu 0xfffe
	v_cndmask_b32_e64 v4, 0, 1, s17
	s_and_b32 s22, s8, s22
	v_cmp_eq_u32_e64 s19, 2, v5
	s_and_b32 s15, s6, s15
	s_and_b32 s23, s8, s23
	v_cmp_ne_u32_e64 s17, 0, v4
	v_cndmask_b32_e64 v4, 0, 1, s21
	s_and_b32 s19, s7, s19
	s_and_b32 s12, vcc_lo, s12
	v_cmp_eq_u32_e64 s20, 3, v5
	s_and_b32 s6, s6, s16
	v_cmp_ne_u32_e64 s21, 0, v4
	v_cndmask_b32_e64 v4, 0, 1, s10
	s_and_b32 s8, s8, s24
	s_and_b32 s7, s7, s20
	v_add_co_u32 v30, s16, v30, v49
	s_delay_alu instid0(VALU_DEP_2) | instskip(SKIP_4) | instid1(VALU_DEP_2)
	v_cmp_ne_u32_e64 s10, 0, v4
	v_cndmask_b32_e64 v4, 0, 1, s14
	s_bcnt1_i32_b32 s9, s9
	s_bcnt1_i32_b32 s13, s13
	v_add_co_ci_u32_e64 v31, null, v31, v50, s16
	v_cmp_ne_u32_e64 s14, 0, v4
	v_cndmask_b32_e64 v4, 0, 1, s18
	s_bcnt1_i32_b32 s16, s17
	s_bcnt1_i32_b32 s10, s10
	s_wait_alu 0xfffe
	s_add_co_i32 s9, s13, s9
	s_bcnt1_i32_b32 s14, s14
	v_cmp_ne_u32_e64 s18, 0, v4
	v_cndmask_b32_e64 v4, 0, 1, s22
	s_bcnt1_i32_b32 s17, s21
	s_wait_alu 0xfffe
	s_add_co_i32 s10, s14, s10
	s_add_co_i32 s9, s9, s16
	s_bcnt1_i32_b32 s18, s18
	v_cmp_ne_u32_e64 s22, 0, v4
	v_cndmask_b32_e64 v4, 0, 1, s11
	s_wait_alu 0xfffe
	s_add_co_i32 s10, s10, s18
	s_add_co_i32 s24, s9, s17
	s_bcnt1_i32_b32 s20, s22
	v_cmp_ne_u32_e64 s11, 0, v4
	v_cndmask_b32_e64 v4, 0, 1, s15
	s_wait_alu 0xfffe
	s_add_nc_u64 s[98:99], s[98:99], s[24:25]
	s_add_co_i32 s24, s10, s20
	s_bcnt1_i32_b32 s11, s11
	v_cmp_ne_u32_e64 s15, 0, v4
	v_cndmask_b32_e64 v4, 0, 1, s19
	s_wait_alu 0xfffe
	s_add_nc_u64 s[96:97], s[96:97], s[24:25]
	s_wait_alu 0xfffe
	v_mov_b32_e32 v6, s96
	s_bcnt1_i32_b32 s15, s15
	v_cmp_ne_u32_e64 s19, 0, v4
	v_cndmask_b32_e64 v4, 0, 1, s23
	s_wait_alu 0xfffe
	s_add_co_i32 s11, s15, s11
	v_mov_b32_e32 v7, s97
	s_bcnt1_i32_b32 s19, s19
	v_cmp_ne_u32_e64 s23, 0, v4
	v_cndmask_b32_e64 v4, 0, 1, s12
	v_add_co_u32 v32, s12, v32, s86
	s_wait_alu 0xfffe
	s_add_co_i32 s11, s11, s19
	s_bcnt1_i32_b32 s21, s23
	v_cmp_ne_u32_e32 vcc_lo, 0, v4
	v_cndmask_b32_e64 v4, 0, 1, s6
	v_add_co_ci_u32_e64 v33, null, 0, v33, s12
	s_wait_alu 0xfffe
	s_add_co_i32 s24, s11, s21
	s_bcnt1_i32_b32 s22, vcc_lo
	v_cmp_ne_u32_e64 s6, 0, v4
	v_cndmask_b32_e64 v4, 0, 1, s7
	s_wait_alu 0xfffe
	s_add_nc_u64 s[94:95], s[94:95], s[24:25]
	v_cmp_le_i64_e64 s12, s[90:91], v[32:33]
	s_wait_alu 0xfffe
	v_mov_b32_e32 v8, s94
	s_bcnt1_i32_b32 s6, s6
	v_cmp_ne_u32_e64 s7, 0, v4
	v_cndmask_b32_e64 v4, 0, 1, s8
	s_wait_alu 0xfffe
	s_add_co_i32 s6, s6, s22
	v_mov_b32_e32 v9, s95
	s_bcnt1_i32_b32 s7, s7
	v_cmp_ne_u32_e64 s8, 0, v4
	s_wait_alu 0xfffe
	s_add_co_i32 s6, s6, s7
	v_dual_mov_b32 v4, s98 :: v_dual_mov_b32 v5, s99
	s_bcnt1_i32_b32 s8, s8
	s_wait_alu 0xfffe
	s_add_co_i32 s24, s6, s8
	s_or_b32 s54, s12, s54
	s_wait_alu 0xfffe
	s_add_nc_u64 s[92:93], s[92:93], s[24:25]
	s_wait_alu 0xfffe
	v_dual_mov_b32 v10, s92 :: v_dual_mov_b32 v11, s93
	s_and_not1_b32 exec_lo, exec_lo, s54
	s_cbranch_execnz .LBB62_79
; %bb.80:                               ;   in Loop: Header=BB62_32 Depth=1
	s_or_b32 exec_lo, exec_lo, s54
.LBB62_81:                              ;   in Loop: Header=BB62_32 Depth=1
	s_delay_alu instid0(SALU_CYCLE_1)
	s_or_b32 exec_lo, exec_lo, s53
	v_add_co_u32 v30, s6, s90, v0
	s_wait_alu 0xf1ff
	v_add_co_ci_u32_e64 v31, null, s91, 0, s6
	s_mov_b32 s10, exec_lo
	v_cmpx_gt_i64_e64 s[36:37], v[30:31]
	s_cbranch_execz .LBB62_87
; %bb.82:                               ;   in Loop: Header=BB62_32 Depth=1
	v_mul_lo_u32 v49, v31, s42
	v_mul_lo_u32 v50, v30, s43
	v_mad_co_u64_u32 v[32:33], null, v30, s42, 0
	v_mul_hi_u32 v53, v2, s80
	s_mov_b32 s11, 0
	s_delay_alu instid0(VALU_DEP_2) | instskip(SKIP_1) | instid1(VALU_DEP_2)
	v_add3_u32 v33, v33, v50, v49
	v_mul_lo_u32 v49, v2, s81
	v_lshlrev_b64_e32 v[32:33], 1, v[32:33]
	s_delay_alu instid0(VALU_DEP_2) | instskip(SKIP_1) | instid1(VALU_DEP_3)
	v_add_nc_u32_e32 v54, v49, v45
	v_mul_lo_u32 v49, v2, s80
	v_add_co_u32 v32, vcc_lo, s72, v32
	s_wait_alu 0xfffd
	s_delay_alu instid0(VALU_DEP_4) | instskip(SKIP_4) | instid1(VALU_DEP_2)
	v_add_co_ci_u32_e64 v33, null, s73, v33, vcc_lo
	global_load_u16 v52, v[32:33], off
	v_add_co_u32 v32, vcc_lo, v42, v2
	s_wait_alu 0xfffd
	v_add_co_ci_u32_e64 v33, null, 0, v43, vcc_lo
	v_sub_co_u32 v32, vcc_lo, v32, s88
	s_wait_alu 0xfffd
	s_delay_alu instid0(VALU_DEP_2) | instskip(NEXT) | instid1(VALU_DEP_2)
	v_subrev_co_ci_u32_e64 v33, null, s89, v33, vcc_lo
	v_mul_lo_u32 v51, s81, v32
	s_delay_alu instid0(VALU_DEP_2) | instskip(SKIP_1) | instid1(VALU_DEP_1)
	v_mul_lo_u32 v50, s80, v33
	v_mad_co_u64_u32 v[32:33], null, s80, v32, s[78:79]
	v_add3_u32 v33, v51, v33, v50
	v_add_nc_u32_e32 v50, v54, v53
	s_branch .LBB62_84
.LBB62_83:                              ;   in Loop: Header=BB62_84 Depth=2
	s_wait_alu 0xfffe
	s_or_b32 exec_lo, exec_lo, s7
	s_wait_loadcnt 0x0
	v_cmp_lt_i16_e64 s6, -1, v52
	v_and_b32_e32 v53, 0xffff, v52
	s_and_b32 s7, exec_lo, vcc_lo
	s_wait_alu 0xfffe
	s_or_b32 s11, s7, s11
	v_cndmask_b32_e64 v54, 0xffff, v46, s6
	v_cmp_o_f16_e64 s6, v52, v52
	s_delay_alu instid0(VALU_DEP_2) | instskip(SKIP_1) | instid1(VALU_DEP_1)
	v_xor_b32_e32 v53, v54, v53
	s_wait_alu 0xf1ff
	v_cndmask_b32_e64 v52, 0xffff, v53, s6
	s_delay_alu instid0(VALU_DEP_1) | instskip(SKIP_1) | instid1(VALU_DEP_2)
	v_and_b32_e32 v53, v52, v47
	v_bfe_u32 v52, v52, s64, 2
	v_cmp_eq_u32_e32 vcc_lo, v53, v24
	s_delay_alu instid0(VALU_DEP_2)
	v_cmp_eq_u32_e64 s6, 0, v52
	v_cmp_eq_u32_e64 s7, 1, v52
	;; [unrolled: 1-line block ×4, first 2 shown]
	s_and_b32 s6, vcc_lo, s6
	s_wait_alu 0xfffe
	v_cndmask_b32_e64 v52, 0, 1, s6
	s_and_b32 s6, vcc_lo, s7
	s_wait_alu 0xfffe
	v_cndmask_b32_e64 v53, 0, 1, s6
	;; [unrolled: 3-line block ×3, first 2 shown]
	s_and_b32 s6, vcc_lo, s9
	v_cmp_ne_u32_e32 vcc_lo, 0, v52
	s_wait_alu 0xfffe
	v_cndmask_b32_e64 v55, 0, 1, s6
	v_cmp_ne_u32_e64 s6, 0, v53
	v_cmp_ne_u32_e64 s7, 0, v54
	v_mov_b32_e32 v52, v51
	s_bcnt1_i32_b32 s9, vcc_lo
	v_cmp_ne_u32_e64 s8, 0, v55
	s_bcnt1_i32_b32 s6, s6
	s_wait_alu 0xfffe
	v_add_co_u32 v4, vcc_lo, v4, s9
	s_bcnt1_i32_b32 s7, s7
	s_wait_alu 0xfffd
	v_add_co_ci_u32_e64 v5, null, 0, v5, vcc_lo
	v_add_co_u32 v6, vcc_lo, v6, s6
	s_wait_alu 0xfffd
	v_add_co_ci_u32_e64 v7, null, 0, v7, vcc_lo
	s_wait_alu 0xfffe
	v_add_co_u32 v8, vcc_lo, v8, s7
	s_bcnt1_i32_b32 s6, s8
	s_wait_alu 0xfffd
	v_add_co_ci_u32_e64 v9, null, 0, v9, vcc_lo
	s_wait_alu 0xfffe
	v_add_co_u32 v10, vcc_lo, v10, s6
	s_wait_alu 0xfffd
	v_add_co_ci_u32_e64 v11, null, 0, v11, vcc_lo
	v_add_co_u32 v32, vcc_lo, v32, v49
	s_wait_alu 0xfffd
	v_add_co_ci_u32_e64 v33, null, v33, v50, vcc_lo
	s_and_not1_b32 exec_lo, exec_lo, s11
	s_cbranch_execz .LBB62_86
.LBB62_84:                              ;   Parent Loop BB62_32 Depth=1
                                        ; =>  This Inner Loop Header: Depth=2
	v_add_co_u32 v30, vcc_lo, v30, v2
	s_wait_alu 0xfffd
	v_add_co_ci_u32_e64 v31, null, 0, v31, vcc_lo
	v_mov_b32_e32 v51, 0
	s_mov_b32 s7, exec_lo
	s_delay_alu instid0(VALU_DEP_2)
	v_cmp_le_i64_e32 vcc_lo, s[36:37], v[30:31]
	v_cmpx_gt_i64_e64 s[36:37], v[30:31]
	s_cbranch_execz .LBB62_83
; %bb.85:                               ;   in Loop: Header=BB62_84 Depth=2
	global_load_u16 v51, v[32:33], off
	s_branch .LBB62_83
.LBB62_86:                              ;   in Loop: Header=BB62_32 Depth=1
	s_or_b32 exec_lo, exec_lo, s11
.LBB62_87:                              ;   in Loop: Header=BB62_32 Depth=1
	s_wait_alu 0xfffe
	s_or_b32 exec_lo, exec_lo, s10
	s_branch .LBB62_66
.LBB62_88:                              ;   in Loop: Header=BB62_32 Depth=1
	global_load_u16 v2, v3, s[38:39]
	v_mov_b32_e32 v6, 0
	v_mov_b32_e32 v8, 0
	v_dual_mov_b32 v10, 0 :: v_dual_mov_b32 v9, 0
	v_mov_b32_e32 v11, 0
	s_mov_b32 s85, exec_lo
	v_mov_b32_e32 v7, 0
	s_wait_loadcnt 0x0
	v_readfirstlane_b32 s6, v2
	v_and_b32_e32 v2, 0xffff, v2
	s_and_b32 s53, 0xffff, s6
	s_delay_alu instid0(SALU_CYCLE_1) | instskip(SKIP_4) | instid1(SALU_CYCLE_1)
	s_lshl_b32 s55, s53, 2
	s_wait_alu 0xfffe
	s_cvt_f32_u32 s6, s55
	s_sub_co_i32 s7, 0, s55
	s_wait_alu 0xfffe
	v_rcp_iflag_f32_e32 v4, s6
	s_delay_alu instid0(TRANS32_DEP_1) | instskip(SKIP_2) | instid1(SALU_CYCLE_2)
	v_readfirstlane_b32 s6, v4
	s_mul_f32 s6, s6, 0x4f7ffffe
	s_wait_alu 0xfffe
	s_cvt_u32_f32 s6, s6
	s_wait_alu 0xfffe
	s_delay_alu instid0(SALU_CYCLE_2)
	s_mul_i32 s7, s7, s6
	s_wait_alu 0xfffe
	s_mul_hi_u32 s7, s6, s7
	s_wait_alu 0xfffe
	s_add_co_i32 s6, s6, s7
	s_wait_alu 0xfffe
	s_mul_hi_u32 s6, s84, s6
	s_wait_alu 0xfffe
	s_mul_i32 s7, s6, s55
	s_add_co_i32 s8, s6, 1
	s_wait_alu 0xfffe
	s_sub_co_i32 s7, s84, s7
	s_wait_alu 0xfffe
	s_sub_co_i32 s9, s7, s55
	s_cmp_ge_u32 s7, s55
	s_cselect_b32 s6, s8, s6
	s_wait_alu 0xfffe
	s_cselect_b32 s7, s9, s7
	s_add_co_i32 s8, s6, 1
	s_wait_alu 0xfffe
	s_cmp_ge_u32 s7, s55
	s_cselect_b32 s54, s8, s6
	s_wait_alu 0xfffe
	v_mul_hi_u32 v5, s54, v2
	v_mul_lo_u32 v4, s54, v2
	s_delay_alu instid0(VALU_DEP_1) | instskip(SKIP_2) | instid1(VALU_DEP_3)
	v_lshlrev_b64_e32 v[30:31], 2, v[4:5]
	v_mov_b32_e32 v4, 0
	v_mov_b32_e32 v5, 0
	v_cmpx_gt_u64_e64 v[30:31], v[16:17]
	s_cbranch_execz .LBB62_92
; %bb.89:                               ;   in Loop: Header=BB62_32 Depth=1
	v_mov_b32_e32 v33, v17
	v_dual_mov_b32 v49, v39 :: v_dual_mov_b32 v32, v16
	s_lshl_b32 s90, s53, 3
	s_mov_b64 s[20:21], 0
	s_mov_b32 s91, 0
	s_mov_b64 s[22:23], 0
	s_mov_b64 s[86:87], 0
	;; [unrolled: 1-line block ×3, first 2 shown]
.LBB62_90:                              ;   Parent Loop BB62_32 Depth=1
                                        ; =>  This Inner Loop Header: Depth=2
	ds_load_b64 v[4:5], v49
	v_add_co_u32 v32, vcc_lo, v32, s55
	s_wait_alu 0xfffd
	v_add_co_ci_u32_e64 v33, null, 0, v33, vcc_lo
	s_delay_alu instid0(VALU_DEP_1)
	v_cmp_ge_u64_e32 vcc_lo, v[32:33], v[30:31]
	s_wait_dscnt 0x0
	v_cmp_lt_i16_e64 s6, -1, v4
	v_lshrrev_b32_e32 v6, 16, v4
	v_and_b32_e32 v7, 0xffff, v4
	v_and_b32_e32 v8, 0xffff, v5
	v_cmp_lt_i16_e64 s7, -1, v5
	v_cmp_o_f16_e64 s8, v5, v5
	v_cmp_o_f16_e64 s9, v4, v4
	v_lshrrev_b32_e32 v4, 16, v5
	s_wait_alu 0xf1ff
	v_cndmask_b32_e64 v5, 0xffff, v46, s6
	v_cmp_lt_i16_e64 s6, -1, v6
	v_cmp_o_f16_e64 s11, v6, v6
	v_cmp_o_f16_e64 s10, v4, v4
	s_delay_alu instid0(VALU_DEP_4) | instskip(SKIP_2) | instid1(VALU_DEP_3)
	v_xor_b32_e32 v5, v5, v7
	v_cndmask_b32_e64 v7, 0xffff, v46, s7
	v_cmp_lt_i16_e64 s7, -1, v4
	v_cndmask_b32_e64 v5, 0xffff, v5, s9
	s_delay_alu instid0(VALU_DEP_3) | instskip(SKIP_2) | instid1(VALU_DEP_2)
	v_xor_b32_e32 v7, v7, v8
	s_wait_alu 0xf1ff
	v_cndmask_b32_e64 v8, 0xffff, v46, s6
	v_cndmask_b32_e64 v7, 0xffff, v7, s8
	s_delay_alu instid0(VALU_DEP_2) | instskip(SKIP_1) | instid1(VALU_DEP_2)
	v_xor_b32_e32 v6, v8, v6
	v_cndmask_b32_e64 v8, 0xffff, v46, s7
	v_cndmask_b32_e64 v6, 0xffff, v6, s11
	s_delay_alu instid0(VALU_DEP_2) | instskip(SKIP_2) | instid1(VALU_DEP_3)
	v_xor_b32_e32 v4, v8, v4
	v_and_b32_e32 v8, v5, v47
	v_bfe_u32 v5, v5, s64, 2
	v_cndmask_b32_e64 v4, 0xffff, v4, s10
	s_delay_alu instid0(VALU_DEP_3)
	v_cmp_eq_u32_e64 s6, v8, v24
	v_and_b32_e32 v8, v7, v47
	v_bfe_u32 v7, v7, s64, 2
	v_cmp_eq_u32_e64 s9, 1, v5
	v_cmp_eq_u32_e64 s8, 0, v5
	;; [unrolled: 1-line block ×5, first 2 shown]
	v_and_b32_e32 v8, v6, v47
	v_cmp_eq_u32_e64 s11, 3, v5
	v_and_b32_e32 v5, v4, v47
	v_bfe_u32 v6, v6, s64, 2
	v_bfe_u32 v4, v4, s64, 2
	v_cmp_eq_u32_e64 s13, 1, v7
	v_cmp_eq_u32_e64 s14, 2, v7
	;; [unrolled: 1-line block ×3, first 2 shown]
	s_and_b32 s92, s7, s12
	s_and_b32 s93, s6, s9
	v_cmp_eq_u32_e64 s16, v8, v24
	v_cmp_eq_u32_e64 s17, v5, v24
	v_cmp_eq_u32_e64 s18, 0, v6
	v_cmp_eq_u32_e64 s19, 0, v4
	s_and_b32 s24, s6, s8
	v_cmp_eq_u32_e64 s8, 1, v6
	v_cmp_eq_u32_e64 s9, 2, v6
	s_and_b32 s95, s6, s10
	v_cmp_eq_u32_e64 s10, 3, v6
	s_wait_alu 0xfffe
	v_cndmask_b32_e64 v5, 0, 1, s92
	v_cndmask_b32_e64 v6, 0, 1, s93
	v_cmp_eq_u32_e64 s12, 1, v4
	s_and_b32 s94, s7, s13
	v_cmp_eq_u32_e64 s13, 2, v4
	s_and_b32 s96, s7, s14
	v_cmp_eq_u32_e64 s14, 3, v4
	v_cndmask_b32_e64 v4, 0, 1, s24
	v_cndmask_b32_e64 v8, 0, 1, s95
	s_and_b32 s11, s6, s11
	s_and_b32 s15, s7, s15
	s_wait_alu 0xfffe
	v_cndmask_b32_e64 v7, 0, 1, s94
	v_cmp_ne_u32_e64 s7, 0, v5
	v_cndmask_b32_e64 v5, 0, 1, s11
	v_cmp_ne_u32_e64 s11, 0, v6
	v_cndmask_b32_e64 v6, 0, 1, s15
	s_and_b32 s15, s16, s18
	s_and_b32 s18, s17, s19
	v_cmp_ne_u32_e64 s6, 0, v4
	v_cndmask_b32_e64 v4, 0, 1, s96
	s_and_b32 s92, s16, s9
	v_cmp_ne_u32_e64 s9, 0, v8
	s_wait_alu 0xfffe
	v_cndmask_b32_e64 v8, 0, 1, s18
	s_and_b32 s19, s16, s8
	s_and_b32 s16, s16, s10
	v_cmp_ne_u32_e64 s8, 0, v7
	v_cndmask_b32_e64 v7, 0, 1, s15
	v_cmp_ne_u32_e64 s10, 0, v4
	s_wait_alu 0xfffe
	v_cndmask_b32_e64 v4, 0, 1, s19
	v_cmp_ne_u32_e64 s15, 0, v8
	v_cndmask_b32_e64 v8, 0, 1, s16
	s_and_b32 s24, s17, s12
	s_and_b32 s93, s17, s13
	v_cmp_ne_u32_e64 s13, 0, v6
	v_cndmask_b32_e64 v6, 0, 1, s92
	s_and_b32 s17, s17, s14
	v_cmp_ne_u32_e64 s14, 0, v7
	v_cmp_ne_u32_e64 s12, 0, v5
	s_wait_alu 0xfffe
	v_cndmask_b32_e64 v5, 0, 1, s24
	v_cmp_ne_u32_e64 s16, 0, v4
	s_bcnt1_i32_b32 s24, s9
	v_cmp_ne_u32_e64 s9, 0, v8
	v_cndmask_b32_e64 v7, 0, 1, s93
	s_bcnt1_i32_b32 s18, s7
	v_cmp_ne_u32_e64 s7, 0, v6
	v_cndmask_b32_e64 v4, 0, 1, s17
	s_bcnt1_i32_b32 s17, s6
	s_bcnt1_i32_b32 s14, s14
	v_cmp_ne_u32_e64 s6, 0, v5
	s_bcnt1_i32_b32 s11, s11
	s_bcnt1_i32_b32 s12, s12
	;; [unrolled: 1-line block ×4, first 2 shown]
	s_wait_alu 0xfffe
	s_add_co_i32 s14, s14, s17
	s_bcnt1_i32_b32 s19, s8
	v_cmp_ne_u32_e64 s8, 0, v7
	s_bcnt1_i32_b32 s15, s15
	s_bcnt1_i32_b32 s7, s7
	s_add_co_i32 s11, s16, s11
	s_add_co_i32 s9, s9, s12
	s_wait_alu 0xfffe
	s_add_co_i32 s12, s14, s18
	s_bcnt1_i32_b32 s92, s10
	v_cmp_ne_u32_e64 s10, 0, v4
	s_bcnt1_i32_b32 s6, s6
	s_add_co_i32 s7, s7, s24
	s_add_co_i32 s11, s11, s19
	s_wait_alu 0xfffe
	s_add_co_i32 s24, s12, s15
	s_bcnt1_i32_b32 s13, s13
	s_bcnt1_i32_b32 s8, s8
	s_add_co_i32 s7, s7, s92
	s_wait_alu 0xfffe
	s_add_nc_u64 s[88:89], s[88:89], s[24:25]
	s_add_co_i32 s24, s11, s6
	s_bcnt1_i32_b32 s10, s10
	s_add_co_i32 s9, s9, s13
	s_wait_alu 0xfffe
	s_add_nc_u64 s[86:87], s[86:87], s[24:25]
	s_add_co_i32 s24, s7, s8
	v_dual_mov_b32 v4, s88 :: v_dual_add_nc_u32 v49, s90, v49
	s_wait_alu 0xfffe
	s_add_nc_u64 s[22:23], s[22:23], s[24:25]
	s_add_co_i32 s24, s9, s10
	v_mov_b32_e32 v6, s86
	s_wait_alu 0xfffe
	s_add_nc_u64 s[20:21], s[20:21], s[24:25]
	v_mov_b32_e32 v8, s22
	s_wait_alu 0xfffe
	v_dual_mov_b32 v10, s20 :: v_dual_mov_b32 v5, s89
	v_mov_b32_e32 v7, s87
	v_mov_b32_e32 v9, s23
	;; [unrolled: 1-line block ×3, first 2 shown]
	s_or_b32 s91, vcc_lo, s91
	s_wait_alu 0xfffe
	s_and_not1_b32 exec_lo, exec_lo, s91
	s_cbranch_execnz .LBB62_90
; %bb.91:                               ;   in Loop: Header=BB62_32 Depth=1
	s_or_b32 exec_lo, exec_lo, s91
.LBB62_92:                              ;   in Loop: Header=BB62_32 Depth=1
	s_delay_alu instid0(SALU_CYCLE_1)
	s_or_b32 exec_lo, exec_lo, s85
	v_add_co_u32 v30, vcc_lo, v30, v0
	s_wait_alu 0xfffd
	v_add_co_ci_u32_e64 v31, null, 0, v31, vcc_lo
	s_and_b32 s24, s84, 0x7fffffff
	s_mov_b32 s11, exec_lo
	s_wait_alu 0xfffe
	v_cmpx_gt_u64_e64 s[24:25], v[30:31]
	s_cbranch_execz .LBB62_96
; %bb.93:                               ;   in Loop: Header=BB62_32 Depth=1
	s_mul_i32 s54, s54, s53
	s_lshl_b32 s13, s53, 1
	s_wait_alu 0xfffe
	v_lshl_add_u32 v32, s54, 3, v35
	s_mov_b32 s12, 0
.LBB62_94:                              ;   Parent Loop BB62_32 Depth=1
                                        ; =>  This Inner Loop Header: Depth=2
	ds_load_u16 v33, v32
	v_add_co_u32 v30, vcc_lo, v30, v2
	s_wait_alu 0xfffd
	v_add_co_ci_u32_e64 v31, null, 0, v31, vcc_lo
	v_add_nc_u32_e32 v32, s13, v32
	s_delay_alu instid0(VALU_DEP_2) | instskip(SKIP_4) | instid1(VALU_DEP_2)
	v_cmp_le_u64_e32 vcc_lo, s[24:25], v[30:31]
	s_wait_dscnt 0x0
	v_cmp_lt_i16_e64 s6, -1, v33
	v_and_b32_e32 v49, 0xffff, v33
	s_wait_alu 0xf1ff
	v_cndmask_b32_e64 v50, 0xffff, v46, s6
	v_cmp_o_f16_e64 s6, v33, v33
	s_delay_alu instid0(VALU_DEP_2) | instskip(SKIP_1) | instid1(VALU_DEP_1)
	v_xor_b32_e32 v49, v50, v49
	s_wait_alu 0xf1ff
	v_cndmask_b32_e64 v33, 0xffff, v49, s6
	s_delay_alu instid0(VALU_DEP_1) | instskip(SKIP_1) | instid1(VALU_DEP_2)
	v_and_b32_e32 v49, v33, v47
	v_bfe_u32 v33, v33, s64, 2
	v_cmp_eq_u32_e64 s6, v49, v24
	s_delay_alu instid0(VALU_DEP_2)
	v_cmp_eq_u32_e64 s7, 0, v33
	v_cmp_eq_u32_e64 s8, 1, v33
	v_cmp_eq_u32_e64 s9, 2, v33
	v_cmp_eq_u32_e64 s10, 3, v33
	s_and_b32 s7, s6, s7
	s_wait_alu 0xfffe
	v_cndmask_b32_e64 v33, 0, 1, s7
	s_and_b32 s7, s6, s8
	s_wait_alu 0xfffe
	v_cndmask_b32_e64 v49, 0, 1, s7
	s_and_b32 s7, s6, s9
	s_and_b32 s6, s6, s10
	s_wait_alu 0xfffe
	v_cndmask_b32_e64 v50, 0, 1, s7
	v_cndmask_b32_e64 v51, 0, 1, s6
	v_cmp_ne_u32_e64 s6, 0, v33
	v_cmp_ne_u32_e64 s7, 0, v49
	s_delay_alu instid0(VALU_DEP_4) | instskip(NEXT) | instid1(VALU_DEP_4)
	v_cmp_ne_u32_e64 s8, 0, v50
	v_cmp_ne_u32_e64 s9, 0, v51
	s_bcnt1_i32_b32 s6, s6
	s_bcnt1_i32_b32 s7, s7
	s_wait_alu 0xfffe
	v_add_co_u32 v4, s6, v4, s6
	s_bcnt1_i32_b32 s8, s8
	v_add_co_ci_u32_e64 v5, null, 0, v5, s6
	v_add_co_u32 v6, s6, v6, s7
	s_bcnt1_i32_b32 s9, s9
	v_add_co_ci_u32_e64 v7, null, 0, v7, s6
	s_wait_alu 0xfffe
	v_add_co_u32 v8, s6, v8, s8
	s_wait_alu 0xf1ff
	v_add_co_ci_u32_e64 v9, null, 0, v9, s6
	v_add_co_u32 v10, s6, v10, s9
	s_wait_alu 0xf1ff
	v_add_co_ci_u32_e64 v11, null, 0, v11, s6
	s_or_b32 s12, vcc_lo, s12
	s_wait_alu 0xfffe
	s_and_not1_b32 exec_lo, exec_lo, s12
	s_cbranch_execnz .LBB62_94
; %bb.95:                               ;   in Loop: Header=BB62_32 Depth=1
	s_or_b32 exec_lo, exec_lo, s12
.LBB62_96:                              ;   in Loop: Header=BB62_32 Depth=1
	s_delay_alu instid0(SALU_CYCLE_1)
	s_or_b32 exec_lo, exec_lo, s11
	s_lshl_b32 s6, s66, 7
	s_and_saveexec_b32 s7, s1
	s_cbranch_execnz .LBB62_67
	s_branch .LBB62_68
.LBB62_97:                              ;   in Loop: Header=BB62_32 Depth=1
                                        ; implicit-def: $sgpr88_sgpr89
	s_branch .LBB62_76
.LBB62_98:                              ;   in Loop: Header=BB62_32 Depth=1
	s_or_b32 exec_lo, exec_lo, s9
	s_wait_dscnt 0x0
	s_barrier_signal -1
	s_barrier_wait -1
	global_inv scope:SCOPE_SE
	s_and_saveexec_b32 s6, s2
	s_cbranch_execz .LBB62_100
; %bb.99:                               ;   in Loop: Header=BB62_32 Depth=1
	ds_load_b32 v4, v3 offset:5136
	s_wait_dscnt 0x0
	v_ashrrev_i32_e32 v5, 31, v4
	ds_store_b64 v3, v[4:5] offset:5120
.LBB62_100:                             ;   in Loop: Header=BB62_32 Depth=1
	s_wait_alu 0xfffe
	s_or_b32 exec_lo, exec_lo, s6
	s_wait_loadcnt_dscnt 0x0
	s_barrier_signal -1
	s_mov_b32 s6, -1
	s_barrier_wait -1
	s_and_b32 vcc_lo, exec_lo, s8
	s_wait_alu 0xfffe
	s_cbranch_vccnz .LBB62_47
	s_branch .LBB62_62
.LBB62_101:                             ;   in Loop: Header=BB62_32 Depth=1
	s_mov_b32 s8, 0
	s_and_not1_b32 vcc_lo, exec_lo, s59
	s_wait_alu 0xfffe
	s_cbranch_vccnz .LBB62_104
.LBB62_102:                             ;   in Loop: Header=BB62_32 Depth=1
	s_lshl_b32 s9, s66, 10
	s_lshl_b32 s8, s8, 5
	s_wait_alu 0xfffe
	v_add3_u32 v2, s9, s8, v44
	s_mov_b32 s8, s104
.LBB62_103:                             ;   Parent Loop BB62_32 Depth=1
                                        ; =>  This Inner Loop Header: Depth=2
	ds_load_b64 v[6:7], v2
	v_add_nc_u32_e32 v2, 32, v2
	s_wait_alu 0xfffe
	s_add_co_i32 s8, s8, -1
	s_wait_alu 0xfffe
	s_cmp_lg_u32 s8, 0
	s_wait_dscnt 0x0
	v_add_co_u32 v4, vcc_lo, v6, v4
	s_wait_alu 0xfffd
	v_add_co_ci_u32_e64 v5, null, v7, v5, vcc_lo
	s_cbranch_scc1 .LBB62_103
.LBB62_104:                             ;   in Loop: Header=BB62_32 Depth=1
	v_add_lshl_u32 v2, s6, v34, 3
	ds_store_b64 v2, v[4:5] offset:3072
.LBB62_105:                             ;   in Loop: Header=BB62_32 Depth=1
	s_wait_alu 0xfffe
	s_or_b32 exec_lo, exec_lo, s7
	s_lshl_b32 s6, s6, 3
	s_wait_loadcnt_dscnt 0x0
	s_wait_alu 0xfffe
	v_mov_b32_e32 v2, s6
	s_barrier_signal -1
	s_barrier_wait -1
	global_inv scope:SCOPE_SE
	v_cmp_eq_u64_e32 vcc_lo, 1, v[28:29]
	ds_load_b128 v[4:7], v2 offset:3072
	ds_load_b128 v[8:11], v2 offset:3088
	s_lshl_b32 s16, 3, s64
	s_mov_b32 s18, -1
	s_wait_alu 0xfffe
	s_not_b32 s20, s16
                                        ; implicit-def: $sgpr22
                                        ; implicit-def: $sgpr21
	s_wait_dscnt 0x1
	v_cmp_eq_u64_e64 s6, 1, v[4:5]
	s_wait_dscnt 0x0
	v_readfirstlane_b32 s10, v8
	v_readfirstlane_b32 s11, v9
	;; [unrolled: 1-line block ×4, first 2 shown]
	s_and_b32 s19, s6, vcc_lo
	s_mov_b32 s6, -1
	s_wait_alu 0xfffe
	s_and_saveexec_b32 s17, s19
	s_cbranch_execz .LBB62_139
; %bb.106:                              ;   in Loop: Header=BB62_32 Depth=1
	ds_load_b64 v[8:9], v3 offset:5120
	s_wait_loadcnt_dscnt 0x0
	s_barrier_signal -1
	s_barrier_wait -1
	global_inv scope:SCOPE_SE
	v_readfirstlane_b32 s12, v8
	v_readfirstlane_b32 s13, v9
	s_and_saveexec_b32 s6, s3
; %bb.107:                              ;   in Loop: Header=BB62_32 Depth=1
	ds_store_b16 v36, v3
; %bb.108:                              ;   in Loop: Header=BB62_32 Depth=1
	s_wait_alu 0xfffe
	s_or_b32 exec_lo, exec_lo, s6
	v_cmp_lt_i64_e64 s6, s[12:13], 1
	v_and_b32_e32 v24, s20, v24
	v_or_b32_e32 v47, s16, v47
	s_mov_b32 s21, -1
	s_mov_b32 s22, 0
	s_mov_b32 s23, 0
	s_and_b32 vcc_lo, exec_lo, s6
	s_mov_b32 s7, -1
	s_wait_loadcnt_dscnt 0x0
	s_barrier_signal -1
	s_barrier_wait -1
	global_inv scope:SCOPE_SE
                                        ; implicit-def: $vgpr48
	s_wait_alu 0xfffe
	s_cbranch_vccz .LBB62_123
; %bb.109:                              ;   in Loop: Header=BB62_32 Depth=1
	s_mov_b32 s6, s25
	s_mov_b32 s7, s77
	s_wait_alu 0xfffe
	s_cmp_lg_u64 s[6:7], 0
	s_cbranch_scc0 .LBB62_166
; %bb.110:                              ;   in Loop: Header=BB62_32 Depth=1
	s_add_nc_u64 s[6:7], s[68:69], 0
	s_wait_alu 0xfffe
	s_xor_b64 s[6:7], s[6:7], 0
	s_wait_alu 0xfffe
	s_cvt_f32_u32 s14, s6
	s_cvt_f32_u32 s15, s7
	s_sub_nc_u64 s[54:55], 0, s[6:7]
	s_wait_alu 0xfffe
	s_delay_alu instid0(SALU_CYCLE_1) | instskip(SKIP_1) | instid1(SALU_CYCLE_2)
	s_fmamk_f32 s14, s15, 0x4f800000, s14
	s_wait_alu 0xfffe
	v_s_rcp_f32 s14, s14
	s_delay_alu instid0(TRANS32_DEP_1) | instskip(SKIP_1) | instid1(SALU_CYCLE_2)
	s_mul_f32 s14, s14, 0x5f7ffffc
	s_wait_alu 0xfffe
	s_mul_f32 s15, s14, 0x2f800000
	s_wait_alu 0xfffe
	s_delay_alu instid0(SALU_CYCLE_2) | instskip(SKIP_1) | instid1(SALU_CYCLE_2)
	s_trunc_f32 s15, s15
	s_wait_alu 0xfffe
	s_fmamk_f32 s14, s15, 0xcf800000, s14
	s_cvt_u32_f32 s15, s15
	s_wait_alu 0xfffe
	s_delay_alu instid0(SALU_CYCLE_1) | instskip(SKIP_1) | instid1(SALU_CYCLE_2)
	s_cvt_u32_f32 s14, s14
	s_wait_alu 0xfffe
	s_mul_u64 s[84:85], s[54:55], s[14:15]
	s_wait_alu 0xfffe
	s_mul_hi_u32 s87, s14, s85
	s_mul_i32 s86, s14, s85
	s_mul_hi_u32 s24, s14, s84
	s_mul_i32 s53, s15, s84
	s_wait_alu 0xfffe
	s_add_nc_u64 s[86:87], s[24:25], s[86:87]
	s_mul_hi_u32 s23, s15, s84
	s_mul_hi_u32 s88, s15, s85
	s_wait_alu 0xfffe
	s_add_co_u32 s24, s86, s53
	s_add_co_ci_u32 s24, s87, s23
	s_mul_i32 s84, s15, s85
	s_add_co_ci_u32 s85, s88, 0
	s_wait_alu 0xfffe
	s_add_nc_u64 s[84:85], s[24:25], s[84:85]
	s_wait_alu 0xfffe
	s_add_co_u32 s14, s14, s84
	s_cselect_b32 s23, -1, 0
	s_wait_alu 0xfffe
	s_cmp_lg_u32 s23, 0
	s_add_co_ci_u32 s15, s15, s85
	s_wait_alu 0xfffe
	s_mul_u64 s[54:55], s[54:55], s[14:15]
	s_wait_alu 0xfffe
	s_mul_hi_u32 s85, s14, s55
	s_mul_i32 s84, s14, s55
	s_mul_hi_u32 s24, s14, s54
	s_mul_i32 s53, s15, s54
	s_wait_alu 0xfffe
	s_add_nc_u64 s[84:85], s[24:25], s[84:85]
	s_mul_hi_u32 s23, s15, s54
	s_mul_hi_u32 s86, s15, s55
	s_wait_alu 0xfffe
	s_add_co_u32 s24, s84, s53
	s_add_co_ci_u32 s24, s85, s23
	s_mul_i32 s54, s15, s55
	s_add_co_ci_u32 s55, s86, 0
	s_wait_alu 0xfffe
	s_add_nc_u64 s[54:55], s[24:25], s[54:55]
	s_wait_alu 0xfffe
	s_add_co_u32 s23, s14, s54
	s_cselect_b32 s14, -1, 0
	s_wait_alu 0xfffe
	s_cmp_lg_u32 s14, 0
	s_add_co_ci_u32 s53, s15, s55
	s_ashr_i32 s14, s77, 31
	s_wait_alu 0xfffe
	s_mov_b32 s15, s14
	s_wait_alu 0xfffe
	s_add_nc_u64 s[54:55], s[76:77], s[14:15]
	s_wait_alu 0xfffe
	s_xor_b64 s[54:55], s[54:55], s[14:15]
	s_wait_alu 0xfffe
	s_mul_hi_u32 s85, s54, s53
	s_mul_i32 s84, s54, s53
	s_mul_hi_u32 s24, s54, s23
	s_mul_hi_u32 s88, s55, s23
	s_mul_i32 s23, s55, s23
	s_wait_alu 0xfffe
	s_add_nc_u64 s[84:85], s[24:25], s[84:85]
	s_mul_hi_u32 s87, s55, s53
	s_wait_alu 0xfffe
	s_add_co_u32 s23, s84, s23
	s_add_co_ci_u32 s24, s85, s88
	s_mul_i32 s86, s55, s53
	s_add_co_ci_u32 s87, s87, 0
	s_wait_alu 0xfffe
	s_add_nc_u64 s[84:85], s[24:25], s[86:87]
	s_wait_alu 0xfffe
	s_mul_u64 s[84:85], s[6:7], s[84:85]
	s_wait_alu 0xfffe
	s_sub_co_u32 s23, s54, s84
	s_cselect_b32 s24, -1, 0
	s_sub_co_i32 s53, s55, s85
	s_wait_alu 0xfffe
	s_cmp_lg_u32 s24, 0
	s_sub_co_ci_u32 s53, s53, s7
	s_sub_co_u32 s54, s23, s6
	s_cselect_b32 s84, -1, 0
	s_wait_alu 0xfffe
	s_cmp_lg_u32 s84, 0
	s_sub_co_ci_u32 s86, s53, 0
	s_wait_alu 0xfffe
	s_cmp_ge_u32 s86, s7
	s_cselect_b32 s87, -1, 0
	s_cmp_ge_u32 s54, s6
	s_cselect_b32 s88, -1, 0
	s_cmp_eq_u32 s86, s7
	s_wait_alu 0xfffe
	s_cselect_b32 s87, s88, s87
	s_cmp_lg_u32 s84, 0
	s_sub_co_ci_u32 s53, s53, s7
	s_sub_co_u32 s84, s54, s6
	s_cselect_b32 s88, -1, 0
	s_wait_alu 0xfffe
	s_cmp_lg_u32 s88, 0
	s_sub_co_ci_u32 s53, s53, 0
	s_cmp_lg_u32 s87, 0
	s_cselect_b32 s54, s84, s54
	s_cselect_b32 s53, s53, s86
	s_cmp_lg_u32 s24, 0
	s_sub_co_ci_u32 s24, s55, s85
	s_wait_alu 0xfffe
	s_cmp_ge_u32 s24, s7
	s_cselect_b32 s55, -1, 0
	s_cmp_ge_u32 s23, s6
	s_cselect_b32 s6, -1, 0
	s_cmp_eq_u32 s24, s7
	s_wait_alu 0xfffe
	s_cselect_b32 s6, s6, s55
	s_wait_alu 0xfffe
	s_cmp_lg_u32 s6, 0
	s_cselect_b32 s7, s53, s24
	s_cselect_b32 s6, s54, s23
	s_wait_alu 0xfffe
	s_xor_b64 s[6:7], s[6:7], s[14:15]
	s_wait_alu 0xfffe
	s_sub_nc_u64 s[6:7], s[6:7], s[14:15]
	s_cbranch_execnz .LBB62_112
.LBB62_111:                             ;   in Loop: Header=BB62_32 Depth=1
	v_cvt_f32_u32_e32 v2, s68
	s_sub_co_i32 s7, 0, s68
	s_delay_alu instid0(VALU_DEP_1) | instskip(NEXT) | instid1(TRANS32_DEP_1)
	v_rcp_iflag_f32_e32 v2, v2
	v_mul_f32_e32 v2, 0x4f7ffffe, v2
	s_delay_alu instid0(VALU_DEP_1) | instskip(NEXT) | instid1(VALU_DEP_1)
	v_cvt_u32_f32_e32 v2, v2
	v_readfirstlane_b32 s6, v2
	s_wait_alu 0xfffe
	s_mul_i32 s7, s7, s6
	s_wait_alu 0xfffe
	s_mul_hi_u32 s7, s6, s7
	s_wait_alu 0xfffe
	s_add_co_i32 s6, s6, s7
	s_wait_alu 0xfffe
	s_mul_hi_u32 s6, s76, s6
	s_wait_alu 0xfffe
	s_mul_i32 s6, s6, s68
	s_wait_alu 0xfffe
	s_sub_co_i32 s6, s76, s6
	s_wait_alu 0xfffe
	s_sub_co_i32 s7, s6, s68
	s_cmp_ge_u32 s6, s68
	s_wait_alu 0xfffe
	s_cselect_b32 s6, s7, s6
	s_wait_alu 0xfffe
	s_sub_co_i32 s7, s6, s68
	s_cmp_ge_u32 s6, s68
	s_wait_alu 0xfffe
	s_cselect_b32 s24, s7, s6
	s_wait_alu 0xfffe
	s_mov_b64 s[6:7], s[24:25]
.LBB62_112:                             ;   in Loop: Header=BB62_32 Depth=1
	s_wait_alu 0xfffe
	s_sub_nc_u64 s[14:15], s[76:77], s[6:7]
	s_mov_b32 s7, 0
	s_mov_b32 s23, 0
	s_mov_b32 s24, exec_lo
                                        ; implicit-def: $vgpr48
	s_wait_alu 0xfffe
	v_cmpx_gt_i64_e64 s[14:15], v[0:1]
	s_cbranch_execz .LBB62_122
; %bb.113:                              ;   in Loop: Header=BB62_32 Depth=1
	v_dual_mov_b32 v8, v12 :: v_dual_mov_b32 v9, v13
	v_dual_mov_b32 v11, v1 :: v_dual_mov_b32 v10, v0
                                        ; implicit-def: $sgpr53
	s_branch .LBB62_117
.LBB62_114:                             ;   in Loop: Header=BB62_117 Depth=2
	s_wait_alu 0xfffe
	s_or_b32 exec_lo, exec_lo, s6
	s_wait_loadcnt_dscnt 0x0
	s_barrier_signal -1
	s_barrier_wait -1
	global_inv scope:SCOPE_SE
	ds_load_b32 v2, v3 offset:3072
	s_wait_loadcnt_dscnt 0x0
	s_barrier_signal -1
	s_barrier_wait -1
	global_inv scope:SCOPE_SE
	v_cmp_neq_f16_e32 vcc_lo, 0, v2
	s_cbranch_vccnz .LBB62_120
; %bb.115:                              ;   in Loop: Header=BB62_117 Depth=2
	v_add_co_u32 v10, vcc_lo, v10, s68
	s_wait_alu 0xfffd
	v_add_co_ci_u32_e64 v11, null, 0, v11, vcc_lo
	v_add_co_u32 v8, s6, v8, s70
	s_wait_alu 0xf1ff
	v_add_co_ci_u32_e64 v9, null, s71, v9, s6
	s_delay_alu instid0(VALU_DEP_3)
	v_cmp_le_i64_e32 vcc_lo, s[14:15], v[10:11]
	s_mov_b32 s6, 0
	s_or_not1_b32 s54, vcc_lo, exec_lo
.LBB62_116:                             ;   in Loop: Header=BB62_117 Depth=2
	s_wait_alu 0xfffe
	s_and_b32 s54, exec_lo, s54
	s_wait_alu 0xfffe
	s_or_b32 s23, s54, s23
	s_and_not1_b32 s53, s53, exec_lo
	s_and_b32 s6, s6, exec_lo
	s_wait_alu 0xfffe
	s_or_b32 s53, s53, s6
	s_and_not1_b32 exec_lo, exec_lo, s23
	s_cbranch_execz .LBB62_121
.LBB62_117:                             ;   Parent Loop BB62_32 Depth=1
                                        ; =>  This Inner Loop Header: Depth=2
	s_mov_b32 s6, exec_lo
	s_delay_alu instid0(VALU_DEP_1)
	v_cmpx_gt_i64_e64 s[36:37], v[10:11]
	s_cbranch_execz .LBB62_114
; %bb.118:                              ;   in Loop: Header=BB62_117 Depth=2
	global_load_u16 v2, v[8:9], off
	s_wait_loadcnt 0x0
	v_cmp_lt_i16_e32 vcc_lo, -1, v2
	v_and_b32_e32 v30, 0xffff, v2
	s_wait_alu 0xfffd
	v_cndmask_b32_e32 v31, 0xffff, v46, vcc_lo
	v_cmp_o_f16_e32 vcc_lo, v2, v2
	s_delay_alu instid0(VALU_DEP_2) | instskip(SKIP_1) | instid1(VALU_DEP_1)
	v_xor_b32_e32 v30, v31, v30
	s_wait_alu 0xfffd
	v_cndmask_b32_e32 v30, 0xffff, v30, vcc_lo
	s_delay_alu instid0(VALU_DEP_1) | instskip(NEXT) | instid1(VALU_DEP_1)
	v_and_b32_e32 v30, v30, v47
	v_cmp_eq_u32_e32 vcc_lo, v30, v24
	s_and_b32 exec_lo, exec_lo, vcc_lo
	s_cbranch_execz .LBB62_114
; %bb.119:                              ;   in Loop: Header=BB62_117 Depth=2
	v_perm_b32 v2, v2, s61, 0x5040100
	ds_store_b32 v3, v2 offset:3072
	s_branch .LBB62_114
.LBB62_120:                             ;   in Loop: Header=BB62_117 Depth=2
	s_mov_b32 s54, -1
	s_mov_b32 s6, -1
                                        ; implicit-def: $vgpr10_vgpr11
                                        ; implicit-def: $vgpr8_vgpr9
	s_branch .LBB62_116
.LBB62_121:                             ;   in Loop: Header=BB62_32 Depth=1
	s_or_b32 exec_lo, exec_lo, s23
	v_lshrrev_b32_e32 v48, 16, v2
	s_and_b32 s23, s53, exec_lo
.LBB62_122:                             ;   in Loop: Header=BB62_32 Depth=1
	s_or_b32 exec_lo, exec_lo, s24
.LBB62_123:                             ;   in Loop: Header=BB62_32 Depth=1
	s_delay_alu instid0(SALU_CYCLE_1)
	s_and_b32 vcc_lo, exec_lo, s7
	s_wait_alu 0xfffe
	s_cbranch_vccz .LBB62_138
; %bb.124:                              ;   in Loop: Header=BB62_32 Depth=1
	s_add_nc_u64 s[6:7], s[12:13], s[74:75]
	s_mov_b32 s14, s25
	s_wait_alu 0xfffe
	s_mov_b32 s15, s7
	s_wait_alu 0xfffe
	s_cmp_lg_u64 s[14:15], 0
	s_cbranch_scc0 .LBB62_167
; %bb.125:                              ;   in Loop: Header=BB62_32 Depth=1
	s_add_nc_u64 s[14:15], s[68:69], 0
	s_wait_alu 0xfffe
	s_xor_b64 s[14:15], s[14:15], 0
	s_wait_alu 0xfffe
	s_cvt_f32_u32 s21, s14
	s_cvt_f32_u32 s22, s15
	s_sub_nc_u64 s[84:85], 0, s[14:15]
	s_wait_alu 0xfffe
	s_delay_alu instid0(SALU_CYCLE_1) | instskip(SKIP_1) | instid1(SALU_CYCLE_2)
	s_fmamk_f32 s21, s22, 0x4f800000, s21
	s_wait_alu 0xfffe
	v_s_rcp_f32 s21, s21
	s_delay_alu instid0(TRANS32_DEP_1) | instskip(SKIP_1) | instid1(SALU_CYCLE_2)
	s_mul_f32 s21, s21, 0x5f7ffffc
	s_wait_alu 0xfffe
	s_mul_f32 s22, s21, 0x2f800000
	s_wait_alu 0xfffe
	s_delay_alu instid0(SALU_CYCLE_2) | instskip(SKIP_1) | instid1(SALU_CYCLE_2)
	s_trunc_f32 s22, s22
	s_wait_alu 0xfffe
	s_fmamk_f32 s21, s22, 0xcf800000, s21
	s_cvt_u32_f32 s55, s22
	s_wait_alu 0xfffe
	s_delay_alu instid0(SALU_CYCLE_1) | instskip(SKIP_1) | instid1(SALU_CYCLE_2)
	s_cvt_u32_f32 s54, s21
	s_wait_alu 0xfffe
	s_mul_u64 s[86:87], s[84:85], s[54:55]
	s_wait_alu 0xfffe
	s_mul_hi_u32 s89, s54, s87
	s_mul_i32 s88, s54, s87
	s_mul_hi_u32 s24, s54, s86
	s_mul_i32 s22, s55, s86
	s_wait_alu 0xfffe
	s_add_nc_u64 s[88:89], s[24:25], s[88:89]
	s_mul_hi_u32 s21, s55, s86
	s_mul_hi_u32 s53, s55, s87
	s_wait_alu 0xfffe
	s_add_co_u32 s22, s88, s22
	s_add_co_ci_u32 s24, s89, s21
	s_mul_i32 s86, s55, s87
	s_add_co_ci_u32 s87, s53, 0
	s_wait_alu 0xfffe
	s_add_nc_u64 s[86:87], s[24:25], s[86:87]
	s_wait_alu 0xfffe
	s_add_co_u32 s54, s54, s86
	s_cselect_b32 s21, -1, 0
	s_wait_alu 0xfffe
	s_cmp_lg_u32 s21, 0
	s_add_co_ci_u32 s55, s55, s87
	s_wait_alu 0xfffe
	s_mul_u64 s[84:85], s[84:85], s[54:55]
	s_wait_alu 0xfffe
	s_mul_hi_u32 s87, s54, s85
	s_mul_i32 s86, s54, s85
	s_mul_hi_u32 s24, s54, s84
	s_mul_i32 s22, s55, s84
	s_wait_alu 0xfffe
	s_add_nc_u64 s[86:87], s[24:25], s[86:87]
	s_mul_hi_u32 s21, s55, s84
	s_mul_hi_u32 s53, s55, s85
	s_wait_alu 0xfffe
	s_add_co_u32 s22, s86, s22
	s_add_co_ci_u32 s24, s87, s21
	s_mul_i32 s84, s55, s85
	s_add_co_ci_u32 s85, s53, 0
	s_wait_alu 0xfffe
	s_add_nc_u64 s[84:85], s[24:25], s[84:85]
	s_wait_alu 0xfffe
	s_add_co_u32 s21, s54, s84
	s_cselect_b32 s22, -1, 0
	s_wait_alu 0xfffe
	s_cmp_lg_u32 s22, 0
	s_add_co_ci_u32 s22, s55, s85
	s_ashr_i32 s54, s7, 31
	s_wait_alu 0xfffe
	s_mov_b32 s55, s54
	s_wait_alu 0xfffe
	s_add_nc_u64 s[84:85], s[6:7], s[54:55]
	s_wait_alu 0xfffe
	s_xor_b64 s[84:85], s[84:85], s[54:55]
	s_wait_alu 0xfffe
	s_mul_hi_u32 s87, s84, s22
	s_mul_i32 s86, s84, s22
	s_mul_hi_u32 s24, s84, s21
	s_mul_hi_u32 s89, s85, s21
	s_mul_i32 s21, s85, s21
	s_wait_alu 0xfffe
	s_add_nc_u64 s[86:87], s[24:25], s[86:87]
	s_mul_hi_u32 s53, s85, s22
	s_wait_alu 0xfffe
	s_add_co_u32 s21, s86, s21
	s_add_co_ci_u32 s24, s87, s89
	s_mul_i32 s88, s85, s22
	s_add_co_ci_u32 s89, s53, 0
	s_wait_alu 0xfffe
	s_add_nc_u64 s[86:87], s[24:25], s[88:89]
	s_wait_alu 0xfffe
	s_mul_u64 s[86:87], s[14:15], s[86:87]
	s_wait_alu 0xfffe
	s_sub_co_u32 s21, s84, s86
	s_cselect_b32 s22, -1, 0
	s_sub_co_i32 s24, s85, s87
	s_wait_alu 0xfffe
	s_cmp_lg_u32 s22, 0
	s_sub_co_ci_u32 s24, s24, s15
	s_sub_co_u32 s53, s21, s14
	s_cselect_b32 s84, -1, 0
	s_wait_alu 0xfffe
	s_cmp_lg_u32 s84, 0
	s_sub_co_ci_u32 s86, s24, 0
	s_wait_alu 0xfffe
	s_cmp_ge_u32 s86, s15
	s_cselect_b32 s88, -1, 0
	s_cmp_ge_u32 s53, s14
	s_cselect_b32 s89, -1, 0
	s_cmp_eq_u32 s86, s15
	s_wait_alu 0xfffe
	s_cselect_b32 s88, s89, s88
	s_cmp_lg_u32 s84, 0
	s_sub_co_ci_u32 s24, s24, s15
	s_sub_co_u32 s84, s53, s14
	s_cselect_b32 s89, -1, 0
	s_wait_alu 0xfffe
	s_cmp_lg_u32 s89, 0
	s_sub_co_ci_u32 s24, s24, 0
	s_cmp_lg_u32 s88, 0
	s_cselect_b32 s53, s84, s53
	s_wait_alu 0xfffe
	s_cselect_b32 s24, s24, s86
	s_cmp_lg_u32 s22, 0
	s_sub_co_ci_u32 s22, s85, s87
	s_wait_alu 0xfffe
	s_cmp_ge_u32 s22, s15
	s_cselect_b32 s84, -1, 0
	s_cmp_ge_u32 s21, s14
	s_cselect_b32 s14, -1, 0
	s_cmp_eq_u32 s22, s15
	s_wait_alu 0xfffe
	s_cselect_b32 s14, s14, s84
	s_wait_alu 0xfffe
	s_cmp_lg_u32 s14, 0
	s_cselect_b32 s15, s24, s22
	s_cselect_b32 s14, s53, s21
	s_wait_alu 0xfffe
	s_xor_b64 s[14:15], s[14:15], s[54:55]
	s_wait_alu 0xfffe
	s_sub_nc_u64 s[14:15], s[14:15], s[54:55]
	s_cbranch_execnz .LBB62_127
.LBB62_126:                             ;   in Loop: Header=BB62_32 Depth=1
	v_cvt_f32_u32_e32 v2, s68
	s_sub_co_i32 s15, 0, s68
	s_delay_alu instid0(VALU_DEP_1) | instskip(NEXT) | instid1(TRANS32_DEP_1)
	v_rcp_iflag_f32_e32 v2, v2
	v_mul_f32_e32 v2, 0x4f7ffffe, v2
	s_delay_alu instid0(VALU_DEP_1) | instskip(NEXT) | instid1(VALU_DEP_1)
	v_cvt_u32_f32_e32 v2, v2
	v_readfirstlane_b32 s14, v2
	s_wait_alu 0xfffe
	s_mul_i32 s15, s15, s14
	s_wait_alu 0xfffe
	s_mul_hi_u32 s15, s14, s15
	s_wait_alu 0xfffe
	s_add_co_i32 s14, s14, s15
	s_wait_alu 0xfffe
	s_mul_hi_u32 s14, s6, s14
	s_wait_alu 0xfffe
	s_mul_i32 s14, s14, s68
	s_wait_alu 0xfffe
	s_sub_co_i32 s14, s6, s14
	s_wait_alu 0xfffe
	s_sub_co_i32 s15, s14, s68
	s_cmp_ge_u32 s14, s68
	s_wait_alu 0xfffe
	s_cselect_b32 s14, s15, s14
	s_wait_alu 0xfffe
	s_sub_co_i32 s15, s14, s68
	s_cmp_ge_u32 s14, s68
	s_wait_alu 0xfffe
	s_cselect_b32 s24, s15, s14
	s_wait_alu 0xfffe
	s_mov_b64 s[14:15], s[24:25]
.LBB62_127:                             ;   in Loop: Header=BB62_32 Depth=1
	s_wait_alu 0xfffe
	s_sub_nc_u64 s[6:7], s[6:7], s[14:15]
	s_mov_b32 s14, exec_lo
                                        ; implicit-def: $vgpr48
	s_wait_alu 0xfffe
	v_cmpx_gt_i64_e64 s[6:7], v[0:1]
	s_cbranch_execz .LBB62_137
; %bb.128:                              ;   in Loop: Header=BB62_32 Depth=1
	v_dual_mov_b32 v2, v35 :: v_dual_mov_b32 v9, v1
	v_mov_b32_e32 v8, v0
	s_mov_b32 s15, 0
                                        ; implicit-def: $sgpr21
	s_branch .LBB62_132
.LBB62_129:                             ;   in Loop: Header=BB62_132 Depth=2
	s_wait_alu 0xfffe
	s_or_b32 exec_lo, exec_lo, s22
	s_wait_loadcnt_dscnt 0x0
	s_barrier_signal -1
	s_barrier_wait -1
	global_inv scope:SCOPE_SE
	ds_load_b32 v10, v3 offset:3072
	s_wait_loadcnt_dscnt 0x0
	s_barrier_signal -1
	s_barrier_wait -1
	global_inv scope:SCOPE_SE
	v_cmp_neq_f16_e32 vcc_lo, 0, v10
	s_cbranch_vccnz .LBB62_135
; %bb.130:                              ;   in Loop: Header=BB62_132 Depth=2
	v_add_co_u32 v8, vcc_lo, v8, s68
	s_wait_alu 0xfffd
	v_add_co_ci_u32_e64 v9, null, 0, v9, vcc_lo
	v_add_nc_u32_e32 v2, s60, v2
	s_mov_b32 s22, 0
	s_delay_alu instid0(VALU_DEP_2)
	v_cmp_le_i64_e32 vcc_lo, s[6:7], v[8:9]
	s_or_not1_b32 s24, vcc_lo, exec_lo
.LBB62_131:                             ;   in Loop: Header=BB62_132 Depth=2
	s_wait_alu 0xfffe
	s_and_b32 s24, exec_lo, s24
	s_wait_alu 0xfffe
	s_or_b32 s15, s24, s15
	s_and_not1_b32 s21, s21, exec_lo
	s_and_b32 s22, s22, exec_lo
	s_wait_alu 0xfffe
	s_or_b32 s21, s21, s22
	s_and_not1_b32 exec_lo, exec_lo, s15
	s_cbranch_execz .LBB62_136
.LBB62_132:                             ;   Parent Loop BB62_32 Depth=1
                                        ; =>  This Inner Loop Header: Depth=2
	s_mov_b32 s22, exec_lo
	s_delay_alu instid0(VALU_DEP_1)
	v_cmpx_gt_u64_e64 s[12:13], v[8:9]
	s_cbranch_execz .LBB62_129
; %bb.133:                              ;   in Loop: Header=BB62_132 Depth=2
	ds_load_u16 v10, v2
	s_wait_dscnt 0x0
	v_cmp_lt_i16_e32 vcc_lo, -1, v10
	v_and_b32_e32 v11, 0xffff, v10
	s_wait_alu 0xfffd
	v_cndmask_b32_e32 v30, 0xffff, v46, vcc_lo
	v_cmp_o_f16_e32 vcc_lo, v10, v10
	s_delay_alu instid0(VALU_DEP_2) | instskip(SKIP_1) | instid1(VALU_DEP_1)
	v_xor_b32_e32 v11, v30, v11
	s_wait_alu 0xfffd
	v_cndmask_b32_e32 v11, 0xffff, v11, vcc_lo
	s_delay_alu instid0(VALU_DEP_1) | instskip(NEXT) | instid1(VALU_DEP_1)
	v_and_b32_e32 v11, v11, v47
	v_cmp_eq_u32_e32 vcc_lo, v11, v24
	s_and_b32 exec_lo, exec_lo, vcc_lo
	s_cbranch_execz .LBB62_129
; %bb.134:                              ;   in Loop: Header=BB62_132 Depth=2
	v_perm_b32 v10, v10, s61, 0x5040100
	ds_store_b32 v3, v10 offset:3072
	s_branch .LBB62_129
.LBB62_135:                             ;   in Loop: Header=BB62_132 Depth=2
	s_mov_b32 s24, -1
	s_mov_b32 s22, -1
                                        ; implicit-def: $vgpr8_vgpr9
                                        ; implicit-def: $vgpr2
	s_branch .LBB62_131
.LBB62_136:                             ;   in Loop: Header=BB62_32 Depth=1
	s_or_b32 exec_lo, exec_lo, s15
	v_lshrrev_b32_e32 v48, 16, v10
	s_and_not1_b32 s6, s23, exec_lo
	s_wait_alu 0xfffe
	s_and_b32 s7, s21, exec_lo
	s_wait_alu 0xfffe
	s_or_b32 s23, s6, s7
.LBB62_137:                             ;   in Loop: Header=BB62_32 Depth=1
	s_or_b32 exec_lo, exec_lo, s14
	s_mov_b32 s21, 0
	s_mov_b32 s22, -1
.LBB62_138:                             ;   in Loop: Header=BB62_32 Depth=1
	s_wait_alu 0xfffe
	s_or_not1_b32 s6, s23, exec_lo
.LBB62_139:                             ;   in Loop: Header=BB62_32 Depth=1
	s_wait_alu 0xfffe
	s_or_b32 exec_lo, exec_lo, s17
	s_delay_alu instid0(SALU_CYCLE_1)
	s_and_not1_b32 s7, s51, exec_lo
	s_and_b32 s12, s22, exec_lo
	s_and_not1_b32 s13, s49, exec_lo
	s_and_b32 s14, s21, exec_lo
	s_and_not1_b32 s48, s48, exec_lo
	s_wait_alu 0xfffe
	s_or_b32 s51, s7, s12
	s_or_b32 s49, s13, s14
                                        ; implicit-def: $vgpr8_vgpr9
	s_and_saveexec_b32 s17, s6
	s_cbranch_execz .LBB62_31
; %bb.140:                              ;   in Loop: Header=BB62_32 Depth=1
	v_mov_b32_e32 v8, 1
	v_dual_mov_b32 v9, 0 :: v_dual_mov_b32 v2, 1
	s_xor_b32 s12, s19, -1
	s_mov_b32 s7, 0
	s_wait_alu 0xfffe
	s_and_saveexec_b32 s6, s12
	s_cbranch_execz .LBB62_149
; %bb.141:                              ;   in Loop: Header=BB62_32 Depth=1
	s_mov_b32 s7, exec_lo
	v_cmpx_le_i64_e64 v[28:29], v[4:5]
	s_wait_alu 0xfffe
	s_xor_b32 s7, exec_lo, s7
	s_cbranch_execz .LBB62_146
; %bb.142:                              ;   in Loop: Header=BB62_32 Depth=1
	ds_load_b64 v[8:9], v3 offset:5120
	v_and_b32_e32 v24, s20, v24
	v_or_b32_e32 v47, s16, v47
	s_wait_dscnt 0x0
	v_cmp_ne_u64_e32 vcc_lo, 0, v[8:9]
	s_cbranch_vccnz .LBB62_146
; %bb.143:                              ;   in Loop: Header=BB62_32 Depth=1
	s_and_saveexec_b32 s12, s2
; %bb.144:                              ;   in Loop: Header=BB62_32 Depth=1
	ds_store_b64 v3, v[4:5] offset:5128
; %bb.145:                              ;   in Loop: Header=BB62_32 Depth=1
	s_wait_alu 0xfffe
	s_or_b32 exec_lo, exec_lo, s12
	s_wait_loadcnt_dscnt 0x0
	s_barrier_signal -1
	s_barrier_wait -1
	global_inv scope:SCOPE_SE
.LBB62_146:                             ;   in Loop: Header=BB62_32 Depth=1
	s_wait_alu 0xfffe
	s_or_saveexec_b32 s7, s7
	v_mov_b32_e32 v2, 8
	s_mov_b32 s12, 0
	s_wait_alu 0xfffe
	s_xor_b32 exec_lo, exec_lo, s7
; %bb.147:                              ;   in Loop: Header=BB62_32 Depth=1
	v_sub_co_u32 v28, vcc_lo, v28, v4
	s_wait_alu 0xfffd
	v_sub_co_ci_u32_e64 v29, null, v29, v5, vcc_lo
	v_mov_b32_e32 v2, 0
	s_mov_b32 s12, exec_lo
; %bb.148:                              ;   in Loop: Header=BB62_32 Depth=1
	s_or_b32 exec_lo, exec_lo, s7
	s_delay_alu instid0(VALU_DEP_2)
	v_dual_mov_b32 v8, v28 :: v_dual_mov_b32 v9, v29
	s_wait_alu 0xfffe
	s_and_b32 s7, s12, exec_lo
.LBB62_149:                             ;   in Loop: Header=BB62_32 Depth=1
	s_wait_alu 0xfffe
	s_or_b32 exec_lo, exec_lo, s6
	s_mov_b32 s18, -1
	s_mov_b32 s6, -1
                                        ; implicit-def: $sgpr21
                                        ; implicit-def: $sgpr22
	s_and_saveexec_b32 s12, s7
	s_wait_alu 0xfffe
	s_xor_b32 s19, exec_lo, s12
	s_cbranch_execz .LBB62_297
; %bb.150:                              ;   in Loop: Header=BB62_32 Depth=1
	v_cmp_eq_u64_e32 vcc_lo, 1, v[6:7]
	v_cmp_eq_u64_e64 s6, 1, v[8:9]
                                        ; implicit-def: $sgpr22
                                        ; implicit-def: $sgpr21
	s_and_b32 s53, vcc_lo, s6
	s_mov_b32 s6, -1
	s_and_saveexec_b32 s23, s53
	s_cbranch_execz .LBB62_186
; %bb.151:                              ;   in Loop: Header=BB62_32 Depth=1
	ds_load_b64 v[4:5], v3 offset:5120
	s_wait_loadcnt_dscnt 0x0
	s_barrier_signal -1
	s_barrier_wait -1
	global_inv scope:SCOPE_SE
	v_readfirstlane_b32 s12, v4
	v_readfirstlane_b32 s13, v5
	s_and_saveexec_b32 s6, s3
; %bb.152:                              ;   in Loop: Header=BB62_32 Depth=1
	ds_store_b16 v36, v3
; %bb.153:                              ;   in Loop: Header=BB62_32 Depth=1
	s_wait_alu 0xfffe
	s_or_b32 exec_lo, exec_lo, s6
	s_lshl_b32 s6, 1, s64
	v_or_b32_e32 v47, s16, v47
	s_wait_alu 0xfffe
	v_and_or_b32 v24, v24, s20, s6
	v_cmp_gt_i64_e64 s6, s[12:13], 0
	s_mov_b32 s21, -1
	s_mov_b32 s22, 0
	s_mov_b32 s54, 0
	s_mov_b32 s7, -1
	s_wait_loadcnt_dscnt 0x0
	s_and_b32 vcc_lo, exec_lo, s6
	s_barrier_signal -1
	s_barrier_wait -1
	global_inv scope:SCOPE_SE
                                        ; implicit-def: $vgpr48
	s_wait_alu 0xfffe
	s_cbranch_vccnz .LBB62_170
; %bb.154:                              ;   in Loop: Header=BB62_32 Depth=1
	s_mov_b32 s6, s25
	s_mov_b32 s7, s77
	s_wait_alu 0xfffe
	s_cmp_lg_u64 s[6:7], 0
	s_cbranch_scc0 .LBB62_214
; %bb.155:                              ;   in Loop: Header=BB62_32 Depth=1
	s_add_nc_u64 s[6:7], s[68:69], 0
	s_wait_alu 0xfffe
	s_xor_b64 s[6:7], s[6:7], 0
	s_wait_alu 0xfffe
	s_cvt_f32_u32 s14, s6
	s_cvt_f32_u32 s15, s7
	s_sub_nc_u64 s[54:55], 0, s[6:7]
	s_wait_alu 0xfffe
	s_delay_alu instid0(SALU_CYCLE_1) | instskip(SKIP_1) | instid1(SALU_CYCLE_2)
	s_fmamk_f32 s14, s15, 0x4f800000, s14
	s_wait_alu 0xfffe
	v_s_rcp_f32 s14, s14
	s_delay_alu instid0(TRANS32_DEP_1) | instskip(SKIP_1) | instid1(SALU_CYCLE_2)
	s_mul_f32 s14, s14, 0x5f7ffffc
	s_wait_alu 0xfffe
	s_mul_f32 s15, s14, 0x2f800000
	s_wait_alu 0xfffe
	s_delay_alu instid0(SALU_CYCLE_2) | instskip(SKIP_1) | instid1(SALU_CYCLE_2)
	s_trunc_f32 s15, s15
	s_wait_alu 0xfffe
	s_fmamk_f32 s14, s15, 0xcf800000, s14
	s_cvt_u32_f32 s15, s15
	s_wait_alu 0xfffe
	s_delay_alu instid0(SALU_CYCLE_1) | instskip(SKIP_1) | instid1(SALU_CYCLE_2)
	s_cvt_u32_f32 s14, s14
	s_wait_alu 0xfffe
	s_mul_u64 s[84:85], s[54:55], s[14:15]
	s_wait_alu 0xfffe
	s_mul_hi_u32 s87, s14, s85
	s_mul_i32 s86, s14, s85
	s_mul_hi_u32 s24, s14, s84
	s_mul_i32 s89, s15, s84
	s_wait_alu 0xfffe
	s_add_nc_u64 s[86:87], s[24:25], s[86:87]
	s_mul_hi_u32 s88, s15, s84
	s_mul_hi_u32 s90, s15, s85
	s_wait_alu 0xfffe
	s_add_co_u32 s24, s86, s89
	s_add_co_ci_u32 s24, s87, s88
	s_mul_i32 s84, s15, s85
	s_add_co_ci_u32 s85, s90, 0
	s_wait_alu 0xfffe
	s_add_nc_u64 s[84:85], s[24:25], s[84:85]
	s_wait_alu 0xfffe
	s_add_co_u32 s14, s14, s84
	s_cselect_b32 s24, -1, 0
	s_wait_alu 0xfffe
	s_cmp_lg_u32 s24, 0
	s_add_co_ci_u32 s15, s15, s85
	s_wait_alu 0xfffe
	s_mul_u64 s[54:55], s[54:55], s[14:15]
	s_wait_alu 0xfffe
	s_mul_hi_u32 s85, s14, s55
	s_mul_i32 s84, s14, s55
	s_mul_hi_u32 s24, s14, s54
	s_mul_i32 s87, s15, s54
	s_wait_alu 0xfffe
	s_add_nc_u64 s[84:85], s[24:25], s[84:85]
	s_mul_hi_u32 s86, s15, s54
	s_mul_hi_u32 s88, s15, s55
	s_wait_alu 0xfffe
	s_add_co_u32 s24, s84, s87
	s_add_co_ci_u32 s24, s85, s86
	s_mul_i32 s54, s15, s55
	s_add_co_ci_u32 s55, s88, 0
	s_wait_alu 0xfffe
	s_add_nc_u64 s[54:55], s[24:25], s[54:55]
	s_wait_alu 0xfffe
	s_add_co_u32 s86, s14, s54
	s_cselect_b32 s14, -1, 0
	s_wait_alu 0xfffe
	s_cmp_lg_u32 s14, 0
	s_add_co_ci_u32 s87, s15, s55
	s_ashr_i32 s14, s77, 31
	s_wait_alu 0xfffe
	s_mov_b32 s15, s14
	s_wait_alu 0xfffe
	s_add_nc_u64 s[54:55], s[76:77], s[14:15]
	s_wait_alu 0xfffe
	s_xor_b64 s[54:55], s[54:55], s[14:15]
	s_wait_alu 0xfffe
	s_mul_hi_u32 s85, s54, s87
	s_mul_i32 s84, s54, s87
	s_mul_hi_u32 s24, s54, s86
	s_mul_i32 s90, s55, s86
	s_wait_alu 0xfffe
	s_add_nc_u64 s[84:85], s[24:25], s[84:85]
	s_mul_hi_u32 s89, s55, s86
	s_mul_hi_u32 s88, s55, s87
	s_wait_alu 0xfffe
	s_add_co_u32 s24, s84, s90
	s_add_co_ci_u32 s24, s85, s89
	s_mul_i32 s86, s55, s87
	s_add_co_ci_u32 s87, s88, 0
	s_wait_alu 0xfffe
	s_add_nc_u64 s[84:85], s[24:25], s[86:87]
	s_wait_alu 0xfffe
	s_mul_u64 s[84:85], s[6:7], s[84:85]
	s_wait_alu 0xfffe
	s_sub_co_u32 s24, s54, s84
	s_cselect_b32 s54, -1, 0
	s_sub_co_i32 s84, s55, s85
	s_wait_alu 0xfffe
	s_cmp_lg_u32 s54, 0
	s_sub_co_ci_u32 s84, s84, s7
	s_sub_co_u32 s86, s24, s6
	s_cselect_b32 s87, -1, 0
	s_wait_alu 0xfffe
	s_cmp_lg_u32 s87, 0
	s_sub_co_ci_u32 s88, s84, 0
	s_wait_alu 0xfffe
	s_cmp_ge_u32 s88, s7
	s_cselect_b32 s89, -1, 0
	s_cmp_ge_u32 s86, s6
	s_cselect_b32 s90, -1, 0
	s_cmp_eq_u32 s88, s7
	s_wait_alu 0xfffe
	s_cselect_b32 s89, s90, s89
	s_cmp_lg_u32 s87, 0
	s_sub_co_ci_u32 s84, s84, s7
	s_sub_co_u32 s87, s86, s6
	s_cselect_b32 s90, -1, 0
	s_wait_alu 0xfffe
	s_cmp_lg_u32 s90, 0
	s_sub_co_ci_u32 s84, s84, 0
	s_cmp_lg_u32 s89, 0
	s_cselect_b32 s86, s87, s86
	s_wait_alu 0xfffe
	s_cselect_b32 s84, s84, s88
	s_cmp_lg_u32 s54, 0
	s_sub_co_ci_u32 s54, s55, s85
	s_wait_alu 0xfffe
	s_cmp_ge_u32 s54, s7
	s_cselect_b32 s55, -1, 0
	s_cmp_ge_u32 s24, s6
	s_cselect_b32 s6, -1, 0
	s_cmp_eq_u32 s54, s7
	s_wait_alu 0xfffe
	s_cselect_b32 s6, s6, s55
	s_wait_alu 0xfffe
	s_cmp_lg_u32 s6, 0
	s_cselect_b32 s7, s84, s54
	s_cselect_b32 s6, s86, s24
	s_wait_alu 0xfffe
	s_xor_b64 s[6:7], s[6:7], s[14:15]
	s_wait_alu 0xfffe
	s_sub_nc_u64 s[6:7], s[6:7], s[14:15]
	s_cbranch_execnz .LBB62_157
.LBB62_156:                             ;   in Loop: Header=BB62_32 Depth=1
	v_cvt_f32_u32_e32 v4, s68
	s_sub_co_i32 s7, 0, s68
	s_delay_alu instid0(VALU_DEP_1) | instskip(NEXT) | instid1(TRANS32_DEP_1)
	v_rcp_iflag_f32_e32 v4, v4
	v_mul_f32_e32 v4, 0x4f7ffffe, v4
	s_delay_alu instid0(VALU_DEP_1) | instskip(NEXT) | instid1(VALU_DEP_1)
	v_cvt_u32_f32_e32 v4, v4
	v_readfirstlane_b32 s6, v4
	s_wait_alu 0xfffe
	s_mul_i32 s7, s7, s6
	s_wait_alu 0xfffe
	s_mul_hi_u32 s7, s6, s7
	s_wait_alu 0xfffe
	s_add_co_i32 s6, s6, s7
	s_wait_alu 0xfffe
	s_mul_hi_u32 s6, s76, s6
	s_wait_alu 0xfffe
	s_mul_i32 s6, s6, s68
	s_wait_alu 0xfffe
	s_sub_co_i32 s6, s76, s6
	s_wait_alu 0xfffe
	s_sub_co_i32 s7, s6, s68
	s_cmp_ge_u32 s6, s68
	s_wait_alu 0xfffe
	s_cselect_b32 s6, s7, s6
	s_wait_alu 0xfffe
	s_sub_co_i32 s7, s6, s68
	s_cmp_ge_u32 s6, s68
	s_wait_alu 0xfffe
	s_cselect_b32 s24, s7, s6
	s_wait_alu 0xfffe
	s_mov_b64 s[6:7], s[24:25]
.LBB62_157:                             ;   in Loop: Header=BB62_32 Depth=1
	s_wait_alu 0xfffe
	s_sub_nc_u64 s[14:15], s[76:77], s[6:7]
	s_mov_b32 s7, 0
	s_mov_b32 s54, 0
	s_mov_b32 s24, exec_lo
                                        ; implicit-def: $vgpr48
	s_wait_alu 0xfffe
	v_cmpx_gt_i64_e64 s[14:15], v[0:1]
	s_cbranch_execz .LBB62_169
; %bb.158:                              ;   in Loop: Header=BB62_32 Depth=1
	v_dual_mov_b32 v4, v12 :: v_dual_mov_b32 v5, v13
	v_dual_mov_b32 v11, v1 :: v_dual_mov_b32 v10, v0
                                        ; implicit-def: $sgpr55
	s_branch .LBB62_162
.LBB62_159:                             ;   in Loop: Header=BB62_162 Depth=2
	s_wait_alu 0xfffe
	s_or_b32 exec_lo, exec_lo, s6
	s_wait_loadcnt_dscnt 0x0
	s_barrier_signal -1
	s_barrier_wait -1
	global_inv scope:SCOPE_SE
	ds_load_b32 v28, v3 offset:3072
	s_wait_loadcnt_dscnt 0x0
	s_barrier_signal -1
	s_barrier_wait -1
	global_inv scope:SCOPE_SE
	v_cmp_neq_f16_e32 vcc_lo, 0, v28
	s_cbranch_vccnz .LBB62_165
; %bb.160:                              ;   in Loop: Header=BB62_162 Depth=2
	v_add_co_u32 v10, vcc_lo, v10, s68
	s_wait_alu 0xfffd
	v_add_co_ci_u32_e64 v11, null, 0, v11, vcc_lo
	v_add_co_u32 v4, s6, v4, s70
	s_wait_alu 0xf1ff
	v_add_co_ci_u32_e64 v5, null, s71, v5, s6
	s_delay_alu instid0(VALU_DEP_3)
	v_cmp_le_i64_e32 vcc_lo, s[14:15], v[10:11]
	s_mov_b32 s6, 0
	s_or_not1_b32 s84, vcc_lo, exec_lo
.LBB62_161:                             ;   in Loop: Header=BB62_162 Depth=2
	s_wait_alu 0xfffe
	s_and_b32 s84, exec_lo, s84
	s_wait_alu 0xfffe
	s_or_b32 s54, s84, s54
	s_and_not1_b32 s55, s55, exec_lo
	s_and_b32 s6, s6, exec_lo
	s_wait_alu 0xfffe
	s_or_b32 s55, s55, s6
	s_and_not1_b32 exec_lo, exec_lo, s54
	s_cbranch_execz .LBB62_168
.LBB62_162:                             ;   Parent Loop BB62_32 Depth=1
                                        ; =>  This Inner Loop Header: Depth=2
	s_mov_b32 s6, exec_lo
	s_delay_alu instid0(VALU_DEP_1)
	v_cmpx_gt_i64_e64 s[36:37], v[10:11]
	s_cbranch_execz .LBB62_159
; %bb.163:                              ;   in Loop: Header=BB62_162 Depth=2
	global_load_u16 v28, v[4:5], off
	s_wait_loadcnt 0x0
	v_cmp_lt_i16_e32 vcc_lo, -1, v28
	s_wait_alu 0xfffd
	v_dual_cndmask_b32 v30, 0xffff, v46 :: v_dual_and_b32 v29, 0xffff, v28
	v_cmp_o_f16_e32 vcc_lo, v28, v28
	s_delay_alu instid0(VALU_DEP_2) | instskip(SKIP_1) | instid1(VALU_DEP_1)
	v_xor_b32_e32 v29, v30, v29
	s_wait_alu 0xfffd
	v_cndmask_b32_e32 v29, 0xffff, v29, vcc_lo
	s_delay_alu instid0(VALU_DEP_1) | instskip(NEXT) | instid1(VALU_DEP_1)
	v_and_b32_e32 v29, v29, v47
	v_cmp_eq_u32_e32 vcc_lo, v29, v24
	s_and_b32 exec_lo, exec_lo, vcc_lo
	s_cbranch_execz .LBB62_159
; %bb.164:                              ;   in Loop: Header=BB62_162 Depth=2
	v_perm_b32 v28, v28, s61, 0x5040100
	ds_store_b32 v3, v28 offset:3072
	s_branch .LBB62_159
.LBB62_165:                             ;   in Loop: Header=BB62_162 Depth=2
	s_mov_b32 s84, -1
	s_mov_b32 s6, -1
                                        ; implicit-def: $vgpr10_vgpr11
                                        ; implicit-def: $vgpr4_vgpr5
	s_branch .LBB62_161
.LBB62_166:                             ;   in Loop: Header=BB62_32 Depth=1
                                        ; implicit-def: $sgpr6_sgpr7
	s_branch .LBB62_111
.LBB62_167:                             ;   in Loop: Header=BB62_32 Depth=1
                                        ; implicit-def: $sgpr14_sgpr15
	s_branch .LBB62_126
.LBB62_168:                             ;   in Loop: Header=BB62_32 Depth=1
	s_or_b32 exec_lo, exec_lo, s54
	v_lshrrev_b32_e32 v48, 16, v28
	s_wait_alu 0xfffe
	s_and_b32 s54, s55, exec_lo
.LBB62_169:                             ;   in Loop: Header=BB62_32 Depth=1
	s_or_b32 exec_lo, exec_lo, s24
.LBB62_170:                             ;   in Loop: Header=BB62_32 Depth=1
	s_delay_alu instid0(SALU_CYCLE_1)
	s_and_b32 vcc_lo, exec_lo, s7
	s_wait_alu 0xfffe
	s_cbranch_vccz .LBB62_185
; %bb.171:                              ;   in Loop: Header=BB62_32 Depth=1
	s_add_nc_u64 s[6:7], s[12:13], s[74:75]
	s_mov_b32 s14, s25
	s_wait_alu 0xfffe
	s_mov_b32 s15, s7
	s_wait_alu 0xfffe
	s_cmp_lg_u64 s[14:15], 0
	s_cbranch_scc0 .LBB62_215
; %bb.172:                              ;   in Loop: Header=BB62_32 Depth=1
	s_add_nc_u64 s[14:15], s[68:69], 0
	s_wait_alu 0xfffe
	s_xor_b64 s[14:15], s[14:15], 0
	s_wait_alu 0xfffe
	s_cvt_f32_u32 s21, s14
	s_cvt_f32_u32 s22, s15
	s_sub_nc_u64 s[86:87], 0, s[14:15]
	s_wait_alu 0xfffe
	s_delay_alu instid0(SALU_CYCLE_1) | instskip(SKIP_1) | instid1(SALU_CYCLE_2)
	s_fmamk_f32 s21, s22, 0x4f800000, s21
	s_wait_alu 0xfffe
	v_s_rcp_f32 s21, s21
	s_delay_alu instid0(TRANS32_DEP_1) | instskip(SKIP_1) | instid1(SALU_CYCLE_2)
	s_mul_f32 s21, s21, 0x5f7ffffc
	s_wait_alu 0xfffe
	s_mul_f32 s22, s21, 0x2f800000
	s_wait_alu 0xfffe
	s_delay_alu instid0(SALU_CYCLE_2) | instskip(SKIP_1) | instid1(SALU_CYCLE_2)
	s_trunc_f32 s22, s22
	s_wait_alu 0xfffe
	s_fmamk_f32 s21, s22, 0xcf800000, s21
	s_cvt_u32_f32 s85, s22
	s_wait_alu 0xfffe
	s_delay_alu instid0(SALU_CYCLE_1) | instskip(SKIP_1) | instid1(SALU_CYCLE_2)
	s_cvt_u32_f32 s84, s21
	s_wait_alu 0xfffe
	s_mul_u64 s[88:89], s[86:87], s[84:85]
	s_wait_alu 0xfffe
	s_mul_hi_u32 s91, s84, s89
	s_mul_i32 s90, s84, s89
	s_mul_hi_u32 s24, s84, s88
	s_mul_i32 s22, s85, s88
	s_wait_alu 0xfffe
	s_add_nc_u64 s[90:91], s[24:25], s[90:91]
	s_mul_hi_u32 s21, s85, s88
	s_mul_hi_u32 s55, s85, s89
	s_wait_alu 0xfffe
	s_add_co_u32 s22, s90, s22
	s_add_co_ci_u32 s24, s91, s21
	s_mul_i32 s88, s85, s89
	s_add_co_ci_u32 s89, s55, 0
	s_wait_alu 0xfffe
	s_add_nc_u64 s[88:89], s[24:25], s[88:89]
	s_wait_alu 0xfffe
	s_add_co_u32 s84, s84, s88
	s_cselect_b32 s21, -1, 0
	s_wait_alu 0xfffe
	s_cmp_lg_u32 s21, 0
	s_add_co_ci_u32 s85, s85, s89
	s_wait_alu 0xfffe
	s_mul_u64 s[86:87], s[86:87], s[84:85]
	s_wait_alu 0xfffe
	s_mul_hi_u32 s89, s84, s87
	s_mul_i32 s88, s84, s87
	s_mul_hi_u32 s24, s84, s86
	s_mul_i32 s22, s85, s86
	s_wait_alu 0xfffe
	s_add_nc_u64 s[88:89], s[24:25], s[88:89]
	s_mul_hi_u32 s21, s85, s86
	s_mul_hi_u32 s55, s85, s87
	s_wait_alu 0xfffe
	s_add_co_u32 s22, s88, s22
	s_add_co_ci_u32 s24, s89, s21
	s_mul_i32 s86, s85, s87
	s_add_co_ci_u32 s87, s55, 0
	s_wait_alu 0xfffe
	s_add_nc_u64 s[86:87], s[24:25], s[86:87]
	s_wait_alu 0xfffe
	s_add_co_u32 s21, s84, s86
	s_cselect_b32 s22, -1, 0
	s_wait_alu 0xfffe
	s_cmp_lg_u32 s22, 0
	s_add_co_ci_u32 s22, s85, s87
	s_ashr_i32 s84, s7, 31
	s_wait_alu 0xfffe
	s_mov_b32 s85, s84
	s_wait_alu 0xfffe
	s_add_nc_u64 s[86:87], s[6:7], s[84:85]
	s_wait_alu 0xfffe
	s_xor_b64 s[86:87], s[86:87], s[84:85]
	s_wait_alu 0xfffe
	s_mul_hi_u32 s89, s86, s22
	s_mul_i32 s88, s86, s22
	s_mul_hi_u32 s24, s86, s21
	s_mul_hi_u32 s91, s87, s21
	s_mul_i32 s21, s87, s21
	s_wait_alu 0xfffe
	s_add_nc_u64 s[88:89], s[24:25], s[88:89]
	s_mul_hi_u32 s55, s87, s22
	s_wait_alu 0xfffe
	s_add_co_u32 s21, s88, s21
	s_add_co_ci_u32 s24, s89, s91
	s_mul_i32 s90, s87, s22
	s_add_co_ci_u32 s91, s55, 0
	s_wait_alu 0xfffe
	s_add_nc_u64 s[88:89], s[24:25], s[90:91]
	s_wait_alu 0xfffe
	s_mul_u64 s[88:89], s[14:15], s[88:89]
	s_wait_alu 0xfffe
	s_sub_co_u32 s21, s86, s88
	s_cselect_b32 s22, -1, 0
	s_sub_co_i32 s24, s87, s89
	s_wait_alu 0xfffe
	s_cmp_lg_u32 s22, 0
	s_sub_co_ci_u32 s24, s24, s15
	s_sub_co_u32 s55, s21, s14
	s_cselect_b32 s86, -1, 0
	s_wait_alu 0xfffe
	s_cmp_lg_u32 s86, 0
	s_sub_co_ci_u32 s88, s24, 0
	s_wait_alu 0xfffe
	s_cmp_ge_u32 s88, s15
	s_cselect_b32 s90, -1, 0
	s_cmp_ge_u32 s55, s14
	s_cselect_b32 s91, -1, 0
	s_cmp_eq_u32 s88, s15
	s_wait_alu 0xfffe
	s_cselect_b32 s90, s91, s90
	s_cmp_lg_u32 s86, 0
	s_sub_co_ci_u32 s24, s24, s15
	s_sub_co_u32 s86, s55, s14
	s_cselect_b32 s91, -1, 0
	s_wait_alu 0xfffe
	s_cmp_lg_u32 s91, 0
	s_sub_co_ci_u32 s24, s24, 0
	s_cmp_lg_u32 s90, 0
	s_cselect_b32 s55, s86, s55
	s_wait_alu 0xfffe
	s_cselect_b32 s24, s24, s88
	s_cmp_lg_u32 s22, 0
	s_sub_co_ci_u32 s22, s87, s89
	s_wait_alu 0xfffe
	s_cmp_ge_u32 s22, s15
	s_cselect_b32 s86, -1, 0
	s_cmp_ge_u32 s21, s14
	s_cselect_b32 s14, -1, 0
	s_cmp_eq_u32 s22, s15
	s_wait_alu 0xfffe
	s_cselect_b32 s14, s14, s86
	s_wait_alu 0xfffe
	s_cmp_lg_u32 s14, 0
	s_cselect_b32 s15, s24, s22
	s_cselect_b32 s14, s55, s21
	s_wait_alu 0xfffe
	s_xor_b64 s[14:15], s[14:15], s[84:85]
	s_wait_alu 0xfffe
	s_sub_nc_u64 s[14:15], s[14:15], s[84:85]
	s_cbranch_execnz .LBB62_174
.LBB62_173:                             ;   in Loop: Header=BB62_32 Depth=1
	v_cvt_f32_u32_e32 v4, s68
	s_sub_co_i32 s15, 0, s68
	s_delay_alu instid0(VALU_DEP_1) | instskip(NEXT) | instid1(TRANS32_DEP_1)
	v_rcp_iflag_f32_e32 v4, v4
	v_mul_f32_e32 v4, 0x4f7ffffe, v4
	s_delay_alu instid0(VALU_DEP_1) | instskip(NEXT) | instid1(VALU_DEP_1)
	v_cvt_u32_f32_e32 v4, v4
	v_readfirstlane_b32 s14, v4
	s_wait_alu 0xfffe
	s_mul_i32 s15, s15, s14
	s_wait_alu 0xfffe
	s_mul_hi_u32 s15, s14, s15
	s_wait_alu 0xfffe
	s_add_co_i32 s14, s14, s15
	s_wait_alu 0xfffe
	s_mul_hi_u32 s14, s6, s14
	s_wait_alu 0xfffe
	s_mul_i32 s14, s14, s68
	s_wait_alu 0xfffe
	s_sub_co_i32 s14, s6, s14
	s_wait_alu 0xfffe
	s_sub_co_i32 s15, s14, s68
	s_cmp_ge_u32 s14, s68
	s_wait_alu 0xfffe
	s_cselect_b32 s14, s15, s14
	s_wait_alu 0xfffe
	s_sub_co_i32 s15, s14, s68
	s_cmp_ge_u32 s14, s68
	s_wait_alu 0xfffe
	s_cselect_b32 s24, s15, s14
	s_wait_alu 0xfffe
	s_mov_b64 s[14:15], s[24:25]
.LBB62_174:                             ;   in Loop: Header=BB62_32 Depth=1
	s_wait_alu 0xfffe
	s_sub_nc_u64 s[6:7], s[6:7], s[14:15]
	s_mov_b32 s14, exec_lo
                                        ; implicit-def: $vgpr48
	s_wait_alu 0xfffe
	v_cmpx_gt_i64_e64 s[6:7], v[0:1]
	s_cbranch_execz .LBB62_184
; %bb.175:                              ;   in Loop: Header=BB62_32 Depth=1
	v_dual_mov_b32 v10, v35 :: v_dual_mov_b32 v5, v1
	v_mov_b32_e32 v4, v0
	s_mov_b32 s15, 0
                                        ; implicit-def: $sgpr21
	s_branch .LBB62_179
.LBB62_176:                             ;   in Loop: Header=BB62_179 Depth=2
	s_wait_alu 0xfffe
	s_or_b32 exec_lo, exec_lo, s22
	s_wait_loadcnt_dscnt 0x0
	s_barrier_signal -1
	s_barrier_wait -1
	global_inv scope:SCOPE_SE
	ds_load_b32 v11, v3 offset:3072
	s_wait_loadcnt_dscnt 0x0
	s_barrier_signal -1
	s_barrier_wait -1
	global_inv scope:SCOPE_SE
	v_cmp_eq_f16_e32 vcc_lo, 0, v11
	s_cbranch_vccz .LBB62_182
; %bb.177:                              ;   in Loop: Header=BB62_179 Depth=2
	v_add_co_u32 v4, vcc_lo, v4, s68
	s_wait_alu 0xfffd
	v_add_co_ci_u32_e64 v5, null, 0, v5, vcc_lo
	v_add_nc_u32_e32 v10, s60, v10
	s_mov_b32 s22, 0
	s_delay_alu instid0(VALU_DEP_2)
	v_cmp_le_i64_e32 vcc_lo, s[6:7], v[4:5]
	s_or_not1_b32 s24, vcc_lo, exec_lo
.LBB62_178:                             ;   in Loop: Header=BB62_179 Depth=2
	s_wait_alu 0xfffe
	s_and_b32 s24, exec_lo, s24
	s_wait_alu 0xfffe
	s_or_b32 s15, s24, s15
	s_and_not1_b32 s21, s21, exec_lo
	s_and_b32 s22, s22, exec_lo
	s_wait_alu 0xfffe
	s_or_b32 s21, s21, s22
	s_and_not1_b32 exec_lo, exec_lo, s15
	s_cbranch_execz .LBB62_183
.LBB62_179:                             ;   Parent Loop BB62_32 Depth=1
                                        ; =>  This Inner Loop Header: Depth=2
	s_mov_b32 s22, exec_lo
	s_delay_alu instid0(VALU_DEP_1)
	v_cmpx_gt_u64_e64 s[12:13], v[4:5]
	s_cbranch_execz .LBB62_176
; %bb.180:                              ;   in Loop: Header=BB62_179 Depth=2
	ds_load_u16 v11, v10
	s_wait_dscnt 0x0
	v_cmp_lt_i16_e32 vcc_lo, -1, v11
	s_wait_alu 0xfffd
	v_dual_cndmask_b32 v29, 0xffff, v46 :: v_dual_and_b32 v28, 0xffff, v11
	v_cmp_o_f16_e32 vcc_lo, v11, v11
	s_delay_alu instid0(VALU_DEP_2) | instskip(SKIP_1) | instid1(VALU_DEP_1)
	v_xor_b32_e32 v28, v29, v28
	s_wait_alu 0xfffd
	v_cndmask_b32_e32 v28, 0xffff, v28, vcc_lo
	s_delay_alu instid0(VALU_DEP_1) | instskip(NEXT) | instid1(VALU_DEP_1)
	v_and_b32_e32 v28, v28, v47
	v_cmp_eq_u32_e32 vcc_lo, v28, v24
	s_and_b32 exec_lo, exec_lo, vcc_lo
	s_cbranch_execz .LBB62_176
; %bb.181:                              ;   in Loop: Header=BB62_179 Depth=2
	v_perm_b32 v11, v11, s61, 0x5040100
	ds_store_b32 v3, v11 offset:3072
	s_branch .LBB62_176
.LBB62_182:                             ;   in Loop: Header=BB62_179 Depth=2
	s_mov_b32 s24, -1
	s_mov_b32 s22, -1
                                        ; implicit-def: $vgpr4_vgpr5
                                        ; implicit-def: $vgpr10
	s_branch .LBB62_178
.LBB62_183:                             ;   in Loop: Header=BB62_32 Depth=1
	s_or_b32 exec_lo, exec_lo, s15
	v_lshrrev_b32_e32 v48, 16, v11
	s_and_not1_b32 s6, s54, exec_lo
	s_wait_alu 0xfffe
	s_and_b32 s7, s21, exec_lo
	s_wait_alu 0xfffe
	s_or_b32 s54, s6, s7
.LBB62_184:                             ;   in Loop: Header=BB62_32 Depth=1
	s_or_b32 exec_lo, exec_lo, s14
	s_mov_b32 s21, 0
	s_mov_b32 s22, -1
.LBB62_185:                             ;   in Loop: Header=BB62_32 Depth=1
	s_wait_alu 0xfffe
	s_or_not1_b32 s6, s54, exec_lo
.LBB62_186:                             ;   in Loop: Header=BB62_32 Depth=1
	s_wait_alu 0xfffe
	s_or_b32 exec_lo, exec_lo, s23
	s_mov_b32 s7, 0
	s_and_saveexec_b32 s23, s6
	s_cbranch_execz .LBB62_296
; %bb.187:                              ;   in Loop: Header=BB62_32 Depth=1
	v_mov_b32_e32 v4, 1
	v_dual_mov_b32 v5, 0 :: v_dual_mov_b32 v2, 1
	s_xor_b32 s12, s53, -1
	s_wait_alu 0xfffe
	s_and_saveexec_b32 s6, s12
	s_cbranch_execz .LBB62_197
; %bb.188:                              ;   in Loop: Header=BB62_32 Depth=1
	s_mov_b32 s7, exec_lo
	v_cmpx_le_i64_e64 v[8:9], v[6:7]
	s_wait_alu 0xfffe
	s_xor_b32 s7, exec_lo, s7
	s_cbranch_execz .LBB62_194
; %bb.189:                              ;   in Loop: Header=BB62_32 Depth=1
	ds_load_b64 v[4:5], v3 offset:5120
	s_lshl_b32 s12, 1, s64
	v_or_b32_e32 v47, s16, v47
	s_wait_alu 0xfffe
	v_and_or_b32 v24, v24, s20, s12
	s_wait_dscnt 0x0
	v_cmp_ne_u64_e32 vcc_lo, 0, v[4:5]
	s_cbranch_vccnz .LBB62_193
; %bb.190:                              ;   in Loop: Header=BB62_32 Depth=1
	s_and_saveexec_b32 s12, s2
; %bb.191:                              ;   in Loop: Header=BB62_32 Depth=1
	ds_store_b64 v3, v[6:7] offset:5128
; %bb.192:                              ;   in Loop: Header=BB62_32 Depth=1
	s_wait_alu 0xfffe
	s_or_b32 exec_lo, exec_lo, s12
	s_wait_loadcnt_dscnt 0x0
	s_barrier_signal -1
	s_barrier_wait -1
	global_inv scope:SCOPE_SE
.LBB62_193:                             ;   in Loop: Header=BB62_32 Depth=1
                                        ; implicit-def: $vgpr4_vgpr5_vgpr6_vgpr7
.LBB62_194:                             ;   in Loop: Header=BB62_32 Depth=1
	s_wait_alu 0xfffe
	s_or_saveexec_b32 s7, s7
	v_mov_b32_e32 v2, 8
	s_mov_b32 s12, 0
	s_wait_alu 0xfffe
	s_xor_b32 exec_lo, exec_lo, s7
; %bb.195:                              ;   in Loop: Header=BB62_32 Depth=1
	v_sub_co_u32 v8, vcc_lo, v8, v6
	s_wait_alu 0xfffd
	v_sub_co_ci_u32_e64 v9, null, v9, v7, vcc_lo
	v_mov_b32_e32 v2, 0
	s_mov_b32 s12, exec_lo
; %bb.196:                              ;   in Loop: Header=BB62_32 Depth=1
	s_or_b32 exec_lo, exec_lo, s7
	s_delay_alu instid0(VALU_DEP_2)
	v_dual_mov_b32 v4, v8 :: v_dual_mov_b32 v5, v9
	s_wait_alu 0xfffe
	s_and_b32 s7, s12, exec_lo
.LBB62_197:                             ;   in Loop: Header=BB62_32 Depth=1
	s_wait_alu 0xfffe
	s_or_b32 exec_lo, exec_lo, s6
	s_mov_b32 s6, -1
                                        ; implicit-def: $sgpr54
                                        ; implicit-def: $sgpr55
	s_and_saveexec_b32 s53, s7
	s_cbranch_execz .LBB62_295
; %bb.198:                              ;   in Loop: Header=BB62_32 Depth=1
	v_cmp_eq_u64_e32 vcc_lo, 1, v[4:5]
	s_cmp_eq_u64 s[10:11], 1
                                        ; implicit-def: $sgpr55
                                        ; implicit-def: $sgpr54
	s_cselect_b32 s6, -1, 0
	s_wait_alu 0xfffe
	s_and_b32 s84, s6, vcc_lo
	s_mov_b32 s6, -1
	s_wait_alu 0xfffe
	s_and_saveexec_b32 s85, s84
	s_cbranch_execz .LBB62_234
; %bb.199:                              ;   in Loop: Header=BB62_32 Depth=1
	ds_load_b64 v[6:7], v3 offset:5120
	s_wait_loadcnt_dscnt 0x0
	s_barrier_signal -1
	s_barrier_wait -1
	global_inv scope:SCOPE_SE
	v_readfirstlane_b32 s12, v6
	v_readfirstlane_b32 s13, v7
	s_and_saveexec_b32 s6, s3
; %bb.200:                              ;   in Loop: Header=BB62_32 Depth=1
	ds_store_b16 v36, v3
; %bb.201:                              ;   in Loop: Header=BB62_32 Depth=1
	s_wait_alu 0xfffe
	s_or_b32 exec_lo, exec_lo, s6
	s_lshl_b32 s6, 2, s64
	v_or_b32_e32 v47, s16, v47
	s_wait_alu 0xfffe
	v_and_or_b32 v24, v24, s20, s6
	v_cmp_gt_i64_e64 s6, s[12:13], 0
	s_mov_b32 s54, -1
	s_mov_b32 s55, 0
	s_mov_b32 s86, 0
	s_mov_b32 s7, -1
	s_wait_loadcnt_dscnt 0x0
	s_and_b32 vcc_lo, exec_lo, s6
	s_barrier_signal -1
	s_barrier_wait -1
	global_inv scope:SCOPE_SE
                                        ; implicit-def: $vgpr48
	s_wait_alu 0xfffe
	s_cbranch_vccnz .LBB62_218
; %bb.202:                              ;   in Loop: Header=BB62_32 Depth=1
	s_mov_b32 s6, s25
	s_mov_b32 s7, s77
	s_wait_alu 0xfffe
	s_cmp_lg_u64 s[6:7], 0
	s_cbranch_scc0 .LBB62_261
; %bb.203:                              ;   in Loop: Header=BB62_32 Depth=1
	s_add_nc_u64 s[6:7], s[68:69], 0
	s_wait_alu 0xfffe
	s_xor_b64 s[6:7], s[6:7], 0
	s_wait_alu 0xfffe
	s_cvt_f32_u32 s14, s6
	s_cvt_f32_u32 s15, s7
	s_sub_nc_u64 s[86:87], 0, s[6:7]
	s_wait_alu 0xfffe
	s_delay_alu instid0(SALU_CYCLE_1) | instskip(SKIP_1) | instid1(SALU_CYCLE_2)
	s_fmamk_f32 s14, s15, 0x4f800000, s14
	s_wait_alu 0xfffe
	v_s_rcp_f32 s14, s14
	s_delay_alu instid0(TRANS32_DEP_1) | instskip(SKIP_1) | instid1(SALU_CYCLE_2)
	s_mul_f32 s14, s14, 0x5f7ffffc
	s_wait_alu 0xfffe
	s_mul_f32 s15, s14, 0x2f800000
	s_wait_alu 0xfffe
	s_delay_alu instid0(SALU_CYCLE_2) | instskip(SKIP_1) | instid1(SALU_CYCLE_2)
	s_trunc_f32 s15, s15
	s_wait_alu 0xfffe
	s_fmamk_f32 s14, s15, 0xcf800000, s14
	s_cvt_u32_f32 s15, s15
	s_wait_alu 0xfffe
	s_delay_alu instid0(SALU_CYCLE_1) | instskip(SKIP_1) | instid1(SALU_CYCLE_2)
	s_cvt_u32_f32 s14, s14
	s_wait_alu 0xfffe
	s_mul_u64 s[88:89], s[86:87], s[14:15]
	s_wait_alu 0xfffe
	s_mul_hi_u32 s91, s14, s89
	s_mul_i32 s90, s14, s89
	s_mul_hi_u32 s24, s14, s88
	s_mul_i32 s93, s15, s88
	s_wait_alu 0xfffe
	s_add_nc_u64 s[90:91], s[24:25], s[90:91]
	s_mul_hi_u32 s92, s15, s88
	s_mul_hi_u32 s94, s15, s89
	s_wait_alu 0xfffe
	s_add_co_u32 s24, s90, s93
	s_add_co_ci_u32 s24, s91, s92
	s_mul_i32 s88, s15, s89
	s_add_co_ci_u32 s89, s94, 0
	s_wait_alu 0xfffe
	s_add_nc_u64 s[88:89], s[24:25], s[88:89]
	s_wait_alu 0xfffe
	s_add_co_u32 s14, s14, s88
	s_cselect_b32 s24, -1, 0
	s_wait_alu 0xfffe
	s_cmp_lg_u32 s24, 0
	s_add_co_ci_u32 s15, s15, s89
	s_wait_alu 0xfffe
	s_mul_u64 s[86:87], s[86:87], s[14:15]
	s_wait_alu 0xfffe
	s_mul_hi_u32 s89, s14, s87
	s_mul_i32 s88, s14, s87
	s_mul_hi_u32 s24, s14, s86
	s_mul_i32 s91, s15, s86
	s_wait_alu 0xfffe
	s_add_nc_u64 s[88:89], s[24:25], s[88:89]
	s_mul_hi_u32 s90, s15, s86
	s_mul_hi_u32 s92, s15, s87
	s_wait_alu 0xfffe
	s_add_co_u32 s24, s88, s91
	s_add_co_ci_u32 s24, s89, s90
	s_mul_i32 s86, s15, s87
	s_add_co_ci_u32 s87, s92, 0
	s_wait_alu 0xfffe
	s_add_nc_u64 s[86:87], s[24:25], s[86:87]
	s_wait_alu 0xfffe
	s_add_co_u32 s90, s14, s86
	s_cselect_b32 s14, -1, 0
	s_wait_alu 0xfffe
	s_cmp_lg_u32 s14, 0
	s_add_co_ci_u32 s91, s15, s87
	s_ashr_i32 s14, s77, 31
	s_wait_alu 0xfffe
	s_mov_b32 s15, s14
	s_wait_alu 0xfffe
	s_add_nc_u64 s[86:87], s[76:77], s[14:15]
	s_wait_alu 0xfffe
	s_xor_b64 s[86:87], s[86:87], s[14:15]
	s_wait_alu 0xfffe
	s_mul_hi_u32 s89, s86, s91
	s_mul_i32 s88, s86, s91
	s_mul_hi_u32 s24, s86, s90
	s_mul_i32 s94, s87, s90
	s_wait_alu 0xfffe
	s_add_nc_u64 s[88:89], s[24:25], s[88:89]
	s_mul_hi_u32 s93, s87, s90
	s_mul_hi_u32 s92, s87, s91
	s_wait_alu 0xfffe
	s_add_co_u32 s24, s88, s94
	s_add_co_ci_u32 s24, s89, s93
	s_mul_i32 s90, s87, s91
	s_add_co_ci_u32 s91, s92, 0
	s_wait_alu 0xfffe
	s_add_nc_u64 s[88:89], s[24:25], s[90:91]
	s_wait_alu 0xfffe
	s_mul_u64 s[88:89], s[6:7], s[88:89]
	s_wait_alu 0xfffe
	s_sub_co_u32 s24, s86, s88
	s_cselect_b32 s86, -1, 0
	s_sub_co_i32 s88, s87, s89
	s_wait_alu 0xfffe
	s_cmp_lg_u32 s86, 0
	s_sub_co_ci_u32 s88, s88, s7
	s_sub_co_u32 s90, s24, s6
	s_cselect_b32 s91, -1, 0
	s_wait_alu 0xfffe
	s_cmp_lg_u32 s91, 0
	s_sub_co_ci_u32 s92, s88, 0
	s_wait_alu 0xfffe
	s_cmp_ge_u32 s92, s7
	s_cselect_b32 s93, -1, 0
	s_cmp_ge_u32 s90, s6
	s_cselect_b32 s94, -1, 0
	s_cmp_eq_u32 s92, s7
	s_wait_alu 0xfffe
	s_cselect_b32 s93, s94, s93
	s_cmp_lg_u32 s91, 0
	s_sub_co_ci_u32 s88, s88, s7
	s_sub_co_u32 s91, s90, s6
	s_cselect_b32 s94, -1, 0
	s_wait_alu 0xfffe
	s_cmp_lg_u32 s94, 0
	s_sub_co_ci_u32 s88, s88, 0
	s_cmp_lg_u32 s93, 0
	s_cselect_b32 s90, s91, s90
	s_wait_alu 0xfffe
	s_cselect_b32 s88, s88, s92
	s_cmp_lg_u32 s86, 0
	s_sub_co_ci_u32 s86, s87, s89
	s_wait_alu 0xfffe
	s_cmp_ge_u32 s86, s7
	s_cselect_b32 s87, -1, 0
	s_cmp_ge_u32 s24, s6
	s_cselect_b32 s6, -1, 0
	s_cmp_eq_u32 s86, s7
	s_wait_alu 0xfffe
	s_cselect_b32 s6, s6, s87
	s_wait_alu 0xfffe
	s_cmp_lg_u32 s6, 0
	s_cselect_b32 s7, s88, s86
	s_cselect_b32 s6, s90, s24
	s_wait_alu 0xfffe
	s_xor_b64 s[6:7], s[6:7], s[14:15]
	s_wait_alu 0xfffe
	s_sub_nc_u64 s[6:7], s[6:7], s[14:15]
	s_cbranch_execnz .LBB62_205
.LBB62_204:                             ;   in Loop: Header=BB62_32 Depth=1
	v_cvt_f32_u32_e32 v6, s68
	s_sub_co_i32 s7, 0, s68
	s_delay_alu instid0(VALU_DEP_1) | instskip(NEXT) | instid1(TRANS32_DEP_1)
	v_rcp_iflag_f32_e32 v6, v6
	v_mul_f32_e32 v6, 0x4f7ffffe, v6
	s_delay_alu instid0(VALU_DEP_1) | instskip(NEXT) | instid1(VALU_DEP_1)
	v_cvt_u32_f32_e32 v6, v6
	v_readfirstlane_b32 s6, v6
	s_wait_alu 0xfffe
	s_mul_i32 s7, s7, s6
	s_wait_alu 0xfffe
	s_mul_hi_u32 s7, s6, s7
	s_wait_alu 0xfffe
	s_add_co_i32 s6, s6, s7
	s_wait_alu 0xfffe
	s_mul_hi_u32 s6, s76, s6
	s_wait_alu 0xfffe
	s_mul_i32 s6, s6, s68
	s_wait_alu 0xfffe
	s_sub_co_i32 s6, s76, s6
	s_wait_alu 0xfffe
	s_sub_co_i32 s7, s6, s68
	s_cmp_ge_u32 s6, s68
	s_wait_alu 0xfffe
	s_cselect_b32 s6, s7, s6
	s_wait_alu 0xfffe
	s_sub_co_i32 s7, s6, s68
	s_cmp_ge_u32 s6, s68
	s_wait_alu 0xfffe
	s_cselect_b32 s24, s7, s6
	s_wait_alu 0xfffe
	s_mov_b64 s[6:7], s[24:25]
.LBB62_205:                             ;   in Loop: Header=BB62_32 Depth=1
	s_wait_alu 0xfffe
	s_sub_nc_u64 s[14:15], s[76:77], s[6:7]
	s_mov_b32 s7, 0
	s_mov_b32 s86, 0
	s_mov_b32 s24, exec_lo
                                        ; implicit-def: $vgpr48
	s_wait_alu 0xfffe
	v_cmpx_gt_i64_e64 s[14:15], v[0:1]
	s_cbranch_execz .LBB62_217
; %bb.206:                              ;   in Loop: Header=BB62_32 Depth=1
	v_dual_mov_b32 v6, v12 :: v_dual_mov_b32 v7, v13
	v_dual_mov_b32 v9, v1 :: v_dual_mov_b32 v8, v0
                                        ; implicit-def: $sgpr87
	s_branch .LBB62_210
.LBB62_207:                             ;   in Loop: Header=BB62_210 Depth=2
	s_wait_alu 0xfffe
	s_or_b32 exec_lo, exec_lo, s6
	s_wait_loadcnt_dscnt 0x0
	s_barrier_signal -1
	s_barrier_wait -1
	global_inv scope:SCOPE_SE
	ds_load_b32 v10, v3 offset:3072
	s_wait_loadcnt_dscnt 0x0
	s_barrier_signal -1
	s_barrier_wait -1
	global_inv scope:SCOPE_SE
	v_cmp_neq_f16_e32 vcc_lo, 0, v10
	s_cbranch_vccnz .LBB62_213
; %bb.208:                              ;   in Loop: Header=BB62_210 Depth=2
	v_add_co_u32 v8, vcc_lo, v8, s68
	s_wait_alu 0xfffd
	v_add_co_ci_u32_e64 v9, null, 0, v9, vcc_lo
	v_add_co_u32 v6, s6, v6, s70
	s_wait_alu 0xf1ff
	v_add_co_ci_u32_e64 v7, null, s71, v7, s6
	s_delay_alu instid0(VALU_DEP_3)
	v_cmp_le_i64_e32 vcc_lo, s[14:15], v[8:9]
	s_mov_b32 s6, 0
	s_or_not1_b32 s88, vcc_lo, exec_lo
.LBB62_209:                             ;   in Loop: Header=BB62_210 Depth=2
	s_wait_alu 0xfffe
	s_and_b32 s88, exec_lo, s88
	s_wait_alu 0xfffe
	s_or_b32 s86, s88, s86
	s_and_not1_b32 s87, s87, exec_lo
	s_and_b32 s6, s6, exec_lo
	s_wait_alu 0xfffe
	s_or_b32 s87, s87, s6
	s_and_not1_b32 exec_lo, exec_lo, s86
	s_cbranch_execz .LBB62_216
.LBB62_210:                             ;   Parent Loop BB62_32 Depth=1
                                        ; =>  This Inner Loop Header: Depth=2
	s_mov_b32 s6, exec_lo
	s_delay_alu instid0(VALU_DEP_1)
	v_cmpx_gt_i64_e64 s[36:37], v[8:9]
	s_cbranch_execz .LBB62_207
; %bb.211:                              ;   in Loop: Header=BB62_210 Depth=2
	global_load_u16 v10, v[6:7], off
	s_wait_loadcnt 0x0
	v_cmp_lt_i16_e32 vcc_lo, -1, v10
	v_and_b32_e32 v11, 0xffff, v10
	s_wait_alu 0xfffd
	v_cndmask_b32_e32 v28, 0xffff, v46, vcc_lo
	v_cmp_o_f16_e32 vcc_lo, v10, v10
	s_delay_alu instid0(VALU_DEP_2) | instskip(SKIP_1) | instid1(VALU_DEP_1)
	v_xor_b32_e32 v11, v28, v11
	s_wait_alu 0xfffd
	v_cndmask_b32_e32 v11, 0xffff, v11, vcc_lo
	s_delay_alu instid0(VALU_DEP_1) | instskip(NEXT) | instid1(VALU_DEP_1)
	v_and_b32_e32 v11, v11, v47
	v_cmp_eq_u32_e32 vcc_lo, v11, v24
	s_and_b32 exec_lo, exec_lo, vcc_lo
	s_cbranch_execz .LBB62_207
; %bb.212:                              ;   in Loop: Header=BB62_210 Depth=2
	v_perm_b32 v10, v10, s61, 0x5040100
	ds_store_b32 v3, v10 offset:3072
	s_branch .LBB62_207
.LBB62_213:                             ;   in Loop: Header=BB62_210 Depth=2
	s_mov_b32 s88, -1
	s_mov_b32 s6, -1
                                        ; implicit-def: $vgpr8_vgpr9
                                        ; implicit-def: $vgpr6_vgpr7
	s_branch .LBB62_209
.LBB62_214:                             ;   in Loop: Header=BB62_32 Depth=1
                                        ; implicit-def: $sgpr6_sgpr7
	s_branch .LBB62_156
.LBB62_215:                             ;   in Loop: Header=BB62_32 Depth=1
                                        ; implicit-def: $sgpr14_sgpr15
	s_branch .LBB62_173
.LBB62_216:                             ;   in Loop: Header=BB62_32 Depth=1
	s_or_b32 exec_lo, exec_lo, s86
	v_lshrrev_b32_e32 v48, 16, v10
	s_wait_alu 0xfffe
	s_and_b32 s86, s87, exec_lo
.LBB62_217:                             ;   in Loop: Header=BB62_32 Depth=1
	s_or_b32 exec_lo, exec_lo, s24
.LBB62_218:                             ;   in Loop: Header=BB62_32 Depth=1
	s_delay_alu instid0(SALU_CYCLE_1)
	s_and_b32 vcc_lo, exec_lo, s7
	s_wait_alu 0xfffe
	s_cbranch_vccz .LBB62_233
; %bb.219:                              ;   in Loop: Header=BB62_32 Depth=1
	s_add_nc_u64 s[6:7], s[12:13], s[74:75]
	s_mov_b32 s14, s25
	s_wait_alu 0xfffe
	s_mov_b32 s15, s7
	s_wait_alu 0xfffe
	s_cmp_lg_u64 s[14:15], 0
	s_cbranch_scc0 .LBB62_262
; %bb.220:                              ;   in Loop: Header=BB62_32 Depth=1
	s_add_nc_u64 s[14:15], s[68:69], 0
	s_wait_alu 0xfffe
	s_xor_b64 s[14:15], s[14:15], 0
	s_wait_alu 0xfffe
	s_cvt_f32_u32 s24, s14
	s_cvt_f32_u32 s54, s15
	s_sub_nc_u64 s[88:89], 0, s[14:15]
	s_wait_alu 0xfffe
	s_delay_alu instid0(SALU_CYCLE_1) | instskip(SKIP_1) | instid1(SALU_CYCLE_2)
	s_fmamk_f32 s24, s54, 0x4f800000, s24
	s_wait_alu 0xfffe
	v_s_rcp_f32 s24, s24
	s_delay_alu instid0(TRANS32_DEP_1) | instskip(SKIP_1) | instid1(SALU_CYCLE_2)
	s_mul_f32 s24, s24, 0x5f7ffffc
	s_wait_alu 0xfffe
	s_mul_f32 s54, s24, 0x2f800000
	s_wait_alu 0xfffe
	s_delay_alu instid0(SALU_CYCLE_2) | instskip(SKIP_1) | instid1(SALU_CYCLE_2)
	s_trunc_f32 s54, s54
	s_wait_alu 0xfffe
	s_fmamk_f32 s24, s54, 0xcf800000, s24
	s_cvt_u32_f32 s55, s54
	s_wait_alu 0xfffe
	s_delay_alu instid0(SALU_CYCLE_1) | instskip(SKIP_1) | instid1(SALU_CYCLE_2)
	s_cvt_u32_f32 s54, s24
	s_wait_alu 0xfffe
	s_mul_u64 s[90:91], s[88:89], s[54:55]
	s_wait_alu 0xfffe
	s_mul_hi_u32 s93, s54, s91
	s_mul_i32 s92, s54, s91
	s_mul_hi_u32 s24, s54, s90
	s_mul_i32 s94, s55, s90
	s_wait_alu 0xfffe
	s_add_nc_u64 s[92:93], s[24:25], s[92:93]
	s_mul_hi_u32 s87, s55, s90
	s_mul_hi_u32 s95, s55, s91
	s_wait_alu 0xfffe
	s_add_co_u32 s24, s92, s94
	s_add_co_ci_u32 s24, s93, s87
	s_mul_i32 s90, s55, s91
	s_add_co_ci_u32 s91, s95, 0
	s_wait_alu 0xfffe
	s_add_nc_u64 s[90:91], s[24:25], s[90:91]
	s_wait_alu 0xfffe
	s_add_co_u32 s54, s54, s90
	s_cselect_b32 s24, -1, 0
	s_wait_alu 0xfffe
	s_cmp_lg_u32 s24, 0
	s_add_co_ci_u32 s55, s55, s91
	s_wait_alu 0xfffe
	s_mul_u64 s[88:89], s[88:89], s[54:55]
	s_wait_alu 0xfffe
	s_mul_hi_u32 s91, s54, s89
	s_mul_i32 s90, s54, s89
	s_mul_hi_u32 s24, s54, s88
	s_mul_i32 s92, s55, s88
	s_wait_alu 0xfffe
	s_add_nc_u64 s[90:91], s[24:25], s[90:91]
	s_mul_hi_u32 s87, s55, s88
	s_mul_hi_u32 s93, s55, s89
	s_wait_alu 0xfffe
	s_add_co_u32 s24, s90, s92
	s_add_co_ci_u32 s24, s91, s87
	s_mul_i32 s88, s55, s89
	s_add_co_ci_u32 s89, s93, 0
	s_wait_alu 0xfffe
	s_add_nc_u64 s[88:89], s[24:25], s[88:89]
	s_wait_alu 0xfffe
	s_add_co_u32 s87, s54, s88
	s_cselect_b32 s24, -1, 0
	s_wait_alu 0xfffe
	s_cmp_lg_u32 s24, 0
	s_add_co_ci_u32 s92, s55, s89
	s_ashr_i32 s54, s7, 31
	s_wait_alu 0xfffe
	s_mov_b32 s55, s54
	s_wait_alu 0xfffe
	s_add_nc_u64 s[88:89], s[6:7], s[54:55]
	s_wait_alu 0xfffe
	s_xor_b64 s[88:89], s[88:89], s[54:55]
	s_wait_alu 0xfffe
	s_mul_hi_u32 s91, s88, s92
	s_mul_i32 s90, s88, s92
	s_mul_hi_u32 s24, s88, s87
	s_mul_hi_u32 s94, s89, s87
	s_mul_i32 s87, s89, s87
	s_wait_alu 0xfffe
	s_add_nc_u64 s[90:91], s[24:25], s[90:91]
	s_mul_hi_u32 s93, s89, s92
	s_wait_alu 0xfffe
	s_add_co_u32 s24, s90, s87
	s_add_co_ci_u32 s24, s91, s94
	s_mul_i32 s92, s89, s92
	s_add_co_ci_u32 s93, s93, 0
	s_wait_alu 0xfffe
	s_add_nc_u64 s[90:91], s[24:25], s[92:93]
	s_wait_alu 0xfffe
	s_mul_u64 s[90:91], s[14:15], s[90:91]
	s_wait_alu 0xfffe
	s_sub_co_u32 s24, s88, s90
	s_cselect_b32 s87, -1, 0
	s_sub_co_i32 s88, s89, s91
	s_wait_alu 0xfffe
	s_cmp_lg_u32 s87, 0
	s_sub_co_ci_u32 s88, s88, s15
	s_sub_co_u32 s90, s24, s14
	s_cselect_b32 s92, -1, 0
	s_wait_alu 0xfffe
	s_cmp_lg_u32 s92, 0
	s_sub_co_ci_u32 s93, s88, 0
	s_wait_alu 0xfffe
	s_cmp_ge_u32 s93, s15
	s_cselect_b32 s94, -1, 0
	s_cmp_ge_u32 s90, s14
	s_cselect_b32 s95, -1, 0
	s_cmp_eq_u32 s93, s15
	s_wait_alu 0xfffe
	s_cselect_b32 s94, s95, s94
	s_cmp_lg_u32 s92, 0
	s_sub_co_ci_u32 s88, s88, s15
	s_sub_co_u32 s92, s90, s14
	s_cselect_b32 s95, -1, 0
	s_wait_alu 0xfffe
	s_cmp_lg_u32 s95, 0
	s_sub_co_ci_u32 s88, s88, 0
	s_cmp_lg_u32 s94, 0
	s_cselect_b32 s90, s92, s90
	s_wait_alu 0xfffe
	s_cselect_b32 s88, s88, s93
	s_cmp_lg_u32 s87, 0
	s_sub_co_ci_u32 s87, s89, s91
	s_wait_alu 0xfffe
	s_cmp_ge_u32 s87, s15
	s_cselect_b32 s89, -1, 0
	s_cmp_ge_u32 s24, s14
	s_cselect_b32 s14, -1, 0
	s_cmp_eq_u32 s87, s15
	s_wait_alu 0xfffe
	s_cselect_b32 s14, s14, s89
	s_wait_alu 0xfffe
	s_cmp_lg_u32 s14, 0
	s_cselect_b32 s15, s88, s87
	s_cselect_b32 s14, s90, s24
	s_wait_alu 0xfffe
	s_xor_b64 s[14:15], s[14:15], s[54:55]
	s_wait_alu 0xfffe
	s_sub_nc_u64 s[14:15], s[14:15], s[54:55]
	s_cbranch_execnz .LBB62_222
.LBB62_221:                             ;   in Loop: Header=BB62_32 Depth=1
	v_cvt_f32_u32_e32 v6, s68
	s_sub_co_i32 s15, 0, s68
	s_delay_alu instid0(VALU_DEP_1) | instskip(NEXT) | instid1(TRANS32_DEP_1)
	v_rcp_iflag_f32_e32 v6, v6
	v_mul_f32_e32 v6, 0x4f7ffffe, v6
	s_delay_alu instid0(VALU_DEP_1) | instskip(NEXT) | instid1(VALU_DEP_1)
	v_cvt_u32_f32_e32 v6, v6
	v_readfirstlane_b32 s14, v6
	s_wait_alu 0xfffe
	s_mul_i32 s15, s15, s14
	s_wait_alu 0xfffe
	s_mul_hi_u32 s15, s14, s15
	s_wait_alu 0xfffe
	s_add_co_i32 s14, s14, s15
	s_wait_alu 0xfffe
	s_mul_hi_u32 s14, s6, s14
	s_wait_alu 0xfffe
	s_mul_i32 s14, s14, s68
	s_wait_alu 0xfffe
	s_sub_co_i32 s14, s6, s14
	s_wait_alu 0xfffe
	s_sub_co_i32 s15, s14, s68
	s_cmp_ge_u32 s14, s68
	s_wait_alu 0xfffe
	s_cselect_b32 s14, s15, s14
	s_wait_alu 0xfffe
	s_sub_co_i32 s15, s14, s68
	s_cmp_ge_u32 s14, s68
	s_wait_alu 0xfffe
	s_cselect_b32 s24, s15, s14
	s_wait_alu 0xfffe
	s_mov_b64 s[14:15], s[24:25]
.LBB62_222:                             ;   in Loop: Header=BB62_32 Depth=1
	s_wait_alu 0xfffe
	s_sub_nc_u64 s[6:7], s[6:7], s[14:15]
	s_mov_b32 s14, exec_lo
                                        ; implicit-def: $vgpr48
	s_wait_alu 0xfffe
	v_cmpx_gt_i64_e64 s[6:7], v[0:1]
	s_cbranch_execz .LBB62_232
; %bb.223:                              ;   in Loop: Header=BB62_32 Depth=1
	v_dual_mov_b32 v8, v35 :: v_dual_mov_b32 v7, v1
	v_mov_b32_e32 v6, v0
	s_mov_b32 s15, 0
                                        ; implicit-def: $sgpr24
	s_branch .LBB62_227
.LBB62_224:                             ;   in Loop: Header=BB62_227 Depth=2
	s_wait_alu 0xfffe
	s_or_b32 exec_lo, exec_lo, s54
	s_wait_loadcnt_dscnt 0x0
	s_barrier_signal -1
	s_barrier_wait -1
	global_inv scope:SCOPE_SE
	ds_load_b32 v9, v3 offset:3072
	s_wait_loadcnt_dscnt 0x0
	s_barrier_signal -1
	s_barrier_wait -1
	global_inv scope:SCOPE_SE
	v_cmp_eq_f16_e32 vcc_lo, 0, v9
	s_cbranch_vccz .LBB62_230
; %bb.225:                              ;   in Loop: Header=BB62_227 Depth=2
	v_add_co_u32 v6, vcc_lo, v6, s68
	s_wait_alu 0xfffd
	v_add_co_ci_u32_e64 v7, null, 0, v7, vcc_lo
	v_add_nc_u32_e32 v8, s60, v8
	s_mov_b32 s54, 0
	s_delay_alu instid0(VALU_DEP_2)
	v_cmp_le_i64_e32 vcc_lo, s[6:7], v[6:7]
	s_or_not1_b32 s55, vcc_lo, exec_lo
.LBB62_226:                             ;   in Loop: Header=BB62_227 Depth=2
	s_wait_alu 0xfffe
	s_and_b32 s55, exec_lo, s55
	s_wait_alu 0xfffe
	s_or_b32 s15, s55, s15
	s_and_not1_b32 s24, s24, exec_lo
	s_and_b32 s54, s54, exec_lo
	s_wait_alu 0xfffe
	s_or_b32 s24, s24, s54
	s_and_not1_b32 exec_lo, exec_lo, s15
	s_cbranch_execz .LBB62_231
.LBB62_227:                             ;   Parent Loop BB62_32 Depth=1
                                        ; =>  This Inner Loop Header: Depth=2
	s_mov_b32 s54, exec_lo
	s_delay_alu instid0(VALU_DEP_1)
	v_cmpx_gt_u64_e64 s[12:13], v[6:7]
	s_cbranch_execz .LBB62_224
; %bb.228:                              ;   in Loop: Header=BB62_227 Depth=2
	ds_load_u16 v9, v8
	s_wait_dscnt 0x0
	v_cmp_lt_i16_e32 vcc_lo, -1, v9
	s_wait_alu 0xfffd
	v_dual_cndmask_b32 v11, 0xffff, v46 :: v_dual_and_b32 v10, 0xffff, v9
	v_cmp_o_f16_e32 vcc_lo, v9, v9
	s_delay_alu instid0(VALU_DEP_2) | instskip(SKIP_1) | instid1(VALU_DEP_1)
	v_xor_b32_e32 v10, v11, v10
	s_wait_alu 0xfffd
	v_cndmask_b32_e32 v10, 0xffff, v10, vcc_lo
	s_delay_alu instid0(VALU_DEP_1) | instskip(NEXT) | instid1(VALU_DEP_1)
	v_and_b32_e32 v10, v10, v47
	v_cmp_eq_u32_e32 vcc_lo, v10, v24
	s_and_b32 exec_lo, exec_lo, vcc_lo
	s_cbranch_execz .LBB62_224
; %bb.229:                              ;   in Loop: Header=BB62_227 Depth=2
	v_perm_b32 v9, v9, s61, 0x5040100
	ds_store_b32 v3, v9 offset:3072
	s_branch .LBB62_224
.LBB62_230:                             ;   in Loop: Header=BB62_227 Depth=2
	s_mov_b32 s55, -1
	s_mov_b32 s54, -1
                                        ; implicit-def: $vgpr6_vgpr7
                                        ; implicit-def: $vgpr8
	s_branch .LBB62_226
.LBB62_231:                             ;   in Loop: Header=BB62_32 Depth=1
	s_or_b32 exec_lo, exec_lo, s15
	v_lshrrev_b32_e32 v48, 16, v9
	s_and_not1_b32 s6, s86, exec_lo
	s_wait_alu 0xfffe
	s_and_b32 s7, s24, exec_lo
	s_wait_alu 0xfffe
	s_or_b32 s86, s6, s7
.LBB62_232:                             ;   in Loop: Header=BB62_32 Depth=1
	s_or_b32 exec_lo, exec_lo, s14
	s_mov_b32 s54, 0
	s_mov_b32 s55, -1
.LBB62_233:                             ;   in Loop: Header=BB62_32 Depth=1
	s_wait_alu 0xfffe
	s_or_not1_b32 s6, s86, exec_lo
.LBB62_234:                             ;   in Loop: Header=BB62_32 Depth=1
	s_wait_alu 0xfffe
	s_or_b32 exec_lo, exec_lo, s85
	s_mov_b32 s7, 0
	s_and_saveexec_b32 s14, s6
	s_cbranch_execz .LBB62_294
; %bb.235:                              ;   in Loop: Header=BB62_32 Depth=1
	v_mov_b32_e32 v6, 1
	v_dual_mov_b32 v7, 0 :: v_dual_mov_b32 v2, 1
	s_xor_b32 s12, s84, -1
	s_wait_alu 0xfffe
	s_and_saveexec_b32 s6, s12
	s_cbranch_execz .LBB62_244
; %bb.236:                              ;   in Loop: Header=BB62_32 Depth=1
	s_mov_b32 s7, exec_lo
	v_cmpx_ge_i64_e64 s[10:11], v[4:5]
	s_wait_alu 0xfffe
	s_xor_b32 s7, exec_lo, s7
	s_cbranch_execz .LBB62_241
; %bb.237:                              ;   in Loop: Header=BB62_32 Depth=1
	ds_load_b64 v[6:7], v3 offset:5120
	s_lshl_b32 s12, 2, s64
	v_or_b32_e32 v47, s16, v47
	s_wait_alu 0xfffe
	v_and_or_b32 v24, v24, s20, s12
	s_wait_dscnt 0x0
	v_cmp_ne_u64_e32 vcc_lo, 0, v[6:7]
	s_cbranch_vccnz .LBB62_241
; %bb.238:                              ;   in Loop: Header=BB62_32 Depth=1
	s_and_saveexec_b32 s12, s2
; %bb.239:                              ;   in Loop: Header=BB62_32 Depth=1
	v_dual_mov_b32 v6, s10 :: v_dual_mov_b32 v7, s11
	ds_store_b64 v3, v[6:7] offset:5128
; %bb.240:                              ;   in Loop: Header=BB62_32 Depth=1
	s_wait_alu 0xfffe
	s_or_b32 exec_lo, exec_lo, s12
	s_wait_loadcnt_dscnt 0x0
	s_barrier_signal -1
	s_barrier_wait -1
	global_inv scope:SCOPE_SE
.LBB62_241:                             ;   in Loop: Header=BB62_32 Depth=1
	s_wait_alu 0xfffe
	s_or_saveexec_b32 s7, s7
	v_mov_b32_e32 v2, 8
	s_mov_b32 s12, 0
	s_wait_alu 0xfffe
	s_xor_b32 exec_lo, exec_lo, s7
; %bb.242:                              ;   in Loop: Header=BB62_32 Depth=1
	v_sub_co_u32 v4, vcc_lo, v4, s10
	s_wait_alu 0xfffd
	v_subrev_co_ci_u32_e64 v5, null, s11, v5, vcc_lo
	v_mov_b32_e32 v2, 0
	s_mov_b32 s12, exec_lo
; %bb.243:                              ;   in Loop: Header=BB62_32 Depth=1
	s_or_b32 exec_lo, exec_lo, s7
	s_delay_alu instid0(VALU_DEP_2)
	v_dual_mov_b32 v7, v5 :: v_dual_mov_b32 v6, v4
	s_wait_alu 0xfffe
	s_and_b32 s7, s12, exec_lo
.LBB62_244:                             ;   in Loop: Header=BB62_32 Depth=1
	s_wait_alu 0xfffe
	s_or_b32 exec_lo, exec_lo, s6
	s_mov_b32 s6, -1
                                        ; implicit-def: $sgpr86
                                        ; implicit-def: $sgpr85
	s_and_saveexec_b32 s15, s7
	s_cbranch_execz .LBB62_293
; %bb.245:                              ;   in Loop: Header=BB62_32 Depth=1
	v_cmp_eq_u64_e32 vcc_lo, 1, v[6:7]
	s_cmp_eq_u64 s[8:9], 1
	s_mov_b32 s7, -1
	s_cselect_b32 s6, -1, 0
                                        ; implicit-def: $sgpr86
                                        ; implicit-def: $sgpr85
	s_wait_alu 0xfffe
	s_and_b32 s20, s6, vcc_lo
	s_wait_alu 0xfffe
	s_and_saveexec_b32 s84, s20
	s_cbranch_execz .LBB62_281
; %bb.246:                              ;   in Loop: Header=BB62_32 Depth=1
	ds_load_b64 v[4:5], v3 offset:5120
	s_wait_loadcnt_dscnt 0x0
	s_barrier_signal -1
	s_barrier_wait -1
	global_inv scope:SCOPE_SE
	v_readfirstlane_b32 s10, v4
	v_readfirstlane_b32 s11, v5
	s_and_saveexec_b32 s6, s3
; %bb.247:                              ;   in Loop: Header=BB62_32 Depth=1
	ds_store_b16 v36, v3
; %bb.248:                              ;   in Loop: Header=BB62_32 Depth=1
	s_wait_alu 0xfffe
	s_or_b32 exec_lo, exec_lo, s6
	v_cmp_gt_i64_e64 s6, s[10:11], 0
	v_or_b32_e32 v24, s16, v24
	v_or_b32_e32 v47, s16, v47
	s_mov_b32 s85, -1
	s_mov_b32 s86, 0
	s_mov_b32 s87, 0
	s_and_b32 vcc_lo, exec_lo, s6
	s_wait_loadcnt_dscnt 0x0
	s_barrier_signal -1
	s_barrier_wait -1
	global_inv scope:SCOPE_SE
                                        ; implicit-def: $vgpr48
	s_wait_alu 0xfffe
	s_cbranch_vccnz .LBB62_265
; %bb.249:                              ;   in Loop: Header=BB62_32 Depth=1
	s_mov_b32 s6, s25
	s_mov_b32 s7, s77
	s_wait_alu 0xfffe
	s_cmp_lg_u64 s[6:7], 0
	s_cbranch_scc0 .LBB62_300
; %bb.250:                              ;   in Loop: Header=BB62_32 Depth=1
	s_add_nc_u64 s[6:7], s[68:69], 0
	s_wait_alu 0xfffe
	s_xor_b64 s[6:7], s[6:7], 0
	s_wait_alu 0xfffe
	s_cvt_f32_u32 s12, s6
	s_cvt_f32_u32 s13, s7
	s_sub_nc_u64 s[88:89], 0, s[6:7]
	s_wait_alu 0xfffe
	s_delay_alu instid0(SALU_CYCLE_1) | instskip(SKIP_1) | instid1(SALU_CYCLE_2)
	s_fmamk_f32 s12, s13, 0x4f800000, s12
	s_wait_alu 0xfffe
	v_s_rcp_f32 s12, s12
	s_delay_alu instid0(TRANS32_DEP_1) | instskip(SKIP_1) | instid1(SALU_CYCLE_2)
	s_mul_f32 s12, s12, 0x5f7ffffc
	s_wait_alu 0xfffe
	s_mul_f32 s13, s12, 0x2f800000
	s_wait_alu 0xfffe
	s_delay_alu instid0(SALU_CYCLE_2) | instskip(SKIP_1) | instid1(SALU_CYCLE_2)
	s_trunc_f32 s13, s13
	s_wait_alu 0xfffe
	s_fmamk_f32 s12, s13, 0xcf800000, s12
	s_cvt_u32_f32 s13, s13
	s_wait_alu 0xfffe
	s_delay_alu instid0(SALU_CYCLE_1) | instskip(SKIP_1) | instid1(SALU_CYCLE_2)
	s_cvt_u32_f32 s12, s12
	s_wait_alu 0xfffe
	s_mul_u64 s[90:91], s[88:89], s[12:13]
	s_wait_alu 0xfffe
	s_mul_hi_u32 s93, s12, s91
	s_mul_i32 s92, s12, s91
	s_mul_hi_u32 s24, s12, s90
	s_mul_i32 s94, s13, s90
	s_wait_alu 0xfffe
	s_add_nc_u64 s[92:93], s[24:25], s[92:93]
	s_mul_hi_u32 s87, s13, s90
	s_mul_hi_u32 s95, s13, s91
	s_wait_alu 0xfffe
	s_add_co_u32 s24, s92, s94
	s_add_co_ci_u32 s24, s93, s87
	s_mul_i32 s90, s13, s91
	s_add_co_ci_u32 s91, s95, 0
	s_wait_alu 0xfffe
	s_add_nc_u64 s[90:91], s[24:25], s[90:91]
	s_wait_alu 0xfffe
	s_add_co_u32 s12, s12, s90
	s_cselect_b32 s24, -1, 0
	s_wait_alu 0xfffe
	s_cmp_lg_u32 s24, 0
	s_add_co_ci_u32 s13, s13, s91
	s_wait_alu 0xfffe
	s_mul_u64 s[88:89], s[88:89], s[12:13]
	s_wait_alu 0xfffe
	s_mul_hi_u32 s91, s12, s89
	s_mul_i32 s90, s12, s89
	s_mul_hi_u32 s24, s12, s88
	s_mul_i32 s92, s13, s88
	s_wait_alu 0xfffe
	s_add_nc_u64 s[90:91], s[24:25], s[90:91]
	s_mul_hi_u32 s87, s13, s88
	s_mul_hi_u32 s93, s13, s89
	s_wait_alu 0xfffe
	s_add_co_u32 s24, s90, s92
	s_add_co_ci_u32 s24, s91, s87
	s_mul_i32 s88, s13, s89
	s_add_co_ci_u32 s89, s93, 0
	s_wait_alu 0xfffe
	s_add_nc_u64 s[88:89], s[24:25], s[88:89]
	s_wait_alu 0xfffe
	s_add_co_u32 s87, s12, s88
	s_cselect_b32 s12, -1, 0
	s_wait_alu 0xfffe
	s_cmp_lg_u32 s12, 0
	s_add_co_ci_u32 s92, s13, s89
	s_ashr_i32 s12, s77, 31
	s_wait_alu 0xfffe
	s_mov_b32 s13, s12
	s_wait_alu 0xfffe
	s_add_nc_u64 s[88:89], s[76:77], s[12:13]
	s_wait_alu 0xfffe
	s_xor_b64 s[88:89], s[88:89], s[12:13]
	s_wait_alu 0xfffe
	s_mul_hi_u32 s91, s88, s92
	s_mul_i32 s90, s88, s92
	s_mul_hi_u32 s24, s88, s87
	s_mul_hi_u32 s94, s89, s87
	s_mul_i32 s87, s89, s87
	s_wait_alu 0xfffe
	s_add_nc_u64 s[90:91], s[24:25], s[90:91]
	s_mul_hi_u32 s93, s89, s92
	s_wait_alu 0xfffe
	s_add_co_u32 s24, s90, s87
	s_add_co_ci_u32 s24, s91, s94
	s_mul_i32 s92, s89, s92
	s_add_co_ci_u32 s93, s93, 0
	s_wait_alu 0xfffe
	s_add_nc_u64 s[90:91], s[24:25], s[92:93]
	s_wait_alu 0xfffe
	s_mul_u64 s[90:91], s[6:7], s[90:91]
	s_wait_alu 0xfffe
	s_sub_co_u32 s24, s88, s90
	s_cselect_b32 s87, -1, 0
	s_sub_co_i32 s88, s89, s91
	s_wait_alu 0xfffe
	s_cmp_lg_u32 s87, 0
	s_sub_co_ci_u32 s88, s88, s7
	s_sub_co_u32 s90, s24, s6
	s_cselect_b32 s92, -1, 0
	s_wait_alu 0xfffe
	s_cmp_lg_u32 s92, 0
	s_sub_co_ci_u32 s93, s88, 0
	s_wait_alu 0xfffe
	s_cmp_ge_u32 s93, s7
	s_cselect_b32 s94, -1, 0
	s_cmp_ge_u32 s90, s6
	s_cselect_b32 s95, -1, 0
	s_cmp_eq_u32 s93, s7
	s_wait_alu 0xfffe
	s_cselect_b32 s94, s95, s94
	s_cmp_lg_u32 s92, 0
	s_sub_co_ci_u32 s88, s88, s7
	s_sub_co_u32 s92, s90, s6
	s_cselect_b32 s95, -1, 0
	s_wait_alu 0xfffe
	s_cmp_lg_u32 s95, 0
	s_sub_co_ci_u32 s88, s88, 0
	s_cmp_lg_u32 s94, 0
	s_cselect_b32 s90, s92, s90
	s_wait_alu 0xfffe
	s_cselect_b32 s88, s88, s93
	s_cmp_lg_u32 s87, 0
	s_sub_co_ci_u32 s87, s89, s91
	s_wait_alu 0xfffe
	s_cmp_ge_u32 s87, s7
	s_cselect_b32 s89, -1, 0
	s_cmp_ge_u32 s24, s6
	s_cselect_b32 s6, -1, 0
	s_cmp_eq_u32 s87, s7
	s_wait_alu 0xfffe
	s_cselect_b32 s6, s6, s89
	s_wait_alu 0xfffe
	s_cmp_lg_u32 s6, 0
	s_cselect_b32 s7, s88, s87
	s_cselect_b32 s6, s90, s24
	s_wait_alu 0xfffe
	s_xor_b64 s[6:7], s[6:7], s[12:13]
	s_wait_alu 0xfffe
	s_sub_nc_u64 s[6:7], s[6:7], s[12:13]
	s_cbranch_execnz .LBB62_252
.LBB62_251:                             ;   in Loop: Header=BB62_32 Depth=1
	v_cvt_f32_u32_e32 v4, s68
	s_sub_co_i32 s7, 0, s68
	s_delay_alu instid0(VALU_DEP_1) | instskip(NEXT) | instid1(TRANS32_DEP_1)
	v_rcp_iflag_f32_e32 v4, v4
	v_mul_f32_e32 v4, 0x4f7ffffe, v4
	s_delay_alu instid0(VALU_DEP_1) | instskip(NEXT) | instid1(VALU_DEP_1)
	v_cvt_u32_f32_e32 v4, v4
	v_readfirstlane_b32 s6, v4
	s_wait_alu 0xfffe
	s_mul_i32 s7, s7, s6
	s_wait_alu 0xfffe
	s_mul_hi_u32 s7, s6, s7
	s_wait_alu 0xfffe
	s_add_co_i32 s6, s6, s7
	s_wait_alu 0xfffe
	s_mul_hi_u32 s6, s76, s6
	s_wait_alu 0xfffe
	s_mul_i32 s6, s6, s68
	s_wait_alu 0xfffe
	s_sub_co_i32 s6, s76, s6
	s_wait_alu 0xfffe
	s_sub_co_i32 s7, s6, s68
	s_cmp_ge_u32 s6, s68
	s_wait_alu 0xfffe
	s_cselect_b32 s6, s7, s6
	s_wait_alu 0xfffe
	s_sub_co_i32 s7, s6, s68
	s_cmp_ge_u32 s6, s68
	s_wait_alu 0xfffe
	s_cselect_b32 s24, s7, s6
	s_wait_alu 0xfffe
	s_mov_b64 s[6:7], s[24:25]
.LBB62_252:                             ;   in Loop: Header=BB62_32 Depth=1
	s_wait_alu 0xfffe
	s_sub_nc_u64 s[12:13], s[76:77], s[6:7]
	s_mov_b32 s7, 0
	s_mov_b32 s87, 0
	s_mov_b32 s24, exec_lo
                                        ; implicit-def: $vgpr48
	s_wait_alu 0xfffe
	v_cmpx_gt_i64_e64 s[12:13], v[0:1]
	s_cbranch_execz .LBB62_264
; %bb.253:                              ;   in Loop: Header=BB62_32 Depth=1
	v_dual_mov_b32 v4, v12 :: v_dual_mov_b32 v5, v13
	v_dual_mov_b32 v9, v1 :: v_dual_mov_b32 v8, v0
                                        ; implicit-def: $sgpr88
	s_branch .LBB62_257
.LBB62_254:                             ;   in Loop: Header=BB62_257 Depth=2
	s_wait_alu 0xfffe
	s_or_b32 exec_lo, exec_lo, s6
	s_wait_loadcnt_dscnt 0x0
	s_barrier_signal -1
	s_barrier_wait -1
	global_inv scope:SCOPE_SE
	ds_load_b32 v10, v3 offset:3072
	s_wait_loadcnt_dscnt 0x0
	s_barrier_signal -1
	s_barrier_wait -1
	global_inv scope:SCOPE_SE
	v_cmp_neq_f16_e32 vcc_lo, 0, v10
	s_cbranch_vccnz .LBB62_260
; %bb.255:                              ;   in Loop: Header=BB62_257 Depth=2
	v_add_co_u32 v8, vcc_lo, v8, s68
	s_wait_alu 0xfffd
	v_add_co_ci_u32_e64 v9, null, 0, v9, vcc_lo
	v_add_co_u32 v4, s6, v4, s70
	s_wait_alu 0xf1ff
	v_add_co_ci_u32_e64 v5, null, s71, v5, s6
	s_delay_alu instid0(VALU_DEP_3)
	v_cmp_le_i64_e32 vcc_lo, s[12:13], v[8:9]
	s_mov_b32 s6, 0
	s_or_not1_b32 s89, vcc_lo, exec_lo
.LBB62_256:                             ;   in Loop: Header=BB62_257 Depth=2
	s_wait_alu 0xfffe
	s_and_b32 s89, exec_lo, s89
	s_wait_alu 0xfffe
	s_or_b32 s87, s89, s87
	s_and_not1_b32 s88, s88, exec_lo
	s_and_b32 s6, s6, exec_lo
	s_wait_alu 0xfffe
	s_or_b32 s88, s88, s6
	s_and_not1_b32 exec_lo, exec_lo, s87
	s_cbranch_execz .LBB62_263
.LBB62_257:                             ;   Parent Loop BB62_32 Depth=1
                                        ; =>  This Inner Loop Header: Depth=2
	s_mov_b32 s6, exec_lo
	s_delay_alu instid0(VALU_DEP_1)
	v_cmpx_gt_i64_e64 s[36:37], v[8:9]
	s_cbranch_execz .LBB62_254
; %bb.258:                              ;   in Loop: Header=BB62_257 Depth=2
	global_load_u16 v10, v[4:5], off
	s_wait_loadcnt 0x0
	v_cmp_lt_i16_e32 vcc_lo, -1, v10
	v_and_b32_e32 v11, 0xffff, v10
	s_wait_alu 0xfffd
	v_cndmask_b32_e32 v28, 0xffff, v46, vcc_lo
	v_cmp_o_f16_e32 vcc_lo, v10, v10
	s_delay_alu instid0(VALU_DEP_2) | instskip(SKIP_1) | instid1(VALU_DEP_1)
	v_xor_b32_e32 v11, v28, v11
	s_wait_alu 0xfffd
	v_cndmask_b32_e32 v11, 0xffff, v11, vcc_lo
	s_delay_alu instid0(VALU_DEP_1) | instskip(NEXT) | instid1(VALU_DEP_1)
	v_and_b32_e32 v11, v11, v47
	v_cmp_eq_u32_e32 vcc_lo, v11, v24
	s_and_b32 exec_lo, exec_lo, vcc_lo
	s_cbranch_execz .LBB62_254
; %bb.259:                              ;   in Loop: Header=BB62_257 Depth=2
	v_perm_b32 v10, v10, s61, 0x5040100
	ds_store_b32 v3, v10 offset:3072
	s_branch .LBB62_254
.LBB62_260:                             ;   in Loop: Header=BB62_257 Depth=2
	s_mov_b32 s89, -1
	s_mov_b32 s6, -1
                                        ; implicit-def: $vgpr8_vgpr9
                                        ; implicit-def: $vgpr4_vgpr5
	s_branch .LBB62_256
.LBB62_261:                             ;   in Loop: Header=BB62_32 Depth=1
                                        ; implicit-def: $sgpr6_sgpr7
	s_branch .LBB62_204
.LBB62_262:                             ;   in Loop: Header=BB62_32 Depth=1
                                        ; implicit-def: $sgpr14_sgpr15
	s_branch .LBB62_221
.LBB62_263:                             ;   in Loop: Header=BB62_32 Depth=1
	s_or_b32 exec_lo, exec_lo, s87
	v_lshrrev_b32_e32 v48, 16, v10
	s_wait_alu 0xfffe
	s_and_b32 s87, s88, exec_lo
.LBB62_264:                             ;   in Loop: Header=BB62_32 Depth=1
	s_or_b32 exec_lo, exec_lo, s24
.LBB62_265:                             ;   in Loop: Header=BB62_32 Depth=1
	s_delay_alu instid0(SALU_CYCLE_1)
	s_and_b32 vcc_lo, exec_lo, s7
	s_wait_alu 0xfffe
	s_cbranch_vccz .LBB62_280
; %bb.266:                              ;   in Loop: Header=BB62_32 Depth=1
	s_add_nc_u64 s[6:7], s[10:11], s[74:75]
	s_mov_b32 s12, s25
	s_wait_alu 0xfffe
	s_mov_b32 s13, s7
	s_wait_alu 0xfffe
	s_cmp_lg_u64 s[12:13], 0
	s_cbranch_scc0 .LBB62_301
; %bb.267:                              ;   in Loop: Header=BB62_32 Depth=1
	s_add_nc_u64 s[12:13], s[68:69], 0
	s_wait_alu 0xfffe
	s_xor_b64 s[12:13], s[12:13], 0
	s_wait_alu 0xfffe
	s_cvt_f32_u32 s24, s12
	s_cvt_f32_u32 s85, s13
	s_sub_nc_u64 s[90:91], 0, s[12:13]
	s_wait_alu 0xfffe
	s_delay_alu instid0(SALU_CYCLE_1) | instskip(SKIP_1) | instid1(SALU_CYCLE_2)
	s_fmamk_f32 s24, s85, 0x4f800000, s24
	s_wait_alu 0xfffe
	v_s_rcp_f32 s24, s24
	s_delay_alu instid0(TRANS32_DEP_1) | instskip(SKIP_1) | instid1(SALU_CYCLE_2)
	s_mul_f32 s24, s24, 0x5f7ffffc
	s_wait_alu 0xfffe
	s_mul_f32 s85, s24, 0x2f800000
	s_wait_alu 0xfffe
	s_delay_alu instid0(SALU_CYCLE_2) | instskip(SKIP_1) | instid1(SALU_CYCLE_2)
	s_trunc_f32 s85, s85
	s_wait_alu 0xfffe
	s_fmamk_f32 s24, s85, 0xcf800000, s24
	s_cvt_u32_f32 s89, s85
	s_wait_alu 0xfffe
	s_delay_alu instid0(SALU_CYCLE_1) | instskip(SKIP_1) | instid1(SALU_CYCLE_2)
	s_cvt_u32_f32 s88, s24
	s_wait_alu 0xfffe
	s_mul_u64 s[92:93], s[90:91], s[88:89]
	s_wait_alu 0xfffe
	s_mul_hi_u32 s95, s88, s93
	s_mul_i32 s94, s88, s93
	s_mul_hi_u32 s24, s88, s92
	s_mul_i32 s86, s89, s92
	s_wait_alu 0xfffe
	s_add_nc_u64 s[94:95], s[24:25], s[94:95]
	s_mul_hi_u32 s85, s89, s92
	s_mul_hi_u32 s96, s89, s93
	s_wait_alu 0xfffe
	s_add_co_u32 s24, s94, s86
	s_add_co_ci_u32 s24, s95, s85
	s_mul_i32 s92, s89, s93
	s_add_co_ci_u32 s93, s96, 0
	s_wait_alu 0xfffe
	s_add_nc_u64 s[92:93], s[24:25], s[92:93]
	s_wait_alu 0xfffe
	s_add_co_u32 s88, s88, s92
	s_cselect_b32 s24, -1, 0
	s_wait_alu 0xfffe
	s_cmp_lg_u32 s24, 0
	s_add_co_ci_u32 s89, s89, s93
	s_wait_alu 0xfffe
	s_mul_u64 s[90:91], s[90:91], s[88:89]
	s_wait_alu 0xfffe
	s_mul_hi_u32 s93, s88, s91
	s_mul_i32 s92, s88, s91
	s_mul_hi_u32 s24, s88, s90
	s_mul_i32 s86, s89, s90
	s_wait_alu 0xfffe
	s_add_nc_u64 s[92:93], s[24:25], s[92:93]
	s_mul_hi_u32 s85, s89, s90
	s_mul_hi_u32 s94, s89, s91
	s_wait_alu 0xfffe
	s_add_co_u32 s24, s92, s86
	s_add_co_ci_u32 s24, s93, s85
	s_mul_i32 s90, s89, s91
	s_add_co_ci_u32 s91, s94, 0
	s_wait_alu 0xfffe
	s_add_nc_u64 s[90:91], s[24:25], s[90:91]
	s_wait_alu 0xfffe
	s_add_co_u32 s85, s88, s90
	s_cselect_b32 s24, -1, 0
	s_wait_alu 0xfffe
	s_cmp_lg_u32 s24, 0
	s_add_co_ci_u32 s86, s89, s91
	s_ashr_i32 s88, s7, 31
	s_wait_alu 0xfffe
	s_mov_b32 s89, s88
	s_wait_alu 0xfffe
	s_add_nc_u64 s[90:91], s[6:7], s[88:89]
	s_wait_alu 0xfffe
	s_xor_b64 s[90:91], s[90:91], s[88:89]
	s_wait_alu 0xfffe
	s_mul_hi_u32 s93, s90, s86
	s_mul_i32 s92, s90, s86
	s_mul_hi_u32 s24, s90, s85
	s_mul_hi_u32 s96, s91, s85
	s_mul_i32 s85, s91, s85
	s_wait_alu 0xfffe
	s_add_nc_u64 s[92:93], s[24:25], s[92:93]
	s_mul_hi_u32 s95, s91, s86
	s_wait_alu 0xfffe
	s_add_co_u32 s24, s92, s85
	s_add_co_ci_u32 s24, s93, s96
	s_mul_i32 s94, s91, s86
	s_add_co_ci_u32 s95, s95, 0
	s_wait_alu 0xfffe
	s_add_nc_u64 s[92:93], s[24:25], s[94:95]
	s_wait_alu 0xfffe
	s_mul_u64 s[92:93], s[12:13], s[92:93]
	s_wait_alu 0xfffe
	s_sub_co_u32 s24, s90, s92
	s_cselect_b32 s85, -1, 0
	s_sub_co_i32 s86, s91, s93
	s_wait_alu 0xfffe
	s_cmp_lg_u32 s85, 0
	s_sub_co_ci_u32 s86, s86, s13
	s_sub_co_u32 s90, s24, s12
	s_cselect_b32 s92, -1, 0
	s_wait_alu 0xfffe
	s_cmp_lg_u32 s92, 0
	s_sub_co_ci_u32 s94, s86, 0
	s_wait_alu 0xfffe
	s_cmp_ge_u32 s94, s13
	s_cselect_b32 s95, -1, 0
	s_cmp_ge_u32 s90, s12
	s_cselect_b32 s96, -1, 0
	s_cmp_eq_u32 s94, s13
	s_wait_alu 0xfffe
	s_cselect_b32 s95, s96, s95
	s_cmp_lg_u32 s92, 0
	s_sub_co_ci_u32 s86, s86, s13
	s_sub_co_u32 s92, s90, s12
	s_cselect_b32 s96, -1, 0
	s_wait_alu 0xfffe
	s_cmp_lg_u32 s96, 0
	s_sub_co_ci_u32 s86, s86, 0
	s_cmp_lg_u32 s95, 0
	s_cselect_b32 s90, s92, s90
	s_wait_alu 0xfffe
	s_cselect_b32 s86, s86, s94
	s_cmp_lg_u32 s85, 0
	s_sub_co_ci_u32 s85, s91, s93
	s_wait_alu 0xfffe
	s_cmp_ge_u32 s85, s13
	s_cselect_b32 s91, -1, 0
	s_cmp_ge_u32 s24, s12
	s_cselect_b32 s12, -1, 0
	s_cmp_eq_u32 s85, s13
	s_wait_alu 0xfffe
	s_cselect_b32 s12, s12, s91
	s_wait_alu 0xfffe
	s_cmp_lg_u32 s12, 0
	s_cselect_b32 s13, s86, s85
	s_cselect_b32 s12, s90, s24
	s_wait_alu 0xfffe
	s_xor_b64 s[12:13], s[12:13], s[88:89]
	s_wait_alu 0xfffe
	s_sub_nc_u64 s[12:13], s[12:13], s[88:89]
	s_cbranch_execnz .LBB62_269
.LBB62_268:                             ;   in Loop: Header=BB62_32 Depth=1
	v_cvt_f32_u32_e32 v4, s68
	s_sub_co_i32 s13, 0, s68
	s_delay_alu instid0(VALU_DEP_1) | instskip(NEXT) | instid1(TRANS32_DEP_1)
	v_rcp_iflag_f32_e32 v4, v4
	v_mul_f32_e32 v4, 0x4f7ffffe, v4
	s_delay_alu instid0(VALU_DEP_1) | instskip(NEXT) | instid1(VALU_DEP_1)
	v_cvt_u32_f32_e32 v4, v4
	v_readfirstlane_b32 s12, v4
	s_wait_alu 0xfffe
	s_mul_i32 s13, s13, s12
	s_wait_alu 0xfffe
	s_mul_hi_u32 s13, s12, s13
	s_wait_alu 0xfffe
	s_add_co_i32 s12, s12, s13
	s_wait_alu 0xfffe
	s_mul_hi_u32 s12, s6, s12
	s_wait_alu 0xfffe
	s_mul_i32 s12, s12, s68
	s_wait_alu 0xfffe
	s_sub_co_i32 s12, s6, s12
	s_wait_alu 0xfffe
	s_sub_co_i32 s13, s12, s68
	s_cmp_ge_u32 s12, s68
	s_wait_alu 0xfffe
	s_cselect_b32 s12, s13, s12
	s_wait_alu 0xfffe
	s_sub_co_i32 s13, s12, s68
	s_cmp_ge_u32 s12, s68
	s_wait_alu 0xfffe
	s_cselect_b32 s24, s13, s12
	s_wait_alu 0xfffe
	s_mov_b64 s[12:13], s[24:25]
.LBB62_269:                             ;   in Loop: Header=BB62_32 Depth=1
	s_wait_alu 0xfffe
	s_sub_nc_u64 s[6:7], s[6:7], s[12:13]
	s_mov_b32 s12, exec_lo
                                        ; implicit-def: $vgpr48
	s_wait_alu 0xfffe
	v_cmpx_gt_i64_e64 s[6:7], v[0:1]
	s_cbranch_execz .LBB62_279
; %bb.270:                              ;   in Loop: Header=BB62_32 Depth=1
	v_dual_mov_b32 v8, v35 :: v_dual_mov_b32 v5, v1
	v_mov_b32_e32 v4, v0
	s_mov_b32 s13, 0
                                        ; implicit-def: $sgpr24
	s_branch .LBB62_274
.LBB62_271:                             ;   in Loop: Header=BB62_274 Depth=2
	s_wait_alu 0xfffe
	s_or_b32 exec_lo, exec_lo, s85
	s_wait_loadcnt_dscnt 0x0
	s_barrier_signal -1
	s_barrier_wait -1
	global_inv scope:SCOPE_SE
	ds_load_b32 v9, v3 offset:3072
	s_wait_loadcnt_dscnt 0x0
	s_barrier_signal -1
	s_barrier_wait -1
	global_inv scope:SCOPE_SE
	v_cmp_eq_f16_e32 vcc_lo, 0, v9
	s_cbranch_vccz .LBB62_277
; %bb.272:                              ;   in Loop: Header=BB62_274 Depth=2
	v_add_co_u32 v4, vcc_lo, v4, s68
	s_wait_alu 0xfffd
	v_add_co_ci_u32_e64 v5, null, 0, v5, vcc_lo
	v_add_nc_u32_e32 v8, s60, v8
	s_mov_b32 s85, 0
	s_delay_alu instid0(VALU_DEP_2)
	v_cmp_le_i64_e32 vcc_lo, s[6:7], v[4:5]
	s_or_not1_b32 s86, vcc_lo, exec_lo
.LBB62_273:                             ;   in Loop: Header=BB62_274 Depth=2
	s_wait_alu 0xfffe
	s_and_b32 s86, exec_lo, s86
	s_wait_alu 0xfffe
	s_or_b32 s13, s86, s13
	s_and_not1_b32 s24, s24, exec_lo
	s_and_b32 s85, s85, exec_lo
	s_wait_alu 0xfffe
	s_or_b32 s24, s24, s85
	s_and_not1_b32 exec_lo, exec_lo, s13
	s_cbranch_execz .LBB62_278
.LBB62_274:                             ;   Parent Loop BB62_32 Depth=1
                                        ; =>  This Inner Loop Header: Depth=2
	s_mov_b32 s85, exec_lo
	s_delay_alu instid0(VALU_DEP_1)
	v_cmpx_gt_u64_e64 s[10:11], v[4:5]
	s_cbranch_execz .LBB62_271
; %bb.275:                              ;   in Loop: Header=BB62_274 Depth=2
	ds_load_u16 v9, v8
	s_wait_dscnt 0x0
	v_cmp_lt_i16_e32 vcc_lo, -1, v9
	s_wait_alu 0xfffd
	v_dual_cndmask_b32 v11, 0xffff, v46 :: v_dual_and_b32 v10, 0xffff, v9
	v_cmp_o_f16_e32 vcc_lo, v9, v9
	s_delay_alu instid0(VALU_DEP_2) | instskip(SKIP_1) | instid1(VALU_DEP_1)
	v_xor_b32_e32 v10, v11, v10
	s_wait_alu 0xfffd
	v_cndmask_b32_e32 v10, 0xffff, v10, vcc_lo
	s_delay_alu instid0(VALU_DEP_1) | instskip(NEXT) | instid1(VALU_DEP_1)
	v_and_b32_e32 v10, v10, v47
	v_cmp_eq_u32_e32 vcc_lo, v10, v24
	s_and_b32 exec_lo, exec_lo, vcc_lo
	s_cbranch_execz .LBB62_271
; %bb.276:                              ;   in Loop: Header=BB62_274 Depth=2
	v_perm_b32 v9, v9, s61, 0x5040100
	ds_store_b32 v3, v9 offset:3072
	s_branch .LBB62_271
.LBB62_277:                             ;   in Loop: Header=BB62_274 Depth=2
	s_mov_b32 s86, -1
	s_mov_b32 s85, -1
                                        ; implicit-def: $vgpr4_vgpr5
                                        ; implicit-def: $vgpr8
	s_branch .LBB62_273
.LBB62_278:                             ;   in Loop: Header=BB62_32 Depth=1
	s_or_b32 exec_lo, exec_lo, s13
	v_lshrrev_b32_e32 v48, 16, v9
	s_and_not1_b32 s6, s87, exec_lo
	s_wait_alu 0xfffe
	s_and_b32 s7, s24, exec_lo
	s_wait_alu 0xfffe
	s_or_b32 s87, s6, s7
.LBB62_279:                             ;   in Loop: Header=BB62_32 Depth=1
	s_or_b32 exec_lo, exec_lo, s12
	s_mov_b32 s85, 0
	s_mov_b32 s86, -1
.LBB62_280:                             ;   in Loop: Header=BB62_32 Depth=1
	s_wait_alu 0xfffe
	s_or_not1_b32 s7, s87, exec_lo
.LBB62_281:                             ;   in Loop: Header=BB62_32 Depth=1
	s_wait_alu 0xfffe
	s_or_b32 exec_lo, exec_lo, s84
	s_mov_b32 s10, 0
	s_and_saveexec_b32 s6, s7
	s_cbranch_execz .LBB62_292
; %bb.282:                              ;   in Loop: Header=BB62_32 Depth=1
	v_mov_b32_e32 v4, 1
	v_dual_mov_b32 v5, 0 :: v_dual_mov_b32 v2, 1
	s_xor_b32 s10, s20, -1
	s_wait_alu 0xfffe
	s_and_saveexec_b32 s7, s10
	s_cbranch_execz .LBB62_291
; %bb.283:                              ;   in Loop: Header=BB62_32 Depth=1
	s_mov_b32 s10, exec_lo
	v_cmpx_ge_i64_e64 s[8:9], v[6:7]
	s_wait_alu 0xfffe
	s_xor_b32 s10, exec_lo, s10
	s_cbranch_execz .LBB62_288
; %bb.284:                              ;   in Loop: Header=BB62_32 Depth=1
	ds_load_b64 v[4:5], v3 offset:5120
	v_or_b32_e32 v24, s16, v24
	v_or_b32_e32 v47, s16, v47
	s_wait_dscnt 0x0
	v_cmp_ne_u64_e32 vcc_lo, 0, v[4:5]
	s_cbranch_vccnz .LBB62_288
; %bb.285:                              ;   in Loop: Header=BB62_32 Depth=1
	s_and_saveexec_b32 s11, s2
; %bb.286:                              ;   in Loop: Header=BB62_32 Depth=1
	v_dual_mov_b32 v4, s8 :: v_dual_mov_b32 v5, s9
	ds_store_b64 v3, v[4:5] offset:5128
; %bb.287:                              ;   in Loop: Header=BB62_32 Depth=1
	s_wait_alu 0xfffe
	s_or_b32 exec_lo, exec_lo, s11
	s_wait_loadcnt_dscnt 0x0
	s_barrier_signal -1
	s_barrier_wait -1
	global_inv scope:SCOPE_SE
.LBB62_288:                             ;   in Loop: Header=BB62_32 Depth=1
	s_wait_alu 0xfffe
	s_and_not1_saveexec_b32 s10, s10
; %bb.289:                              ;   in Loop: Header=BB62_32 Depth=1
	v_sub_co_u32 v6, vcc_lo, v6, s8
	s_wait_alu 0xfffd
	v_subrev_co_ci_u32_e64 v7, null, s9, v7, vcc_lo
; %bb.290:                              ;   in Loop: Header=BB62_32 Depth=1
	s_wait_alu 0xfffe
	s_or_b32 exec_lo, exec_lo, s10
	v_mov_b32_e32 v4, v6
	s_delay_alu instid0(VALU_DEP_2)
	v_dual_mov_b32 v2, 8 :: v_dual_mov_b32 v5, v7
.LBB62_291:                             ;   in Loop: Header=BB62_32 Depth=1
	s_wait_alu 0xfffe
	s_or_b32 exec_lo, exec_lo, s7
	s_delay_alu instid0(VALU_DEP_1)
	v_dual_mov_b32 v7, v5 :: v_dual_mov_b32 v6, v4
	s_mov_b32 s10, exec_lo
.LBB62_292:                             ;   in Loop: Header=BB62_32 Depth=1
	s_wait_alu 0xfffe
	s_or_b32 exec_lo, exec_lo, s6
	s_delay_alu instid0(SALU_CYCLE_1)
	s_or_not1_b32 s6, s10, exec_lo
.LBB62_293:                             ;   in Loop: Header=BB62_32 Depth=1
	s_wait_alu 0xfffe
	s_or_b32 exec_lo, exec_lo, s15
	v_dual_mov_b32 v4, v6 :: v_dual_mov_b32 v5, v7
	s_and_not1_b32 s7, s55, exec_lo
	s_and_b32 s8, s86, exec_lo
	s_and_not1_b32 s9, s54, exec_lo
	s_and_b32 s10, s85, exec_lo
	s_wait_alu 0xfffe
	s_or_b32 s55, s7, s8
	s_or_b32 s54, s9, s10
	s_and_b32 s7, s6, exec_lo
.LBB62_294:                             ;   in Loop: Header=BB62_32 Depth=1
	s_wait_alu 0xfffe
	s_or_b32 exec_lo, exec_lo, s14
	s_delay_alu instid0(SALU_CYCLE_1)
	s_or_not1_b32 s6, s7, exec_lo
.LBB62_295:                             ;   in Loop: Header=BB62_32 Depth=1
	s_or_b32 exec_lo, exec_lo, s53
	v_dual_mov_b32 v9, v5 :: v_dual_mov_b32 v8, v4
	s_and_not1_b32 s7, s22, exec_lo
	s_and_b32 s8, s55, exec_lo
	s_and_not1_b32 s9, s21, exec_lo
	s_and_b32 s10, s54, exec_lo
	s_wait_alu 0xfffe
	s_or_b32 s22, s7, s8
	s_or_b32 s21, s9, s10
	s_and_b32 s7, s6, exec_lo
.LBB62_296:                             ;   in Loop: Header=BB62_32 Depth=1
	s_wait_alu 0xfffe
	s_or_b32 exec_lo, exec_lo, s23
	s_delay_alu instid0(SALU_CYCLE_1)
	s_or_not1_b32 s6, s7, exec_lo
.LBB62_297:                             ;   in Loop: Header=BB62_32 Depth=1
	s_wait_alu 0xfffe
	s_or_b32 exec_lo, exec_lo, s19
	s_mov_b32 s7, 0
	s_and_saveexec_b32 s8, s6
	s_wait_alu 0xfffe
	s_xor_b32 s6, exec_lo, s8
	s_cbranch_execz .LBB62_30
; %bb.298:                              ;   in Loop: Header=BB62_32 Depth=1
	v_and_b32_e32 v2, 7, v2
	s_mov_b32 s8, -1
	s_mov_b32 s7, -1
	s_mov_b32 s9, exec_lo
	s_delay_alu instid0(VALU_DEP_1)
	v_cmpx_eq_u32_e32 0, v2
	s_cbranch_execz .LBB62_29
; %bb.299:                              ;   in Loop: Header=BB62_32 Depth=1
	s_xor_b32 s66, s66, 1
	s_add_co_i32 s10, s64, -2
	s_cmp_eq_u32 s64, 0
	s_wait_alu 0xfffe
	s_mov_b32 s64, s10
	s_cselect_b32 s8, -1, 0
	s_xor_b32 s7, exec_lo, -1
	s_wait_alu 0xfffe
	s_or_not1_b32 s8, s8, exec_lo
	s_branch .LBB62_29
.LBB62_300:                             ;   in Loop: Header=BB62_32 Depth=1
                                        ; implicit-def: $sgpr6_sgpr7
	s_branch .LBB62_251
.LBB62_301:                             ;   in Loop: Header=BB62_32 Depth=1
                                        ; implicit-def: $sgpr12_sgpr13
	s_branch .LBB62_268
.LBB62_302:
	s_or_b32 exec_lo, exec_lo, s65
	s_xor_b32 s5, s52, -1
	s_xor_b32 s1, s50, -1
	;; [unrolled: 1-line block ×3, first 2 shown]
	s_mov_b32 s3, 0
	s_wait_alu 0xfffe
	s_and_saveexec_b32 s6, s1
	s_wait_alu 0xfffe
	s_xor_b32 s1, exec_lo, s6
	s_cbranch_execnz .LBB62_307
; %bb.303:
	s_wait_alu 0xfffe
	s_and_not1_saveexec_b32 s0, s1
	s_cbranch_execnz .LBB62_329
.LBB62_304:
	s_wait_alu 0xfffe
	s_or_b32 exec_lo, exec_lo, s0
	s_and_saveexec_b32 s0, s3
.LBB62_305:
	; divergent unreachable
.LBB62_306:
	s_endpgm
.LBB62_307:
	s_and_saveexec_b32 s3, s5
	s_wait_alu 0xfffe
	s_xor_b32 s3, exec_lo, s3
	s_cbranch_execz .LBB62_327
; %bb.308:
	s_and_saveexec_b32 s5, s4
	s_wait_alu 0xfffe
	s_xor_b32 s4, exec_lo, s5
; %bb.309:
	v_and_b32_e32 v2, 0x8000, v24
	v_mov_b32_e32 v3, 0xffff
	s_delay_alu instid0(VALU_DEP_2) | instskip(SKIP_1) | instid1(VALU_DEP_2)
	v_cmp_eq_u32_e32 vcc_lo, 0, v2
	s_wait_alu 0xfffd
	v_cndmask_b32_e32 v2, 0x8000, v3, vcc_lo
	s_delay_alu instid0(VALU_DEP_1)
	v_xor_b32_e32 v48, v2, v24
; %bb.310:
	s_wait_alu 0xfffe
	s_or_b32 exec_lo, exec_lo, s4
	s_and_saveexec_b32 s4, s2
; %bb.311:
	v_dual_mov_b32 v2, 0 :: v_dual_mov_b32 v3, s36
	ds_store_b32 v2, v3 offset:5140
; %bb.312:
	s_wait_alu 0xfffe
	s_or_b32 exec_lo, exec_lo, s4
	s_wait_loadcnt_dscnt 0x0
	s_barrier_signal -1
	s_barrier_wait -1
	global_inv scope:SCOPE_SE
	s_and_saveexec_b32 s4, s0
	s_cbranch_execz .LBB62_324
; %bb.313:
	v_mov_b32_e32 v2, 0
	v_cmp_u_f16_e32 vcc_lo, v48, v48
	s_mov_b32 s5, 0
                                        ; implicit-def: $sgpr7
                                        ; implicit-def: $sgpr8
                                        ; implicit-def: $sgpr9
	ds_load_b32 v4, v2 offset:5140
	s_xor_b32 s6, vcc_lo, -1
	s_wait_dscnt 0x0
	v_ashrrev_i32_e32 v5, 31, v4
	s_branch .LBB62_316
.LBB62_314:                             ;   in Loop: Header=BB62_316 Depth=1
	s_wait_alu 0xfffe
	s_or_b32 exec_lo, exec_lo, s13
	s_delay_alu instid0(SALU_CYCLE_1)
	s_and_not1_b32 s0, s9, exec_lo
	s_and_b32 s9, s11, exec_lo
	s_and_not1_b32 s8, s8, exec_lo
	s_and_b32 s11, s12, exec_lo
	s_wait_alu 0xfffe
	s_or_b32 s9, s0, s9
	s_or_b32 s8, s8, s11
.LBB62_315:                             ;   in Loop: Header=BB62_316 Depth=1
	s_wait_alu 0xfffe
	s_or_b32 exec_lo, exec_lo, s10
	s_delay_alu instid0(SALU_CYCLE_1)
	s_and_b32 s0, exec_lo, s8
	s_wait_alu 0xfffe
	s_or_b32 s5, s0, s5
	s_and_not1_b32 s0, s7, exec_lo
	s_and_b32 s7, s9, exec_lo
	s_wait_alu 0xfffe
	s_or_b32 s7, s0, s7
	s_and_not1_b32 exec_lo, exec_lo, s5
	s_cbranch_execz .LBB62_319
.LBB62_316:                             ; =>This Inner Loop Header: Depth=1
	v_dual_mov_b32 v3, v1 :: v_dual_mov_b32 v2, v0
	s_or_b32 s9, s9, exec_lo
	s_or_b32 s8, s8, exec_lo
	s_mov_b32 s10, exec_lo
                                        ; implicit-def: $vgpr0_vgpr1
	s_delay_alu instid0(VALU_DEP_1)
	v_cmpx_lt_i64_e64 v[2:3], v[4:5]
	s_cbranch_execz .LBB62_315
; %bb.317:                              ;   in Loop: Header=BB62_316 Depth=1
	global_load_u16 v0, v[12:13], off
	s_mov_b32 s12, -1
	s_wait_loadcnt 0x0
	v_cmp_o_f16_e32 vcc_lo, v0, v0
	v_cmp_neq_f16_e64 s0, v0, v48
                                        ; implicit-def: $vgpr0_vgpr1
	s_wait_alu 0xfffe
	s_or_b32 s11, s6, vcc_lo
	s_wait_alu 0xfffe
	s_and_b32 s0, s0, s11
	s_mov_b32 s11, 0
	s_wait_alu 0xfffe
	s_and_saveexec_b32 s13, s0
	s_cbranch_execz .LBB62_314
; %bb.318:                              ;   in Loop: Header=BB62_316 Depth=1
	v_add_co_u32 v0, vcc_lo, v2, s68
	s_wait_alu 0xfffd
	v_add_co_ci_u32_e64 v1, null, 0, v3, vcc_lo
	v_add_co_u32 v12, s0, v12, s70
	s_wait_alu 0xf1ff
	v_add_co_ci_u32_e64 v13, null, s71, v13, s0
	s_delay_alu instid0(VALU_DEP_3)
	v_cmp_le_i64_e32 vcc_lo, s[36:37], v[0:1]
	s_mov_b32 s11, exec_lo
	s_or_not1_b32 s12, vcc_lo, exec_lo
	s_branch .LBB62_314
.LBB62_319:
	s_or_b32 exec_lo, exec_lo, s5
	s_wait_alu 0xfffe
	s_xor_b32 s0, s7, -1
	s_wait_alu 0xfffe
	s_and_saveexec_b32 s5, s0
	s_wait_alu 0xfffe
	s_xor_b32 s5, exec_lo, s5
	s_cbranch_execz .LBB62_324
; %bb.320:
	s_mov_b32 s5, exec_lo
	s_brev_b32 s0, -2
.LBB62_321:                             ; =>This Inner Loop Header: Depth=1
	s_wait_alu 0xfffe
	s_ctz_i32_b32 s6, s5
	s_wait_alu 0xfffe
	v_readlane_b32 s7, v2, s6
	s_lshl_b32 s6, 1, s6
	s_wait_alu 0xfffe
	s_and_not1_b32 s5, s5, s6
	s_min_i32 s0, s0, s7
	s_wait_alu 0xfffe
	s_cmp_lg_u32 s5, 0
	s_cbranch_scc1 .LBB62_321
; %bb.322:
	v_mbcnt_lo_u32_b32 v0, exec_lo, 0
	s_mov_b32 s5, exec_lo
	s_delay_alu instid0(VALU_DEP_1)
	v_cmpx_eq_u32_e32 0, v0
	s_wait_alu 0xfffe
	s_xor_b32 s5, exec_lo, s5
; %bb.323:
	v_dual_mov_b32 v0, 0 :: v_dual_mov_b32 v1, s0
	ds_min_i32 v0, v1 offset:5140
.LBB62_324:
	s_wait_alu 0xfffe
	s_or_b32 exec_lo, exec_lo, s4
	s_wait_loadcnt_dscnt 0x0
	s_barrier_signal -1
	s_barrier_wait -1
	global_inv scope:SCOPE_SE
	s_and_saveexec_b32 s0, s2
	s_cbranch_execz .LBB62_326
; %bb.325:
	v_readlane_b32 s16, v56, 2
	v_readlane_b32 s17, v56, 3
	v_mov_b32_e32 v2, 0
	s_mul_u64 s[4:5], s[56:57], s[46:47]
	v_readlane_b32 s20, v56, 8
	s_wait_alu 0xfffe
	s_sub_nc_u64 s[4:5], s[26:27], s[4:5]
	s_mul_u64 s[14:15], s[62:63], s[16:17]
	v_readlane_b32 s16, v56, 0
	v_readlane_b32 s17, v56, 1
	ds_load_b32 v0, v2 offset:5140
	s_mul_u64 s[10:11], s[34:35], s[30:31]
	v_readlane_b32 s21, v56, 9
	s_wait_alu 0xfffe
	s_sub_nc_u64 s[10:11], s[26:27], s[10:11]
	s_mul_u64 s[4:5], s[4:5], s[16:17]
	v_readlane_b32 s16, v56, 6
	v_readlane_b32 s17, v56, 7
	s_mul_u64 s[8:9], s[40:41], s[20:21]
	v_readlane_b32 s18, v56, 4
	s_wait_alu 0xfffe
	s_lshl_b64 s[8:9], s[8:9], 1
	v_readlane_b32 s19, v56, 5
	s_mul_u64 s[10:11], s[10:11], s[16:17]
	v_readlane_b32 s16, v56, 14
	v_readlane_b32 s17, v56, 15
	;; [unrolled: 1-line block ×4, first 2 shown]
	s_mul_u64 s[12:13], s[62:63], s[44:45]
	s_mul_u64 s[6:7], s[40:41], s[28:29]
	s_wait_alu 0xfffe
	s_add_nc_u64 s[8:9], s[16:17], s[8:9]
	v_readlane_b32 s16, v56, 12
	v_readlane_b32 s17, v56, 13
	s_sub_nc_u64 s[12:13], s[56:57], s[12:13]
	s_sub_nc_u64 s[6:7], s[34:35], s[6:7]
	s_lshl_b64 s[14:15], s[14:15], 3
	s_wait_alu 0xfffe
	s_mul_u64 s[12:13], s[12:13], s[18:19]
	s_mul_u64 s[6:7], s[6:7], s[22:23]
	s_add_nc_u64 s[14:15], s[16:17], s[14:15]
	s_wait_alu 0xfffe
	s_lshl_b64 s[12:13], s[12:13], 3
	s_lshl_b64 s[6:7], s[6:7], 1
	s_wait_dscnt 0x0
	v_ashrrev_i32_e32 v1, 31, v0
	s_lshl_b64 s[4:5], s[4:5], 3
	s_wait_alu 0xfffe
	s_add_nc_u64 s[12:13], s[14:15], s[12:13]
	s_lshl_b64 s[10:11], s[10:11], 1
	s_add_nc_u64 s[6:7], s[8:9], s[6:7]
	s_wait_alu 0xfffe
	s_add_nc_u64 s[4:5], s[12:13], s[4:5]
	s_add_nc_u64 s[6:7], s[6:7], s[10:11]
	s_clause 0x1
	global_store_b64 v2, v[0:1], s[4:5]
	global_store_b16 v2, v48, s[6:7]
.LBB62_326:
	s_wait_alu 0xfffe
	s_or_b32 exec_lo, exec_lo, s0
.LBB62_327:
	s_wait_alu 0xfffe
	s_or_saveexec_b32 s0, s3
	s_mov_b32 s2, 0
	s_wait_alu 0xfffe
	s_xor_b32 exec_lo, exec_lo, s0
	s_cbranch_execnz .LBB62_330
.LBB62_328:
	s_or_b32 exec_lo, exec_lo, s0
	s_wait_alu 0xfffe
	s_and_b32 s3, s2, exec_lo
	s_and_not1_saveexec_b32 s0, s1
	s_cbranch_execz .LBB62_304
.LBB62_329:
	s_wait_alu 0xfffe
	s_or_b32 s3, s3, exec_lo
	s_trap 2
	s_or_b32 exec_lo, exec_lo, s0
	s_wait_alu 0xfffe
	s_and_saveexec_b32 s0, s3
	s_cbranch_execnz .LBB62_305
	s_branch .LBB62_306
.LBB62_330:
	s_mov_b32 s2, exec_lo
	s_trap 2
	s_branch .LBB62_328
	.section	.rodata,"a",@progbits
	.p2align	6, 0x0
	.amdhsa_kernel _ZN2at6native12_GLOBAL__N_114gatherKthValueIN3c104HalfElLi3EEEvNS_4cuda6detail10TensorInfoIKT_T0_EESA_SA_SA_SA_NS7_IS8_SA_EENS7_IlSA_EE
		.amdhsa_group_segment_fixed_size 5144
		.amdhsa_private_segment_fixed_size 0
		.amdhsa_kernarg_size 1536
		.amdhsa_user_sgpr_count 2
		.amdhsa_user_sgpr_dispatch_ptr 0
		.amdhsa_user_sgpr_queue_ptr 0
		.amdhsa_user_sgpr_kernarg_segment_ptr 1
		.amdhsa_user_sgpr_dispatch_id 0
		.amdhsa_user_sgpr_private_segment_size 0
		.amdhsa_wavefront_size32 1
		.amdhsa_uses_dynamic_stack 0
		.amdhsa_enable_private_segment 0
		.amdhsa_system_sgpr_workgroup_id_x 1
		.amdhsa_system_sgpr_workgroup_id_y 1
		.amdhsa_system_sgpr_workgroup_id_z 1
		.amdhsa_system_sgpr_workgroup_info 0
		.amdhsa_system_vgpr_workitem_id 0
		.amdhsa_next_free_vgpr 57
		.amdhsa_next_free_sgpr 105
		.amdhsa_reserve_vcc 1
		.amdhsa_float_round_mode_32 0
		.amdhsa_float_round_mode_16_64 0
		.amdhsa_float_denorm_mode_32 3
		.amdhsa_float_denorm_mode_16_64 3
		.amdhsa_fp16_overflow 0
		.amdhsa_workgroup_processor_mode 1
		.amdhsa_memory_ordered 1
		.amdhsa_forward_progress 1
		.amdhsa_inst_pref_size 195
		.amdhsa_round_robin_scheduling 0
		.amdhsa_exception_fp_ieee_invalid_op 0
		.amdhsa_exception_fp_denorm_src 0
		.amdhsa_exception_fp_ieee_div_zero 0
		.amdhsa_exception_fp_ieee_overflow 0
		.amdhsa_exception_fp_ieee_underflow 0
		.amdhsa_exception_fp_ieee_inexact 0
		.amdhsa_exception_int_div_zero 0
	.end_amdhsa_kernel
	.section	.text._ZN2at6native12_GLOBAL__N_114gatherKthValueIN3c104HalfElLi3EEEvNS_4cuda6detail10TensorInfoIKT_T0_EESA_SA_SA_SA_NS7_IS8_SA_EENS7_IlSA_EE,"axG",@progbits,_ZN2at6native12_GLOBAL__N_114gatherKthValueIN3c104HalfElLi3EEEvNS_4cuda6detail10TensorInfoIKT_T0_EESA_SA_SA_SA_NS7_IS8_SA_EENS7_IlSA_EE,comdat
.Lfunc_end62:
	.size	_ZN2at6native12_GLOBAL__N_114gatherKthValueIN3c104HalfElLi3EEEvNS_4cuda6detail10TensorInfoIKT_T0_EESA_SA_SA_SA_NS7_IS8_SA_EENS7_IlSA_EE, .Lfunc_end62-_ZN2at6native12_GLOBAL__N_114gatherKthValueIN3c104HalfElLi3EEEvNS_4cuda6detail10TensorInfoIKT_T0_EESA_SA_SA_SA_NS7_IS8_SA_EENS7_IlSA_EE
                                        ; -- End function
	.set _ZN2at6native12_GLOBAL__N_114gatherKthValueIN3c104HalfElLi3EEEvNS_4cuda6detail10TensorInfoIKT_T0_EESA_SA_SA_SA_NS7_IS8_SA_EENS7_IlSA_EE.num_vgpr, 57
	.set _ZN2at6native12_GLOBAL__N_114gatherKthValueIN3c104HalfElLi3EEEvNS_4cuda6detail10TensorInfoIKT_T0_EESA_SA_SA_SA_NS7_IS8_SA_EENS7_IlSA_EE.num_agpr, 0
	.set _ZN2at6native12_GLOBAL__N_114gatherKthValueIN3c104HalfElLi3EEEvNS_4cuda6detail10TensorInfoIKT_T0_EESA_SA_SA_SA_NS7_IS8_SA_EENS7_IlSA_EE.numbered_sgpr, 105
	.set _ZN2at6native12_GLOBAL__N_114gatherKthValueIN3c104HalfElLi3EEEvNS_4cuda6detail10TensorInfoIKT_T0_EESA_SA_SA_SA_NS7_IS8_SA_EENS7_IlSA_EE.num_named_barrier, 0
	.set _ZN2at6native12_GLOBAL__N_114gatherKthValueIN3c104HalfElLi3EEEvNS_4cuda6detail10TensorInfoIKT_T0_EESA_SA_SA_SA_NS7_IS8_SA_EENS7_IlSA_EE.private_seg_size, 0
	.set _ZN2at6native12_GLOBAL__N_114gatherKthValueIN3c104HalfElLi3EEEvNS_4cuda6detail10TensorInfoIKT_T0_EESA_SA_SA_SA_NS7_IS8_SA_EENS7_IlSA_EE.uses_vcc, 1
	.set _ZN2at6native12_GLOBAL__N_114gatherKthValueIN3c104HalfElLi3EEEvNS_4cuda6detail10TensorInfoIKT_T0_EESA_SA_SA_SA_NS7_IS8_SA_EENS7_IlSA_EE.uses_flat_scratch, 0
	.set _ZN2at6native12_GLOBAL__N_114gatherKthValueIN3c104HalfElLi3EEEvNS_4cuda6detail10TensorInfoIKT_T0_EESA_SA_SA_SA_NS7_IS8_SA_EENS7_IlSA_EE.has_dyn_sized_stack, 0
	.set _ZN2at6native12_GLOBAL__N_114gatherKthValueIN3c104HalfElLi3EEEvNS_4cuda6detail10TensorInfoIKT_T0_EESA_SA_SA_SA_NS7_IS8_SA_EENS7_IlSA_EE.has_recursion, 0
	.set _ZN2at6native12_GLOBAL__N_114gatherKthValueIN3c104HalfElLi3EEEvNS_4cuda6detail10TensorInfoIKT_T0_EESA_SA_SA_SA_NS7_IS8_SA_EENS7_IlSA_EE.has_indirect_call, 0
	.section	.AMDGPU.csdata,"",@progbits
; Kernel info:
; codeLenInByte = 24852
; TotalNumSgprs: 107
; NumVgprs: 57
; ScratchSize: 0
; MemoryBound: 0
; FloatMode: 240
; IeeeMode: 1
; LDSByteSize: 5144 bytes/workgroup (compile time only)
; SGPRBlocks: 0
; VGPRBlocks: 7
; NumSGPRsForWavesPerEU: 107
; NumVGPRsForWavesPerEU: 57
; Occupancy: 16
; WaveLimiterHint : 1
; COMPUTE_PGM_RSRC2:SCRATCH_EN: 0
; COMPUTE_PGM_RSRC2:USER_SGPR: 2
; COMPUTE_PGM_RSRC2:TRAP_HANDLER: 0
; COMPUTE_PGM_RSRC2:TGID_X_EN: 1
; COMPUTE_PGM_RSRC2:TGID_Y_EN: 1
; COMPUTE_PGM_RSRC2:TGID_Z_EN: 1
; COMPUTE_PGM_RSRC2:TIDIG_COMP_CNT: 0
	.section	.text._ZN2at6native12_GLOBAL__N_114gatherKthValueIN3c104HalfElLin1EEEvNS_4cuda6detail10TensorInfoIKT_T0_EESA_SA_SA_SA_NS7_IS8_SA_EENS7_IlSA_EE,"axG",@progbits,_ZN2at6native12_GLOBAL__N_114gatherKthValueIN3c104HalfElLin1EEEvNS_4cuda6detail10TensorInfoIKT_T0_EESA_SA_SA_SA_NS7_IS8_SA_EENS7_IlSA_EE,comdat
	.globl	_ZN2at6native12_GLOBAL__N_114gatherKthValueIN3c104HalfElLin1EEEvNS_4cuda6detail10TensorInfoIKT_T0_EESA_SA_SA_SA_NS7_IS8_SA_EENS7_IlSA_EE ; -- Begin function _ZN2at6native12_GLOBAL__N_114gatherKthValueIN3c104HalfElLin1EEEvNS_4cuda6detail10TensorInfoIKT_T0_EESA_SA_SA_SA_NS7_IS8_SA_EENS7_IlSA_EE
	.p2align	8
	.type	_ZN2at6native12_GLOBAL__N_114gatherKthValueIN3c104HalfElLin1EEEvNS_4cuda6detail10TensorInfoIKT_T0_EESA_SA_SA_SA_NS7_IS8_SA_EENS7_IlSA_EE,@function
_ZN2at6native12_GLOBAL__N_114gatherKthValueIN3c104HalfElLin1EEEvNS_4cuda6detail10TensorInfoIKT_T0_EESA_SA_SA_SA_NS7_IS8_SA_EENS7_IlSA_EE: ; @_ZN2at6native12_GLOBAL__N_114gatherKthValueIN3c104HalfElLin1EEEvNS_4cuda6detail10TensorInfoIKT_T0_EESA_SA_SA_SA_NS7_IS8_SA_EENS7_IlSA_EE
; %bb.0:
	s_clause 0x1
	s_load_b64 s[4:5], s[0:1], 0x500
	s_load_b256 s[36:43], s[0:1], 0x1a0
	s_lshr_b32 s2, ttmp7, 16
	s_and_b32 s3, ttmp7, 0xffff
	s_wait_kmcnt 0x0
	s_mul_i32 s2, s5, s2
	s_delay_alu instid0(SALU_CYCLE_1) | instskip(SKIP_2) | instid1(SALU_CYCLE_1)
	s_add_co_i32 s2, s2, s3
	s_mov_b32 s3, 0
	s_mul_i32 s2, s2, s4
	s_add_co_i32 s2, s2, ttmp9
	s_delay_alu instid0(SALU_CYCLE_1)
	v_cmp_le_i64_e64 s5, s[40:41], s[2:3]
	s_and_b32 vcc_lo, exec_lo, s5
	s_cbranch_vccnz .LBB63_306
; %bb.1:
	s_load_b32 s5, s[0:1], 0x198
	s_mov_b64 s[6:7], 0
	s_mov_b64 s[10:11], s[2:3]
	s_wait_kmcnt 0x0
	s_cmp_lt_i32 s5, 2
	s_cbranch_scc1 .LBB63_9
; %bb.2:
	s_mov_b32 s8, 0
	s_add_co_i32 s6, s5, -1
	s_mov_b32 s7, s8
	s_add_co_i32 s5, s5, 1
	s_lshl_b64 s[6:7], s[6:7], 3
	s_mov_b64 s[14:15], s[2:3]
	s_add_nc_u64 s[10:11], s[0:1], s[6:7]
	s_mov_b64 s[6:7], 0
	s_add_nc_u64 s[12:13], s[10:11], 8
.LBB63_3:                               ; =>This Inner Loop Header: Depth=1
	s_load_b64 s[16:17], s[12:13], 0x0
	s_wait_kmcnt 0x0
	s_or_b64 s[10:11], s[14:15], s[16:17]
	s_delay_alu instid0(SALU_CYCLE_1)
	s_mov_b32 s9, s11
                                        ; implicit-def: $sgpr10_sgpr11
	s_wait_alu 0xfffe
	s_cmp_lg_u64 s[8:9], 0
	s_mov_b32 s9, -1
	s_cbranch_scc0 .LBB63_5
; %bb.4:                                ;   in Loop: Header=BB63_3 Depth=1
	s_ashr_i32 s10, s17, 31
	s_mov_b32 s25, s8
	s_mov_b32 s11, s10
	;; [unrolled: 1-line block ×3, first 2 shown]
	s_add_nc_u64 s[18:19], s[16:17], s[10:11]
	s_delay_alu instid0(SALU_CYCLE_1) | instskip(NEXT) | instid1(SALU_CYCLE_1)
	s_xor_b64 s[18:19], s[18:19], s[10:11]
	s_cvt_f32_u32 s9, s18
	s_cvt_f32_u32 s20, s19
	s_sub_nc_u64 s[22:23], 0, s[18:19]
	s_wait_alu 0xfffe
	s_delay_alu instid0(SALU_CYCLE_1) | instskip(SKIP_1) | instid1(SALU_CYCLE_2)
	s_fmamk_f32 s9, s20, 0x4f800000, s9
	s_wait_alu 0xfffe
	v_s_rcp_f32 s9, s9
	s_delay_alu instid0(TRANS32_DEP_1) | instskip(SKIP_1) | instid1(SALU_CYCLE_2)
	s_mul_f32 s9, s9, 0x5f7ffffc
	s_wait_alu 0xfffe
	s_mul_f32 s20, s9, 0x2f800000
	s_delay_alu instid0(SALU_CYCLE_3) | instskip(NEXT) | instid1(SALU_CYCLE_3)
	s_trunc_f32 s20, s20
	s_fmamk_f32 s9, s20, 0xcf800000, s9
	s_cvt_u32_f32 s21, s20
	s_wait_alu 0xfffe
	s_delay_alu instid0(SALU_CYCLE_1) | instskip(NEXT) | instid1(SALU_CYCLE_3)
	s_cvt_u32_f32 s20, s9
	s_mul_u64 s[26:27], s[22:23], s[20:21]
	s_delay_alu instid0(SALU_CYCLE_1)
	s_mul_hi_u32 s31, s20, s27
	s_mul_i32 s30, s20, s27
	s_mul_hi_u32 s24, s20, s26
	s_mul_i32 s28, s21, s26
	s_add_nc_u64 s[24:25], s[24:25], s[30:31]
	s_mul_hi_u32 s9, s21, s26
	s_mul_hi_u32 s33, s21, s27
	s_add_co_u32 s24, s24, s28
	s_wait_alu 0xfffe
	s_add_co_ci_u32 s28, s25, s9
	s_mul_i32 s26, s21, s27
	s_add_co_ci_u32 s27, s33, 0
	s_delay_alu instid0(SALU_CYCLE_1)
	s_add_nc_u64 s[24:25], s[28:29], s[26:27]
	s_mov_b32 s27, s8
	s_add_co_u32 s20, s20, s24
	s_cselect_b32 s9, -1, 0
	s_wait_alu 0xfffe
	s_cmp_lg_u32 s9, 0
	s_add_co_ci_u32 s21, s21, s25
	s_mov_b32 s25, s8
	s_mul_u64 s[22:23], s[22:23], s[20:21]
	s_delay_alu instid0(SALU_CYCLE_1)
	s_mul_hi_u32 s29, s20, s23
	s_mul_i32 s28, s20, s23
	s_mul_hi_u32 s24, s20, s22
	s_mul_i32 s26, s21, s22
	s_add_nc_u64 s[24:25], s[24:25], s[28:29]
	s_mul_hi_u32 s9, s21, s22
	s_mul_hi_u32 s30, s21, s23
	s_mul_i32 s22, s21, s23
	s_add_co_u32 s23, s24, s26
	s_wait_alu 0xfffe
	s_add_co_ci_u32 s26, s25, s9
	s_add_co_ci_u32 s23, s30, 0
	s_mov_b32 s25, s8
	s_add_nc_u64 s[22:23], s[26:27], s[22:23]
	s_delay_alu instid0(SALU_CYCLE_1) | instskip(SKIP_1) | instid1(SALU_CYCLE_1)
	s_add_co_u32 s9, s20, s22
	s_cselect_b32 s20, -1, 0
	s_cmp_lg_u32 s20, 0
	s_add_co_ci_u32 s26, s21, s23
	s_ashr_i32 s20, s15, 31
	s_delay_alu instid0(SALU_CYCLE_1) | instskip(NEXT) | instid1(SALU_CYCLE_1)
	s_mov_b32 s21, s20
	s_add_nc_u64 s[22:23], s[14:15], s[20:21]
	s_delay_alu instid0(SALU_CYCLE_1) | instskip(NEXT) | instid1(SALU_CYCLE_1)
	s_xor_b64 s[22:23], s[22:23], s[20:21]
	s_mul_hi_u32 s29, s22, s26
	s_mul_i32 s28, s22, s26
	s_wait_alu 0xfffe
	s_mul_hi_u32 s24, s22, s9
	s_mul_hi_u32 s31, s23, s9
	s_mul_i32 s9, s23, s9
	s_add_nc_u64 s[24:25], s[24:25], s[28:29]
	s_mul_hi_u32 s30, s23, s26
	s_wait_alu 0xfffe
	s_add_co_u32 s9, s24, s9
	s_mul_i32 s28, s23, s26
	s_add_co_ci_u32 s26, s25, s31
	s_add_co_ci_u32 s29, s30, 0
	s_delay_alu instid0(SALU_CYCLE_1) | instskip(NEXT) | instid1(SALU_CYCLE_1)
	s_add_nc_u64 s[24:25], s[26:27], s[28:29]
	s_mul_u64 s[26:27], s[18:19], s[24:25]
	s_delay_alu instid0(SALU_CYCLE_1)
	s_sub_co_u32 s9, s22, s26
	s_cselect_b32 s22, -1, 0
	s_sub_co_i32 s26, s23, s27
	s_cmp_lg_u32 s22, 0
	s_sub_co_ci_u32 s26, s26, s19
	s_wait_alu 0xfffe
	s_sub_co_u32 s28, s9, s18
	s_cselect_b32 s29, -1, 0
	s_delay_alu instid0(SALU_CYCLE_1) | instskip(SKIP_1) | instid1(SALU_CYCLE_1)
	s_cmp_lg_u32 s29, 0
	s_sub_co_ci_u32 s26, s26, 0
	s_cmp_ge_u32 s26, s19
	s_cselect_b32 s30, -1, 0
	s_cmp_ge_u32 s28, s18
	s_add_nc_u64 s[28:29], s[24:25], 1
	s_cselect_b32 s31, -1, 0
	s_cmp_eq_u32 s26, s19
	s_cselect_b32 s26, s31, s30
	s_add_nc_u64 s[30:31], s[24:25], 2
	s_cmp_lg_u32 s26, 0
	s_cselect_b32 s26, s30, s28
	s_cselect_b32 s28, s31, s29
	s_cmp_lg_u32 s22, 0
	s_sub_co_ci_u32 s22, s23, s27
	s_delay_alu instid0(SALU_CYCLE_1)
	s_cmp_ge_u32 s22, s19
	s_cselect_b32 s23, -1, 0
	s_cmp_ge_u32 s9, s18
	s_cselect_b32 s9, -1, 0
	s_cmp_eq_u32 s22, s19
	s_wait_alu 0xfffe
	s_cselect_b32 s9, s9, s23
	s_wait_alu 0xfffe
	s_cmp_lg_u32 s9, 0
	s_mov_b32 s9, 0
	s_cselect_b32 s19, s28, s25
	s_cselect_b32 s18, s26, s24
	s_xor_b64 s[10:11], s[20:21], s[10:11]
	s_delay_alu instid0(SALU_CYCLE_1) | instskip(NEXT) | instid1(SALU_CYCLE_1)
	s_xor_b64 s[18:19], s[18:19], s[10:11]
	s_sub_nc_u64 s[10:11], s[18:19], s[10:11]
.LBB63_5:                               ;   in Loop: Header=BB63_3 Depth=1
	s_wait_alu 0xfffe
	s_and_not1_b32 vcc_lo, exec_lo, s9
	s_cbranch_vccnz .LBB63_7
; %bb.6:                                ;   in Loop: Header=BB63_3 Depth=1
	v_cvt_f32_u32_e32 v1, s16
	s_sub_co_i32 s10, 0, s16
	s_delay_alu instid0(VALU_DEP_1) | instskip(NEXT) | instid1(TRANS32_DEP_1)
	v_rcp_iflag_f32_e32 v1, v1
	v_mul_f32_e32 v1, 0x4f7ffffe, v1
	s_delay_alu instid0(VALU_DEP_1) | instskip(NEXT) | instid1(VALU_DEP_1)
	v_cvt_u32_f32_e32 v1, v1
	v_readfirstlane_b32 s9, v1
	s_mul_i32 s10, s10, s9
	s_delay_alu instid0(SALU_CYCLE_1) | instskip(NEXT) | instid1(SALU_CYCLE_1)
	s_mul_hi_u32 s10, s9, s10
	s_add_co_i32 s9, s9, s10
	s_wait_alu 0xfffe
	s_mul_hi_u32 s9, s14, s9
	s_wait_alu 0xfffe
	s_mul_i32 s10, s9, s16
	s_add_co_i32 s11, s9, 1
	s_sub_co_i32 s10, s14, s10
	s_delay_alu instid0(SALU_CYCLE_1)
	s_sub_co_i32 s18, s10, s16
	s_cmp_ge_u32 s10, s16
	s_cselect_b32 s9, s11, s9
	s_cselect_b32 s10, s18, s10
	s_wait_alu 0xfffe
	s_add_co_i32 s11, s9, 1
	s_cmp_ge_u32 s10, s16
	s_cselect_b32 s10, s11, s9
	s_mov_b32 s11, s8
.LBB63_7:                               ;   in Loop: Header=BB63_3 Depth=1
	s_load_b64 s[18:19], s[12:13], 0xc8
	s_mul_u64 s[16:17], s[10:11], s[16:17]
	s_add_co_i32 s5, s5, -1
	s_wait_alu 0xfffe
	s_sub_nc_u64 s[14:15], s[14:15], s[16:17]
	s_cmp_gt_u32 s5, 2
	s_add_nc_u64 s[12:13], s[12:13], -8
	s_wait_kmcnt 0x0
	s_mul_u64 s[14:15], s[18:19], s[14:15]
	s_delay_alu instid0(SALU_CYCLE_1)
	s_add_nc_u64 s[6:7], s[14:15], s[6:7]
	s_cbranch_scc0 .LBB63_9
; %bb.8:                                ;   in Loop: Header=BB63_3 Depth=1
	s_mov_b64 s[14:15], s[10:11]
	s_branch .LBB63_3
.LBB63_9:
	s_load_b32 s5, s[0:1], 0x358
	s_add_nc_u64 s[8:9], s[0:1], 0x500
	s_add_nc_u64 s[12:13], s[0:1], 0x1c0
	s_mov_b64 s[26:27], 0
	s_mov_b64 s[28:29], s[2:3]
	s_wait_kmcnt 0x0
	s_cmp_lt_i32 s5, 2
	s_cbranch_scc1 .LBB63_17
; %bb.10:
	s_mov_b32 s14, 0
	s_add_co_i32 s16, s5, -1
	s_mov_b32 s17, s14
	s_add_co_i32 s5, s5, 1
	s_wait_alu 0xfffe
	s_lshl_b64 s[16:17], s[16:17], 3
	s_mov_b64 s[18:19], s[2:3]
	s_wait_alu 0xfffe
	s_add_nc_u64 s[16:17], s[12:13], s[16:17]
	s_wait_alu 0xfffe
	s_add_nc_u64 s[16:17], s[16:17], 8
.LBB63_11:                              ; =>This Inner Loop Header: Depth=1
	s_load_b64 s[20:21], s[16:17], 0x0
                                        ; implicit-def: $sgpr28_sgpr29
	s_wait_kmcnt 0x0
	s_or_b64 s[22:23], s[18:19], s[20:21]
	s_delay_alu instid0(SALU_CYCLE_1)
	s_mov_b32 s15, s23
	s_wait_alu 0xfffe
	s_cmp_lg_u64 s[14:15], 0
	s_mov_b32 s15, -1
	s_cbranch_scc0 .LBB63_13
; %bb.12:                               ;   in Loop: Header=BB63_11 Depth=1
	s_ashr_i32 s22, s21, 31
	s_mov_b32 s35, s14
	s_mov_b32 s23, s22
	;; [unrolled: 1-line block ×3, first 2 shown]
	s_add_nc_u64 s[24:25], s[20:21], s[22:23]
	s_delay_alu instid0(SALU_CYCLE_1) | instskip(NEXT) | instid1(SALU_CYCLE_1)
	s_xor_b64 s[24:25], s[24:25], s[22:23]
	s_cvt_f32_u32 s15, s24
	s_cvt_f32_u32 s28, s25
	s_sub_nc_u64 s[30:31], 0, s[24:25]
	s_wait_alu 0xfffe
	s_delay_alu instid0(SALU_CYCLE_1) | instskip(SKIP_1) | instid1(SALU_CYCLE_2)
	s_fmamk_f32 s15, s28, 0x4f800000, s15
	s_wait_alu 0xfffe
	v_s_rcp_f32 s15, s15
	s_delay_alu instid0(TRANS32_DEP_1) | instskip(SKIP_1) | instid1(SALU_CYCLE_2)
	s_mul_f32 s15, s15, 0x5f7ffffc
	s_wait_alu 0xfffe
	s_mul_f32 s28, s15, 0x2f800000
	s_delay_alu instid0(SALU_CYCLE_3) | instskip(NEXT) | instid1(SALU_CYCLE_3)
	s_trunc_f32 s28, s28
	s_fmamk_f32 s15, s28, 0xcf800000, s15
	s_cvt_u32_f32 s29, s28
	s_wait_alu 0xfffe
	s_delay_alu instid0(SALU_CYCLE_1) | instskip(NEXT) | instid1(SALU_CYCLE_3)
	s_cvt_u32_f32 s28, s15
	s_mul_u64 s[40:41], s[30:31], s[28:29]
	s_wait_alu 0xfffe
	s_mul_hi_u32 s47, s28, s41
	s_mul_i32 s46, s28, s41
	s_mul_hi_u32 s34, s28, s40
	s_mul_i32 s33, s29, s40
	s_add_nc_u64 s[34:35], s[34:35], s[46:47]
	s_mul_hi_u32 s15, s29, s40
	s_mul_hi_u32 s48, s29, s41
	s_add_co_u32 s33, s34, s33
	s_wait_alu 0xfffe
	s_add_co_ci_u32 s44, s35, s15
	s_mul_i32 s40, s29, s41
	s_add_co_ci_u32 s41, s48, 0
	s_wait_alu 0xfffe
	s_add_nc_u64 s[34:35], s[44:45], s[40:41]
	s_mov_b32 s41, s14
	s_add_co_u32 s28, s28, s34
	s_cselect_b32 s15, -1, 0
	s_wait_alu 0xfffe
	s_cmp_lg_u32 s15, 0
	s_add_co_ci_u32 s29, s29, s35
	s_mov_b32 s35, s14
	s_mul_u64 s[30:31], s[30:31], s[28:29]
	s_delay_alu instid0(SALU_CYCLE_1)
	s_mul_hi_u32 s45, s28, s31
	s_mul_i32 s44, s28, s31
	s_mul_hi_u32 s34, s28, s30
	s_mul_i32 s33, s29, s30
	s_add_nc_u64 s[34:35], s[34:35], s[44:45]
	s_mul_hi_u32 s15, s29, s30
	s_mul_hi_u32 s46, s29, s31
	s_mul_i32 s30, s29, s31
	s_add_co_u32 s31, s34, s33
	s_wait_alu 0xfffe
	s_add_co_ci_u32 s40, s35, s15
	s_add_co_ci_u32 s31, s46, 0
	s_mov_b32 s35, s14
	s_wait_alu 0xfffe
	s_add_nc_u64 s[30:31], s[40:41], s[30:31]
	s_delay_alu instid0(SALU_CYCLE_1) | instskip(SKIP_1) | instid1(SALU_CYCLE_1)
	s_add_co_u32 s15, s28, s30
	s_cselect_b32 s28, -1, 0
	s_cmp_lg_u32 s28, 0
	s_add_co_ci_u32 s33, s29, s31
	s_ashr_i32 s28, s19, 31
	s_delay_alu instid0(SALU_CYCLE_1) | instskip(NEXT) | instid1(SALU_CYCLE_1)
	s_mov_b32 s29, s28
	s_add_nc_u64 s[30:31], s[18:19], s[28:29]
	s_delay_alu instid0(SALU_CYCLE_1) | instskip(NEXT) | instid1(SALU_CYCLE_1)
	s_xor_b64 s[30:31], s[30:31], s[28:29]
	s_mul_hi_u32 s45, s30, s33
	s_mul_i32 s44, s30, s33
	s_wait_alu 0xfffe
	s_mul_hi_u32 s34, s30, s15
	s_mul_hi_u32 s40, s31, s15
	s_mul_i32 s15, s31, s15
	s_add_nc_u64 s[34:35], s[34:35], s[44:45]
	s_mul_hi_u32 s46, s31, s33
	s_wait_alu 0xfffe
	s_add_co_u32 s15, s34, s15
	s_add_co_ci_u32 s40, s35, s40
	s_mul_i32 s44, s31, s33
	s_add_co_ci_u32 s45, s46, 0
	s_wait_alu 0xfffe
	s_add_nc_u64 s[34:35], s[40:41], s[44:45]
	s_delay_alu instid0(SALU_CYCLE_1)
	s_mul_u64 s[40:41], s[24:25], s[34:35]
	s_wait_alu 0xfffe
	s_sub_co_u32 s15, s30, s40
	s_cselect_b32 s30, -1, 0
	s_sub_co_i32 s33, s31, s41
	s_cmp_lg_u32 s30, 0
	s_sub_co_ci_u32 s33, s33, s25
	s_wait_alu 0xfffe
	s_sub_co_u32 s40, s15, s24
	s_cselect_b32 s44, -1, 0
	s_delay_alu instid0(SALU_CYCLE_1) | instskip(SKIP_2) | instid1(SALU_CYCLE_1)
	s_cmp_lg_u32 s44, 0
	s_add_nc_u64 s[44:45], s[34:35], 1
	s_sub_co_ci_u32 s33, s33, 0
	s_cmp_ge_u32 s33, s25
	s_cselect_b32 s46, -1, 0
	s_wait_alu 0xfffe
	s_cmp_ge_u32 s40, s24
	s_cselect_b32 s40, -1, 0
	s_cmp_eq_u32 s33, s25
	s_wait_alu 0xfffe
	s_cselect_b32 s33, s40, s46
	s_add_nc_u64 s[46:47], s[34:35], 2
	s_cmp_lg_u32 s33, 0
	s_cselect_b32 s33, s46, s44
	s_cselect_b32 s40, s47, s45
	s_cmp_lg_u32 s30, 0
	s_sub_co_ci_u32 s30, s31, s41
	s_delay_alu instid0(SALU_CYCLE_1)
	s_cmp_ge_u32 s30, s25
	s_cselect_b32 s31, -1, 0
	s_cmp_ge_u32 s15, s24
	s_cselect_b32 s15, -1, 0
	s_cmp_eq_u32 s30, s25
	s_wait_alu 0xfffe
	s_cselect_b32 s15, s15, s31
	s_wait_alu 0xfffe
	s_cmp_lg_u32 s15, 0
	s_mov_b32 s15, 0
	s_cselect_b32 s25, s40, s35
	s_cselect_b32 s24, s33, s34
	s_xor_b64 s[22:23], s[28:29], s[22:23]
	s_delay_alu instid0(SALU_CYCLE_1) | instskip(NEXT) | instid1(SALU_CYCLE_1)
	s_xor_b64 s[24:25], s[24:25], s[22:23]
	s_sub_nc_u64 s[28:29], s[24:25], s[22:23]
.LBB63_13:                              ;   in Loop: Header=BB63_11 Depth=1
	s_wait_alu 0xfffe
	s_and_not1_b32 vcc_lo, exec_lo, s15
	s_cbranch_vccnz .LBB63_15
; %bb.14:                               ;   in Loop: Header=BB63_11 Depth=1
	v_cvt_f32_u32_e32 v1, s20
	s_sub_co_i32 s22, 0, s20
	s_mov_b32 s29, s14
	s_delay_alu instid0(VALU_DEP_1) | instskip(NEXT) | instid1(TRANS32_DEP_1)
	v_rcp_iflag_f32_e32 v1, v1
	v_mul_f32_e32 v1, 0x4f7ffffe, v1
	s_delay_alu instid0(VALU_DEP_1) | instskip(NEXT) | instid1(VALU_DEP_1)
	v_cvt_u32_f32_e32 v1, v1
	v_readfirstlane_b32 s15, v1
	s_mul_i32 s22, s22, s15
	s_delay_alu instid0(SALU_CYCLE_1) | instskip(NEXT) | instid1(SALU_CYCLE_1)
	s_mul_hi_u32 s22, s15, s22
	s_add_co_i32 s15, s15, s22
	s_wait_alu 0xfffe
	s_mul_hi_u32 s15, s18, s15
	s_wait_alu 0xfffe
	s_mul_i32 s22, s15, s20
	s_add_co_i32 s23, s15, 1
	s_sub_co_i32 s22, s18, s22
	s_delay_alu instid0(SALU_CYCLE_1)
	s_sub_co_i32 s24, s22, s20
	s_cmp_ge_u32 s22, s20
	s_cselect_b32 s15, s23, s15
	s_cselect_b32 s22, s24, s22
	s_wait_alu 0xfffe
	s_add_co_i32 s23, s15, 1
	s_cmp_ge_u32 s22, s20
	s_cselect_b32 s28, s23, s15
.LBB63_15:                              ;   in Loop: Header=BB63_11 Depth=1
	s_load_b64 s[22:23], s[16:17], 0xc8
	s_mul_u64 s[20:21], s[28:29], s[20:21]
	s_add_co_i32 s5, s5, -1
	s_wait_alu 0xfffe
	s_sub_nc_u64 s[18:19], s[18:19], s[20:21]
	s_cmp_gt_u32 s5, 2
	s_add_nc_u64 s[16:17], s[16:17], -8
	s_wait_kmcnt 0x0
	s_mul_u64 s[18:19], s[22:23], s[18:19]
	s_delay_alu instid0(SALU_CYCLE_1)
	s_add_nc_u64 s[26:27], s[18:19], s[26:27]
	s_cbranch_scc0 .LBB63_17
; %bb.16:                               ;   in Loop: Header=BB63_11 Depth=1
	s_mov_b64 s[18:19], s[28:29]
	s_branch .LBB63_11
.LBB63_17:
	s_clause 0x1
	s_load_b64 s[14:15], s[0:1], 0xd0
	s_load_b32 s5, s[0:1], 0x4f8
	s_mov_b64 s[30:31], 0
	s_wait_kmcnt 0x0
	s_cmp_lt_i32 s5, 2
	s_cbranch_scc1 .LBB63_25
; %bb.18:
	s_mov_b32 s16, 0
	s_add_co_i32 s18, s5, -1
	s_wait_alu 0xfffe
	s_mov_b32 s19, s16
	s_add_nc_u64 s[20:21], s[0:1], 0x360
	s_lshl_b64 s[18:19], s[18:19], 3
	s_add_co_i32 s5, s5, 1
	s_wait_alu 0xfffe
	s_add_nc_u64 s[18:19], s[20:21], s[18:19]
	s_delay_alu instid0(SALU_CYCLE_1)
	s_add_nc_u64 s[18:19], s[18:19], 8
.LBB63_19:                              ; =>This Inner Loop Header: Depth=1
	s_load_b64 s[20:21], s[18:19], 0x0
                                        ; implicit-def: $sgpr34_sgpr35
	s_wait_kmcnt 0x0
	s_or_b64 s[22:23], s[2:3], s[20:21]
	s_delay_alu instid0(SALU_CYCLE_1)
	s_mov_b32 s17, s23
	s_wait_alu 0xfffe
	s_cmp_lg_u64 s[16:17], 0
	s_mov_b32 s17, -1
	s_cbranch_scc0 .LBB63_21
; %bb.20:                               ;   in Loop: Header=BB63_19 Depth=1
	s_ashr_i32 s22, s21, 31
	s_mov_b32 s45, s16
	s_mov_b32 s23, s22
	;; [unrolled: 1-line block ×3, first 2 shown]
	s_add_nc_u64 s[24:25], s[20:21], s[22:23]
	s_delay_alu instid0(SALU_CYCLE_1) | instskip(NEXT) | instid1(SALU_CYCLE_1)
	s_xor_b64 s[24:25], s[24:25], s[22:23]
	s_cvt_f32_u32 s17, s24
	s_cvt_f32_u32 s33, s25
	s_sub_nc_u64 s[40:41], 0, s[24:25]
	s_wait_alu 0xfffe
	s_delay_alu instid0(SALU_CYCLE_1) | instskip(SKIP_1) | instid1(SALU_CYCLE_2)
	s_fmamk_f32 s17, s33, 0x4f800000, s17
	s_wait_alu 0xfffe
	v_s_rcp_f32 s17, s17
	s_delay_alu instid0(TRANS32_DEP_1) | instskip(SKIP_1) | instid1(SALU_CYCLE_2)
	s_mul_f32 s17, s17, 0x5f7ffffc
	s_wait_alu 0xfffe
	s_mul_f32 s33, s17, 0x2f800000
	s_delay_alu instid0(SALU_CYCLE_3) | instskip(NEXT) | instid1(SALU_CYCLE_3)
	s_trunc_f32 s33, s33
	s_fmamk_f32 s17, s33, 0xcf800000, s17
	s_cvt_u32_f32 s35, s33
	s_wait_alu 0xfffe
	s_delay_alu instid0(SALU_CYCLE_1) | instskip(NEXT) | instid1(SALU_CYCLE_3)
	s_cvt_u32_f32 s34, s17
	s_mul_u64 s[46:47], s[40:41], s[34:35]
	s_delay_alu instid0(SALU_CYCLE_1)
	s_mul_hi_u32 s51, s34, s47
	s_mul_i32 s50, s34, s47
	s_mul_hi_u32 s44, s34, s46
	s_mul_i32 s33, s35, s46
	s_add_nc_u64 s[44:45], s[44:45], s[50:51]
	s_mul_hi_u32 s17, s35, s46
	s_mul_hi_u32 s52, s35, s47
	s_add_co_u32 s33, s44, s33
	s_wait_alu 0xfffe
	s_add_co_ci_u32 s48, s45, s17
	s_mul_i32 s46, s35, s47
	s_add_co_ci_u32 s47, s52, 0
	s_delay_alu instid0(SALU_CYCLE_1)
	s_add_nc_u64 s[44:45], s[48:49], s[46:47]
	s_mov_b32 s47, s16
	s_add_co_u32 s34, s34, s44
	s_cselect_b32 s17, -1, 0
	s_wait_alu 0xfffe
	s_cmp_lg_u32 s17, 0
	s_add_co_ci_u32 s35, s35, s45
	s_mov_b32 s45, s16
	s_mul_u64 s[40:41], s[40:41], s[34:35]
	s_wait_alu 0xfffe
	s_mul_hi_u32 s49, s34, s41
	s_mul_i32 s48, s34, s41
	s_mul_hi_u32 s44, s34, s40
	s_mul_i32 s33, s35, s40
	s_add_nc_u64 s[44:45], s[44:45], s[48:49]
	s_mul_hi_u32 s17, s35, s40
	s_mul_hi_u32 s50, s35, s41
	s_add_co_u32 s33, s44, s33
	s_wait_alu 0xfffe
	s_add_co_ci_u32 s46, s45, s17
	s_mul_i32 s40, s35, s41
	s_add_co_ci_u32 s41, s50, 0
	s_mov_b32 s45, s16
	s_wait_alu 0xfffe
	s_add_nc_u64 s[40:41], s[46:47], s[40:41]
	s_wait_alu 0xfffe
	s_add_co_u32 s17, s34, s40
	s_cselect_b32 s33, -1, 0
	s_delay_alu instid0(SALU_CYCLE_1) | instskip(SKIP_2) | instid1(SALU_CYCLE_1)
	s_cmp_lg_u32 s33, 0
	s_add_co_ci_u32 s33, s35, s41
	s_ashr_i32 s34, s3, 31
	s_mov_b32 s35, s34
	s_delay_alu instid0(SALU_CYCLE_1)
	s_add_nc_u64 s[40:41], s[2:3], s[34:35]
	s_wait_alu 0xfffe
	s_xor_b64 s[40:41], s[40:41], s[34:35]
	s_wait_alu 0xfffe
	s_mul_hi_u32 s49, s40, s33
	s_mul_i32 s48, s40, s33
	s_mul_hi_u32 s44, s40, s17
	s_mul_hi_u32 s46, s41, s17
	s_mul_i32 s17, s41, s17
	s_add_nc_u64 s[44:45], s[44:45], s[48:49]
	s_mul_hi_u32 s50, s41, s33
	s_wait_alu 0xfffe
	s_add_co_u32 s17, s44, s17
	s_add_co_ci_u32 s46, s45, s46
	s_mul_i32 s48, s41, s33
	s_add_co_ci_u32 s49, s50, 0
	s_delay_alu instid0(SALU_CYCLE_1) | instskip(NEXT) | instid1(SALU_CYCLE_1)
	s_add_nc_u64 s[44:45], s[46:47], s[48:49]
	s_mul_u64 s[46:47], s[24:25], s[44:45]
	s_delay_alu instid0(SALU_CYCLE_1)
	s_sub_co_u32 s17, s40, s46
	s_cselect_b32 s33, -1, 0
	s_sub_co_i32 s40, s41, s47
	s_cmp_lg_u32 s33, 0
	s_wait_alu 0xfffe
	s_sub_co_ci_u32 s40, s40, s25
	s_sub_co_u32 s46, s17, s24
	s_cselect_b32 s48, -1, 0
	s_delay_alu instid0(SALU_CYCLE_1)
	s_cmp_lg_u32 s48, 0
	s_add_nc_u64 s[48:49], s[44:45], 1
	s_wait_alu 0xfffe
	s_sub_co_ci_u32 s40, s40, 0
	s_wait_alu 0xfffe
	s_cmp_ge_u32 s40, s25
	s_cselect_b32 s50, -1, 0
	s_cmp_ge_u32 s46, s24
	s_cselect_b32 s46, -1, 0
	s_cmp_eq_u32 s40, s25
	s_cselect_b32 s40, s46, s50
	s_add_nc_u64 s[50:51], s[44:45], 2
	s_wait_alu 0xfffe
	s_cmp_lg_u32 s40, 0
	s_cselect_b32 s40, s50, s48
	s_cselect_b32 s46, s51, s49
	s_cmp_lg_u32 s33, 0
	s_sub_co_ci_u32 s33, s41, s47
	s_delay_alu instid0(SALU_CYCLE_1)
	s_cmp_ge_u32 s33, s25
	s_cselect_b32 s41, -1, 0
	s_cmp_ge_u32 s17, s24
	s_cselect_b32 s17, -1, 0
	s_cmp_eq_u32 s33, s25
	s_wait_alu 0xfffe
	s_cselect_b32 s17, s17, s41
	s_wait_alu 0xfffe
	s_cmp_lg_u32 s17, 0
	s_mov_b32 s17, 0
	s_cselect_b32 s25, s46, s45
	s_cselect_b32 s24, s40, s44
	s_xor_b64 s[22:23], s[34:35], s[22:23]
	s_delay_alu instid0(SALU_CYCLE_1) | instskip(NEXT) | instid1(SALU_CYCLE_1)
	s_xor_b64 s[24:25], s[24:25], s[22:23]
	s_sub_nc_u64 s[34:35], s[24:25], s[22:23]
.LBB63_21:                              ;   in Loop: Header=BB63_19 Depth=1
	s_wait_alu 0xfffe
	s_and_not1_b32 vcc_lo, exec_lo, s17
	s_cbranch_vccnz .LBB63_23
; %bb.22:                               ;   in Loop: Header=BB63_19 Depth=1
	v_cvt_f32_u32_e32 v1, s20
	s_sub_co_i32 s22, 0, s20
	s_mov_b32 s35, s16
	s_delay_alu instid0(VALU_DEP_1) | instskip(NEXT) | instid1(TRANS32_DEP_1)
	v_rcp_iflag_f32_e32 v1, v1
	v_mul_f32_e32 v1, 0x4f7ffffe, v1
	s_delay_alu instid0(VALU_DEP_1) | instskip(NEXT) | instid1(VALU_DEP_1)
	v_cvt_u32_f32_e32 v1, v1
	v_readfirstlane_b32 s17, v1
	s_mul_i32 s22, s22, s17
	s_delay_alu instid0(SALU_CYCLE_1) | instskip(NEXT) | instid1(SALU_CYCLE_1)
	s_mul_hi_u32 s22, s17, s22
	s_add_co_i32 s17, s17, s22
	s_wait_alu 0xfffe
	s_mul_hi_u32 s17, s2, s17
	s_wait_alu 0xfffe
	s_mul_i32 s22, s17, s20
	s_add_co_i32 s23, s17, 1
	s_sub_co_i32 s22, s2, s22
	s_delay_alu instid0(SALU_CYCLE_1)
	s_sub_co_i32 s24, s22, s20
	s_cmp_ge_u32 s22, s20
	s_cselect_b32 s17, s23, s17
	s_cselect_b32 s22, s24, s22
	s_wait_alu 0xfffe
	s_add_co_i32 s23, s17, 1
	s_cmp_ge_u32 s22, s20
	s_cselect_b32 s34, s23, s17
.LBB63_23:                              ;   in Loop: Header=BB63_19 Depth=1
	s_load_b64 s[22:23], s[18:19], 0xc8
	s_mul_u64 s[20:21], s[34:35], s[20:21]
	s_add_co_i32 s5, s5, -1
	s_wait_alu 0xfffe
	s_sub_nc_u64 s[2:3], s[2:3], s[20:21]
	s_cmp_gt_u32 s5, 2
	s_add_nc_u64 s[18:19], s[18:19], -8
	s_wait_kmcnt 0x0
	s_wait_alu 0xfffe
	s_mul_u64 s[2:3], s[22:23], s[2:3]
	s_wait_alu 0xfffe
	s_add_nc_u64 s[30:31], s[2:3], s[30:31]
	s_cbranch_scc0 .LBB63_26
; %bb.24:                               ;   in Loop: Header=BB63_19 Depth=1
	s_mov_b64 s[2:3], s[34:35]
	s_branch .LBB63_19
.LBB63_25:
	s_mov_b64 s[34:35], s[2:3]
.LBB63_26:
	s_clause 0x1
	s_load_b64 s[40:41], s[12:13], 0xd0
	s_load_b64 s[12:13], s[0:1], 0x0
	v_cmp_eq_u32_e64 s2, 0, v0
	s_mov_b32 s53, 0
	s_and_saveexec_b32 s3, s2
	s_cbranch_execz .LBB63_28
; %bb.27:
	v_dual_mov_b32 v1, 0 :: v_dual_mov_b32 v4, s37
	s_delay_alu instid0(VALU_DEP_1)
	v_dual_mov_b32 v3, s36 :: v_dual_mov_b32 v2, v1
	ds_store_b32 v1, v1 offset:5136
	ds_store_b128 v1, v[1:4] offset:5120
.LBB63_28:
	s_wait_alu 0xfffe
	s_or_b32 exec_lo, exec_lo, s3
	v_mad_co_u64_u32 v[4:5], null, s42, v0, 0
	v_mbcnt_lo_u32_b32 v41, -1, 0
	s_mul_u64 s[10:11], s[14:15], s[10:11]
	s_clause 0x2
	s_load_b64 s[48:49], s[0:1], 0x430
	s_load_b64 s[44:45], s[0:1], 0x1c0
	;; [unrolled: 1-line block ×3, first 2 shown]
	s_lshl_b64 s[10:11], s[10:11], 1
	v_cmp_gt_u32_e32 vcc_lo, 32, v0
	v_cmp_gt_i32_e64 s0, 4, v41
	v_dual_mov_b32 v1, v5 :: v_dual_lshlrev_b32 v42, 1, v0
	s_wait_kmcnt 0x0
	s_add_nc_u64 s[14:15], s[12:13], s[10:11]
	s_lshl_b64 s[56:57], s[6:7], 1
	v_dual_mov_b32 v3, 0 :: v_dual_lshlrev_b32 v16, 2, v0
	v_mad_co_u64_u32 v[1:2], null, s43, v0, v[1:2]
	s_wait_alu 0xfffe
	s_add_nc_u64 s[58:59], s[14:15], s[56:57]
	s_and_b32 s33, vcc_lo, s0
	v_lshlrev_b64_e64 v[8:9], v41, -1
	s_wait_dscnt 0x0
	s_barrier_signal -1
	s_delay_alu instid0(VALU_DEP_2)
	v_dual_mov_b32 v5, v1 :: v_dual_add_nc_u32 v2, 2, v0
	s_barrier_wait -1
	global_inv scope:SCOPE_SE
	s_load_b32 s5, s[8:9], 0xc
	v_dual_mov_b32 v17, v3 :: v_dual_lshlrev_b32 v46, 3, v0
	v_lshlrev_b64_e32 v[6:7], 1, v[4:5]
	v_not_b32_e32 v44, v8
	v_not_b32_e32 v8, v0
	v_lshlrev_b64_e32 v[4:5], 3, v[4:5]
	v_or_b32_e32 v10, 6, v46
	v_or_b32_e32 v12, 4, v46
	v_add_co_u32 v14, vcc_lo, s58, v6
	s_delay_alu instid0(VALU_DEP_1)
	v_add_co_ci_u32_e64 v15, null, s59, v7, vcc_lo
	v_cmp_gt_i64_e32 vcc_lo, s[36:37], v[2:3]
	v_mad_co_u64_u32 v[21:22], null, s42, v10, s[14:15]
	v_or_b32_e32 v13, 2, v46
	v_add_nc_u32_e32 v43, 0xc00, v42
	v_mad_co_u64_u32 v[23:24], null, s42, v12, s[14:15]
	s_wait_alu 0xfffd
	v_cndmask_b32_e64 v2, v2, s36, vcc_lo
	v_cndmask_b32_e64 v9, 0, s37, vcc_lo
	s_wait_kmcnt 0x0
	s_and_b32 s50, s5, 0xffff
	s_bfe_u32 s6, s5, 0xb0005
	s_cmp_gt_u32 s50, 31
	v_add_co_u32 v8, vcc_lo, v2, v8
	v_mov_b32_e32 v1, v3
	s_wait_alu 0xfffd
	v_add_co_ci_u32_e64 v9, null, -1, v9, vcc_lo
	s_delay_alu instid0(VALU_DEP_3)
	v_and_b32_e32 v18, -2, v8
	v_mad_co_u64_u32 v[25:26], null, s42, v13, s[14:15]
	s_cselect_b32 s87, -1, 0
	s_movk_i32 s5, 0x3e0
	v_add_co_u32 v20, vcc_lo, v18, v0
	s_wait_alu 0xfffd
	v_add_co_ci_u32_e64 v2, null, 0, v9, vcc_lo
	v_mov_b32_e32 v2, v22
	s_cmp_lt_u32 ttmp9, s4
	v_mov_b32_e32 v19, v9
	v_and_or_b32 v45, v0, s5, 0xc00
	s_cselect_b32 s52, 12, 18
	s_add_co_i32 s5, s6, -1
	v_mad_co_u64_u32 v[10:11], null, s43, v10, v[2:3]
	s_wait_alu 0xfffe
	s_and_b32 s5, s5, 0xffff
	s_bfe_u32 s90, s50, 0x30005
	v_cmp_lt_u64_e64 s4, 1, v[8:9]
	s_wait_alu 0xfffe
	s_cmp_gt_u32 s5, 6
	v_cmp_ne_u64_e64 s5, v[8:9], v[18:19]
	v_dual_mov_b32 v8, v24 :: v_dual_mov_b32 v9, v26
	v_mov_b32_e32 v22, v10
	s_cselect_b32 s91, -1, 0
	s_and_b32 s92, s6, 0x7f8
	s_add_nc_u64 s[6:7], s[10:11], s[56:57]
	v_mad_co_u64_u32 v[11:12], null, s43, v12, v[8:9]
	v_mad_co_u64_u32 v[8:9], null, s43, v13, v[9:10]
	s_add_nc_u64 s[64:65], s[12:13], s[6:7]
	v_add_co_u32 v48, s6, s36, v0
	s_cmp_lg_u32 s90, 0
	v_add_co_ci_u32_e64 v49, null, s37, 0, s6
	s_add_nc_u64 s[6:7], s[12:13], s[56:57]
	s_cselect_b32 s93, -1, 0
	s_lshl_b64 s[66:67], s[42:43], 1
	v_add_co_u32 v27, vcc_lo, s14, v4
	s_wait_alu 0xfffe
	s_add_nc_u64 s[6:7], s[6:7], s[10:11]
	v_mul_lo_u32 v51, 0, s66
	s_wait_alu 0xfffd
	v_add_co_ci_u32_e64 v28, null, s15, v5, vcc_lo
	s_wait_alu 0xfffe
	v_add_co_u32 v12, vcc_lo, s6, v6
	v_cmp_lt_i64_e64 s86, 0x600, s[36:37]
	v_cmp_gt_i64_e64 s0, s[36:37], v[0:1]
	s_mov_b32 s51, s53
	v_dual_mov_b32 v24, v11 :: v_dual_mov_b32 v29, s38
	v_cmp_eq_u32_e64 s1, 0, v41
	v_cmp_gt_u32_e64 s3, 2, v0
	v_dual_mov_b32 v26, v8 :: v_dual_mov_b32 v47, 0
	v_lshl_or_b32 v50, v41, 3, 0xc00
	s_wait_alu 0xfffd
	v_add_co_ci_u32_e64 v13, null, s7, v7, vcc_lo
	v_dual_mov_b32 v30, s39 :: v_dual_mov_b32 v53, 0
	v_mov_b32_e32 v52, 0x8000
	v_mov_b32_e32 v54, 0
	s_add_nc_u64 s[60:61], s[50:51], -1
	s_mul_u64 s[10:11], s[42:43], s[50:51]
	s_add_nc_u64 s[62:63], s[60:61], s[36:37]
	s_mov_b32 s88, s42
	s_mov_b32 s89, s43
	s_lshl_b64 s[68:69], s[42:43], 3
	s_lshl_b64 s[54:55], s[10:11], 1
	s_lshl_b32 s94, s50, 1
	s_mov_b32 s96, 14
	s_movk_i32 s95, 0x3c00
	s_add_nc_u64 s[38:39], s[8:9], s[52:53]
	s_mov_b32 s97, 0
	s_mov_b32 s98, 0
                                        ; implicit-def: $sgpr102
                                        ; implicit-def: $sgpr104
                                        ; implicit-def: $sgpr99
                                        ; implicit-def: $sgpr101
                                        ; implicit-def: $sgpr103
                                        ; implicit-def: $sgpr100
	s_branch .LBB63_32
.LBB63_29:                              ;   in Loop: Header=BB63_32 Depth=1
	s_wait_alu 0xfffe
	s_or_b32 exec_lo, exec_lo, s9
	s_delay_alu instid0(SALU_CYCLE_1)
	s_and_b32 s7, s7, exec_lo
	s_and_not1_b32 s22, s22, exec_lo
	s_and_not1_b32 s21, s21, exec_lo
	s_or_not1_b32 s18, s8, exec_lo
.LBB63_30:                              ;   in Loop: Header=BB63_32 Depth=1
	s_wait_alu 0xfffe
	s_or_b32 exec_lo, exec_lo, s6
	s_delay_alu instid0(SALU_CYCLE_1)
	s_and_not1_b32 s6, s100, exec_lo
	s_and_b32 s7, s7, exec_lo
	s_and_not1_b32 s8, s101, exec_lo
	s_wait_alu 0xfffe
	s_or_b32 s100, s6, s7
	s_and_not1_b32 s6, s103, exec_lo
	s_and_b32 s7, s22, exec_lo
	s_and_b32 s9, s21, exec_lo
	s_wait_alu 0xfffe
	s_or_b32 s103, s6, s7
	s_or_b32 s101, s8, s9
	s_or_not1_b32 s18, s18, exec_lo
.LBB63_31:                              ;   in Loop: Header=BB63_32 Depth=1
	s_wait_alu 0xfffe
	s_or_b32 exec_lo, exec_lo, s17
	s_delay_alu instid0(SALU_CYCLE_1)
	s_and_b32 s6, exec_lo, s18
	v_dual_mov_b32 v30, v9 :: v_dual_mov_b32 v29, v8
	s_wait_alu 0xfffe
	s_or_b32 s97, s6, s97
	s_and_not1_b32 s6, s99, exec_lo
	s_and_b32 s7, s100, exec_lo
	s_and_not1_b32 s8, s104, exec_lo
	s_wait_alu 0xfffe
	s_or_b32 s99, s6, s7
	s_and_b32 s6, s103, exec_lo
	s_and_not1_b32 s7, s102, exec_lo
	s_and_b32 s9, s101, exec_lo
	s_wait_alu 0xfffe
	s_or_b32 s104, s8, s6
	s_or_b32 s102, s7, s9
	s_and_not1_b32 exec_lo, exec_lo, s97
	s_cbranch_execz .LBB63_302
.LBB63_32:                              ; =>This Loop Header: Depth=1
                                        ;     Child Loop BB63_37 Depth 2
                                        ;     Child Loop BB63_51 Depth 2
	;; [unrolled: 1-line block ×17, first 2 shown]
	ds_load_b128 v[4:7], v3 offset:5120
	s_wait_dscnt 0x0
	v_readfirstlane_b32 s71, v5
	v_readfirstlane_b32 s70, v4
	s_wait_alu 0xf1ff
	s_delay_alu instid0(VALU_DEP_1)
	v_cmp_gt_i64_e64 s6, s[70:71], 0
	s_and_b32 vcc_lo, exec_lo, s6
	s_wait_alu 0xfffe
	s_cbranch_vccnz .LBB63_64
; %bb.33:                               ;   in Loop: Header=BB63_32 Depth=1
	s_and_b32 vcc_lo, exec_lo, s86
	s_wait_alu 0xfffe
	s_cbranch_vccz .LBB63_45
; %bb.34:                               ;   in Loop: Header=BB63_32 Depth=1
	v_cmp_gt_i64_e32 vcc_lo, 0x601, v[6:7]
	s_mov_b32 s8, 0
	s_mov_b32 s6, 0
	s_cbranch_vccz .LBB63_46
; %bb.35:                               ;   in Loop: Header=BB63_32 Depth=1
	global_load_u16 v2, v3, s[38:39]
	global_load_u16 v8, v[14:15], off
	s_mov_b32 s9, 0
	s_wait_loadcnt 0x1
	v_and_b32_e32 v2, 0xffff, v2
	s_delay_alu instid0(VALU_DEP_1) | instskip(SKIP_3) | instid1(VALU_DEP_3)
	v_add_co_u32 v4, s6, v0, v2
	s_wait_alu 0xf1fe
	v_add_co_ci_u32_e64 v5, null, 0, 0, s6
	v_mul_lo_u32 v6, v2, s67
	v_mul_lo_u32 v10, s67, v4
	v_mul_hi_u32 v11, v2, s66
	s_delay_alu instid0(VALU_DEP_4) | instskip(SKIP_2) | instid1(VALU_DEP_2)
	v_mul_lo_u32 v7, s66, v5
	v_mad_co_u64_u32 v[4:5], null, s66, v4, s[64:65]
	v_add_nc_u32_e32 v6, v6, v51
	v_add3_u32 v5, v10, v5, v7
	s_delay_alu instid0(VALU_DEP_2)
	v_dual_mov_b32 v7, v1 :: v_dual_add_nc_u32 v10, v6, v11
	v_mul_lo_u32 v9, v2, s66
	v_mov_b32_e32 v6, v0
	s_branch .LBB63_37
.LBB63_36:                              ;   in Loop: Header=BB63_37 Depth=2
	s_wait_alu 0xfffe
	s_or_b32 exec_lo, exec_lo, s7
	v_add_co_u32 v4, vcc_lo, v4, v9
	s_wait_alu 0xfffd
	v_add_co_ci_u32_e64 v5, null, v5, v10, vcc_lo
	v_mov_b32_e32 v8, v11
	s_and_not1_b32 exec_lo, exec_lo, s9
	s_cbranch_execz .LBB63_98
.LBB63_37:                              ;   Parent Loop BB63_32 Depth=1
                                        ; =>  This Inner Loop Header: Depth=2
	s_delay_alu instid0(VALU_DEP_1)
	v_add_co_u32 v6, vcc_lo, v6, v2
	s_wait_alu 0xfffd
	v_add_co_ci_u32_e64 v7, null, 0, v7, vcc_lo
	s_wait_dscnt 0x0
	v_mov_b32_e32 v31, 0
	v_mov_b32_e32 v11, 0
	s_mov_b32 s7, exec_lo
	v_cmp_le_i64_e32 vcc_lo, s[36:37], v[6:7]
	v_cmpx_gt_i64_e64 s[36:37], v[6:7]
	s_cbranch_execz .LBB63_39
; %bb.38:                               ;   in Loop: Header=BB63_37 Depth=2
	global_load_u16 v11, v[4:5], off
.LBB63_39:                              ;   in Loop: Header=BB63_37 Depth=2
	s_wait_alu 0xfffe
	s_or_b32 exec_lo, exec_lo, s7
	s_wait_loadcnt 0x0
	v_cmp_lt_i16_e64 s6, -1, v8
	v_and_b32_e32 v32, 0xffff, v8
	s_wait_alu 0xf1ff
	s_delay_alu instid0(VALU_DEP_2) | instskip(SKIP_1) | instid1(VALU_DEP_2)
	v_cndmask_b32_e64 v33, 0xffff, v52, s6
	v_cmp_o_f16_e64 s6, v8, v8
	v_xor_b32_e32 v32, v33, v32
	s_wait_alu 0xf1ff
	s_delay_alu instid0(VALU_DEP_1) | instskip(NEXT) | instid1(VALU_DEP_1)
	v_cndmask_b32_e64 v32, 0xffff, v32, s6
	v_and_b32_e32 v32, v32, v53
	s_delay_alu instid0(VALU_DEP_1)
	v_cmp_eq_u32_e64 s6, v32, v47
	s_cmp_lg_u32 s6, 0
	s_cselect_b32 s7, -1, 0
	s_wait_alu 0xfffe
	s_and_b32 s7, s1, s7
	s_wait_alu 0xfffe
	s_and_saveexec_b32 s10, s7
	s_cbranch_execz .LBB63_43
; %bb.40:                               ;   in Loop: Header=BB63_37 Depth=2
	s_mov_b32 s13, exec_lo
	s_bcnt1_i32_b32 s11, s6
	s_wait_alu 0xfffe
	v_mbcnt_lo_u32_b32 v31, s13, 0
	s_mov_b32 s12, exec_lo
                                        ; implicit-def: $vgpr32
	s_delay_alu instid0(VALU_DEP_1)
	v_cmpx_eq_u32_e32 0, v31
; %bb.41:                               ;   in Loop: Header=BB63_37 Depth=2
	s_bcnt1_i32_b32 s7, s13
	s_wait_alu 0xfffe
	s_mul_i32 s7, s11, s7
	s_wait_alu 0xfffe
	v_mov_b32_e32 v32, s7
	ds_add_rtn_u32 v32, v3, v32 offset:5136
; %bb.42:                               ;   in Loop: Header=BB63_37 Depth=2
	s_or_b32 exec_lo, exec_lo, s12
	s_wait_dscnt 0x0
	v_readfirstlane_b32 s7, v32
	s_wait_alu 0xf1ff
	s_delay_alu instid0(VALU_DEP_1)
	v_mad_u32_u24 v31, s11, v31, s7
.LBB63_43:                              ;   in Loop: Header=BB63_37 Depth=2
	s_wait_alu 0xfffe
	s_or_b32 exec_lo, exec_lo, s10
	ds_bpermute_b32 v31, v3, v31
	s_and_b32 s7, exec_lo, vcc_lo
	s_wait_alu 0xfffe
	s_or_b32 s9, s7, s9
	s_and_saveexec_b32 s7, s6
	s_cbranch_execz .LBB63_36
; %bb.44:                               ;   in Loop: Header=BB63_37 Depth=2
	v_and_b32_e32 v32, s6, v44
	s_delay_alu instid0(VALU_DEP_1) | instskip(NEXT) | instid1(VALU_DEP_1)
	v_bcnt_u32_b32 v32, v32, 0
	v_lshlrev_b32_e32 v32, 1, v32
	s_wait_dscnt 0x0
	s_delay_alu instid0(VALU_DEP_1)
	v_lshl_add_u32 v31, v31, 1, v32
	ds_store_b16 v31, v8
	s_branch .LBB63_36
.LBB63_45:                              ;   in Loop: Header=BB63_32 Depth=1
	s_mov_b32 s8, -1
	s_mov_b32 s6, 0
.LBB63_46:                              ;   in Loop: Header=BB63_32 Depth=1
	s_wait_alu 0xfffe
	s_and_b32 vcc_lo, exec_lo, s8
	s_wait_alu 0xfffe
	s_cbranch_vccz .LBB63_62
.LBB63_47:                              ;   in Loop: Header=BB63_32 Depth=1
	s_and_saveexec_b32 s7, s0
	s_cbranch_execz .LBB63_59
; %bb.48:                               ;   in Loop: Header=BB63_32 Depth=1
	global_load_u16 v4, v3, s[38:39]
	global_load_u16 v31, v[14:15], off
	v_mov_b32_e32 v6, v0
	s_mov_b32 s12, exec_lo
	s_wait_loadcnt 0x1
	v_and_b32_e32 v2, 0xffff, v4
	v_readfirstlane_b32 s6, v4
	s_delay_alu instid0(VALU_DEP_2) | instskip(NEXT) | instid1(VALU_DEP_1)
	v_add_nc_u32_e32 v2, v2, v0
	v_cmpx_gt_i64_e64 s[36:37], v[2:3]
	s_cbranch_execz .LBB63_58
; %bb.49:                               ;   in Loop: Header=BB63_32 Depth=1
	s_and_b32 s52, s6, 0xffff
	v_dual_mov_b32 v9, v1 :: v_dual_mov_b32 v8, v0
	s_wait_alu 0xfffe
	s_cmp_eq_u32 s52, 1
	v_dual_mov_b32 v5, v3 :: v_dual_mov_b32 v4, v2
	s_cselect_b32 s6, -1, 0
                                        ; implicit-def: $vgpr6_vgpr7
	s_wait_alu 0xfffe
	s_and_b32 s9, s4, s6
	s_mov_b32 s6, -1
	s_wait_alu 0xfffe
	s_and_saveexec_b32 s8, s9
	s_cbranch_execz .LBB63_53
; %bb.50:                               ;   in Loop: Header=BB63_32 Depth=1
	v_add_co_u32 v4, s6, v2, 1
	s_wait_alu 0xf1ff
	v_add_co_ci_u32_e64 v5, null, 0, 0, s6
	s_wait_loadcnt 0x0
	v_dual_mov_b32 v8, v18 :: v_dual_lshlrev_b32 v11, 16, v31
	v_dual_mov_b32 v9, v19 :: v_dual_mov_b32 v10, v42
	s_delay_alu instid0(VALU_DEP_3)
	v_mov_b32_e32 v7, v5
	v_dual_mov_b32 v6, v4 :: v_dual_mov_b32 v5, v3
	v_mov_b32_e32 v4, v2
	s_mov_b32 s9, 0
.LBB63_51:                              ;   Parent Loop BB63_32 Depth=1
                                        ; =>  This Inner Loop Header: Depth=2
	s_delay_alu instid0(VALU_DEP_2) | instskip(NEXT) | instid1(VALU_DEP_2)
	v_mul_lo_u32 v35, v5, s88
	v_mul_lo_u32 v36, v4, s89
	v_mad_co_u64_u32 v[31:32], null, v4, s88, 0
	v_mul_lo_u32 v37, v7, s42
	v_mul_lo_u32 v38, v6, s43
	v_mad_co_u64_u32 v[33:34], null, v6, s42, 0
	s_delay_alu instid0(VALU_DEP_4) | instskip(NEXT) | instid1(VALU_DEP_2)
	v_add3_u32 v32, v32, v36, v35
	v_add3_u32 v34, v34, v38, v37
	s_delay_alu instid0(VALU_DEP_2) | instskip(NEXT) | instid1(VALU_DEP_2)
	v_lshlrev_b64_e32 v[31:32], 1, v[31:32]
	v_lshlrev_b64_e32 v[33:34], 1, v[33:34]
	s_delay_alu instid0(VALU_DEP_2) | instskip(SKIP_1) | instid1(VALU_DEP_3)
	v_add_co_u32 v31, vcc_lo, s58, v31
	s_wait_alu 0xfffd
	v_add_co_ci_u32_e64 v32, null, s59, v32, vcc_lo
	s_delay_alu instid0(VALU_DEP_3)
	v_add_co_u32 v33, vcc_lo, s58, v33
	s_wait_alu 0xfffd
	v_add_co_ci_u32_e64 v34, null, s59, v34, vcc_lo
	s_clause 0x1
	global_load_u16 v32, v[31:32], off
	global_load_u16 v31, v[33:34], off
	v_add_co_u32 v8, vcc_lo, v8, -2
	s_wait_alu 0xfffd
	v_add_co_ci_u32_e64 v9, null, -1, v9, vcc_lo
	v_add_co_u32 v6, vcc_lo, v6, 2
	s_wait_alu 0xfffd
	v_add_co_ci_u32_e64 v7, null, 0, v7, vcc_lo
	s_delay_alu instid0(VALU_DEP_3) | instskip(SKIP_4) | instid1(VALU_DEP_3)
	v_cmp_eq_u64_e64 s6, 0, v[8:9]
	v_add_co_u32 v4, vcc_lo, v4, 2
	s_wait_alu 0xfffd
	v_add_co_ci_u32_e64 v5, null, 0, v5, vcc_lo
	s_wait_alu 0xfffe
	s_or_b32 s9, s6, s9
	s_wait_loadcnt 0x1
	v_alignbit_b32 v11, v32, v11, 16
	s_wait_loadcnt 0x0
	v_perm_b32 v32, v31, v32, 0x5040100
	ds_store_b32 v10, v11
	v_dual_mov_b32 v11, v32 :: v_dual_add_nc_u32 v10, 4, v10
	s_wait_alu 0xfffe
	s_and_not1_b32 exec_lo, exec_lo, s9
	s_cbranch_execnz .LBB63_51
; %bb.52:                               ;   in Loop: Header=BB63_32 Depth=1
	s_or_b32 exec_lo, exec_lo, s9
	v_add_co_u32 v4, vcc_lo, v2, v18
	s_wait_alu 0xfffd
	v_add_co_ci_u32_e64 v5, null, 0, v19, vcc_lo
	v_dual_mov_b32 v8, v20 :: v_dual_mov_b32 v9, v21
	s_delay_alu instid0(VALU_DEP_3)
	v_add_co_u32 v6, vcc_lo, v4, -1
	s_or_not1_b32 s6, s5, exec_lo
	s_wait_alu 0xfffd
	v_add_co_ci_u32_e64 v2, null, -1, v5, vcc_lo
.LBB63_53:                              ;   in Loop: Header=BB63_32 Depth=1
	s_wait_alu 0xfffe
	s_or_b32 exec_lo, exec_lo, s8
	s_and_saveexec_b32 s13, s6
	s_cbranch_execz .LBB63_57
; %bb.54:                               ;   in Loop: Header=BB63_32 Depth=1
	v_mad_co_u64_u32 v[10:11], null, s66, v4, s[64:65]
	v_mul_lo_u32 v2, s66, v5
	v_mul_lo_u32 v6, s67, v4
	s_sub_nc_u64 s[8:9], 0, s[52:53]
	s_mul_u64 s[10:11], s[66:67], s[52:53]
	s_mov_b32 s14, 0
	s_delay_alu instid0(VALU_DEP_1)
	v_add3_u32 v11, v6, v11, v2
.LBB63_55:                              ;   Parent Loop BB63_32 Depth=1
                                        ; =>  This Inner Loop Header: Depth=2
	s_wait_loadcnt 0x0
	v_dual_mov_b32 v2, v31 :: v_dual_mov_b32 v33, v5
	global_load_u16 v31, v[10:11], off
	v_dual_mov_b32 v32, v4 :: v_dual_lshlrev_b32 v7, 1, v8
	s_delay_alu instid0(VALU_DEP_1)
	v_add_co_u32 v4, vcc_lo, v32, s52
	s_wait_alu 0xfffd
	v_add_co_ci_u32_e64 v5, null, 0, v33, vcc_lo
	s_wait_alu 0xfffe
	v_add_co_u32 v10, vcc_lo, v10, s10
	s_wait_alu 0xfffd
	v_add_co_ci_u32_e64 v11, null, s11, v11, vcc_lo
	v_cmp_le_i64_e32 vcc_lo, s[36:37], v[4:5]
	v_add_co_u32 v6, s6, s8, v4
	s_wait_alu 0xf1ff
	v_add_co_ci_u32_e64 v8, null, s9, v5, s6
	v_dual_mov_b32 v8, v32 :: v_dual_mov_b32 v9, v33
	s_or_b32 s14, vcc_lo, s14
	ds_store_b16 v7, v2
	s_wait_alu 0xfffe
	s_and_not1_b32 exec_lo, exec_lo, s14
	s_cbranch_execnz .LBB63_55
; %bb.56:                               ;   in Loop: Header=BB63_32 Depth=1
	s_or_b32 exec_lo, exec_lo, s14
.LBB63_57:                              ;   in Loop: Header=BB63_32 Depth=1
	s_wait_alu 0xfffe
	s_or_b32 exec_lo, exec_lo, s13
.LBB63_58:                              ;   in Loop: Header=BB63_32 Depth=1
	s_wait_alu 0xfffe
	s_or_b32 exec_lo, exec_lo, s12
	v_lshlrev_b32_e32 v2, 1, v6
	s_wait_loadcnt 0x0
	ds_store_b16 v2, v31
.LBB63_59:                              ;   in Loop: Header=BB63_32 Depth=1
	s_wait_alu 0xfffe
	s_or_b32 exec_lo, exec_lo, s7
	s_wait_loadcnt_dscnt 0x0
	s_barrier_signal -1
	s_barrier_wait -1
	global_inv scope:SCOPE_SE
	s_and_saveexec_b32 s6, s2
; %bb.60:                               ;   in Loop: Header=BB63_32 Depth=1
	v_dual_mov_b32 v4, s36 :: v_dual_mov_b32 v5, s37
	ds_store_b64 v3, v[4:5] offset:5120
; %bb.61:                               ;   in Loop: Header=BB63_32 Depth=1
	s_wait_alu 0xfffe
	s_or_b32 exec_lo, exec_lo, s6
	s_wait_loadcnt_dscnt 0x0
	s_barrier_signal -1
	s_mov_b32 s6, -1
	s_barrier_wait -1
.LBB63_62:                              ;   in Loop: Header=BB63_32 Depth=1
	s_wait_alu 0xfffe
	s_and_b32 vcc_lo, exec_lo, s6
	s_wait_alu 0xfffe
	s_cbranch_vccz .LBB63_64
; %bb.63:                               ;   in Loop: Header=BB63_32 Depth=1
	s_wait_loadcnt 0x0
	global_inv scope:SCOPE_SE
	ds_load_b64 v[4:5], v3 offset:5120
	s_wait_dscnt 0x0
	v_readfirstlane_b32 s70, v4
.LBB63_64:                              ;   in Loop: Header=BB63_32 Depth=1
	s_delay_alu instid0(VALU_DEP_1)
	s_cmp_lt_i32 s70, 1
	s_mov_b32 s6, -1
                                        ; implicit-def: $vgpr4_vgpr5
                                        ; implicit-def: $vgpr8_vgpr9
	s_cbranch_scc1 .LBB63_74
; %bb.65:                               ;   in Loop: Header=BB63_32 Depth=1
	s_wait_alu 0xfffe
	s_and_b32 vcc_lo, exec_lo, s6
	s_wait_alu 0xfffe
	s_cbranch_vccnz .LBB63_88
.LBB63_66:                              ;   in Loop: Header=BB63_32 Depth=1
	s_lshl_b32 s6, s98, 7
	s_and_saveexec_b32 s7, s1
	s_cbranch_execz .LBB63_68
.LBB63_67:                              ;   in Loop: Header=BB63_32 Depth=1
	s_wait_alu 0xfffe
	v_lshl_add_u32 v2, s6, 3, v45
	ds_store_b128 v2, v[4:7]
	ds_store_b128 v2, v[8:11] offset:16
.LBB63_68:                              ;   in Loop: Header=BB63_32 Depth=1
	s_wait_alu 0xfffe
	s_or_b32 exec_lo, exec_lo, s7
	s_wait_loadcnt_dscnt 0x0
	s_barrier_signal -1
	s_barrier_wait -1
	global_inv scope:SCOPE_SE
	s_and_saveexec_b32 s7, s33
	s_cbranch_execz .LBB63_105
; %bb.69:                               ;   in Loop: Header=BB63_32 Depth=1
	v_mov_b32_e32 v4, 0
	v_mov_b32_e32 v5, 0
	s_and_not1_b32 vcc_lo, exec_lo, s87
	s_wait_alu 0xfffe
	s_cbranch_vccnz .LBB63_104
; %bb.70:                               ;   in Loop: Header=BB63_32 Depth=1
	v_mov_b32_e32 v4, 0
	v_mov_b32_e32 v5, 0
	s_and_not1_b32 vcc_lo, exec_lo, s91
	s_wait_alu 0xfffe
	s_cbranch_vccnz .LBB63_101
; %bb.71:                               ;   in Loop: Header=BB63_32 Depth=1
	v_lshl_add_u32 v2, s98, 10, v50
	s_mov_b32 s8, 0
.LBB63_72:                              ;   Parent Loop BB63_32 Depth=1
                                        ; =>  This Inner Loop Header: Depth=2
	ds_load_2addr_b64 v[6:9], v2 offset1:4
	ds_load_2addr_b64 v[31:34], v2 offset0:8 offset1:12
	ds_load_2addr_b64 v[35:38], v2 offset0:16 offset1:20
	s_wait_alu 0xfffe
	s_add_co_i32 s8, s8, 8
	s_wait_alu 0xfffe
	s_cmp_eq_u32 s92, s8
	s_wait_dscnt 0x2
	v_add_co_u32 v4, vcc_lo, v6, v4
	s_wait_alu 0xfffd
	v_add_co_ci_u32_e64 v5, null, v7, v5, vcc_lo
	s_delay_alu instid0(VALU_DEP_2) | instskip(SKIP_1) | instid1(VALU_DEP_2)
	v_add_co_u32 v8, vcc_lo, v8, v4
	s_wait_alu 0xfffd
	v_add_co_ci_u32_e64 v9, null, v9, v5, vcc_lo
	ds_load_2addr_b64 v[4:7], v2 offset0:24 offset1:28
	s_wait_dscnt 0x2
	v_add_co_u32 v8, vcc_lo, v31, v8
	s_wait_alu 0xfffd
	v_add_co_ci_u32_e64 v9, null, v32, v9, vcc_lo
	v_add_nc_u32_e32 v2, 0x100, v2
	s_delay_alu instid0(VALU_DEP_3) | instskip(SKIP_1) | instid1(VALU_DEP_3)
	v_add_co_u32 v8, vcc_lo, v33, v8
	s_wait_alu 0xfffd
	v_add_co_ci_u32_e64 v9, null, v34, v9, vcc_lo
	s_wait_dscnt 0x1
	s_delay_alu instid0(VALU_DEP_2) | instskip(SKIP_1) | instid1(VALU_DEP_2)
	v_add_co_u32 v8, vcc_lo, v35, v8
	s_wait_alu 0xfffd
	v_add_co_ci_u32_e64 v9, null, v36, v9, vcc_lo
	s_delay_alu instid0(VALU_DEP_2) | instskip(SKIP_1) | instid1(VALU_DEP_2)
	v_add_co_u32 v8, vcc_lo, v37, v8
	s_wait_alu 0xfffd
	v_add_co_ci_u32_e64 v9, null, v38, v9, vcc_lo
	s_wait_dscnt 0x0
	s_delay_alu instid0(VALU_DEP_2) | instskip(SKIP_1) | instid1(VALU_DEP_2)
	v_add_co_u32 v4, vcc_lo, v4, v8
	s_wait_alu 0xfffd
	v_add_co_ci_u32_e64 v5, null, v5, v9, vcc_lo
	s_delay_alu instid0(VALU_DEP_2) | instskip(SKIP_1) | instid1(VALU_DEP_2)
	v_add_co_u32 v4, vcc_lo, v6, v4
	s_wait_alu 0xfffd
	v_add_co_ci_u32_e64 v5, null, v7, v5, vcc_lo
	s_cbranch_scc0 .LBB63_72
; %bb.73:                               ;   in Loop: Header=BB63_32 Depth=1
	s_mov_b32 s8, s92
	s_and_not1_b32 vcc_lo, exec_lo, s93
	s_wait_alu 0xfffe
	s_cbranch_vccz .LBB63_102
	s_branch .LBB63_104
.LBB63_74:                              ;   in Loop: Header=BB63_32 Depth=1
	global_load_u16 v2, v3, s[38:39]
	s_mov_b32 s7, s37
	s_wait_loadcnt 0x0
	v_readfirstlane_b32 s6, v2
	s_wait_alu 0xfffe
	s_and_b32 s8, 0xffff, s6
	s_mov_b32 s6, s53
	s_wait_alu 0xfffe
	s_lshl_b32 s72, s8, 2
	s_cmp_lg_u64 s[6:7], 0
	s_cbranch_scc0 .LBB63_97
; %bb.75:                               ;   in Loop: Header=BB63_32 Depth=1
	s_mov_b32 s73, s53
	s_wait_alu 0xfffe
	s_add_nc_u64 s[6:7], s[72:73], 0
	s_wait_alu 0xfffe
	s_xor_b64 s[6:7], s[6:7], 0
	s_wait_alu 0xfffe
	s_cvt_f32_u32 s8, s6
	s_cvt_f32_u32 s9, s7
	s_sub_nc_u64 s[10:11], 0, s[6:7]
	s_wait_alu 0xfffe
	s_delay_alu instid0(SALU_CYCLE_1) | instskip(SKIP_1) | instid1(SALU_CYCLE_2)
	s_fmamk_f32 s8, s9, 0x4f800000, s8
	s_wait_alu 0xfffe
	v_s_rcp_f32 s8, s8
	s_delay_alu instid0(TRANS32_DEP_1) | instskip(SKIP_1) | instid1(SALU_CYCLE_2)
	s_mul_f32 s8, s8, 0x5f7ffffc
	s_wait_alu 0xfffe
	s_mul_f32 s9, s8, 0x2f800000
	s_wait_alu 0xfffe
	s_delay_alu instid0(SALU_CYCLE_2) | instskip(SKIP_1) | instid1(SALU_CYCLE_2)
	s_trunc_f32 s9, s9
	s_wait_alu 0xfffe
	s_fmamk_f32 s8, s9, 0xcf800000, s8
	s_cvt_u32_f32 s9, s9
	s_wait_alu 0xfffe
	s_delay_alu instid0(SALU_CYCLE_1) | instskip(SKIP_1) | instid1(SALU_CYCLE_2)
	s_cvt_u32_f32 s8, s8
	s_wait_alu 0xfffe
	s_mul_u64 s[12:13], s[10:11], s[8:9]
	s_wait_alu 0xfffe
	s_mul_hi_u32 s15, s8, s13
	s_mul_i32 s14, s8, s13
	s_mul_hi_u32 s52, s8, s12
	s_mul_i32 s17, s9, s12
	s_wait_alu 0xfffe
	s_add_nc_u64 s[14:15], s[52:53], s[14:15]
	s_mul_hi_u32 s16, s9, s12
	s_mul_hi_u32 s18, s9, s13
	s_mul_i32 s12, s9, s13
	s_wait_alu 0xfffe
	s_add_co_u32 s13, s14, s17
	s_add_co_ci_u32 s52, s15, s16
	s_add_co_ci_u32 s13, s18, 0
	s_wait_alu 0xfffe
	s_add_nc_u64 s[12:13], s[52:53], s[12:13]
	s_wait_alu 0xfffe
	s_add_co_u32 s8, s8, s12
	s_cselect_b32 s12, -1, 0
	s_wait_alu 0xfffe
	s_cmp_lg_u32 s12, 0
	s_add_co_ci_u32 s9, s9, s13
	s_wait_alu 0xfffe
	s_mul_u64 s[10:11], s[10:11], s[8:9]
	s_wait_alu 0xfffe
	s_mul_hi_u32 s13, s8, s11
	s_mul_i32 s12, s8, s11
	s_mul_hi_u32 s52, s8, s10
	s_mul_i32 s15, s9, s10
	s_wait_alu 0xfffe
	s_add_nc_u64 s[12:13], s[52:53], s[12:13]
	s_mul_hi_u32 s14, s9, s10
	s_mul_hi_u32 s16, s9, s11
	s_mul_i32 s10, s9, s11
	s_wait_alu 0xfffe
	s_add_co_u32 s11, s12, s15
	s_add_co_ci_u32 s52, s13, s14
	s_add_co_ci_u32 s11, s16, 0
	s_wait_alu 0xfffe
	s_add_nc_u64 s[10:11], s[52:53], s[10:11]
	s_wait_alu 0xfffe
	s_add_co_u32 s14, s8, s10
	s_cselect_b32 s8, -1, 0
	s_wait_alu 0xfffe
	s_cmp_lg_u32 s8, 0
	s_add_co_ci_u32 s15, s9, s11
	s_ashr_i32 s8, s37, 31
	s_wait_alu 0xfffe
	s_mov_b32 s9, s8
	s_wait_alu 0xfffe
	s_add_nc_u64 s[10:11], s[36:37], s[8:9]
	s_wait_alu 0xfffe
	s_xor_b64 s[10:11], s[10:11], s[8:9]
	s_wait_alu 0xfffe
	s_mul_hi_u32 s13, s10, s15
	s_mul_i32 s12, s10, s15
	s_mul_hi_u32 s52, s10, s14
	s_mul_i32 s18, s11, s14
	s_wait_alu 0xfffe
	s_add_nc_u64 s[12:13], s[52:53], s[12:13]
	s_mul_hi_u32 s17, s11, s14
	s_mul_hi_u32 s16, s11, s15
	s_wait_alu 0xfffe
	s_add_co_u32 s12, s12, s18
	s_add_co_ci_u32 s52, s13, s17
	s_mul_i32 s14, s11, s15
	s_add_co_ci_u32 s15, s16, 0
	s_wait_alu 0xfffe
	s_add_nc_u64 s[12:13], s[52:53], s[14:15]
	s_wait_alu 0xfffe
	s_mul_u64 s[12:13], s[6:7], s[12:13]
	s_wait_alu 0xfffe
	s_sub_co_u32 s10, s10, s12
	s_cselect_b32 s12, -1, 0
	s_sub_co_i32 s14, s11, s13
	s_wait_alu 0xfffe
	s_cmp_lg_u32 s12, 0
	s_sub_co_ci_u32 s14, s14, s7
	s_sub_co_u32 s15, s10, s6
	s_cselect_b32 s16, -1, 0
	s_wait_alu 0xfffe
	s_cmp_lg_u32 s16, 0
	s_sub_co_ci_u32 s17, s14, 0
	s_wait_alu 0xfffe
	s_cmp_ge_u32 s17, s7
	s_cselect_b32 s18, -1, 0
	s_cmp_ge_u32 s15, s6
	s_cselect_b32 s19, -1, 0
	s_cmp_eq_u32 s17, s7
	s_cselect_b32 s18, s19, s18
	s_cmp_lg_u32 s16, 0
	s_sub_co_ci_u32 s14, s14, s7
	s_sub_co_u32 s16, s15, s6
	s_cselect_b32 s19, -1, 0
	s_delay_alu instid0(SALU_CYCLE_1)
	s_cmp_lg_u32 s19, 0
	s_wait_alu 0xfffe
	s_sub_co_ci_u32 s14, s14, 0
	s_cmp_lg_u32 s18, 0
	s_cselect_b32 s15, s16, s15
	s_wait_alu 0xfffe
	s_cselect_b32 s14, s14, s17
	s_cmp_lg_u32 s12, 0
	s_sub_co_ci_u32 s11, s11, s13
	s_wait_alu 0xfffe
	s_cmp_ge_u32 s11, s7
	s_cselect_b32 s12, -1, 0
	s_cmp_ge_u32 s10, s6
	s_cselect_b32 s6, -1, 0
	s_cmp_eq_u32 s11, s7
	s_wait_alu 0xfffe
	s_cselect_b32 s6, s6, s12
	s_wait_alu 0xfffe
	s_cmp_lg_u32 s6, 0
	s_cselect_b32 s7, s14, s11
	s_cselect_b32 s6, s15, s10
	s_wait_alu 0xfffe
	s_xor_b64 s[6:7], s[6:7], s[8:9]
	s_wait_alu 0xfffe
	s_sub_nc_u64 s[74:75], s[6:7], s[8:9]
	s_cbranch_execnz .LBB63_77
.LBB63_76:                              ;   in Loop: Header=BB63_32 Depth=1
	s_wait_alu 0xfffe
	v_cvt_f32_u32_e32 v4, s72
	s_sub_co_i32 s7, 0, s72
	s_delay_alu instid0(VALU_DEP_1) | instskip(NEXT) | instid1(TRANS32_DEP_1)
	v_rcp_iflag_f32_e32 v4, v4
	v_mul_f32_e32 v4, 0x4f7ffffe, v4
	s_delay_alu instid0(VALU_DEP_1) | instskip(NEXT) | instid1(VALU_DEP_1)
	v_cvt_u32_f32_e32 v4, v4
	v_readfirstlane_b32 s6, v4
	s_wait_alu 0xfffe
	s_mul_i32 s7, s7, s6
	s_wait_alu 0xfffe
	s_mul_hi_u32 s7, s6, s7
	s_wait_alu 0xfffe
	s_add_co_i32 s6, s6, s7
	s_wait_alu 0xfffe
	s_mul_hi_u32 s6, s36, s6
	s_wait_alu 0xfffe
	s_mul_i32 s6, s6, s72
	s_wait_alu 0xfffe
	s_sub_co_i32 s6, s36, s6
	s_wait_alu 0xfffe
	s_sub_co_i32 s7, s6, s72
	s_cmp_ge_u32 s6, s72
	s_wait_alu 0xfffe
	s_cselect_b32 s6, s7, s6
	s_wait_alu 0xfffe
	s_sub_co_i32 s7, s6, s72
	s_cmp_ge_u32 s6, s72
	s_wait_alu 0xfffe
	s_cselect_b32 s52, s7, s6
	s_wait_alu 0xfffe
	s_mov_b64 s[74:75], s[52:53]
.LBB63_77:                              ;   in Loop: Header=BB63_32 Depth=1
	v_mov_b32_e32 v4, 0
	v_dual_mov_b32 v8, 0 :: v_dual_mov_b32 v5, 0
	v_dual_mov_b32 v6, 0 :: v_dual_mov_b32 v9, 0
	;; [unrolled: 1-line block ×3, first 2 shown]
	v_dual_mov_b32 v11, 0 :: v_dual_and_b32 v2, 0xffff, v2
	s_wait_alu 0xfffe
	s_sub_nc_u64 s[76:77], s[36:37], s[74:75]
	s_mov_b32 s71, exec_lo
	s_wait_alu 0xfffe
	v_cmpx_gt_i64_e64 s[76:77], v[16:17]
	s_cbranch_execz .LBB63_81
; %bb.78:                               ;   in Loop: Header=BB63_32 Depth=1
	v_mul_lo_u32 v4, v2, s69
	v_mul_lo_u32 v5, 0, s68
	v_mul_hi_u32 v6, v2, s68
	v_mul_lo_u32 v55, v2, s68
	v_mov_b32_e32 v32, v28
	v_mov_b32_e32 v34, v26
	;; [unrolled: 1-line block ×5, first 2 shown]
	v_dual_mov_b32 v31, v27 :: v_dual_add_nc_u32 v4, v4, v5
	v_mov_b32_e32 v33, v25
	v_mov_b32_e32 v35, v23
	s_delay_alu instid0(VALU_DEP_3)
	v_dual_mov_b32 v37, v21 :: v_dual_add_nc_u32 v56, v4, v6
	v_mov_b32_e32 v39, v16
	s_mov_b64 s[78:79], 0
	s_mov_b32 s73, 0
	s_mov_b64 s[80:81], 0
	s_mov_b64 s[82:83], 0
	s_mov_b64 s[84:85], 0
.LBB63_79:                              ;   Parent Loop BB63_32 Depth=1
                                        ; =>  This Inner Loop Header: Depth=2
	v_add_co_u32 v4, vcc_lo, v31, s56
	s_wait_alu 0xfffd
	v_add_co_ci_u32_e64 v5, null, s57, v32, vcc_lo
	v_add_co_u32 v6, vcc_lo, v33, s56
	s_wait_alu 0xfffd
	v_add_co_ci_u32_e64 v7, null, s57, v34, vcc_lo
	;; [unrolled: 3-line block ×4, first 2 shown]
	global_load_u16 v4, v[4:5], off
	global_load_u16 v5, v[6:7], off
	;; [unrolled: 1-line block ×4, first 2 shown]
	v_add_co_u32 v39, vcc_lo, v39, s72
	s_wait_alu 0xfffd
	v_add_co_ci_u32_e64 v40, null, 0, v40, vcc_lo
	v_add_co_u32 v37, vcc_lo, v37, v55
	s_wait_alu 0xfffd
	v_add_co_ci_u32_e64 v38, null, v38, v56, vcc_lo
	;; [unrolled: 3-line block ×5, first 2 shown]
	v_cmp_le_i64_e32 vcc_lo, s[76:77], v[39:40]
	s_wait_loadcnt 0x3
	v_cmp_lt_i16_e64 s6, -1, v4
	v_and_b32_e32 v8, 0xffff, v4
	s_wait_loadcnt 0x2
	v_and_b32_e32 v10, 0xffff, v5
	s_wait_loadcnt 0x1
	v_and_b32_e32 v57, 0xffff, v6
	v_cmp_o_f16_e64 s9, v4, v4
	s_wait_alu 0xf1ff
	v_cndmask_b32_e64 v9, 0xffff, v52, s6
	v_cmp_lt_i16_e64 s6, -1, v5
	s_wait_loadcnt 0x0
	v_and_b32_e32 v59, 0xffff, v7
	v_cmp_o_f16_e64 s7, v6, v6
	v_cmp_o_f16_e64 s8, v7, v7
	v_xor_b32_e32 v8, v9, v8
	s_wait_alu 0xf1ff
	v_cndmask_b32_e64 v11, 0xffff, v52, s6
	v_cmp_lt_i16_e64 s6, -1, v6
	s_delay_alu instid0(VALU_DEP_3) | instskip(NEXT) | instid1(VALU_DEP_3)
	v_cndmask_b32_e64 v4, 0xffff, v8, s9
	v_xor_b32_e32 v9, v11, v10
	s_wait_alu 0xf1ff
	s_delay_alu instid0(VALU_DEP_3) | instskip(SKIP_4) | instid1(VALU_DEP_3)
	v_cndmask_b32_e64 v58, 0xffff, v52, s6
	v_cmp_lt_i16_e64 s6, -1, v7
	v_and_b32_e32 v8, v4, v53
	v_bfe_u32 v4, v4, s96, 2
	s_wait_alu 0xf1ff
	v_cndmask_b32_e64 v60, 0xffff, v52, s6
	v_cmp_o_f16_e64 s6, v5, v5
	v_xor_b32_e32 v5, v58, v57
	v_cmp_eq_u32_e64 s10, 0, v4
	v_cmp_eq_u32_e64 s14, 1, v4
	v_xor_b32_e32 v6, v60, v59
	s_wait_alu 0xf1ff
	v_cndmask_b32_e64 v7, 0xffff, v9, s6
	v_cndmask_b32_e64 v5, 0xffff, v5, s7
	v_cmp_eq_u32_e64 s6, v8, v47
	v_cmp_eq_u32_e64 s18, 2, v4
	v_cndmask_b32_e64 v6, 0xffff, v6, s8
	v_and_b32_e32 v9, v7, v53
	v_bfe_u32 v7, v7, s96, 2
	v_and_b32_e32 v10, v5, v53
	v_bfe_u32 v5, v5, s96, 2
	;; [unrolled: 2-line block ×3, first 2 shown]
	v_cmp_eq_u32_e64 s7, v9, v47
	v_cmp_eq_u32_e64 s11, 0, v7
	v_cmp_eq_u32_e64 s8, v10, v47
	v_cmp_eq_u32_e64 s12, 0, v5
	s_and_b32 s10, s6, s10
	v_cmp_eq_u32_e64 s9, v11, v47
	v_cmp_eq_u32_e64 s13, 0, v6
	;; [unrolled: 1-line block ×3, first 2 shown]
	s_wait_alu 0xfffe
	v_cndmask_b32_e64 v4, 0, 1, s10
	s_and_b32 s10, s7, s11
	v_cmp_eq_u32_e64 s16, 1, v5
	v_cmp_eq_u32_e64 s20, 2, v5
	;; [unrolled: 1-line block ×3, first 2 shown]
	s_wait_alu 0xfffe
	v_cndmask_b32_e64 v5, 0, 1, s10
	s_and_b32 s10, s8, s12
	v_cmp_eq_u32_e64 s15, 1, v7
	v_cmp_eq_u32_e64 s17, 1, v6
	;; [unrolled: 1-line block ×4, first 2 shown]
	s_wait_alu 0xfffe
	v_cndmask_b32_e64 v6, 0, 1, s10
	s_and_b32 s10, s9, s13
	v_cmp_eq_u32_e64 s19, 2, v7
	v_cmp_eq_u32_e64 s23, 3, v7
	s_wait_alu 0xfffe
	v_cndmask_b32_e64 v7, 0, 1, s10
	s_and_b32 s10, s6, s14
	s_wait_alu 0xfffe
	v_cndmask_b32_e64 v8, 0, 1, s10
	s_and_b32 s10, s7, s15
	;; [unrolled: 3-line block ×4, first 2 shown]
	v_cmp_ne_u32_e64 s11, 0, v9
	s_wait_alu 0xfffe
	v_cndmask_b32_e64 v11, 0, 1, s10
	s_and_b32 s10, s6, s18
	s_and_b32 s6, s6, s22
	s_wait_alu 0xfffe
	v_cndmask_b32_e64 v57, 0, 1, s10
	v_cndmask_b32_e64 v61, 0, 1, s6
	s_and_b32 s6, s7, s23
	s_and_b32 s10, s7, s19
	s_wait_alu 0xfffe
	v_cndmask_b32_e64 v62, 0, 1, s6
	s_and_b32 s6, s8, s24
	v_cndmask_b32_e64 v58, 0, 1, s10
	s_and_b32 s10, s8, s20
	s_wait_alu 0xfffe
	v_cndmask_b32_e64 v63, 0, 1, s6
	s_and_b32 s6, s9, s25
	v_cndmask_b32_e64 v59, 0, 1, s10
	s_and_b32 s10, s9, s21
	s_wait_alu 0xfffe
	v_cndmask_b32_e64 v64, 0, 1, s6
	v_cmp_ne_u32_e64 s6, 0, v4
	v_cmp_ne_u32_e64 s7, 0, v5
	v_cndmask_b32_e64 v60, 0, 1, s10
	v_cmp_ne_u32_e64 s8, 0, v6
	v_cmp_ne_u32_e64 s10, 0, v8
	;; [unrolled: 1-line block ×6, first 2 shown]
	s_bcnt1_i32_b32 s6, s6
	s_bcnt1_i32_b32 s7, s7
	v_cmp_ne_u32_e64 s13, 0, v11
	v_cmp_ne_u32_e64 s16, 0, v59
	;; [unrolled: 1-line block ×4, first 2 shown]
	s_bcnt1_i32_b32 s8, s8
	s_bcnt1_i32_b32 s10, s10
	;; [unrolled: 1-line block ×3, first 2 shown]
	s_wait_alu 0xfffe
	s_add_co_i32 s6, s7, s6
	v_cmp_ne_u32_e64 s17, 0, v60
	v_cmp_ne_u32_e64 s20, 0, v63
	s_bcnt1_i32_b32 s9, s9
	s_bcnt1_i32_b32 s12, s12
	;; [unrolled: 1-line block ×4, first 2 shown]
	s_add_co_i32 s7, s11, s10
	s_wait_alu 0xfffe
	s_add_co_i32 s6, s6, s8
	v_cmp_ne_u32_e64 s21, 0, v64
	s_bcnt1_i32_b32 s13, s13
	s_bcnt1_i32_b32 s16, s16
	s_bcnt1_i32_b32 s18, s18
	s_bcnt1_i32_b32 s19, s19
	s_add_co_i32 s10, s15, s14
	s_add_co_i32 s7, s7, s12
	s_wait_alu 0xfffe
	s_add_co_i32 s52, s6, s9
	s_bcnt1_i32_b32 s17, s17
	s_bcnt1_i32_b32 s20, s20
	s_add_co_i32 s11, s19, s18
	s_add_co_i32 s8, s10, s16
	s_wait_alu 0xfffe
	s_add_nc_u64 s[84:85], s[84:85], s[52:53]
	s_add_co_i32 s52, s7, s13
	s_bcnt1_i32_b32 s21, s21
	s_add_co_i32 s10, s11, s20
	s_wait_alu 0xfffe
	s_add_nc_u64 s[82:83], s[82:83], s[52:53]
	s_add_co_i32 s52, s8, s17
	v_mov_b32_e32 v4, s84
	s_wait_alu 0xfffe
	s_add_nc_u64 s[80:81], s[80:81], s[52:53]
	s_add_co_i32 s52, s10, s21
	v_mov_b32_e32 v6, s82
	s_wait_alu 0xfffe
	s_add_nc_u64 s[78:79], s[78:79], s[52:53]
	v_mov_b32_e32 v8, s80
	s_wait_alu 0xfffe
	v_dual_mov_b32 v10, s78 :: v_dual_mov_b32 v5, s85
	v_mov_b32_e32 v7, s83
	v_mov_b32_e32 v9, s81
	;; [unrolled: 1-line block ×3, first 2 shown]
	s_or_b32 s73, vcc_lo, s73
	s_wait_alu 0xfffe
	s_and_not1_b32 exec_lo, exec_lo, s73
	s_cbranch_execnz .LBB63_79
; %bb.80:                               ;   in Loop: Header=BB63_32 Depth=1
	s_or_b32 exec_lo, exec_lo, s73
.LBB63_81:                              ;   in Loop: Header=BB63_32 Depth=1
	s_wait_alu 0xfffe
	s_or_b32 exec_lo, exec_lo, s71
	v_add_co_u32 v31, s6, s76, v0
	s_wait_alu 0xf1ff
	v_add_co_ci_u32_e64 v32, null, s77, 0, s6
	s_mov_b32 s10, exec_lo
	v_cmpx_gt_i64_e64 s[36:37], v[31:32]
	s_cbranch_execz .LBB63_87
; %bb.82:                               ;   in Loop: Header=BB63_32 Depth=1
	v_mul_lo_u32 v35, v32, s42
	v_mul_lo_u32 v36, v31, s43
	v_mad_co_u64_u32 v[33:34], null, v31, s42, 0
	v_mul_hi_u32 v39, v2, s66
	s_mov_b32 s11, 0
	s_delay_alu instid0(VALU_DEP_2) | instskip(SKIP_1) | instid1(VALU_DEP_2)
	v_add3_u32 v34, v34, v36, v35
	v_mul_lo_u32 v35, v2, s67
	v_lshlrev_b64_e32 v[33:34], 1, v[33:34]
	s_delay_alu instid0(VALU_DEP_2) | instskip(SKIP_1) | instid1(VALU_DEP_3)
	v_add_nc_u32_e32 v40, v35, v51
	v_mul_lo_u32 v35, v2, s66
	v_add_co_u32 v33, vcc_lo, s58, v33
	s_wait_alu 0xfffd
	s_delay_alu instid0(VALU_DEP_4) | instskip(SKIP_4) | instid1(VALU_DEP_2)
	v_add_co_ci_u32_e64 v34, null, s59, v34, vcc_lo
	global_load_u16 v38, v[33:34], off
	v_add_co_u32 v33, vcc_lo, v48, v2
	s_wait_alu 0xfffd
	v_add_co_ci_u32_e64 v34, null, 0, v49, vcc_lo
	v_sub_co_u32 v33, vcc_lo, v33, s74
	s_wait_alu 0xfffd
	s_delay_alu instid0(VALU_DEP_2) | instskip(NEXT) | instid1(VALU_DEP_2)
	v_subrev_co_ci_u32_e64 v34, null, s75, v34, vcc_lo
	v_mul_lo_u32 v37, s67, v33
	s_delay_alu instid0(VALU_DEP_2) | instskip(SKIP_1) | instid1(VALU_DEP_1)
	v_mul_lo_u32 v36, s66, v34
	v_mad_co_u64_u32 v[33:34], null, s66, v33, s[64:65]
	v_add3_u32 v34, v37, v34, v36
	v_add_nc_u32_e32 v36, v40, v39
	s_branch .LBB63_84
.LBB63_83:                              ;   in Loop: Header=BB63_84 Depth=2
	s_wait_alu 0xfffe
	s_or_b32 exec_lo, exec_lo, s7
	s_wait_loadcnt 0x0
	v_cmp_lt_i16_e64 s6, -1, v38
	v_and_b32_e32 v39, 0xffff, v38
	s_and_b32 s7, exec_lo, vcc_lo
	s_wait_alu 0xfffe
	s_or_b32 s11, s7, s11
	v_cndmask_b32_e64 v40, 0xffff, v52, s6
	v_cmp_o_f16_e64 s6, v38, v38
	s_delay_alu instid0(VALU_DEP_2) | instskip(SKIP_1) | instid1(VALU_DEP_1)
	v_xor_b32_e32 v39, v40, v39
	s_wait_alu 0xf1ff
	v_cndmask_b32_e64 v38, 0xffff, v39, s6
	s_delay_alu instid0(VALU_DEP_1) | instskip(SKIP_1) | instid1(VALU_DEP_2)
	v_and_b32_e32 v39, v38, v53
	v_bfe_u32 v38, v38, s96, 2
	v_cmp_eq_u32_e32 vcc_lo, v39, v47
	s_delay_alu instid0(VALU_DEP_2)
	v_cmp_eq_u32_e64 s6, 0, v38
	v_cmp_eq_u32_e64 s7, 1, v38
	v_cmp_eq_u32_e64 s8, 2, v38
	v_cmp_eq_u32_e64 s9, 3, v38
	s_and_b32 s6, vcc_lo, s6
	s_wait_alu 0xfffe
	v_cndmask_b32_e64 v38, 0, 1, s6
	s_and_b32 s6, vcc_lo, s7
	s_wait_alu 0xfffe
	v_cndmask_b32_e64 v39, 0, 1, s6
	;; [unrolled: 3-line block ×3, first 2 shown]
	s_and_b32 s6, vcc_lo, s9
	v_cmp_ne_u32_e32 vcc_lo, 0, v38
	s_wait_alu 0xfffe
	v_cndmask_b32_e64 v55, 0, 1, s6
	v_cmp_ne_u32_e64 s6, 0, v39
	v_cmp_ne_u32_e64 s7, 0, v40
	v_mov_b32_e32 v38, v37
	s_bcnt1_i32_b32 s9, vcc_lo
	v_cmp_ne_u32_e64 s8, 0, v55
	s_bcnt1_i32_b32 s6, s6
	s_wait_alu 0xfffe
	v_add_co_u32 v4, vcc_lo, v4, s9
	s_bcnt1_i32_b32 s7, s7
	s_wait_alu 0xfffd
	v_add_co_ci_u32_e64 v5, null, 0, v5, vcc_lo
	v_add_co_u32 v6, vcc_lo, v6, s6
	s_wait_alu 0xfffd
	v_add_co_ci_u32_e64 v7, null, 0, v7, vcc_lo
	s_wait_alu 0xfffe
	v_add_co_u32 v8, vcc_lo, v8, s7
	s_bcnt1_i32_b32 s6, s8
	s_wait_alu 0xfffd
	v_add_co_ci_u32_e64 v9, null, 0, v9, vcc_lo
	s_wait_alu 0xfffe
	v_add_co_u32 v10, vcc_lo, v10, s6
	s_wait_alu 0xfffd
	v_add_co_ci_u32_e64 v11, null, 0, v11, vcc_lo
	v_add_co_u32 v33, vcc_lo, v33, v35
	s_wait_alu 0xfffd
	v_add_co_ci_u32_e64 v34, null, v34, v36, vcc_lo
	s_and_not1_b32 exec_lo, exec_lo, s11
	s_cbranch_execz .LBB63_86
.LBB63_84:                              ;   Parent Loop BB63_32 Depth=1
                                        ; =>  This Inner Loop Header: Depth=2
	v_add_co_u32 v31, vcc_lo, v31, v2
	s_wait_alu 0xfffd
	v_add_co_ci_u32_e64 v32, null, 0, v32, vcc_lo
	v_mov_b32_e32 v37, 0
	s_mov_b32 s7, exec_lo
	s_delay_alu instid0(VALU_DEP_2)
	v_cmp_le_i64_e32 vcc_lo, s[36:37], v[31:32]
	v_cmpx_gt_i64_e64 s[36:37], v[31:32]
	s_cbranch_execz .LBB63_83
; %bb.85:                               ;   in Loop: Header=BB63_84 Depth=2
	global_load_u16 v37, v[33:34], off
	s_branch .LBB63_83
.LBB63_86:                              ;   in Loop: Header=BB63_32 Depth=1
	s_or_b32 exec_lo, exec_lo, s11
.LBB63_87:                              ;   in Loop: Header=BB63_32 Depth=1
	s_wait_alu 0xfffe
	s_or_b32 exec_lo, exec_lo, s10
	s_branch .LBB63_66
.LBB63_88:                              ;   in Loop: Header=BB63_32 Depth=1
	global_load_u16 v2, v3, s[38:39]
	v_mov_b32_e32 v6, 0
	v_mov_b32_e32 v8, 0
	v_dual_mov_b32 v10, 0 :: v_dual_mov_b32 v9, 0
	v_mov_b32_e32 v11, 0
	s_mov_b32 s76, exec_lo
	v_mov_b32_e32 v7, 0
	s_wait_loadcnt 0x0
	v_readfirstlane_b32 s6, v2
	v_and_b32_e32 v2, 0xffff, v2
	s_and_b32 s71, 0xffff, s6
	s_wait_alu 0xfffe
	s_lshl_b32 s75, s71, 2
	s_wait_alu 0xfffe
	s_cvt_f32_u32 s6, s75
	s_sub_co_i32 s7, 0, s75
	s_wait_alu 0xfffe
	s_delay_alu instid0(SALU_CYCLE_1) | instskip(NEXT) | instid1(TRANS32_DEP_1)
	v_rcp_iflag_f32_e32 v4, s6
	v_readfirstlane_b32 s6, v4
	s_mul_f32 s6, s6, 0x4f7ffffe
	s_wait_alu 0xfffe
	s_delay_alu instid0(SALU_CYCLE_2) | instskip(SKIP_1) | instid1(SALU_CYCLE_2)
	s_cvt_u32_f32 s6, s6
	s_wait_alu 0xfffe
	s_mul_i32 s7, s7, s6
	s_wait_alu 0xfffe
	s_mul_hi_u32 s7, s6, s7
	s_wait_alu 0xfffe
	s_add_co_i32 s6, s6, s7
	s_wait_alu 0xfffe
	s_mul_hi_u32 s6, s70, s6
	s_wait_alu 0xfffe
	s_mul_i32 s7, s6, s75
	s_add_co_i32 s8, s6, 1
	s_wait_alu 0xfffe
	s_sub_co_i32 s7, s70, s7
	s_wait_alu 0xfffe
	s_sub_co_i32 s9, s7, s75
	s_cmp_ge_u32 s7, s75
	s_cselect_b32 s6, s8, s6
	s_wait_alu 0xfffe
	s_cselect_b32 s7, s9, s7
	s_add_co_i32 s8, s6, 1
	s_wait_alu 0xfffe
	s_cmp_ge_u32 s7, s75
	s_cselect_b32 s74, s8, s6
	s_wait_alu 0xfffe
	v_mul_hi_u32 v5, s74, v2
	v_mul_lo_u32 v4, s74, v2
	s_delay_alu instid0(VALU_DEP_1) | instskip(SKIP_2) | instid1(VALU_DEP_3)
	v_lshlrev_b64_e32 v[31:32], 2, v[4:5]
	v_mov_b32_e32 v4, 0
	v_mov_b32_e32 v5, 0
	v_cmpx_gt_u64_e64 v[31:32], v[16:17]
	s_cbranch_execz .LBB63_92
; %bb.89:                               ;   in Loop: Header=BB63_32 Depth=1
	v_dual_mov_b32 v35, v46 :: v_dual_mov_b32 v34, v17
	v_mov_b32_e32 v33, v16
	s_lshl_b32 s77, s71, 3
	s_mov_b64 s[20:21], 0
	s_mov_b32 s78, 0
	s_mov_b64 s[22:23], 0
	s_mov_b64 s[24:25], 0
	;; [unrolled: 1-line block ×3, first 2 shown]
.LBB63_90:                              ;   Parent Loop BB63_32 Depth=1
                                        ; =>  This Inner Loop Header: Depth=2
	ds_load_b64 v[4:5], v35
	v_add_co_u32 v33, vcc_lo, v33, s75
	s_wait_alu 0xfffd
	v_add_co_ci_u32_e64 v34, null, 0, v34, vcc_lo
	s_delay_alu instid0(VALU_DEP_1)
	v_cmp_ge_u64_e32 vcc_lo, v[33:34], v[31:32]
	s_wait_dscnt 0x0
	v_cmp_lt_i16_e64 s6, -1, v4
	v_lshrrev_b32_e32 v6, 16, v4
	v_lshrrev_b32_e32 v11, 16, v5
	v_and_b32_e32 v7, 0xffff, v4
	v_and_b32_e32 v9, 0xffff, v5
	s_wait_alu 0xf1ff
	v_cndmask_b32_e64 v8, 0xffff, v52, s6
	v_cmp_lt_i16_e64 s6, -1, v5
	v_cmp_lt_i16_e64 s7, -1, v11
	s_delay_alu instid0(VALU_DEP_3) | instskip(SKIP_1) | instid1(VALU_DEP_3)
	v_xor_b32_e32 v7, v8, v7
	s_wait_alu 0xf1ff
	v_cndmask_b32_e64 v10, 0xffff, v52, s6
	v_cmp_lt_i16_e64 s6, -1, v6
	s_delay_alu instid0(VALU_DEP_2) | instskip(SKIP_1) | instid1(VALU_DEP_2)
	v_xor_b32_e32 v9, v10, v9
	s_wait_alu 0xf1ff
	v_cndmask_b32_e64 v8, 0xffff, v52, s6
	v_cmp_o_f16_e64 s6, v5, v5
	v_cndmask_b32_e64 v5, 0xffff, v52, s7
	v_cmp_o_f16_e64 s7, v4, v4
	s_delay_alu instid0(VALU_DEP_2) | instskip(SKIP_1) | instid1(VALU_DEP_2)
	v_xor_b32_e32 v5, v5, v11
	s_wait_alu 0xf1ff
	v_cndmask_b32_e64 v4, 0xffff, v7, s7
	v_xor_b32_e32 v7, v8, v6
	v_cmp_o_f16_e64 s7, v6, v6
	v_cndmask_b32_e64 v8, 0xffff, v9, s6
	v_cmp_o_f16_e64 s6, v11, v11
	s_wait_alu 0xf1ff
	s_delay_alu instid0(VALU_DEP_3)
	v_cndmask_b32_e64 v6, 0xffff, v7, s7
	v_and_b32_e32 v7, v4, v53
	v_bfe_u32 v4, v4, s96, 2
	v_and_b32_e32 v9, v8, v53
	v_bfe_u32 v8, v8, s96, 2
	v_cndmask_b32_e64 v5, 0xffff, v5, s6
	v_cmp_eq_u32_e64 s6, v7, v47
	v_cmp_eq_u32_e64 s8, 0, v4
	v_and_b32_e32 v7, v6, v53
	v_cmp_eq_u32_e64 s7, v9, v47
	v_bfe_u32 v6, v6, s96, 2
	v_cmp_eq_u32_e64 s9, 0, v8
	v_cmp_eq_u32_e64 s10, 1, v4
	;; [unrolled: 1-line block ×3, first 2 shown]
	v_and_b32_e32 v9, v5, v53
	v_bfe_u32 v5, v5, s96, 2
	v_cmp_eq_u32_e64 s11, 1, v8
	v_cmp_eq_u32_e64 s13, 2, v8
	;; [unrolled: 1-line block ×3, first 2 shown]
	s_and_b32 s8, s6, s8
	v_cmp_eq_u32_e64 s15, 3, v8
	v_cmp_eq_u32_e64 s16, v7, v47
	;; [unrolled: 1-line block ×3, first 2 shown]
	s_wait_alu 0xfffe
	v_cndmask_b32_e64 v4, 0, 1, s8
	s_and_b32 s8, s7, s9
	s_and_b32 s10, s6, s10
	;; [unrolled: 1-line block ×3, first 2 shown]
	v_cmp_eq_u32_e64 s17, v9, v47
	v_cmp_eq_u32_e64 s19, 0, v5
	s_wait_alu 0xfffe
	v_cndmask_b32_e64 v7, 0, 1, s8
	v_cmp_eq_u32_e64 s8, 1, v6
	v_cndmask_b32_e64 v8, 0, 1, s10
	s_and_b32 s10, s7, s11
	v_cndmask_b32_e64 v10, 0, 1, s12
	s_and_b32 s12, s7, s13
	s_and_b32 s6, s6, s14
	v_cmp_eq_u32_e64 s9, 1, v5
	s_wait_alu 0xfffe
	v_cndmask_b32_e64 v9, 0, 1, s10
	v_cmp_eq_u32_e64 s10, 2, v6
	v_cmp_eq_u32_e64 s11, 2, v5
	v_cndmask_b32_e64 v11, 0, 1, s12
	v_cmp_eq_u32_e64 s12, 3, v6
	v_cmp_eq_u32_e64 s13, 3, v5
	v_cndmask_b32_e64 v5, 0, 1, s6
	s_and_b32 s6, s7, s15
	s_and_b32 s7, s16, s18
	s_wait_alu 0xfffe
	v_cndmask_b32_e64 v6, 0, 1, s6
	v_cmp_ne_u32_e64 s6, 0, v4
	v_cndmask_b32_e64 v4, 0, 1, s7
	s_and_b32 s14, s17, s19
	s_and_b32 s8, s16, s8
	v_cmp_ne_u32_e64 s7, 0, v7
	s_wait_alu 0xfffe
	v_cndmask_b32_e64 v7, 0, 1, s14
	v_cmp_ne_u32_e64 s14, 0, v8
	v_cndmask_b32_e64 v8, 0, 1, s8
	s_and_b32 s9, s17, s9
	s_and_b32 s10, s16, s10
	;; [unrolled: 1-line block ×4, first 2 shown]
	v_cmp_ne_u32_e64 s8, 0, v9
	s_wait_alu 0xfffe
	v_cndmask_b32_e64 v9, 0, 1, s9
	v_cmp_ne_u32_e64 s9, 0, v10
	v_cndmask_b32_e64 v10, 0, 1, s10
	v_cmp_ne_u32_e64 s10, 0, v11
	;; [unrolled: 2-line block ×3, first 2 shown]
	v_cndmask_b32_e64 v5, 0, 1, s12
	s_and_b32 s13, s17, s13
	s_bcnt1_i32_b32 s15, s6
	v_cmp_ne_u32_e64 s6, 0, v4
	v_cmp_ne_u32_e64 s12, 0, v6
	s_wait_alu 0xfffe
	v_cndmask_b32_e64 v6, 0, 1, s13
	v_cmp_ne_u32_e64 s13, 0, v8
	s_bcnt1_i32_b32 s16, s7
	v_cmp_ne_u32_e64 s7, 0, v7
	s_bcnt1_i32_b32 s18, s9
	;; [unrolled: 2-line block ×4, first 2 shown]
	s_bcnt1_i32_b32 s17, s8
	v_cmp_ne_u32_e64 s8, 0, v9
	s_bcnt1_i32_b32 s14, s14
	s_bcnt1_i32_b32 s13, s13
	s_wait_alu 0xfffe
	s_add_co_i32 s6, s6, s15
	s_bcnt1_i32_b32 s19, s10
	v_cmp_ne_u32_e64 s10, 0, v11
	s_bcnt1_i32_b32 s7, s7
	s_bcnt1_i32_b32 s9, s9
	;; [unrolled: 1-line block ×3, first 2 shown]
	s_add_co_i32 s13, s13, s14
	s_wait_alu 0xfffe
	s_add_co_i32 s6, s6, s16
	s_bcnt1_i32_b32 s79, s12
	v_cmp_ne_u32_e64 s12, 0, v6
	s_bcnt1_i32_b32 s8, s8
	s_add_co_i32 s9, s9, s18
	s_add_co_i32 s11, s11, s52
	s_add_co_i32 s13, s13, s17
	s_wait_alu 0xfffe
	s_add_co_i32 s52, s6, s7
	s_bcnt1_i32_b32 s10, s10
	s_add_co_i32 s9, s9, s19
	s_wait_alu 0xfffe
	s_add_nc_u64 s[72:73], s[72:73], s[52:53]
	s_add_co_i32 s52, s13, s8
	s_bcnt1_i32_b32 s12, s12
	s_add_co_i32 s11, s11, s79
	s_wait_alu 0xfffe
	s_add_nc_u64 s[24:25], s[24:25], s[52:53]
	s_add_co_i32 s52, s9, s10
	v_dual_mov_b32 v4, s72 :: v_dual_add_nc_u32 v35, s77, v35
	s_wait_alu 0xfffe
	s_add_nc_u64 s[22:23], s[22:23], s[52:53]
	s_add_co_i32 s52, s11, s12
	v_mov_b32_e32 v6, s24
	s_wait_alu 0xfffe
	s_add_nc_u64 s[20:21], s[20:21], s[52:53]
	v_mov_b32_e32 v8, s22
	s_wait_alu 0xfffe
	v_dual_mov_b32 v10, s20 :: v_dual_mov_b32 v5, s73
	v_mov_b32_e32 v7, s25
	v_mov_b32_e32 v9, s23
	v_mov_b32_e32 v11, s21
	s_or_b32 s78, vcc_lo, s78
	s_wait_alu 0xfffe
	s_and_not1_b32 exec_lo, exec_lo, s78
	s_cbranch_execnz .LBB63_90
; %bb.91:                               ;   in Loop: Header=BB63_32 Depth=1
	s_or_b32 exec_lo, exec_lo, s78
.LBB63_92:                              ;   in Loop: Header=BB63_32 Depth=1
	s_delay_alu instid0(SALU_CYCLE_1)
	s_or_b32 exec_lo, exec_lo, s76
	v_add_co_u32 v31, vcc_lo, v31, v0
	s_wait_alu 0xfffd
	v_add_co_ci_u32_e64 v32, null, 0, v32, vcc_lo
	s_and_b32 s52, s70, 0x7fffffff
	s_mov_b32 s11, exec_lo
	s_wait_alu 0xfffe
	v_cmpx_gt_u64_e64 s[52:53], v[31:32]
	s_cbranch_execz .LBB63_96
; %bb.93:                               ;   in Loop: Header=BB63_32 Depth=1
	s_mul_i32 s74, s74, s71
	s_lshl_b32 s13, s71, 1
	s_wait_alu 0xfffe
	v_lshl_add_u32 v33, s74, 3, v42
	s_mov_b32 s12, 0
.LBB63_94:                              ;   Parent Loop BB63_32 Depth=1
                                        ; =>  This Inner Loop Header: Depth=2
	ds_load_u16 v34, v33
	v_add_co_u32 v31, vcc_lo, v31, v2
	s_wait_alu 0xfffd
	v_add_co_ci_u32_e64 v32, null, 0, v32, vcc_lo
	v_add_nc_u32_e32 v33, s13, v33
	s_delay_alu instid0(VALU_DEP_2) | instskip(SKIP_4) | instid1(VALU_DEP_2)
	v_cmp_le_u64_e32 vcc_lo, s[52:53], v[31:32]
	s_wait_dscnt 0x0
	v_cmp_lt_i16_e64 s6, -1, v34
	v_and_b32_e32 v35, 0xffff, v34
	s_wait_alu 0xf1ff
	v_cndmask_b32_e64 v36, 0xffff, v52, s6
	v_cmp_o_f16_e64 s6, v34, v34
	s_delay_alu instid0(VALU_DEP_2) | instskip(SKIP_1) | instid1(VALU_DEP_1)
	v_xor_b32_e32 v35, v36, v35
	s_wait_alu 0xf1ff
	v_cndmask_b32_e64 v34, 0xffff, v35, s6
	s_delay_alu instid0(VALU_DEP_1) | instskip(SKIP_1) | instid1(VALU_DEP_2)
	v_and_b32_e32 v35, v34, v53
	v_bfe_u32 v34, v34, s96, 2
	v_cmp_eq_u32_e64 s6, v35, v47
	s_delay_alu instid0(VALU_DEP_2)
	v_cmp_eq_u32_e64 s7, 0, v34
	v_cmp_eq_u32_e64 s8, 1, v34
	;; [unrolled: 1-line block ×4, first 2 shown]
	s_and_b32 s7, s6, s7
	s_wait_alu 0xfffe
	v_cndmask_b32_e64 v34, 0, 1, s7
	s_and_b32 s7, s6, s8
	s_wait_alu 0xfffe
	v_cndmask_b32_e64 v35, 0, 1, s7
	s_and_b32 s7, s6, s9
	s_and_b32 s6, s6, s10
	s_wait_alu 0xfffe
	v_cndmask_b32_e64 v36, 0, 1, s7
	v_cndmask_b32_e64 v37, 0, 1, s6
	v_cmp_ne_u32_e64 s6, 0, v34
	v_cmp_ne_u32_e64 s7, 0, v35
	s_delay_alu instid0(VALU_DEP_4) | instskip(NEXT) | instid1(VALU_DEP_4)
	v_cmp_ne_u32_e64 s8, 0, v36
	v_cmp_ne_u32_e64 s9, 0, v37
	s_bcnt1_i32_b32 s6, s6
	s_bcnt1_i32_b32 s7, s7
	s_wait_alu 0xfffe
	v_add_co_u32 v4, s6, v4, s6
	s_bcnt1_i32_b32 s8, s8
	v_add_co_ci_u32_e64 v5, null, 0, v5, s6
	v_add_co_u32 v6, s6, v6, s7
	s_bcnt1_i32_b32 s9, s9
	v_add_co_ci_u32_e64 v7, null, 0, v7, s6
	s_wait_alu 0xfffe
	v_add_co_u32 v8, s6, v8, s8
	s_wait_alu 0xf1ff
	v_add_co_ci_u32_e64 v9, null, 0, v9, s6
	v_add_co_u32 v10, s6, v10, s9
	s_wait_alu 0xf1ff
	v_add_co_ci_u32_e64 v11, null, 0, v11, s6
	s_or_b32 s12, vcc_lo, s12
	s_wait_alu 0xfffe
	s_and_not1_b32 exec_lo, exec_lo, s12
	s_cbranch_execnz .LBB63_94
; %bb.95:                               ;   in Loop: Header=BB63_32 Depth=1
	s_or_b32 exec_lo, exec_lo, s12
.LBB63_96:                              ;   in Loop: Header=BB63_32 Depth=1
	s_delay_alu instid0(SALU_CYCLE_1)
	s_or_b32 exec_lo, exec_lo, s11
	s_lshl_b32 s6, s98, 7
	s_and_saveexec_b32 s7, s1
	s_cbranch_execnz .LBB63_67
	s_branch .LBB63_68
.LBB63_97:                              ;   in Loop: Header=BB63_32 Depth=1
                                        ; implicit-def: $sgpr74_sgpr75
	s_branch .LBB63_76
.LBB63_98:                              ;   in Loop: Header=BB63_32 Depth=1
	s_or_b32 exec_lo, exec_lo, s9
	s_wait_dscnt 0x0
	s_barrier_signal -1
	s_barrier_wait -1
	global_inv scope:SCOPE_SE
	s_and_saveexec_b32 s6, s2
	s_cbranch_execz .LBB63_100
; %bb.99:                               ;   in Loop: Header=BB63_32 Depth=1
	ds_load_b32 v4, v3 offset:5136
	s_wait_dscnt 0x0
	v_ashrrev_i32_e32 v5, 31, v4
	ds_store_b64 v3, v[4:5] offset:5120
.LBB63_100:                             ;   in Loop: Header=BB63_32 Depth=1
	s_wait_alu 0xfffe
	s_or_b32 exec_lo, exec_lo, s6
	s_wait_loadcnt_dscnt 0x0
	s_barrier_signal -1
	s_mov_b32 s6, -1
	s_barrier_wait -1
	s_and_b32 vcc_lo, exec_lo, s8
	s_wait_alu 0xfffe
	s_cbranch_vccnz .LBB63_47
	s_branch .LBB63_62
.LBB63_101:                             ;   in Loop: Header=BB63_32 Depth=1
	s_mov_b32 s8, 0
	s_and_not1_b32 vcc_lo, exec_lo, s93
	s_wait_alu 0xfffe
	s_cbranch_vccnz .LBB63_104
.LBB63_102:                             ;   in Loop: Header=BB63_32 Depth=1
	s_lshl_b32 s9, s98, 10
	s_lshl_b32 s8, s8, 5
	s_wait_alu 0xfffe
	v_add3_u32 v2, s9, s8, v50
	s_mov_b32 s8, s90
.LBB63_103:                             ;   Parent Loop BB63_32 Depth=1
                                        ; =>  This Inner Loop Header: Depth=2
	ds_load_b64 v[6:7], v2
	v_add_nc_u32_e32 v2, 32, v2
	s_wait_alu 0xfffe
	s_add_co_i32 s8, s8, -1
	s_wait_alu 0xfffe
	s_cmp_lg_u32 s8, 0
	s_wait_dscnt 0x0
	v_add_co_u32 v4, vcc_lo, v6, v4
	s_wait_alu 0xfffd
	v_add_co_ci_u32_e64 v5, null, v7, v5, vcc_lo
	s_cbranch_scc1 .LBB63_103
.LBB63_104:                             ;   in Loop: Header=BB63_32 Depth=1
	v_add_lshl_u32 v2, s6, v41, 3
	ds_store_b64 v2, v[4:5] offset:3072
.LBB63_105:                             ;   in Loop: Header=BB63_32 Depth=1
	s_wait_alu 0xfffe
	s_or_b32 exec_lo, exec_lo, s7
	s_lshl_b32 s6, s6, 3
	s_wait_loadcnt_dscnt 0x0
	s_wait_alu 0xfffe
	v_mov_b32_e32 v2, s6
	s_barrier_signal -1
	s_barrier_wait -1
	global_inv scope:SCOPE_SE
	v_cmp_eq_u64_e32 vcc_lo, 1, v[29:30]
	ds_load_b128 v[4:7], v2 offset:3072
	ds_load_b128 v[8:11], v2 offset:3088
	s_lshl_b32 s16, 3, s96
	s_mov_b32 s18, -1
	s_wait_alu 0xfffe
	s_not_b32 s20, s16
                                        ; implicit-def: $sgpr22
                                        ; implicit-def: $sgpr21
	s_wait_dscnt 0x1
	v_cmp_eq_u64_e64 s6, 1, v[4:5]
	s_wait_dscnt 0x0
	v_readfirstlane_b32 s10, v8
	v_readfirstlane_b32 s11, v9
	;; [unrolled: 1-line block ×4, first 2 shown]
	s_and_b32 s19, s6, vcc_lo
	s_mov_b32 s6, -1
	s_and_saveexec_b32 s17, s19
	s_cbranch_execz .LBB63_139
; %bb.106:                              ;   in Loop: Header=BB63_32 Depth=1
	ds_load_b64 v[8:9], v3 offset:5120
	s_wait_loadcnt_dscnt 0x0
	s_barrier_signal -1
	s_barrier_wait -1
	global_inv scope:SCOPE_SE
	v_readfirstlane_b32 s12, v8
	v_readfirstlane_b32 s13, v9
	s_and_saveexec_b32 s6, s3
; %bb.107:                              ;   in Loop: Header=BB63_32 Depth=1
	ds_store_b16 v43, v3
; %bb.108:                              ;   in Loop: Header=BB63_32 Depth=1
	s_wait_alu 0xfffe
	s_or_b32 exec_lo, exec_lo, s6
	v_cmp_lt_i64_e64 s6, s[12:13], 1
	v_and_b32_e32 v47, s20, v47
	v_or_b32_e32 v53, s16, v53
	s_mov_b32 s21, -1
	s_mov_b32 s22, 0
	s_mov_b32 s23, 0
	s_and_b32 vcc_lo, exec_lo, s6
	s_mov_b32 s7, -1
	s_wait_loadcnt_dscnt 0x0
	s_barrier_signal -1
	s_barrier_wait -1
	global_inv scope:SCOPE_SE
                                        ; implicit-def: $vgpr54
	s_wait_alu 0xfffe
	s_cbranch_vccz .LBB63_123
; %bb.109:                              ;   in Loop: Header=BB63_32 Depth=1
	s_mov_b32 s6, s53
	s_mov_b32 s7, s63
	s_wait_alu 0xfffe
	s_cmp_lg_u64 s[6:7], 0
	s_cbranch_scc0 .LBB63_166
; %bb.110:                              ;   in Loop: Header=BB63_32 Depth=1
	s_add_nc_u64 s[6:7], s[50:51], 0
	s_wait_alu 0xfffe
	s_xor_b64 s[6:7], s[6:7], 0
	s_wait_alu 0xfffe
	s_cvt_f32_u32 s14, s6
	s_cvt_f32_u32 s15, s7
	s_sub_nc_u64 s[24:25], 0, s[6:7]
	s_wait_alu 0xfffe
	s_delay_alu instid0(SALU_CYCLE_1) | instskip(SKIP_1) | instid1(SALU_CYCLE_2)
	s_fmamk_f32 s14, s15, 0x4f800000, s14
	s_wait_alu 0xfffe
	v_s_rcp_f32 s14, s14
	s_delay_alu instid0(TRANS32_DEP_1) | instskip(SKIP_1) | instid1(SALU_CYCLE_2)
	s_mul_f32 s14, s14, 0x5f7ffffc
	s_wait_alu 0xfffe
	s_mul_f32 s15, s14, 0x2f800000
	s_wait_alu 0xfffe
	s_delay_alu instid0(SALU_CYCLE_2) | instskip(SKIP_1) | instid1(SALU_CYCLE_2)
	s_trunc_f32 s15, s15
	s_wait_alu 0xfffe
	s_fmamk_f32 s14, s15, 0xcf800000, s14
	s_cvt_u32_f32 s15, s15
	s_wait_alu 0xfffe
	s_delay_alu instid0(SALU_CYCLE_1) | instskip(SKIP_1) | instid1(SALU_CYCLE_2)
	s_cvt_u32_f32 s14, s14
	s_wait_alu 0xfffe
	s_mul_u64 s[70:71], s[24:25], s[14:15]
	s_wait_alu 0xfffe
	s_mul_hi_u32 s73, s14, s71
	s_mul_i32 s72, s14, s71
	s_mul_hi_u32 s52, s14, s70
	s_mul_i32 s74, s15, s70
	s_wait_alu 0xfffe
	s_add_nc_u64 s[72:73], s[52:53], s[72:73]
	s_mul_hi_u32 s23, s15, s70
	s_mul_hi_u32 s75, s15, s71
	s_wait_alu 0xfffe
	s_add_co_u32 s52, s72, s74
	s_add_co_ci_u32 s52, s73, s23
	s_mul_i32 s70, s15, s71
	s_add_co_ci_u32 s71, s75, 0
	s_wait_alu 0xfffe
	s_add_nc_u64 s[70:71], s[52:53], s[70:71]
	s_wait_alu 0xfffe
	s_add_co_u32 s14, s14, s70
	s_cselect_b32 s23, -1, 0
	s_wait_alu 0xfffe
	s_cmp_lg_u32 s23, 0
	s_add_co_ci_u32 s15, s15, s71
	s_wait_alu 0xfffe
	s_mul_u64 s[24:25], s[24:25], s[14:15]
	s_wait_alu 0xfffe
	s_mul_hi_u32 s71, s14, s25
	s_mul_i32 s70, s14, s25
	s_mul_hi_u32 s52, s14, s24
	s_mul_i32 s72, s15, s24
	s_wait_alu 0xfffe
	s_add_nc_u64 s[70:71], s[52:53], s[70:71]
	s_mul_hi_u32 s23, s15, s24
	s_mul_hi_u32 s73, s15, s25
	s_mul_i32 s24, s15, s25
	s_wait_alu 0xfffe
	s_add_co_u32 s25, s70, s72
	s_add_co_ci_u32 s52, s71, s23
	s_add_co_ci_u32 s25, s73, 0
	s_wait_alu 0xfffe
	s_add_nc_u64 s[24:25], s[52:53], s[24:25]
	s_wait_alu 0xfffe
	s_add_co_u32 s23, s14, s24
	s_cselect_b32 s14, -1, 0
	s_wait_alu 0xfffe
	s_cmp_lg_u32 s14, 0
	s_add_co_ci_u32 s72, s15, s25
	s_ashr_i32 s14, s63, 31
	s_wait_alu 0xfffe
	s_mov_b32 s15, s14
	s_wait_alu 0xfffe
	s_add_nc_u64 s[24:25], s[62:63], s[14:15]
	s_wait_alu 0xfffe
	s_xor_b64 s[24:25], s[24:25], s[14:15]
	s_wait_alu 0xfffe
	s_mul_hi_u32 s71, s24, s72
	s_mul_i32 s70, s24, s72
	s_mul_hi_u32 s52, s24, s23
	s_mul_hi_u32 s74, s25, s23
	s_mul_i32 s23, s25, s23
	s_wait_alu 0xfffe
	s_add_nc_u64 s[70:71], s[52:53], s[70:71]
	s_mul_hi_u32 s73, s25, s72
	s_wait_alu 0xfffe
	s_add_co_u32 s23, s70, s23
	s_add_co_ci_u32 s52, s71, s74
	s_mul_i32 s72, s25, s72
	s_add_co_ci_u32 s73, s73, 0
	s_wait_alu 0xfffe
	s_add_nc_u64 s[70:71], s[52:53], s[72:73]
	s_wait_alu 0xfffe
	s_mul_u64 s[70:71], s[6:7], s[70:71]
	s_wait_alu 0xfffe
	s_sub_co_u32 s23, s24, s70
	s_cselect_b32 s24, -1, 0
	s_sub_co_i32 s52, s25, s71
	s_wait_alu 0xfffe
	s_cmp_lg_u32 s24, 0
	s_sub_co_ci_u32 s52, s52, s7
	s_sub_co_u32 s70, s23, s6
	s_cselect_b32 s72, -1, 0
	s_wait_alu 0xfffe
	s_cmp_lg_u32 s72, 0
	s_sub_co_ci_u32 s73, s52, 0
	s_wait_alu 0xfffe
	s_cmp_ge_u32 s73, s7
	s_cselect_b32 s74, -1, 0
	s_cmp_ge_u32 s70, s6
	s_cselect_b32 s75, -1, 0
	s_cmp_eq_u32 s73, s7
	s_wait_alu 0xfffe
	s_cselect_b32 s74, s75, s74
	s_cmp_lg_u32 s72, 0
	s_sub_co_ci_u32 s52, s52, s7
	s_sub_co_u32 s72, s70, s6
	s_cselect_b32 s75, -1, 0
	s_wait_alu 0xfffe
	s_cmp_lg_u32 s75, 0
	s_sub_co_ci_u32 s52, s52, 0
	s_cmp_lg_u32 s74, 0
	s_cselect_b32 s70, s72, s70
	s_wait_alu 0xfffe
	s_cselect_b32 s52, s52, s73
	s_cmp_lg_u32 s24, 0
	s_sub_co_ci_u32 s24, s25, s71
	s_wait_alu 0xfffe
	s_cmp_ge_u32 s24, s7
	s_cselect_b32 s25, -1, 0
	s_cmp_ge_u32 s23, s6
	s_cselect_b32 s6, -1, 0
	s_cmp_eq_u32 s24, s7
	s_wait_alu 0xfffe
	s_cselect_b32 s6, s6, s25
	s_wait_alu 0xfffe
	s_cmp_lg_u32 s6, 0
	s_cselect_b32 s7, s52, s24
	s_cselect_b32 s6, s70, s23
	s_wait_alu 0xfffe
	s_xor_b64 s[6:7], s[6:7], s[14:15]
	s_wait_alu 0xfffe
	s_sub_nc_u64 s[6:7], s[6:7], s[14:15]
	s_cbranch_execnz .LBB63_112
.LBB63_111:                             ;   in Loop: Header=BB63_32 Depth=1
	v_cvt_f32_u32_e32 v2, s50
	s_sub_co_i32 s7, 0, s50
	s_delay_alu instid0(VALU_DEP_1) | instskip(NEXT) | instid1(TRANS32_DEP_1)
	v_rcp_iflag_f32_e32 v2, v2
	v_mul_f32_e32 v2, 0x4f7ffffe, v2
	s_delay_alu instid0(VALU_DEP_1) | instskip(NEXT) | instid1(VALU_DEP_1)
	v_cvt_u32_f32_e32 v2, v2
	v_readfirstlane_b32 s6, v2
	s_wait_alu 0xfffe
	s_mul_i32 s7, s7, s6
	s_wait_alu 0xfffe
	s_mul_hi_u32 s7, s6, s7
	s_wait_alu 0xfffe
	s_add_co_i32 s6, s6, s7
	s_wait_alu 0xfffe
	s_mul_hi_u32 s6, s62, s6
	s_wait_alu 0xfffe
	s_mul_i32 s6, s6, s50
	s_wait_alu 0xfffe
	s_sub_co_i32 s6, s62, s6
	s_wait_alu 0xfffe
	s_sub_co_i32 s7, s6, s50
	s_cmp_ge_u32 s6, s50
	s_wait_alu 0xfffe
	s_cselect_b32 s6, s7, s6
	s_wait_alu 0xfffe
	s_sub_co_i32 s7, s6, s50
	s_cmp_ge_u32 s6, s50
	s_wait_alu 0xfffe
	s_cselect_b32 s52, s7, s6
	s_wait_alu 0xfffe
	s_mov_b64 s[6:7], s[52:53]
.LBB63_112:                             ;   in Loop: Header=BB63_32 Depth=1
	s_wait_alu 0xfffe
	s_sub_nc_u64 s[14:15], s[62:63], s[6:7]
	s_mov_b32 s7, 0
	s_mov_b32 s23, 0
	s_mov_b32 s24, exec_lo
                                        ; implicit-def: $vgpr54
	s_wait_alu 0xfffe
	v_cmpx_gt_i64_e64 s[14:15], v[0:1]
	s_cbranch_execz .LBB63_122
; %bb.113:                              ;   in Loop: Header=BB63_32 Depth=1
	v_dual_mov_b32 v8, v12 :: v_dual_mov_b32 v9, v13
	v_dual_mov_b32 v11, v1 :: v_dual_mov_b32 v10, v0
                                        ; implicit-def: $sgpr25
	s_branch .LBB63_117
.LBB63_114:                             ;   in Loop: Header=BB63_117 Depth=2
	s_wait_alu 0xfffe
	s_or_b32 exec_lo, exec_lo, s6
	s_wait_loadcnt_dscnt 0x0
	s_barrier_signal -1
	s_barrier_wait -1
	global_inv scope:SCOPE_SE
	ds_load_b32 v2, v3 offset:3072
	s_wait_loadcnt_dscnt 0x0
	s_barrier_signal -1
	s_barrier_wait -1
	global_inv scope:SCOPE_SE
	v_cmp_neq_f16_e32 vcc_lo, 0, v2
	s_cbranch_vccnz .LBB63_120
; %bb.115:                              ;   in Loop: Header=BB63_117 Depth=2
	v_add_co_u32 v10, vcc_lo, v10, s50
	s_wait_alu 0xfffd
	v_add_co_ci_u32_e64 v11, null, 0, v11, vcc_lo
	v_add_co_u32 v8, s6, v8, s54
	s_wait_alu 0xf1ff
	v_add_co_ci_u32_e64 v9, null, s55, v9, s6
	s_delay_alu instid0(VALU_DEP_3)
	v_cmp_le_i64_e32 vcc_lo, s[14:15], v[10:11]
	s_mov_b32 s6, 0
	s_or_not1_b32 s52, vcc_lo, exec_lo
.LBB63_116:                             ;   in Loop: Header=BB63_117 Depth=2
	s_wait_alu 0xfffe
	s_and_b32 s52, exec_lo, s52
	s_wait_alu 0xfffe
	s_or_b32 s23, s52, s23
	s_and_not1_b32 s25, s25, exec_lo
	s_and_b32 s6, s6, exec_lo
	s_wait_alu 0xfffe
	s_or_b32 s25, s25, s6
	s_and_not1_b32 exec_lo, exec_lo, s23
	s_cbranch_execz .LBB63_121
.LBB63_117:                             ;   Parent Loop BB63_32 Depth=1
                                        ; =>  This Inner Loop Header: Depth=2
	s_mov_b32 s6, exec_lo
	s_delay_alu instid0(VALU_DEP_1)
	v_cmpx_gt_i64_e64 s[36:37], v[10:11]
	s_cbranch_execz .LBB63_114
; %bb.118:                              ;   in Loop: Header=BB63_117 Depth=2
	global_load_u16 v2, v[8:9], off
	s_wait_loadcnt 0x0
	v_cmp_lt_i16_e32 vcc_lo, -1, v2
	s_wait_alu 0xfffd
	v_dual_cndmask_b32 v32, 0xffff, v52 :: v_dual_and_b32 v31, 0xffff, v2
	v_cmp_o_f16_e32 vcc_lo, v2, v2
	s_delay_alu instid0(VALU_DEP_2) | instskip(SKIP_1) | instid1(VALU_DEP_1)
	v_xor_b32_e32 v31, v32, v31
	s_wait_alu 0xfffd
	v_cndmask_b32_e32 v31, 0xffff, v31, vcc_lo
	s_delay_alu instid0(VALU_DEP_1) | instskip(NEXT) | instid1(VALU_DEP_1)
	v_and_b32_e32 v31, v31, v53
	v_cmp_eq_u32_e32 vcc_lo, v31, v47
	s_and_b32 exec_lo, exec_lo, vcc_lo
	s_cbranch_execz .LBB63_114
; %bb.119:                              ;   in Loop: Header=BB63_117 Depth=2
	v_perm_b32 v2, v2, s95, 0x5040100
	ds_store_b32 v3, v2 offset:3072
	s_branch .LBB63_114
.LBB63_120:                             ;   in Loop: Header=BB63_117 Depth=2
	s_mov_b32 s52, -1
	s_mov_b32 s6, -1
                                        ; implicit-def: $vgpr10_vgpr11
                                        ; implicit-def: $vgpr8_vgpr9
	s_branch .LBB63_116
.LBB63_121:                             ;   in Loop: Header=BB63_32 Depth=1
	s_or_b32 exec_lo, exec_lo, s23
	v_lshrrev_b32_e32 v54, 16, v2
	s_wait_alu 0xfffe
	s_and_b32 s23, s25, exec_lo
.LBB63_122:                             ;   in Loop: Header=BB63_32 Depth=1
	s_or_b32 exec_lo, exec_lo, s24
.LBB63_123:                             ;   in Loop: Header=BB63_32 Depth=1
	s_delay_alu instid0(SALU_CYCLE_1)
	s_and_b32 vcc_lo, exec_lo, s7
	s_wait_alu 0xfffe
	s_cbranch_vccz .LBB63_138
; %bb.124:                              ;   in Loop: Header=BB63_32 Depth=1
	s_add_nc_u64 s[6:7], s[12:13], s[60:61]
	s_mov_b32 s14, s53
	s_wait_alu 0xfffe
	s_mov_b32 s15, s7
	s_wait_alu 0xfffe
	s_cmp_lg_u64 s[14:15], 0
	s_cbranch_scc0 .LBB63_167
; %bb.125:                              ;   in Loop: Header=BB63_32 Depth=1
	s_add_nc_u64 s[14:15], s[50:51], 0
	s_wait_alu 0xfffe
	s_xor_b64 s[14:15], s[14:15], 0
	s_wait_alu 0xfffe
	s_cvt_f32_u32 s21, s14
	s_cvt_f32_u32 s22, s15
	s_sub_nc_u64 s[70:71], 0, s[14:15]
	s_wait_alu 0xfffe
	s_delay_alu instid0(SALU_CYCLE_1) | instskip(SKIP_1) | instid1(SALU_CYCLE_2)
	s_fmamk_f32 s21, s22, 0x4f800000, s21
	s_wait_alu 0xfffe
	v_s_rcp_f32 s21, s21
	s_delay_alu instid0(TRANS32_DEP_1) | instskip(SKIP_1) | instid1(SALU_CYCLE_2)
	s_mul_f32 s21, s21, 0x5f7ffffc
	s_wait_alu 0xfffe
	s_mul_f32 s22, s21, 0x2f800000
	s_wait_alu 0xfffe
	s_delay_alu instid0(SALU_CYCLE_2) | instskip(SKIP_1) | instid1(SALU_CYCLE_2)
	s_trunc_f32 s22, s22
	s_wait_alu 0xfffe
	s_fmamk_f32 s21, s22, 0xcf800000, s21
	s_cvt_u32_f32 s25, s22
	s_wait_alu 0xfffe
	s_delay_alu instid0(SALU_CYCLE_1) | instskip(SKIP_1) | instid1(SALU_CYCLE_2)
	s_cvt_u32_f32 s24, s21
	s_wait_alu 0xfffe
	s_mul_u64 s[72:73], s[70:71], s[24:25]
	s_wait_alu 0xfffe
	s_mul_hi_u32 s75, s24, s73
	s_mul_i32 s74, s24, s73
	s_mul_hi_u32 s52, s24, s72
	s_mul_i32 s22, s25, s72
	s_wait_alu 0xfffe
	s_add_nc_u64 s[74:75], s[52:53], s[74:75]
	s_mul_hi_u32 s21, s25, s72
	s_mul_hi_u32 s76, s25, s73
	s_wait_alu 0xfffe
	s_add_co_u32 s22, s74, s22
	s_add_co_ci_u32 s52, s75, s21
	s_mul_i32 s72, s25, s73
	s_add_co_ci_u32 s73, s76, 0
	s_wait_alu 0xfffe
	s_add_nc_u64 s[72:73], s[52:53], s[72:73]
	s_wait_alu 0xfffe
	s_add_co_u32 s24, s24, s72
	s_cselect_b32 s21, -1, 0
	s_wait_alu 0xfffe
	s_cmp_lg_u32 s21, 0
	s_add_co_ci_u32 s25, s25, s73
	s_wait_alu 0xfffe
	s_mul_u64 s[70:71], s[70:71], s[24:25]
	s_wait_alu 0xfffe
	s_mul_hi_u32 s73, s24, s71
	s_mul_i32 s72, s24, s71
	s_mul_hi_u32 s52, s24, s70
	s_mul_i32 s22, s25, s70
	s_wait_alu 0xfffe
	s_add_nc_u64 s[72:73], s[52:53], s[72:73]
	s_mul_hi_u32 s21, s25, s70
	s_mul_hi_u32 s74, s25, s71
	s_wait_alu 0xfffe
	s_add_co_u32 s22, s72, s22
	s_add_co_ci_u32 s52, s73, s21
	s_mul_i32 s70, s25, s71
	s_add_co_ci_u32 s71, s74, 0
	s_wait_alu 0xfffe
	s_add_nc_u64 s[70:71], s[52:53], s[70:71]
	s_wait_alu 0xfffe
	s_add_co_u32 s21, s24, s70
	s_cselect_b32 s22, -1, 0
	s_wait_alu 0xfffe
	s_cmp_lg_u32 s22, 0
	s_add_co_ci_u32 s22, s25, s71
	s_ashr_i32 s24, s7, 31
	s_wait_alu 0xfffe
	s_mov_b32 s25, s24
	s_wait_alu 0xfffe
	s_add_nc_u64 s[70:71], s[6:7], s[24:25]
	s_wait_alu 0xfffe
	s_xor_b64 s[70:71], s[70:71], s[24:25]
	s_wait_alu 0xfffe
	s_mul_hi_u32 s73, s70, s22
	s_mul_i32 s72, s70, s22
	s_mul_hi_u32 s52, s70, s21
	s_mul_hi_u32 s76, s71, s21
	s_mul_i32 s21, s71, s21
	s_wait_alu 0xfffe
	s_add_nc_u64 s[72:73], s[52:53], s[72:73]
	s_mul_hi_u32 s75, s71, s22
	s_wait_alu 0xfffe
	s_add_co_u32 s21, s72, s21
	s_add_co_ci_u32 s52, s73, s76
	s_mul_i32 s74, s71, s22
	s_add_co_ci_u32 s75, s75, 0
	s_wait_alu 0xfffe
	s_add_nc_u64 s[72:73], s[52:53], s[74:75]
	s_wait_alu 0xfffe
	s_mul_u64 s[72:73], s[14:15], s[72:73]
	s_wait_alu 0xfffe
	s_sub_co_u32 s21, s70, s72
	s_cselect_b32 s22, -1, 0
	s_sub_co_i32 s52, s71, s73
	s_wait_alu 0xfffe
	s_cmp_lg_u32 s22, 0
	s_sub_co_ci_u32 s52, s52, s15
	s_sub_co_u32 s70, s21, s14
	s_cselect_b32 s72, -1, 0
	s_wait_alu 0xfffe
	s_cmp_lg_u32 s72, 0
	s_sub_co_ci_u32 s74, s52, 0
	s_wait_alu 0xfffe
	s_cmp_ge_u32 s74, s15
	s_cselect_b32 s75, -1, 0
	s_cmp_ge_u32 s70, s14
	s_cselect_b32 s76, -1, 0
	s_cmp_eq_u32 s74, s15
	s_wait_alu 0xfffe
	s_cselect_b32 s75, s76, s75
	s_cmp_lg_u32 s72, 0
	s_sub_co_ci_u32 s52, s52, s15
	s_sub_co_u32 s72, s70, s14
	s_cselect_b32 s76, -1, 0
	s_wait_alu 0xfffe
	s_cmp_lg_u32 s76, 0
	s_sub_co_ci_u32 s52, s52, 0
	s_cmp_lg_u32 s75, 0
	s_cselect_b32 s70, s72, s70
	s_wait_alu 0xfffe
	s_cselect_b32 s52, s52, s74
	s_cmp_lg_u32 s22, 0
	s_sub_co_ci_u32 s22, s71, s73
	s_wait_alu 0xfffe
	s_cmp_ge_u32 s22, s15
	s_cselect_b32 s71, -1, 0
	s_cmp_ge_u32 s21, s14
	s_cselect_b32 s14, -1, 0
	s_cmp_eq_u32 s22, s15
	s_wait_alu 0xfffe
	s_cselect_b32 s14, s14, s71
	s_wait_alu 0xfffe
	s_cmp_lg_u32 s14, 0
	s_cselect_b32 s15, s52, s22
	s_cselect_b32 s14, s70, s21
	s_wait_alu 0xfffe
	s_xor_b64 s[14:15], s[14:15], s[24:25]
	s_wait_alu 0xfffe
	s_sub_nc_u64 s[14:15], s[14:15], s[24:25]
	s_cbranch_execnz .LBB63_127
.LBB63_126:                             ;   in Loop: Header=BB63_32 Depth=1
	v_cvt_f32_u32_e32 v2, s50
	s_sub_co_i32 s15, 0, s50
	s_delay_alu instid0(VALU_DEP_1) | instskip(NEXT) | instid1(TRANS32_DEP_1)
	v_rcp_iflag_f32_e32 v2, v2
	v_mul_f32_e32 v2, 0x4f7ffffe, v2
	s_delay_alu instid0(VALU_DEP_1) | instskip(NEXT) | instid1(VALU_DEP_1)
	v_cvt_u32_f32_e32 v2, v2
	v_readfirstlane_b32 s14, v2
	s_wait_alu 0xfffe
	s_mul_i32 s15, s15, s14
	s_wait_alu 0xfffe
	s_mul_hi_u32 s15, s14, s15
	s_wait_alu 0xfffe
	s_add_co_i32 s14, s14, s15
	s_wait_alu 0xfffe
	s_mul_hi_u32 s14, s6, s14
	s_wait_alu 0xfffe
	s_mul_i32 s14, s14, s50
	s_wait_alu 0xfffe
	s_sub_co_i32 s14, s6, s14
	s_wait_alu 0xfffe
	s_sub_co_i32 s15, s14, s50
	s_cmp_ge_u32 s14, s50
	s_wait_alu 0xfffe
	s_cselect_b32 s14, s15, s14
	s_wait_alu 0xfffe
	s_sub_co_i32 s15, s14, s50
	s_cmp_ge_u32 s14, s50
	s_wait_alu 0xfffe
	s_cselect_b32 s52, s15, s14
	s_wait_alu 0xfffe
	s_mov_b64 s[14:15], s[52:53]
.LBB63_127:                             ;   in Loop: Header=BB63_32 Depth=1
	s_wait_alu 0xfffe
	s_sub_nc_u64 s[6:7], s[6:7], s[14:15]
	s_mov_b32 s14, exec_lo
                                        ; implicit-def: $vgpr54
	s_wait_alu 0xfffe
	v_cmpx_gt_i64_e64 s[6:7], v[0:1]
	s_cbranch_execz .LBB63_137
; %bb.128:                              ;   in Loop: Header=BB63_32 Depth=1
	v_dual_mov_b32 v2, v42 :: v_dual_mov_b32 v9, v1
	v_mov_b32_e32 v8, v0
	s_mov_b32 s15, 0
                                        ; implicit-def: $sgpr21
	s_branch .LBB63_132
.LBB63_129:                             ;   in Loop: Header=BB63_132 Depth=2
	s_wait_alu 0xfffe
	s_or_b32 exec_lo, exec_lo, s22
	s_wait_loadcnt_dscnt 0x0
	s_barrier_signal -1
	s_barrier_wait -1
	global_inv scope:SCOPE_SE
	ds_load_b32 v10, v3 offset:3072
	s_wait_loadcnt_dscnt 0x0
	s_barrier_signal -1
	s_barrier_wait -1
	global_inv scope:SCOPE_SE
	v_cmp_neq_f16_e32 vcc_lo, 0, v10
	s_cbranch_vccnz .LBB63_135
; %bb.130:                              ;   in Loop: Header=BB63_132 Depth=2
	v_add_co_u32 v8, vcc_lo, v8, s50
	s_wait_alu 0xfffd
	v_add_co_ci_u32_e64 v9, null, 0, v9, vcc_lo
	v_add_nc_u32_e32 v2, s94, v2
	s_mov_b32 s22, 0
	s_delay_alu instid0(VALU_DEP_2)
	v_cmp_le_i64_e32 vcc_lo, s[6:7], v[8:9]
	s_or_not1_b32 s24, vcc_lo, exec_lo
.LBB63_131:                             ;   in Loop: Header=BB63_132 Depth=2
	s_wait_alu 0xfffe
	s_and_b32 s24, exec_lo, s24
	s_wait_alu 0xfffe
	s_or_b32 s15, s24, s15
	s_and_not1_b32 s21, s21, exec_lo
	s_and_b32 s22, s22, exec_lo
	s_wait_alu 0xfffe
	s_or_b32 s21, s21, s22
	s_and_not1_b32 exec_lo, exec_lo, s15
	s_cbranch_execz .LBB63_136
.LBB63_132:                             ;   Parent Loop BB63_32 Depth=1
                                        ; =>  This Inner Loop Header: Depth=2
	s_mov_b32 s22, exec_lo
	s_delay_alu instid0(VALU_DEP_1)
	v_cmpx_gt_u64_e64 s[12:13], v[8:9]
	s_cbranch_execz .LBB63_129
; %bb.133:                              ;   in Loop: Header=BB63_132 Depth=2
	ds_load_u16 v10, v2
	s_wait_dscnt 0x0
	v_cmp_lt_i16_e32 vcc_lo, -1, v10
	v_and_b32_e32 v11, 0xffff, v10
	s_wait_alu 0xfffd
	v_cndmask_b32_e32 v31, 0xffff, v52, vcc_lo
	v_cmp_o_f16_e32 vcc_lo, v10, v10
	s_delay_alu instid0(VALU_DEP_2) | instskip(SKIP_1) | instid1(VALU_DEP_1)
	v_xor_b32_e32 v11, v31, v11
	s_wait_alu 0xfffd
	v_cndmask_b32_e32 v11, 0xffff, v11, vcc_lo
	s_delay_alu instid0(VALU_DEP_1) | instskip(NEXT) | instid1(VALU_DEP_1)
	v_and_b32_e32 v11, v11, v53
	v_cmp_eq_u32_e32 vcc_lo, v11, v47
	s_and_b32 exec_lo, exec_lo, vcc_lo
	s_cbranch_execz .LBB63_129
; %bb.134:                              ;   in Loop: Header=BB63_132 Depth=2
	v_perm_b32 v10, v10, s95, 0x5040100
	ds_store_b32 v3, v10 offset:3072
	s_branch .LBB63_129
.LBB63_135:                             ;   in Loop: Header=BB63_132 Depth=2
	s_mov_b32 s24, -1
	s_mov_b32 s22, -1
                                        ; implicit-def: $vgpr8_vgpr9
                                        ; implicit-def: $vgpr2
	s_branch .LBB63_131
.LBB63_136:                             ;   in Loop: Header=BB63_32 Depth=1
	s_or_b32 exec_lo, exec_lo, s15
	v_lshrrev_b32_e32 v54, 16, v10
	s_and_not1_b32 s6, s23, exec_lo
	s_wait_alu 0xfffe
	s_and_b32 s7, s21, exec_lo
	s_wait_alu 0xfffe
	s_or_b32 s23, s6, s7
.LBB63_137:                             ;   in Loop: Header=BB63_32 Depth=1
	s_or_b32 exec_lo, exec_lo, s14
	s_mov_b32 s21, 0
	s_mov_b32 s22, -1
.LBB63_138:                             ;   in Loop: Header=BB63_32 Depth=1
	s_wait_alu 0xfffe
	s_or_not1_b32 s6, s23, exec_lo
.LBB63_139:                             ;   in Loop: Header=BB63_32 Depth=1
	s_wait_alu 0xfffe
	s_or_b32 exec_lo, exec_lo, s17
	s_delay_alu instid0(SALU_CYCLE_1)
	s_and_not1_b32 s7, s103, exec_lo
	s_and_b32 s12, s22, exec_lo
	s_and_not1_b32 s13, s101, exec_lo
	s_and_b32 s14, s21, exec_lo
	s_and_not1_b32 s100, s100, exec_lo
	s_wait_alu 0xfffe
	s_or_b32 s103, s7, s12
	s_or_b32 s101, s13, s14
                                        ; implicit-def: $vgpr8_vgpr9
	s_and_saveexec_b32 s17, s6
	s_cbranch_execz .LBB63_31
; %bb.140:                              ;   in Loop: Header=BB63_32 Depth=1
	v_mov_b32_e32 v8, 1
	v_dual_mov_b32 v9, 0 :: v_dual_mov_b32 v2, 1
	s_xor_b32 s12, s19, -1
	s_mov_b32 s7, 0
	s_wait_alu 0xfffe
	s_and_saveexec_b32 s6, s12
	s_cbranch_execz .LBB63_149
; %bb.141:                              ;   in Loop: Header=BB63_32 Depth=1
	s_mov_b32 s7, exec_lo
	v_cmpx_le_i64_e64 v[29:30], v[4:5]
	s_wait_alu 0xfffe
	s_xor_b32 s7, exec_lo, s7
	s_cbranch_execz .LBB63_146
; %bb.142:                              ;   in Loop: Header=BB63_32 Depth=1
	ds_load_b64 v[8:9], v3 offset:5120
	v_and_b32_e32 v47, s20, v47
	v_or_b32_e32 v53, s16, v53
	s_wait_dscnt 0x0
	v_cmp_ne_u64_e32 vcc_lo, 0, v[8:9]
	s_cbranch_vccnz .LBB63_146
; %bb.143:                              ;   in Loop: Header=BB63_32 Depth=1
	s_and_saveexec_b32 s12, s2
; %bb.144:                              ;   in Loop: Header=BB63_32 Depth=1
	ds_store_b64 v3, v[4:5] offset:5128
; %bb.145:                              ;   in Loop: Header=BB63_32 Depth=1
	s_wait_alu 0xfffe
	s_or_b32 exec_lo, exec_lo, s12
	s_wait_loadcnt_dscnt 0x0
	s_barrier_signal -1
	s_barrier_wait -1
	global_inv scope:SCOPE_SE
.LBB63_146:                             ;   in Loop: Header=BB63_32 Depth=1
	s_wait_alu 0xfffe
	s_or_saveexec_b32 s7, s7
	v_mov_b32_e32 v2, 8
	s_mov_b32 s12, 0
	s_wait_alu 0xfffe
	s_xor_b32 exec_lo, exec_lo, s7
; %bb.147:                              ;   in Loop: Header=BB63_32 Depth=1
	v_sub_co_u32 v29, vcc_lo, v29, v4
	s_wait_alu 0xfffd
	v_sub_co_ci_u32_e64 v30, null, v30, v5, vcc_lo
	v_mov_b32_e32 v2, 0
	s_mov_b32 s12, exec_lo
; %bb.148:                              ;   in Loop: Header=BB63_32 Depth=1
	s_or_b32 exec_lo, exec_lo, s7
	s_delay_alu instid0(VALU_DEP_2)
	v_dual_mov_b32 v8, v29 :: v_dual_mov_b32 v9, v30
	s_wait_alu 0xfffe
	s_and_b32 s7, s12, exec_lo
.LBB63_149:                             ;   in Loop: Header=BB63_32 Depth=1
	s_wait_alu 0xfffe
	s_or_b32 exec_lo, exec_lo, s6
	s_mov_b32 s18, -1
	s_mov_b32 s6, -1
                                        ; implicit-def: $sgpr21
                                        ; implicit-def: $sgpr22
	s_and_saveexec_b32 s12, s7
	s_wait_alu 0xfffe
	s_xor_b32 s19, exec_lo, s12
	s_cbranch_execz .LBB63_297
; %bb.150:                              ;   in Loop: Header=BB63_32 Depth=1
	v_cmp_eq_u64_e32 vcc_lo, 1, v[6:7]
	v_cmp_eq_u64_e64 s6, 1, v[8:9]
                                        ; implicit-def: $sgpr22
                                        ; implicit-def: $sgpr21
	s_and_b32 s24, vcc_lo, s6
	s_mov_b32 s6, -1
	s_wait_alu 0xfffe
	s_and_saveexec_b32 s23, s24
	s_cbranch_execz .LBB63_186
; %bb.151:                              ;   in Loop: Header=BB63_32 Depth=1
	ds_load_b64 v[4:5], v3 offset:5120
	s_wait_loadcnt_dscnt 0x0
	s_barrier_signal -1
	s_barrier_wait -1
	global_inv scope:SCOPE_SE
	v_readfirstlane_b32 s12, v4
	v_readfirstlane_b32 s13, v5
	s_and_saveexec_b32 s6, s3
; %bb.152:                              ;   in Loop: Header=BB63_32 Depth=1
	ds_store_b16 v43, v3
; %bb.153:                              ;   in Loop: Header=BB63_32 Depth=1
	s_wait_alu 0xfffe
	s_or_b32 exec_lo, exec_lo, s6
	s_lshl_b32 s6, 1, s96
	v_or_b32_e32 v53, s16, v53
	s_wait_alu 0xfffe
	v_and_or_b32 v47, v47, s20, s6
	v_cmp_gt_i64_e64 s6, s[12:13], 0
	s_mov_b32 s21, -1
	s_mov_b32 s22, 0
	s_mov_b32 s25, 0
	s_mov_b32 s7, -1
	s_wait_loadcnt_dscnt 0x0
	s_and_b32 vcc_lo, exec_lo, s6
	s_barrier_signal -1
	s_barrier_wait -1
	global_inv scope:SCOPE_SE
                                        ; implicit-def: $vgpr54
	s_wait_alu 0xfffe
	s_cbranch_vccnz .LBB63_170
; %bb.154:                              ;   in Loop: Header=BB63_32 Depth=1
	s_mov_b32 s6, s53
	s_mov_b32 s7, s63
	s_wait_alu 0xfffe
	s_cmp_lg_u64 s[6:7], 0
	s_cbranch_scc0 .LBB63_214
; %bb.155:                              ;   in Loop: Header=BB63_32 Depth=1
	s_add_nc_u64 s[6:7], s[50:51], 0
	s_wait_alu 0xfffe
	s_xor_b64 s[6:7], s[6:7], 0
	s_wait_alu 0xfffe
	s_cvt_f32_u32 s14, s6
	s_cvt_f32_u32 s15, s7
	s_sub_nc_u64 s[70:71], 0, s[6:7]
	s_wait_alu 0xfffe
	s_delay_alu instid0(SALU_CYCLE_1) | instskip(SKIP_1) | instid1(SALU_CYCLE_2)
	s_fmamk_f32 s14, s15, 0x4f800000, s14
	s_wait_alu 0xfffe
	v_s_rcp_f32 s14, s14
	s_delay_alu instid0(TRANS32_DEP_1) | instskip(SKIP_1) | instid1(SALU_CYCLE_2)
	s_mul_f32 s14, s14, 0x5f7ffffc
	s_wait_alu 0xfffe
	s_mul_f32 s15, s14, 0x2f800000
	s_wait_alu 0xfffe
	s_delay_alu instid0(SALU_CYCLE_2) | instskip(SKIP_1) | instid1(SALU_CYCLE_2)
	s_trunc_f32 s15, s15
	s_wait_alu 0xfffe
	s_fmamk_f32 s14, s15, 0xcf800000, s14
	s_cvt_u32_f32 s15, s15
	s_wait_alu 0xfffe
	s_delay_alu instid0(SALU_CYCLE_1) | instskip(SKIP_1) | instid1(SALU_CYCLE_2)
	s_cvt_u32_f32 s14, s14
	s_wait_alu 0xfffe
	s_mul_u64 s[72:73], s[70:71], s[14:15]
	s_wait_alu 0xfffe
	s_mul_hi_u32 s75, s14, s73
	s_mul_i32 s74, s14, s73
	s_mul_hi_u32 s52, s14, s72
	s_mul_i32 s76, s15, s72
	s_wait_alu 0xfffe
	s_add_nc_u64 s[74:75], s[52:53], s[74:75]
	s_mul_hi_u32 s25, s15, s72
	s_mul_hi_u32 s77, s15, s73
	s_wait_alu 0xfffe
	s_add_co_u32 s52, s74, s76
	s_add_co_ci_u32 s52, s75, s25
	s_mul_i32 s72, s15, s73
	s_add_co_ci_u32 s73, s77, 0
	s_wait_alu 0xfffe
	s_add_nc_u64 s[72:73], s[52:53], s[72:73]
	s_wait_alu 0xfffe
	s_add_co_u32 s14, s14, s72
	s_cselect_b32 s25, -1, 0
	s_wait_alu 0xfffe
	s_cmp_lg_u32 s25, 0
	s_add_co_ci_u32 s15, s15, s73
	s_wait_alu 0xfffe
	s_mul_u64 s[70:71], s[70:71], s[14:15]
	s_wait_alu 0xfffe
	s_mul_hi_u32 s73, s14, s71
	s_mul_i32 s72, s14, s71
	s_mul_hi_u32 s52, s14, s70
	s_mul_i32 s74, s15, s70
	s_wait_alu 0xfffe
	s_add_nc_u64 s[72:73], s[52:53], s[72:73]
	s_mul_hi_u32 s25, s15, s70
	s_mul_hi_u32 s75, s15, s71
	s_wait_alu 0xfffe
	s_add_co_u32 s52, s72, s74
	s_add_co_ci_u32 s52, s73, s25
	s_mul_i32 s70, s15, s71
	s_add_co_ci_u32 s71, s75, 0
	s_wait_alu 0xfffe
	s_add_nc_u64 s[70:71], s[52:53], s[70:71]
	s_wait_alu 0xfffe
	s_add_co_u32 s25, s14, s70
	s_cselect_b32 s14, -1, 0
	s_wait_alu 0xfffe
	s_cmp_lg_u32 s14, 0
	s_add_co_ci_u32 s74, s15, s71
	s_ashr_i32 s14, s63, 31
	s_wait_alu 0xfffe
	s_mov_b32 s15, s14
	s_wait_alu 0xfffe
	s_add_nc_u64 s[70:71], s[62:63], s[14:15]
	s_wait_alu 0xfffe
	s_xor_b64 s[70:71], s[70:71], s[14:15]
	s_wait_alu 0xfffe
	s_mul_hi_u32 s73, s70, s74
	s_mul_i32 s72, s70, s74
	s_mul_hi_u32 s52, s70, s25
	s_mul_hi_u32 s76, s71, s25
	s_mul_i32 s25, s71, s25
	s_wait_alu 0xfffe
	s_add_nc_u64 s[72:73], s[52:53], s[72:73]
	s_mul_hi_u32 s75, s71, s74
	s_wait_alu 0xfffe
	s_add_co_u32 s25, s72, s25
	s_add_co_ci_u32 s52, s73, s76
	s_mul_i32 s74, s71, s74
	s_add_co_ci_u32 s75, s75, 0
	s_wait_alu 0xfffe
	s_add_nc_u64 s[72:73], s[52:53], s[74:75]
	s_wait_alu 0xfffe
	s_mul_u64 s[72:73], s[6:7], s[72:73]
	s_wait_alu 0xfffe
	s_sub_co_u32 s25, s70, s72
	s_cselect_b32 s52, -1, 0
	s_sub_co_i32 s70, s71, s73
	s_wait_alu 0xfffe
	s_cmp_lg_u32 s52, 0
	s_sub_co_ci_u32 s70, s70, s7
	s_sub_co_u32 s72, s25, s6
	s_cselect_b32 s74, -1, 0
	s_wait_alu 0xfffe
	s_cmp_lg_u32 s74, 0
	s_sub_co_ci_u32 s75, s70, 0
	s_wait_alu 0xfffe
	s_cmp_ge_u32 s75, s7
	s_cselect_b32 s76, -1, 0
	s_cmp_ge_u32 s72, s6
	s_cselect_b32 s77, -1, 0
	s_cmp_eq_u32 s75, s7
	s_wait_alu 0xfffe
	s_cselect_b32 s76, s77, s76
	s_cmp_lg_u32 s74, 0
	s_sub_co_ci_u32 s70, s70, s7
	s_sub_co_u32 s74, s72, s6
	s_cselect_b32 s77, -1, 0
	s_wait_alu 0xfffe
	s_cmp_lg_u32 s77, 0
	s_sub_co_ci_u32 s70, s70, 0
	s_cmp_lg_u32 s76, 0
	s_cselect_b32 s72, s74, s72
	s_wait_alu 0xfffe
	s_cselect_b32 s70, s70, s75
	s_cmp_lg_u32 s52, 0
	s_sub_co_ci_u32 s52, s71, s73
	s_wait_alu 0xfffe
	s_cmp_ge_u32 s52, s7
	s_cselect_b32 s71, -1, 0
	s_cmp_ge_u32 s25, s6
	s_cselect_b32 s6, -1, 0
	s_cmp_eq_u32 s52, s7
	s_wait_alu 0xfffe
	s_cselect_b32 s6, s6, s71
	s_wait_alu 0xfffe
	s_cmp_lg_u32 s6, 0
	s_cselect_b32 s7, s70, s52
	s_cselect_b32 s6, s72, s25
	s_wait_alu 0xfffe
	s_xor_b64 s[6:7], s[6:7], s[14:15]
	s_wait_alu 0xfffe
	s_sub_nc_u64 s[6:7], s[6:7], s[14:15]
	s_cbranch_execnz .LBB63_157
.LBB63_156:                             ;   in Loop: Header=BB63_32 Depth=1
	v_cvt_f32_u32_e32 v4, s50
	s_sub_co_i32 s7, 0, s50
	s_delay_alu instid0(VALU_DEP_1) | instskip(NEXT) | instid1(TRANS32_DEP_1)
	v_rcp_iflag_f32_e32 v4, v4
	v_mul_f32_e32 v4, 0x4f7ffffe, v4
	s_delay_alu instid0(VALU_DEP_1) | instskip(NEXT) | instid1(VALU_DEP_1)
	v_cvt_u32_f32_e32 v4, v4
	v_readfirstlane_b32 s6, v4
	s_wait_alu 0xfffe
	s_mul_i32 s7, s7, s6
	s_wait_alu 0xfffe
	s_mul_hi_u32 s7, s6, s7
	s_wait_alu 0xfffe
	s_add_co_i32 s6, s6, s7
	s_wait_alu 0xfffe
	s_mul_hi_u32 s6, s62, s6
	s_wait_alu 0xfffe
	s_mul_i32 s6, s6, s50
	s_wait_alu 0xfffe
	s_sub_co_i32 s6, s62, s6
	s_wait_alu 0xfffe
	s_sub_co_i32 s7, s6, s50
	s_cmp_ge_u32 s6, s50
	s_wait_alu 0xfffe
	s_cselect_b32 s6, s7, s6
	s_wait_alu 0xfffe
	s_sub_co_i32 s7, s6, s50
	s_cmp_ge_u32 s6, s50
	s_wait_alu 0xfffe
	s_cselect_b32 s52, s7, s6
	s_wait_alu 0xfffe
	s_mov_b64 s[6:7], s[52:53]
.LBB63_157:                             ;   in Loop: Header=BB63_32 Depth=1
	s_wait_alu 0xfffe
	s_sub_nc_u64 s[14:15], s[62:63], s[6:7]
	s_mov_b32 s7, 0
	s_mov_b32 s25, 0
	s_mov_b32 s52, exec_lo
                                        ; implicit-def: $vgpr54
	s_wait_alu 0xfffe
	v_cmpx_gt_i64_e64 s[14:15], v[0:1]
	s_cbranch_execz .LBB63_169
; %bb.158:                              ;   in Loop: Header=BB63_32 Depth=1
	v_dual_mov_b32 v4, v12 :: v_dual_mov_b32 v5, v13
	v_dual_mov_b32 v11, v1 :: v_dual_mov_b32 v10, v0
                                        ; implicit-def: $sgpr70
	s_branch .LBB63_162
.LBB63_159:                             ;   in Loop: Header=BB63_162 Depth=2
	s_wait_alu 0xfffe
	s_or_b32 exec_lo, exec_lo, s6
	s_wait_loadcnt_dscnt 0x0
	s_barrier_signal -1
	s_barrier_wait -1
	global_inv scope:SCOPE_SE
	ds_load_b32 v29, v3 offset:3072
	s_wait_loadcnt_dscnt 0x0
	s_barrier_signal -1
	s_barrier_wait -1
	global_inv scope:SCOPE_SE
	v_cmp_neq_f16_e32 vcc_lo, 0, v29
	s_cbranch_vccnz .LBB63_165
; %bb.160:                              ;   in Loop: Header=BB63_162 Depth=2
	v_add_co_u32 v10, vcc_lo, v10, s50
	s_wait_alu 0xfffd
	v_add_co_ci_u32_e64 v11, null, 0, v11, vcc_lo
	v_add_co_u32 v4, s6, v4, s54
	s_wait_alu 0xf1ff
	v_add_co_ci_u32_e64 v5, null, s55, v5, s6
	s_delay_alu instid0(VALU_DEP_3)
	v_cmp_le_i64_e32 vcc_lo, s[14:15], v[10:11]
	s_mov_b32 s6, 0
	s_or_not1_b32 s71, vcc_lo, exec_lo
.LBB63_161:                             ;   in Loop: Header=BB63_162 Depth=2
	s_wait_alu 0xfffe
	s_and_b32 s71, exec_lo, s71
	s_wait_alu 0xfffe
	s_or_b32 s25, s71, s25
	s_and_not1_b32 s70, s70, exec_lo
	s_and_b32 s6, s6, exec_lo
	s_wait_alu 0xfffe
	s_or_b32 s70, s70, s6
	s_and_not1_b32 exec_lo, exec_lo, s25
	s_cbranch_execz .LBB63_168
.LBB63_162:                             ;   Parent Loop BB63_32 Depth=1
                                        ; =>  This Inner Loop Header: Depth=2
	s_mov_b32 s6, exec_lo
	s_delay_alu instid0(VALU_DEP_1)
	v_cmpx_gt_i64_e64 s[36:37], v[10:11]
	s_cbranch_execz .LBB63_159
; %bb.163:                              ;   in Loop: Header=BB63_162 Depth=2
	global_load_u16 v29, v[4:5], off
	s_wait_loadcnt 0x0
	v_cmp_lt_i16_e32 vcc_lo, -1, v29
	s_wait_alu 0xfffd
	v_dual_cndmask_b32 v31, 0xffff, v52 :: v_dual_and_b32 v30, 0xffff, v29
	v_cmp_o_f16_e32 vcc_lo, v29, v29
	s_delay_alu instid0(VALU_DEP_2) | instskip(SKIP_1) | instid1(VALU_DEP_1)
	v_xor_b32_e32 v30, v31, v30
	s_wait_alu 0xfffd
	v_cndmask_b32_e32 v30, 0xffff, v30, vcc_lo
	s_delay_alu instid0(VALU_DEP_1) | instskip(NEXT) | instid1(VALU_DEP_1)
	v_and_b32_e32 v30, v30, v53
	v_cmp_eq_u32_e32 vcc_lo, v30, v47
	s_and_b32 exec_lo, exec_lo, vcc_lo
	s_cbranch_execz .LBB63_159
; %bb.164:                              ;   in Loop: Header=BB63_162 Depth=2
	v_perm_b32 v29, v29, s95, 0x5040100
	ds_store_b32 v3, v29 offset:3072
	s_branch .LBB63_159
.LBB63_165:                             ;   in Loop: Header=BB63_162 Depth=2
	s_mov_b32 s71, -1
	s_mov_b32 s6, -1
                                        ; implicit-def: $vgpr10_vgpr11
                                        ; implicit-def: $vgpr4_vgpr5
	s_branch .LBB63_161
.LBB63_166:                             ;   in Loop: Header=BB63_32 Depth=1
                                        ; implicit-def: $sgpr6_sgpr7
	s_branch .LBB63_111
.LBB63_167:                             ;   in Loop: Header=BB63_32 Depth=1
                                        ; implicit-def: $sgpr14_sgpr15
	s_branch .LBB63_126
.LBB63_168:                             ;   in Loop: Header=BB63_32 Depth=1
	s_or_b32 exec_lo, exec_lo, s25
	v_lshrrev_b32_e32 v54, 16, v29
	s_wait_alu 0xfffe
	s_and_b32 s25, s70, exec_lo
.LBB63_169:                             ;   in Loop: Header=BB63_32 Depth=1
	s_or_b32 exec_lo, exec_lo, s52
.LBB63_170:                             ;   in Loop: Header=BB63_32 Depth=1
	s_delay_alu instid0(SALU_CYCLE_1)
	s_and_b32 vcc_lo, exec_lo, s7
	s_wait_alu 0xfffe
	s_cbranch_vccz .LBB63_185
; %bb.171:                              ;   in Loop: Header=BB63_32 Depth=1
	s_add_nc_u64 s[6:7], s[12:13], s[60:61]
	s_mov_b32 s14, s53
	s_wait_alu 0xfffe
	s_mov_b32 s15, s7
	s_wait_alu 0xfffe
	s_cmp_lg_u64 s[14:15], 0
	s_cbranch_scc0 .LBB63_215
; %bb.172:                              ;   in Loop: Header=BB63_32 Depth=1
	s_add_nc_u64 s[14:15], s[50:51], 0
	s_wait_alu 0xfffe
	s_xor_b64 s[14:15], s[14:15], 0
	s_wait_alu 0xfffe
	s_cvt_f32_u32 s21, s14
	s_cvt_f32_u32 s22, s15
	s_sub_nc_u64 s[72:73], 0, s[14:15]
	s_wait_alu 0xfffe
	s_delay_alu instid0(SALU_CYCLE_1) | instskip(SKIP_1) | instid1(SALU_CYCLE_2)
	s_fmamk_f32 s21, s22, 0x4f800000, s21
	s_wait_alu 0xfffe
	v_s_rcp_f32 s21, s21
	s_delay_alu instid0(TRANS32_DEP_1) | instskip(SKIP_1) | instid1(SALU_CYCLE_2)
	s_mul_f32 s21, s21, 0x5f7ffffc
	s_wait_alu 0xfffe
	s_mul_f32 s22, s21, 0x2f800000
	s_wait_alu 0xfffe
	s_delay_alu instid0(SALU_CYCLE_2) | instskip(SKIP_1) | instid1(SALU_CYCLE_2)
	s_trunc_f32 s22, s22
	s_wait_alu 0xfffe
	s_fmamk_f32 s21, s22, 0xcf800000, s21
	s_cvt_u32_f32 s71, s22
	s_wait_alu 0xfffe
	s_delay_alu instid0(SALU_CYCLE_1) | instskip(SKIP_1) | instid1(SALU_CYCLE_2)
	s_cvt_u32_f32 s70, s21
	s_wait_alu 0xfffe
	s_mul_u64 s[74:75], s[72:73], s[70:71]
	s_wait_alu 0xfffe
	s_mul_hi_u32 s77, s70, s75
	s_mul_i32 s76, s70, s75
	s_mul_hi_u32 s52, s70, s74
	s_mul_i32 s22, s71, s74
	s_wait_alu 0xfffe
	s_add_nc_u64 s[76:77], s[52:53], s[76:77]
	s_mul_hi_u32 s21, s71, s74
	s_mul_hi_u32 s78, s71, s75
	s_wait_alu 0xfffe
	s_add_co_u32 s22, s76, s22
	s_add_co_ci_u32 s52, s77, s21
	s_mul_i32 s74, s71, s75
	s_add_co_ci_u32 s75, s78, 0
	s_wait_alu 0xfffe
	s_add_nc_u64 s[74:75], s[52:53], s[74:75]
	s_wait_alu 0xfffe
	s_add_co_u32 s70, s70, s74
	s_cselect_b32 s21, -1, 0
	s_wait_alu 0xfffe
	s_cmp_lg_u32 s21, 0
	s_add_co_ci_u32 s71, s71, s75
	s_wait_alu 0xfffe
	s_mul_u64 s[72:73], s[72:73], s[70:71]
	s_wait_alu 0xfffe
	s_mul_hi_u32 s75, s70, s73
	s_mul_i32 s74, s70, s73
	s_mul_hi_u32 s52, s70, s72
	s_mul_i32 s22, s71, s72
	s_wait_alu 0xfffe
	s_add_nc_u64 s[74:75], s[52:53], s[74:75]
	s_mul_hi_u32 s21, s71, s72
	s_mul_hi_u32 s76, s71, s73
	s_wait_alu 0xfffe
	s_add_co_u32 s22, s74, s22
	s_add_co_ci_u32 s52, s75, s21
	s_mul_i32 s72, s71, s73
	s_add_co_ci_u32 s73, s76, 0
	s_wait_alu 0xfffe
	s_add_nc_u64 s[72:73], s[52:53], s[72:73]
	s_wait_alu 0xfffe
	s_add_co_u32 s21, s70, s72
	s_cselect_b32 s22, -1, 0
	s_wait_alu 0xfffe
	s_cmp_lg_u32 s22, 0
	s_add_co_ci_u32 s22, s71, s73
	s_ashr_i32 s70, s7, 31
	s_wait_alu 0xfffe
	s_mov_b32 s71, s70
	s_wait_alu 0xfffe
	s_add_nc_u64 s[72:73], s[6:7], s[70:71]
	s_wait_alu 0xfffe
	s_xor_b64 s[72:73], s[72:73], s[70:71]
	s_wait_alu 0xfffe
	s_mul_hi_u32 s75, s72, s22
	s_mul_i32 s74, s72, s22
	s_mul_hi_u32 s52, s72, s21
	s_mul_hi_u32 s78, s73, s21
	s_mul_i32 s21, s73, s21
	s_wait_alu 0xfffe
	s_add_nc_u64 s[74:75], s[52:53], s[74:75]
	s_mul_hi_u32 s77, s73, s22
	s_wait_alu 0xfffe
	s_add_co_u32 s21, s74, s21
	s_add_co_ci_u32 s52, s75, s78
	s_mul_i32 s76, s73, s22
	s_add_co_ci_u32 s77, s77, 0
	s_wait_alu 0xfffe
	s_add_nc_u64 s[74:75], s[52:53], s[76:77]
	s_wait_alu 0xfffe
	s_mul_u64 s[74:75], s[14:15], s[74:75]
	s_wait_alu 0xfffe
	s_sub_co_u32 s21, s72, s74
	s_cselect_b32 s22, -1, 0
	s_sub_co_i32 s52, s73, s75
	s_wait_alu 0xfffe
	s_cmp_lg_u32 s22, 0
	s_sub_co_ci_u32 s52, s52, s15
	s_sub_co_u32 s72, s21, s14
	s_cselect_b32 s74, -1, 0
	s_wait_alu 0xfffe
	s_cmp_lg_u32 s74, 0
	s_sub_co_ci_u32 s76, s52, 0
	s_wait_alu 0xfffe
	s_cmp_ge_u32 s76, s15
	s_cselect_b32 s77, -1, 0
	s_cmp_ge_u32 s72, s14
	s_cselect_b32 s78, -1, 0
	s_cmp_eq_u32 s76, s15
	s_wait_alu 0xfffe
	s_cselect_b32 s77, s78, s77
	s_cmp_lg_u32 s74, 0
	s_sub_co_ci_u32 s52, s52, s15
	s_sub_co_u32 s74, s72, s14
	s_cselect_b32 s78, -1, 0
	s_wait_alu 0xfffe
	s_cmp_lg_u32 s78, 0
	s_sub_co_ci_u32 s52, s52, 0
	s_cmp_lg_u32 s77, 0
	s_cselect_b32 s72, s74, s72
	s_wait_alu 0xfffe
	s_cselect_b32 s52, s52, s76
	s_cmp_lg_u32 s22, 0
	s_sub_co_ci_u32 s22, s73, s75
	s_wait_alu 0xfffe
	s_cmp_ge_u32 s22, s15
	s_cselect_b32 s73, -1, 0
	s_cmp_ge_u32 s21, s14
	s_cselect_b32 s14, -1, 0
	s_cmp_eq_u32 s22, s15
	s_wait_alu 0xfffe
	s_cselect_b32 s14, s14, s73
	s_wait_alu 0xfffe
	s_cmp_lg_u32 s14, 0
	s_cselect_b32 s15, s52, s22
	s_cselect_b32 s14, s72, s21
	s_wait_alu 0xfffe
	s_xor_b64 s[14:15], s[14:15], s[70:71]
	s_wait_alu 0xfffe
	s_sub_nc_u64 s[14:15], s[14:15], s[70:71]
	s_cbranch_execnz .LBB63_174
.LBB63_173:                             ;   in Loop: Header=BB63_32 Depth=1
	v_cvt_f32_u32_e32 v4, s50
	s_sub_co_i32 s15, 0, s50
	s_delay_alu instid0(VALU_DEP_1) | instskip(NEXT) | instid1(TRANS32_DEP_1)
	v_rcp_iflag_f32_e32 v4, v4
	v_mul_f32_e32 v4, 0x4f7ffffe, v4
	s_delay_alu instid0(VALU_DEP_1) | instskip(NEXT) | instid1(VALU_DEP_1)
	v_cvt_u32_f32_e32 v4, v4
	v_readfirstlane_b32 s14, v4
	s_wait_alu 0xfffe
	s_mul_i32 s15, s15, s14
	s_wait_alu 0xfffe
	s_mul_hi_u32 s15, s14, s15
	s_wait_alu 0xfffe
	s_add_co_i32 s14, s14, s15
	s_wait_alu 0xfffe
	s_mul_hi_u32 s14, s6, s14
	s_wait_alu 0xfffe
	s_mul_i32 s14, s14, s50
	s_wait_alu 0xfffe
	s_sub_co_i32 s14, s6, s14
	s_wait_alu 0xfffe
	s_sub_co_i32 s15, s14, s50
	s_cmp_ge_u32 s14, s50
	s_wait_alu 0xfffe
	s_cselect_b32 s14, s15, s14
	s_wait_alu 0xfffe
	s_sub_co_i32 s15, s14, s50
	s_cmp_ge_u32 s14, s50
	s_wait_alu 0xfffe
	s_cselect_b32 s52, s15, s14
	s_wait_alu 0xfffe
	s_mov_b64 s[14:15], s[52:53]
.LBB63_174:                             ;   in Loop: Header=BB63_32 Depth=1
	s_wait_alu 0xfffe
	s_sub_nc_u64 s[6:7], s[6:7], s[14:15]
	s_mov_b32 s14, exec_lo
                                        ; implicit-def: $vgpr54
	s_wait_alu 0xfffe
	v_cmpx_gt_i64_e64 s[6:7], v[0:1]
	s_cbranch_execz .LBB63_184
; %bb.175:                              ;   in Loop: Header=BB63_32 Depth=1
	v_dual_mov_b32 v10, v42 :: v_dual_mov_b32 v5, v1
	v_mov_b32_e32 v4, v0
	s_mov_b32 s15, 0
                                        ; implicit-def: $sgpr21
	s_branch .LBB63_179
.LBB63_176:                             ;   in Loop: Header=BB63_179 Depth=2
	s_wait_alu 0xfffe
	s_or_b32 exec_lo, exec_lo, s22
	s_wait_loadcnt_dscnt 0x0
	s_barrier_signal -1
	s_barrier_wait -1
	global_inv scope:SCOPE_SE
	ds_load_b32 v11, v3 offset:3072
	s_wait_loadcnt_dscnt 0x0
	s_barrier_signal -1
	s_barrier_wait -1
	global_inv scope:SCOPE_SE
	v_cmp_eq_f16_e32 vcc_lo, 0, v11
	s_cbranch_vccz .LBB63_182
; %bb.177:                              ;   in Loop: Header=BB63_179 Depth=2
	v_add_co_u32 v4, vcc_lo, v4, s50
	s_wait_alu 0xfffd
	v_add_co_ci_u32_e64 v5, null, 0, v5, vcc_lo
	v_add_nc_u32_e32 v10, s94, v10
	s_mov_b32 s22, 0
	s_delay_alu instid0(VALU_DEP_2)
	v_cmp_le_i64_e32 vcc_lo, s[6:7], v[4:5]
	s_or_not1_b32 s52, vcc_lo, exec_lo
.LBB63_178:                             ;   in Loop: Header=BB63_179 Depth=2
	s_wait_alu 0xfffe
	s_and_b32 s52, exec_lo, s52
	s_wait_alu 0xfffe
	s_or_b32 s15, s52, s15
	s_and_not1_b32 s21, s21, exec_lo
	s_and_b32 s22, s22, exec_lo
	s_wait_alu 0xfffe
	s_or_b32 s21, s21, s22
	s_and_not1_b32 exec_lo, exec_lo, s15
	s_cbranch_execz .LBB63_183
.LBB63_179:                             ;   Parent Loop BB63_32 Depth=1
                                        ; =>  This Inner Loop Header: Depth=2
	s_mov_b32 s22, exec_lo
	s_delay_alu instid0(VALU_DEP_1)
	v_cmpx_gt_u64_e64 s[12:13], v[4:5]
	s_cbranch_execz .LBB63_176
; %bb.180:                              ;   in Loop: Header=BB63_179 Depth=2
	ds_load_u16 v11, v10
	s_wait_dscnt 0x0
	v_cmp_lt_i16_e32 vcc_lo, -1, v11
	s_wait_alu 0xfffd
	v_dual_cndmask_b32 v30, 0xffff, v52 :: v_dual_and_b32 v29, 0xffff, v11
	v_cmp_o_f16_e32 vcc_lo, v11, v11
	s_delay_alu instid0(VALU_DEP_2) | instskip(SKIP_1) | instid1(VALU_DEP_1)
	v_xor_b32_e32 v29, v30, v29
	s_wait_alu 0xfffd
	v_cndmask_b32_e32 v29, 0xffff, v29, vcc_lo
	s_delay_alu instid0(VALU_DEP_1) | instskip(NEXT) | instid1(VALU_DEP_1)
	v_and_b32_e32 v29, v29, v53
	v_cmp_eq_u32_e32 vcc_lo, v29, v47
	s_and_b32 exec_lo, exec_lo, vcc_lo
	s_cbranch_execz .LBB63_176
; %bb.181:                              ;   in Loop: Header=BB63_179 Depth=2
	v_perm_b32 v11, v11, s95, 0x5040100
	ds_store_b32 v3, v11 offset:3072
	s_branch .LBB63_176
.LBB63_182:                             ;   in Loop: Header=BB63_179 Depth=2
	s_mov_b32 s52, -1
	s_mov_b32 s22, -1
                                        ; implicit-def: $vgpr4_vgpr5
                                        ; implicit-def: $vgpr10
	s_branch .LBB63_178
.LBB63_183:                             ;   in Loop: Header=BB63_32 Depth=1
	s_or_b32 exec_lo, exec_lo, s15
	v_lshrrev_b32_e32 v54, 16, v11
	s_and_not1_b32 s6, s25, exec_lo
	s_wait_alu 0xfffe
	s_and_b32 s7, s21, exec_lo
	s_wait_alu 0xfffe
	s_or_b32 s25, s6, s7
.LBB63_184:                             ;   in Loop: Header=BB63_32 Depth=1
	s_or_b32 exec_lo, exec_lo, s14
	s_mov_b32 s21, 0
	s_mov_b32 s22, -1
.LBB63_185:                             ;   in Loop: Header=BB63_32 Depth=1
	s_wait_alu 0xfffe
	s_or_not1_b32 s6, s25, exec_lo
.LBB63_186:                             ;   in Loop: Header=BB63_32 Depth=1
	s_wait_alu 0xfffe
	s_or_b32 exec_lo, exec_lo, s23
	s_mov_b32 s7, 0
	s_and_saveexec_b32 s23, s6
	s_cbranch_execz .LBB63_296
; %bb.187:                              ;   in Loop: Header=BB63_32 Depth=1
	v_mov_b32_e32 v4, 1
	v_dual_mov_b32 v5, 0 :: v_dual_mov_b32 v2, 1
	s_xor_b32 s12, s24, -1
	s_wait_alu 0xfffe
	s_and_saveexec_b32 s6, s12
	s_cbranch_execz .LBB63_197
; %bb.188:                              ;   in Loop: Header=BB63_32 Depth=1
	s_mov_b32 s7, exec_lo
	v_cmpx_le_i64_e64 v[8:9], v[6:7]
	s_wait_alu 0xfffe
	s_xor_b32 s7, exec_lo, s7
	s_cbranch_execz .LBB63_194
; %bb.189:                              ;   in Loop: Header=BB63_32 Depth=1
	ds_load_b64 v[4:5], v3 offset:5120
	s_lshl_b32 s12, 1, s96
	v_or_b32_e32 v53, s16, v53
	s_wait_alu 0xfffe
	v_and_or_b32 v47, v47, s20, s12
	s_wait_dscnt 0x0
	v_cmp_ne_u64_e32 vcc_lo, 0, v[4:5]
	s_cbranch_vccnz .LBB63_193
; %bb.190:                              ;   in Loop: Header=BB63_32 Depth=1
	s_and_saveexec_b32 s12, s2
; %bb.191:                              ;   in Loop: Header=BB63_32 Depth=1
	ds_store_b64 v3, v[6:7] offset:5128
; %bb.192:                              ;   in Loop: Header=BB63_32 Depth=1
	s_wait_alu 0xfffe
	s_or_b32 exec_lo, exec_lo, s12
	s_wait_loadcnt_dscnt 0x0
	s_barrier_signal -1
	s_barrier_wait -1
	global_inv scope:SCOPE_SE
.LBB63_193:                             ;   in Loop: Header=BB63_32 Depth=1
                                        ; implicit-def: $vgpr4_vgpr5_vgpr6_vgpr7
.LBB63_194:                             ;   in Loop: Header=BB63_32 Depth=1
	s_wait_alu 0xfffe
	s_or_saveexec_b32 s7, s7
	v_mov_b32_e32 v2, 8
	s_mov_b32 s12, 0
	s_wait_alu 0xfffe
	s_xor_b32 exec_lo, exec_lo, s7
; %bb.195:                              ;   in Loop: Header=BB63_32 Depth=1
	v_sub_co_u32 v8, vcc_lo, v8, v6
	s_wait_alu 0xfffd
	v_sub_co_ci_u32_e64 v9, null, v9, v7, vcc_lo
	v_mov_b32_e32 v2, 0
	s_mov_b32 s12, exec_lo
; %bb.196:                              ;   in Loop: Header=BB63_32 Depth=1
	s_or_b32 exec_lo, exec_lo, s7
	s_delay_alu instid0(VALU_DEP_2)
	v_dual_mov_b32 v4, v8 :: v_dual_mov_b32 v5, v9
	s_wait_alu 0xfffe
	s_and_b32 s7, s12, exec_lo
.LBB63_197:                             ;   in Loop: Header=BB63_32 Depth=1
	s_wait_alu 0xfffe
	s_or_b32 exec_lo, exec_lo, s6
	s_mov_b32 s6, -1
                                        ; implicit-def: $sgpr25
                                        ; implicit-def: $sgpr70
	s_and_saveexec_b32 s24, s7
	s_cbranch_execz .LBB63_295
; %bb.198:                              ;   in Loop: Header=BB63_32 Depth=1
	v_cmp_eq_u64_e32 vcc_lo, 1, v[4:5]
	s_cmp_eq_u64 s[10:11], 1
                                        ; implicit-def: $sgpr70
                                        ; implicit-def: $sgpr25
	s_cselect_b32 s6, -1, 0
	s_wait_alu 0xfffe
	s_and_b32 s71, s6, vcc_lo
	s_mov_b32 s6, -1
	s_wait_alu 0xfffe
	s_and_saveexec_b32 s72, s71
	s_cbranch_execz .LBB63_234
; %bb.199:                              ;   in Loop: Header=BB63_32 Depth=1
	ds_load_b64 v[6:7], v3 offset:5120
	s_wait_loadcnt_dscnt 0x0
	s_barrier_signal -1
	s_barrier_wait -1
	global_inv scope:SCOPE_SE
	v_readfirstlane_b32 s12, v6
	v_readfirstlane_b32 s13, v7
	s_and_saveexec_b32 s6, s3
; %bb.200:                              ;   in Loop: Header=BB63_32 Depth=1
	ds_store_b16 v43, v3
; %bb.201:                              ;   in Loop: Header=BB63_32 Depth=1
	s_wait_alu 0xfffe
	s_or_b32 exec_lo, exec_lo, s6
	s_lshl_b32 s6, 2, s96
	v_or_b32_e32 v53, s16, v53
	s_wait_alu 0xfffe
	v_and_or_b32 v47, v47, s20, s6
	v_cmp_gt_i64_e64 s6, s[12:13], 0
	s_mov_b32 s25, -1
	s_mov_b32 s70, 0
	s_mov_b32 s73, 0
	s_mov_b32 s7, -1
	s_wait_loadcnt_dscnt 0x0
	s_and_b32 vcc_lo, exec_lo, s6
	s_barrier_signal -1
	s_barrier_wait -1
	global_inv scope:SCOPE_SE
                                        ; implicit-def: $vgpr54
	s_wait_alu 0xfffe
	s_cbranch_vccnz .LBB63_218
; %bb.202:                              ;   in Loop: Header=BB63_32 Depth=1
	s_mov_b32 s6, s53
	s_mov_b32 s7, s63
	s_wait_alu 0xfffe
	s_cmp_lg_u64 s[6:7], 0
	s_cbranch_scc0 .LBB63_261
; %bb.203:                              ;   in Loop: Header=BB63_32 Depth=1
	s_add_nc_u64 s[6:7], s[50:51], 0
	s_wait_alu 0xfffe
	s_xor_b64 s[6:7], s[6:7], 0
	s_wait_alu 0xfffe
	s_cvt_f32_u32 s14, s6
	s_cvt_f32_u32 s15, s7
	s_sub_nc_u64 s[74:75], 0, s[6:7]
	s_wait_alu 0xfffe
	s_delay_alu instid0(SALU_CYCLE_1) | instskip(SKIP_1) | instid1(SALU_CYCLE_2)
	s_fmamk_f32 s14, s15, 0x4f800000, s14
	s_wait_alu 0xfffe
	v_s_rcp_f32 s14, s14
	s_delay_alu instid0(TRANS32_DEP_1) | instskip(SKIP_1) | instid1(SALU_CYCLE_2)
	s_mul_f32 s14, s14, 0x5f7ffffc
	s_wait_alu 0xfffe
	s_mul_f32 s15, s14, 0x2f800000
	s_wait_alu 0xfffe
	s_delay_alu instid0(SALU_CYCLE_2) | instskip(SKIP_1) | instid1(SALU_CYCLE_2)
	s_trunc_f32 s15, s15
	s_wait_alu 0xfffe
	s_fmamk_f32 s14, s15, 0xcf800000, s14
	s_cvt_u32_f32 s15, s15
	s_wait_alu 0xfffe
	s_delay_alu instid0(SALU_CYCLE_1) | instskip(SKIP_1) | instid1(SALU_CYCLE_2)
	s_cvt_u32_f32 s14, s14
	s_wait_alu 0xfffe
	s_mul_u64 s[76:77], s[74:75], s[14:15]
	s_wait_alu 0xfffe
	s_mul_hi_u32 s79, s14, s77
	s_mul_i32 s78, s14, s77
	s_mul_hi_u32 s52, s14, s76
	s_mul_i32 s80, s15, s76
	s_wait_alu 0xfffe
	s_add_nc_u64 s[78:79], s[52:53], s[78:79]
	s_mul_hi_u32 s73, s15, s76
	s_mul_hi_u32 s81, s15, s77
	s_wait_alu 0xfffe
	s_add_co_u32 s52, s78, s80
	s_add_co_ci_u32 s52, s79, s73
	s_mul_i32 s76, s15, s77
	s_add_co_ci_u32 s77, s81, 0
	s_wait_alu 0xfffe
	s_add_nc_u64 s[76:77], s[52:53], s[76:77]
	s_wait_alu 0xfffe
	s_add_co_u32 s14, s14, s76
	s_cselect_b32 s52, -1, 0
	s_wait_alu 0xfffe
	s_cmp_lg_u32 s52, 0
	s_add_co_ci_u32 s15, s15, s77
	s_wait_alu 0xfffe
	s_mul_u64 s[74:75], s[74:75], s[14:15]
	s_wait_alu 0xfffe
	s_mul_hi_u32 s77, s14, s75
	s_mul_i32 s76, s14, s75
	s_mul_hi_u32 s52, s14, s74
	s_mul_i32 s78, s15, s74
	s_wait_alu 0xfffe
	s_add_nc_u64 s[76:77], s[52:53], s[76:77]
	s_mul_hi_u32 s73, s15, s74
	s_mul_hi_u32 s79, s15, s75
	s_wait_alu 0xfffe
	s_add_co_u32 s52, s76, s78
	s_add_co_ci_u32 s52, s77, s73
	s_mul_i32 s74, s15, s75
	s_add_co_ci_u32 s75, s79, 0
	s_wait_alu 0xfffe
	s_add_nc_u64 s[74:75], s[52:53], s[74:75]
	s_wait_alu 0xfffe
	s_add_co_u32 s73, s14, s74
	s_cselect_b32 s14, -1, 0
	s_wait_alu 0xfffe
	s_cmp_lg_u32 s14, 0
	s_add_co_ci_u32 s78, s15, s75
	s_ashr_i32 s14, s63, 31
	s_wait_alu 0xfffe
	s_mov_b32 s15, s14
	s_wait_alu 0xfffe
	s_add_nc_u64 s[74:75], s[62:63], s[14:15]
	s_wait_alu 0xfffe
	s_xor_b64 s[74:75], s[74:75], s[14:15]
	s_wait_alu 0xfffe
	s_mul_hi_u32 s77, s74, s78
	s_mul_i32 s76, s74, s78
	s_mul_hi_u32 s52, s74, s73
	s_mul_hi_u32 s80, s75, s73
	s_mul_i32 s73, s75, s73
	s_wait_alu 0xfffe
	s_add_nc_u64 s[76:77], s[52:53], s[76:77]
	s_mul_hi_u32 s79, s75, s78
	s_wait_alu 0xfffe
	s_add_co_u32 s52, s76, s73
	s_add_co_ci_u32 s52, s77, s80
	s_mul_i32 s78, s75, s78
	s_add_co_ci_u32 s79, s79, 0
	s_wait_alu 0xfffe
	s_add_nc_u64 s[76:77], s[52:53], s[78:79]
	s_wait_alu 0xfffe
	s_mul_u64 s[76:77], s[6:7], s[76:77]
	s_wait_alu 0xfffe
	s_sub_co_u32 s52, s74, s76
	s_cselect_b32 s73, -1, 0
	s_sub_co_i32 s74, s75, s77
	s_wait_alu 0xfffe
	s_cmp_lg_u32 s73, 0
	s_sub_co_ci_u32 s74, s74, s7
	s_sub_co_u32 s76, s52, s6
	s_cselect_b32 s78, -1, 0
	s_wait_alu 0xfffe
	s_cmp_lg_u32 s78, 0
	s_sub_co_ci_u32 s79, s74, 0
	s_wait_alu 0xfffe
	s_cmp_ge_u32 s79, s7
	s_cselect_b32 s80, -1, 0
	s_cmp_ge_u32 s76, s6
	s_cselect_b32 s81, -1, 0
	s_cmp_eq_u32 s79, s7
	s_wait_alu 0xfffe
	s_cselect_b32 s80, s81, s80
	s_cmp_lg_u32 s78, 0
	s_sub_co_ci_u32 s74, s74, s7
	s_sub_co_u32 s78, s76, s6
	s_cselect_b32 s81, -1, 0
	s_wait_alu 0xfffe
	s_cmp_lg_u32 s81, 0
	s_sub_co_ci_u32 s74, s74, 0
	s_cmp_lg_u32 s80, 0
	s_cselect_b32 s76, s78, s76
	s_wait_alu 0xfffe
	s_cselect_b32 s74, s74, s79
	s_cmp_lg_u32 s73, 0
	s_sub_co_ci_u32 s73, s75, s77
	s_wait_alu 0xfffe
	s_cmp_ge_u32 s73, s7
	s_cselect_b32 s75, -1, 0
	s_cmp_ge_u32 s52, s6
	s_cselect_b32 s6, -1, 0
	s_cmp_eq_u32 s73, s7
	s_wait_alu 0xfffe
	s_cselect_b32 s6, s6, s75
	s_wait_alu 0xfffe
	s_cmp_lg_u32 s6, 0
	s_cselect_b32 s7, s74, s73
	s_cselect_b32 s6, s76, s52
	s_wait_alu 0xfffe
	s_xor_b64 s[6:7], s[6:7], s[14:15]
	s_wait_alu 0xfffe
	s_sub_nc_u64 s[6:7], s[6:7], s[14:15]
	s_cbranch_execnz .LBB63_205
.LBB63_204:                             ;   in Loop: Header=BB63_32 Depth=1
	v_cvt_f32_u32_e32 v6, s50
	s_sub_co_i32 s7, 0, s50
	s_delay_alu instid0(VALU_DEP_1) | instskip(NEXT) | instid1(TRANS32_DEP_1)
	v_rcp_iflag_f32_e32 v6, v6
	v_mul_f32_e32 v6, 0x4f7ffffe, v6
	s_delay_alu instid0(VALU_DEP_1) | instskip(NEXT) | instid1(VALU_DEP_1)
	v_cvt_u32_f32_e32 v6, v6
	v_readfirstlane_b32 s6, v6
	s_wait_alu 0xfffe
	s_mul_i32 s7, s7, s6
	s_wait_alu 0xfffe
	s_mul_hi_u32 s7, s6, s7
	s_wait_alu 0xfffe
	s_add_co_i32 s6, s6, s7
	s_wait_alu 0xfffe
	s_mul_hi_u32 s6, s62, s6
	s_wait_alu 0xfffe
	s_mul_i32 s6, s6, s50
	s_wait_alu 0xfffe
	s_sub_co_i32 s6, s62, s6
	s_wait_alu 0xfffe
	s_sub_co_i32 s7, s6, s50
	s_cmp_ge_u32 s6, s50
	s_wait_alu 0xfffe
	s_cselect_b32 s6, s7, s6
	s_wait_alu 0xfffe
	s_sub_co_i32 s7, s6, s50
	s_cmp_ge_u32 s6, s50
	s_wait_alu 0xfffe
	s_cselect_b32 s52, s7, s6
	s_wait_alu 0xfffe
	s_mov_b64 s[6:7], s[52:53]
.LBB63_205:                             ;   in Loop: Header=BB63_32 Depth=1
	s_wait_alu 0xfffe
	s_sub_nc_u64 s[14:15], s[62:63], s[6:7]
	s_mov_b32 s7, 0
	s_mov_b32 s73, 0
	s_mov_b32 s52, exec_lo
                                        ; implicit-def: $vgpr54
	s_wait_alu 0xfffe
	v_cmpx_gt_i64_e64 s[14:15], v[0:1]
	s_cbranch_execz .LBB63_217
; %bb.206:                              ;   in Loop: Header=BB63_32 Depth=1
	v_dual_mov_b32 v6, v12 :: v_dual_mov_b32 v7, v13
	v_dual_mov_b32 v9, v1 :: v_dual_mov_b32 v8, v0
                                        ; implicit-def: $sgpr74
	s_branch .LBB63_210
.LBB63_207:                             ;   in Loop: Header=BB63_210 Depth=2
	s_wait_alu 0xfffe
	s_or_b32 exec_lo, exec_lo, s6
	s_wait_loadcnt_dscnt 0x0
	s_barrier_signal -1
	s_barrier_wait -1
	global_inv scope:SCOPE_SE
	ds_load_b32 v10, v3 offset:3072
	s_wait_loadcnt_dscnt 0x0
	s_barrier_signal -1
	s_barrier_wait -1
	global_inv scope:SCOPE_SE
	v_cmp_neq_f16_e32 vcc_lo, 0, v10
	s_cbranch_vccnz .LBB63_213
; %bb.208:                              ;   in Loop: Header=BB63_210 Depth=2
	v_add_co_u32 v8, vcc_lo, v8, s50
	s_wait_alu 0xfffd
	v_add_co_ci_u32_e64 v9, null, 0, v9, vcc_lo
	v_add_co_u32 v6, s6, v6, s54
	s_wait_alu 0xf1ff
	v_add_co_ci_u32_e64 v7, null, s55, v7, s6
	s_delay_alu instid0(VALU_DEP_3)
	v_cmp_le_i64_e32 vcc_lo, s[14:15], v[8:9]
	s_mov_b32 s6, 0
	s_or_not1_b32 s75, vcc_lo, exec_lo
.LBB63_209:                             ;   in Loop: Header=BB63_210 Depth=2
	s_wait_alu 0xfffe
	s_and_b32 s75, exec_lo, s75
	s_wait_alu 0xfffe
	s_or_b32 s73, s75, s73
	s_and_not1_b32 s74, s74, exec_lo
	s_and_b32 s6, s6, exec_lo
	s_wait_alu 0xfffe
	s_or_b32 s74, s74, s6
	s_and_not1_b32 exec_lo, exec_lo, s73
	s_cbranch_execz .LBB63_216
.LBB63_210:                             ;   Parent Loop BB63_32 Depth=1
                                        ; =>  This Inner Loop Header: Depth=2
	s_mov_b32 s6, exec_lo
	s_delay_alu instid0(VALU_DEP_1)
	v_cmpx_gt_i64_e64 s[36:37], v[8:9]
	s_cbranch_execz .LBB63_207
; %bb.211:                              ;   in Loop: Header=BB63_210 Depth=2
	global_load_u16 v10, v[6:7], off
	s_wait_loadcnt 0x0
	v_cmp_lt_i16_e32 vcc_lo, -1, v10
	v_and_b32_e32 v11, 0xffff, v10
	s_wait_alu 0xfffd
	v_cndmask_b32_e32 v29, 0xffff, v52, vcc_lo
	v_cmp_o_f16_e32 vcc_lo, v10, v10
	s_delay_alu instid0(VALU_DEP_2) | instskip(SKIP_1) | instid1(VALU_DEP_1)
	v_xor_b32_e32 v11, v29, v11
	s_wait_alu 0xfffd
	v_cndmask_b32_e32 v11, 0xffff, v11, vcc_lo
	s_delay_alu instid0(VALU_DEP_1) | instskip(NEXT) | instid1(VALU_DEP_1)
	v_and_b32_e32 v11, v11, v53
	v_cmp_eq_u32_e32 vcc_lo, v11, v47
	s_and_b32 exec_lo, exec_lo, vcc_lo
	s_cbranch_execz .LBB63_207
; %bb.212:                              ;   in Loop: Header=BB63_210 Depth=2
	v_perm_b32 v10, v10, s95, 0x5040100
	ds_store_b32 v3, v10 offset:3072
	s_branch .LBB63_207
.LBB63_213:                             ;   in Loop: Header=BB63_210 Depth=2
	s_mov_b32 s75, -1
	s_mov_b32 s6, -1
                                        ; implicit-def: $vgpr8_vgpr9
                                        ; implicit-def: $vgpr6_vgpr7
	s_branch .LBB63_209
.LBB63_214:                             ;   in Loop: Header=BB63_32 Depth=1
                                        ; implicit-def: $sgpr6_sgpr7
	s_branch .LBB63_156
.LBB63_215:                             ;   in Loop: Header=BB63_32 Depth=1
                                        ; implicit-def: $sgpr14_sgpr15
	s_branch .LBB63_173
.LBB63_216:                             ;   in Loop: Header=BB63_32 Depth=1
	s_or_b32 exec_lo, exec_lo, s73
	v_lshrrev_b32_e32 v54, 16, v10
	s_wait_alu 0xfffe
	s_and_b32 s73, s74, exec_lo
.LBB63_217:                             ;   in Loop: Header=BB63_32 Depth=1
	s_or_b32 exec_lo, exec_lo, s52
.LBB63_218:                             ;   in Loop: Header=BB63_32 Depth=1
	s_delay_alu instid0(SALU_CYCLE_1)
	s_and_b32 vcc_lo, exec_lo, s7
	s_wait_alu 0xfffe
	s_cbranch_vccz .LBB63_233
; %bb.219:                              ;   in Loop: Header=BB63_32 Depth=1
	s_add_nc_u64 s[6:7], s[12:13], s[60:61]
	s_mov_b32 s14, s53
	s_wait_alu 0xfffe
	s_mov_b32 s15, s7
	s_wait_alu 0xfffe
	s_cmp_lg_u64 s[14:15], 0
	s_cbranch_scc0 .LBB63_262
; %bb.220:                              ;   in Loop: Header=BB63_32 Depth=1
	s_add_nc_u64 s[14:15], s[50:51], 0
	s_wait_alu 0xfffe
	s_xor_b64 s[14:15], s[14:15], 0
	s_wait_alu 0xfffe
	s_cvt_f32_u32 s25, s14
	s_cvt_f32_u32 s52, s15
	s_sub_nc_u64 s[76:77], 0, s[14:15]
	s_wait_alu 0xfffe
	s_delay_alu instid0(SALU_CYCLE_1) | instskip(SKIP_1) | instid1(SALU_CYCLE_2)
	s_fmamk_f32 s25, s52, 0x4f800000, s25
	s_wait_alu 0xfffe
	v_s_rcp_f32 s25, s25
	s_delay_alu instid0(TRANS32_DEP_1) | instskip(SKIP_1) | instid1(SALU_CYCLE_2)
	s_mul_f32 s25, s25, 0x5f7ffffc
	s_wait_alu 0xfffe
	s_mul_f32 s52, s25, 0x2f800000
	s_wait_alu 0xfffe
	s_delay_alu instid0(SALU_CYCLE_2) | instskip(SKIP_1) | instid1(SALU_CYCLE_2)
	s_trunc_f32 s52, s52
	s_wait_alu 0xfffe
	s_fmamk_f32 s25, s52, 0xcf800000, s25
	s_cvt_u32_f32 s75, s52
	s_wait_alu 0xfffe
	s_delay_alu instid0(SALU_CYCLE_1) | instskip(SKIP_1) | instid1(SALU_CYCLE_2)
	s_cvt_u32_f32 s74, s25
	s_wait_alu 0xfffe
	s_mul_u64 s[78:79], s[76:77], s[74:75]
	s_wait_alu 0xfffe
	s_mul_hi_u32 s81, s74, s79
	s_mul_i32 s80, s74, s79
	s_mul_hi_u32 s52, s74, s78
	s_mul_i32 s70, s75, s78
	s_wait_alu 0xfffe
	s_add_nc_u64 s[80:81], s[52:53], s[80:81]
	s_mul_hi_u32 s25, s75, s78
	s_mul_hi_u32 s82, s75, s79
	s_wait_alu 0xfffe
	s_add_co_u32 s52, s80, s70
	s_add_co_ci_u32 s52, s81, s25
	s_mul_i32 s78, s75, s79
	s_add_co_ci_u32 s79, s82, 0
	s_wait_alu 0xfffe
	s_add_nc_u64 s[78:79], s[52:53], s[78:79]
	s_wait_alu 0xfffe
	s_add_co_u32 s74, s74, s78
	s_cselect_b32 s25, -1, 0
	s_wait_alu 0xfffe
	s_cmp_lg_u32 s25, 0
	s_add_co_ci_u32 s75, s75, s79
	s_wait_alu 0xfffe
	s_mul_u64 s[76:77], s[76:77], s[74:75]
	s_wait_alu 0xfffe
	s_mul_hi_u32 s79, s74, s77
	s_mul_i32 s78, s74, s77
	s_mul_hi_u32 s52, s74, s76
	s_mul_i32 s70, s75, s76
	s_wait_alu 0xfffe
	s_add_nc_u64 s[78:79], s[52:53], s[78:79]
	s_mul_hi_u32 s25, s75, s76
	s_mul_hi_u32 s80, s75, s77
	s_wait_alu 0xfffe
	s_add_co_u32 s52, s78, s70
	s_add_co_ci_u32 s52, s79, s25
	s_mul_i32 s76, s75, s77
	s_add_co_ci_u32 s77, s80, 0
	s_wait_alu 0xfffe
	s_add_nc_u64 s[76:77], s[52:53], s[76:77]
	s_wait_alu 0xfffe
	s_add_co_u32 s25, s74, s76
	s_cselect_b32 s52, -1, 0
	s_wait_alu 0xfffe
	s_cmp_lg_u32 s52, 0
	s_add_co_ci_u32 s70, s75, s77
	s_ashr_i32 s74, s7, 31
	s_wait_alu 0xfffe
	s_mov_b32 s75, s74
	s_wait_alu 0xfffe
	s_add_nc_u64 s[76:77], s[6:7], s[74:75]
	s_wait_alu 0xfffe
	s_xor_b64 s[76:77], s[76:77], s[74:75]
	s_wait_alu 0xfffe
	s_mul_hi_u32 s79, s76, s70
	s_mul_i32 s78, s76, s70
	s_mul_hi_u32 s52, s76, s25
	s_mul_hi_u32 s82, s77, s25
	s_mul_i32 s25, s77, s25
	s_wait_alu 0xfffe
	s_add_nc_u64 s[78:79], s[52:53], s[78:79]
	s_mul_hi_u32 s81, s77, s70
	s_wait_alu 0xfffe
	s_add_co_u32 s25, s78, s25
	s_add_co_ci_u32 s52, s79, s82
	s_mul_i32 s80, s77, s70
	s_add_co_ci_u32 s81, s81, 0
	s_wait_alu 0xfffe
	s_add_nc_u64 s[78:79], s[52:53], s[80:81]
	s_wait_alu 0xfffe
	s_mul_u64 s[78:79], s[14:15], s[78:79]
	s_wait_alu 0xfffe
	s_sub_co_u32 s25, s76, s78
	s_cselect_b32 s52, -1, 0
	s_sub_co_i32 s70, s77, s79
	s_wait_alu 0xfffe
	s_cmp_lg_u32 s52, 0
	s_sub_co_ci_u32 s70, s70, s15
	s_sub_co_u32 s76, s25, s14
	s_cselect_b32 s78, -1, 0
	s_wait_alu 0xfffe
	s_cmp_lg_u32 s78, 0
	s_sub_co_ci_u32 s80, s70, 0
	s_wait_alu 0xfffe
	s_cmp_ge_u32 s80, s15
	s_cselect_b32 s81, -1, 0
	s_cmp_ge_u32 s76, s14
	s_cselect_b32 s82, -1, 0
	s_cmp_eq_u32 s80, s15
	s_wait_alu 0xfffe
	s_cselect_b32 s81, s82, s81
	s_cmp_lg_u32 s78, 0
	s_sub_co_ci_u32 s70, s70, s15
	s_sub_co_u32 s78, s76, s14
	s_cselect_b32 s82, -1, 0
	s_wait_alu 0xfffe
	s_cmp_lg_u32 s82, 0
	s_sub_co_ci_u32 s70, s70, 0
	s_cmp_lg_u32 s81, 0
	s_cselect_b32 s76, s78, s76
	s_wait_alu 0xfffe
	s_cselect_b32 s70, s70, s80
	s_cmp_lg_u32 s52, 0
	s_sub_co_ci_u32 s52, s77, s79
	s_wait_alu 0xfffe
	s_cmp_ge_u32 s52, s15
	s_cselect_b32 s77, -1, 0
	s_cmp_ge_u32 s25, s14
	s_cselect_b32 s14, -1, 0
	s_cmp_eq_u32 s52, s15
	s_wait_alu 0xfffe
	s_cselect_b32 s14, s14, s77
	s_wait_alu 0xfffe
	s_cmp_lg_u32 s14, 0
	s_cselect_b32 s15, s70, s52
	s_cselect_b32 s14, s76, s25
	s_wait_alu 0xfffe
	s_xor_b64 s[14:15], s[14:15], s[74:75]
	s_wait_alu 0xfffe
	s_sub_nc_u64 s[14:15], s[14:15], s[74:75]
	s_cbranch_execnz .LBB63_222
.LBB63_221:                             ;   in Loop: Header=BB63_32 Depth=1
	v_cvt_f32_u32_e32 v6, s50
	s_sub_co_i32 s15, 0, s50
	s_delay_alu instid0(VALU_DEP_1) | instskip(NEXT) | instid1(TRANS32_DEP_1)
	v_rcp_iflag_f32_e32 v6, v6
	v_mul_f32_e32 v6, 0x4f7ffffe, v6
	s_delay_alu instid0(VALU_DEP_1) | instskip(NEXT) | instid1(VALU_DEP_1)
	v_cvt_u32_f32_e32 v6, v6
	v_readfirstlane_b32 s14, v6
	s_wait_alu 0xfffe
	s_mul_i32 s15, s15, s14
	s_wait_alu 0xfffe
	s_mul_hi_u32 s15, s14, s15
	s_wait_alu 0xfffe
	s_add_co_i32 s14, s14, s15
	s_wait_alu 0xfffe
	s_mul_hi_u32 s14, s6, s14
	s_wait_alu 0xfffe
	s_mul_i32 s14, s14, s50
	s_wait_alu 0xfffe
	s_sub_co_i32 s14, s6, s14
	s_wait_alu 0xfffe
	s_sub_co_i32 s15, s14, s50
	s_cmp_ge_u32 s14, s50
	s_wait_alu 0xfffe
	s_cselect_b32 s14, s15, s14
	s_wait_alu 0xfffe
	s_sub_co_i32 s15, s14, s50
	s_cmp_ge_u32 s14, s50
	s_wait_alu 0xfffe
	s_cselect_b32 s52, s15, s14
	s_wait_alu 0xfffe
	s_mov_b64 s[14:15], s[52:53]
.LBB63_222:                             ;   in Loop: Header=BB63_32 Depth=1
	s_wait_alu 0xfffe
	s_sub_nc_u64 s[6:7], s[6:7], s[14:15]
	s_mov_b32 s14, exec_lo
                                        ; implicit-def: $vgpr54
	s_wait_alu 0xfffe
	v_cmpx_gt_i64_e64 s[6:7], v[0:1]
	s_cbranch_execz .LBB63_232
; %bb.223:                              ;   in Loop: Header=BB63_32 Depth=1
	v_dual_mov_b32 v8, v42 :: v_dual_mov_b32 v7, v1
	v_mov_b32_e32 v6, v0
	s_mov_b32 s15, 0
                                        ; implicit-def: $sgpr25
	s_branch .LBB63_227
.LBB63_224:                             ;   in Loop: Header=BB63_227 Depth=2
	s_wait_alu 0xfffe
	s_or_b32 exec_lo, exec_lo, s52
	s_wait_loadcnt_dscnt 0x0
	s_barrier_signal -1
	s_barrier_wait -1
	global_inv scope:SCOPE_SE
	ds_load_b32 v9, v3 offset:3072
	s_wait_loadcnt_dscnt 0x0
	s_barrier_signal -1
	s_barrier_wait -1
	global_inv scope:SCOPE_SE
	v_cmp_eq_f16_e32 vcc_lo, 0, v9
	s_cbranch_vccz .LBB63_230
; %bb.225:                              ;   in Loop: Header=BB63_227 Depth=2
	v_add_co_u32 v6, vcc_lo, v6, s50
	s_wait_alu 0xfffd
	v_add_co_ci_u32_e64 v7, null, 0, v7, vcc_lo
	v_add_nc_u32_e32 v8, s94, v8
	s_mov_b32 s52, 0
	s_delay_alu instid0(VALU_DEP_2)
	v_cmp_le_i64_e32 vcc_lo, s[6:7], v[6:7]
	s_or_not1_b32 s70, vcc_lo, exec_lo
.LBB63_226:                             ;   in Loop: Header=BB63_227 Depth=2
	s_wait_alu 0xfffe
	s_and_b32 s70, exec_lo, s70
	s_wait_alu 0xfffe
	s_or_b32 s15, s70, s15
	s_and_not1_b32 s25, s25, exec_lo
	s_and_b32 s52, s52, exec_lo
	s_wait_alu 0xfffe
	s_or_b32 s25, s25, s52
	s_and_not1_b32 exec_lo, exec_lo, s15
	s_cbranch_execz .LBB63_231
.LBB63_227:                             ;   Parent Loop BB63_32 Depth=1
                                        ; =>  This Inner Loop Header: Depth=2
	s_mov_b32 s52, exec_lo
	s_delay_alu instid0(VALU_DEP_1)
	v_cmpx_gt_u64_e64 s[12:13], v[6:7]
	s_cbranch_execz .LBB63_224
; %bb.228:                              ;   in Loop: Header=BB63_227 Depth=2
	ds_load_u16 v9, v8
	s_wait_dscnt 0x0
	v_cmp_lt_i16_e32 vcc_lo, -1, v9
	s_wait_alu 0xfffd
	v_dual_cndmask_b32 v11, 0xffff, v52 :: v_dual_and_b32 v10, 0xffff, v9
	v_cmp_o_f16_e32 vcc_lo, v9, v9
	s_delay_alu instid0(VALU_DEP_2) | instskip(SKIP_1) | instid1(VALU_DEP_1)
	v_xor_b32_e32 v10, v11, v10
	s_wait_alu 0xfffd
	v_cndmask_b32_e32 v10, 0xffff, v10, vcc_lo
	s_delay_alu instid0(VALU_DEP_1) | instskip(NEXT) | instid1(VALU_DEP_1)
	v_and_b32_e32 v10, v10, v53
	v_cmp_eq_u32_e32 vcc_lo, v10, v47
	s_and_b32 exec_lo, exec_lo, vcc_lo
	s_cbranch_execz .LBB63_224
; %bb.229:                              ;   in Loop: Header=BB63_227 Depth=2
	v_perm_b32 v9, v9, s95, 0x5040100
	ds_store_b32 v3, v9 offset:3072
	s_branch .LBB63_224
.LBB63_230:                             ;   in Loop: Header=BB63_227 Depth=2
	s_mov_b32 s70, -1
	s_mov_b32 s52, -1
                                        ; implicit-def: $vgpr6_vgpr7
                                        ; implicit-def: $vgpr8
	s_branch .LBB63_226
.LBB63_231:                             ;   in Loop: Header=BB63_32 Depth=1
	s_or_b32 exec_lo, exec_lo, s15
	v_lshrrev_b32_e32 v54, 16, v9
	s_and_not1_b32 s6, s73, exec_lo
	s_wait_alu 0xfffe
	s_and_b32 s7, s25, exec_lo
	s_wait_alu 0xfffe
	s_or_b32 s73, s6, s7
.LBB63_232:                             ;   in Loop: Header=BB63_32 Depth=1
	s_or_b32 exec_lo, exec_lo, s14
	s_mov_b32 s25, 0
	s_mov_b32 s70, -1
.LBB63_233:                             ;   in Loop: Header=BB63_32 Depth=1
	s_wait_alu 0xfffe
	s_or_not1_b32 s6, s73, exec_lo
.LBB63_234:                             ;   in Loop: Header=BB63_32 Depth=1
	s_wait_alu 0xfffe
	s_or_b32 exec_lo, exec_lo, s72
	s_mov_b32 s7, 0
	s_and_saveexec_b32 s14, s6
	s_cbranch_execz .LBB63_294
; %bb.235:                              ;   in Loop: Header=BB63_32 Depth=1
	v_mov_b32_e32 v6, 1
	v_dual_mov_b32 v7, 0 :: v_dual_mov_b32 v2, 1
	s_xor_b32 s12, s71, -1
	s_wait_alu 0xfffe
	s_and_saveexec_b32 s6, s12
	s_cbranch_execz .LBB63_244
; %bb.236:                              ;   in Loop: Header=BB63_32 Depth=1
	s_mov_b32 s7, exec_lo
	v_cmpx_ge_i64_e64 s[10:11], v[4:5]
	s_wait_alu 0xfffe
	s_xor_b32 s7, exec_lo, s7
	s_cbranch_execz .LBB63_241
; %bb.237:                              ;   in Loop: Header=BB63_32 Depth=1
	ds_load_b64 v[6:7], v3 offset:5120
	s_lshl_b32 s12, 2, s96
	v_or_b32_e32 v53, s16, v53
	s_wait_alu 0xfffe
	v_and_or_b32 v47, v47, s20, s12
	s_wait_dscnt 0x0
	v_cmp_ne_u64_e32 vcc_lo, 0, v[6:7]
	s_cbranch_vccnz .LBB63_241
; %bb.238:                              ;   in Loop: Header=BB63_32 Depth=1
	s_and_saveexec_b32 s12, s2
; %bb.239:                              ;   in Loop: Header=BB63_32 Depth=1
	v_dual_mov_b32 v6, s10 :: v_dual_mov_b32 v7, s11
	ds_store_b64 v3, v[6:7] offset:5128
; %bb.240:                              ;   in Loop: Header=BB63_32 Depth=1
	s_wait_alu 0xfffe
	s_or_b32 exec_lo, exec_lo, s12
	s_wait_loadcnt_dscnt 0x0
	s_barrier_signal -1
	s_barrier_wait -1
	global_inv scope:SCOPE_SE
.LBB63_241:                             ;   in Loop: Header=BB63_32 Depth=1
	s_wait_alu 0xfffe
	s_or_saveexec_b32 s7, s7
	v_mov_b32_e32 v2, 8
	s_mov_b32 s12, 0
	s_wait_alu 0xfffe
	s_xor_b32 exec_lo, exec_lo, s7
; %bb.242:                              ;   in Loop: Header=BB63_32 Depth=1
	v_sub_co_u32 v4, vcc_lo, v4, s10
	s_wait_alu 0xfffd
	v_subrev_co_ci_u32_e64 v5, null, s11, v5, vcc_lo
	v_mov_b32_e32 v2, 0
	s_mov_b32 s12, exec_lo
; %bb.243:                              ;   in Loop: Header=BB63_32 Depth=1
	s_or_b32 exec_lo, exec_lo, s7
	s_delay_alu instid0(VALU_DEP_2)
	v_dual_mov_b32 v7, v5 :: v_dual_mov_b32 v6, v4
	s_wait_alu 0xfffe
	s_and_b32 s7, s12, exec_lo
.LBB63_244:                             ;   in Loop: Header=BB63_32 Depth=1
	s_wait_alu 0xfffe
	s_or_b32 exec_lo, exec_lo, s6
	s_mov_b32 s6, -1
                                        ; implicit-def: $sgpr73
                                        ; implicit-def: $sgpr72
	s_and_saveexec_b32 s15, s7
	s_cbranch_execz .LBB63_293
; %bb.245:                              ;   in Loop: Header=BB63_32 Depth=1
	v_cmp_eq_u64_e32 vcc_lo, 1, v[6:7]
	s_cmp_eq_u64 s[8:9], 1
	s_mov_b32 s7, -1
	s_cselect_b32 s6, -1, 0
                                        ; implicit-def: $sgpr73
                                        ; implicit-def: $sgpr72
	s_wait_alu 0xfffe
	s_and_b32 s20, s6, vcc_lo
	s_wait_alu 0xfffe
	s_and_saveexec_b32 s71, s20
	s_cbranch_execz .LBB63_281
; %bb.246:                              ;   in Loop: Header=BB63_32 Depth=1
	ds_load_b64 v[4:5], v3 offset:5120
	s_wait_loadcnt_dscnt 0x0
	s_barrier_signal -1
	s_barrier_wait -1
	global_inv scope:SCOPE_SE
	v_readfirstlane_b32 s10, v4
	v_readfirstlane_b32 s11, v5
	s_and_saveexec_b32 s6, s3
; %bb.247:                              ;   in Loop: Header=BB63_32 Depth=1
	ds_store_b16 v43, v3
; %bb.248:                              ;   in Loop: Header=BB63_32 Depth=1
	s_wait_alu 0xfffe
	s_or_b32 exec_lo, exec_lo, s6
	v_cmp_gt_i64_e64 s6, s[10:11], 0
	v_or_b32_e32 v47, s16, v47
	v_or_b32_e32 v53, s16, v53
	s_mov_b32 s72, -1
	s_mov_b32 s73, 0
	s_mov_b32 s74, 0
	s_and_b32 vcc_lo, exec_lo, s6
	s_wait_loadcnt_dscnt 0x0
	s_barrier_signal -1
	s_barrier_wait -1
	global_inv scope:SCOPE_SE
                                        ; implicit-def: $vgpr54
	s_wait_alu 0xfffe
	s_cbranch_vccnz .LBB63_265
; %bb.249:                              ;   in Loop: Header=BB63_32 Depth=1
	s_mov_b32 s6, s53
	s_mov_b32 s7, s63
	s_wait_alu 0xfffe
	s_cmp_lg_u64 s[6:7], 0
	s_cbranch_scc0 .LBB63_300
; %bb.250:                              ;   in Loop: Header=BB63_32 Depth=1
	s_add_nc_u64 s[6:7], s[50:51], 0
	s_wait_alu 0xfffe
	s_xor_b64 s[6:7], s[6:7], 0
	s_wait_alu 0xfffe
	s_cvt_f32_u32 s12, s6
	s_cvt_f32_u32 s13, s7
	s_sub_nc_u64 s[74:75], 0, s[6:7]
	s_wait_alu 0xfffe
	s_delay_alu instid0(SALU_CYCLE_1) | instskip(SKIP_1) | instid1(SALU_CYCLE_2)
	s_fmamk_f32 s12, s13, 0x4f800000, s12
	s_wait_alu 0xfffe
	v_s_rcp_f32 s12, s12
	s_delay_alu instid0(TRANS32_DEP_1) | instskip(SKIP_1) | instid1(SALU_CYCLE_2)
	s_mul_f32 s12, s12, 0x5f7ffffc
	s_wait_alu 0xfffe
	s_mul_f32 s13, s12, 0x2f800000
	s_wait_alu 0xfffe
	s_delay_alu instid0(SALU_CYCLE_2) | instskip(SKIP_1) | instid1(SALU_CYCLE_2)
	s_trunc_f32 s13, s13
	s_wait_alu 0xfffe
	s_fmamk_f32 s12, s13, 0xcf800000, s12
	s_cvt_u32_f32 s13, s13
	s_wait_alu 0xfffe
	s_delay_alu instid0(SALU_CYCLE_1) | instskip(SKIP_1) | instid1(SALU_CYCLE_2)
	s_cvt_u32_f32 s12, s12
	s_wait_alu 0xfffe
	s_mul_u64 s[76:77], s[74:75], s[12:13]
	s_wait_alu 0xfffe
	s_mul_hi_u32 s79, s12, s77
	s_mul_i32 s78, s12, s77
	s_mul_hi_u32 s52, s12, s76
	s_mul_i32 s81, s13, s76
	s_wait_alu 0xfffe
	s_add_nc_u64 s[78:79], s[52:53], s[78:79]
	s_mul_hi_u32 s80, s13, s76
	s_mul_hi_u32 s82, s13, s77
	s_wait_alu 0xfffe
	s_add_co_u32 s52, s78, s81
	s_add_co_ci_u32 s52, s79, s80
	s_mul_i32 s76, s13, s77
	s_add_co_ci_u32 s77, s82, 0
	s_wait_alu 0xfffe
	s_add_nc_u64 s[76:77], s[52:53], s[76:77]
	s_wait_alu 0xfffe
	s_add_co_u32 s12, s12, s76
	s_cselect_b32 s52, -1, 0
	s_wait_alu 0xfffe
	s_cmp_lg_u32 s52, 0
	s_add_co_ci_u32 s13, s13, s77
	s_wait_alu 0xfffe
	s_mul_u64 s[74:75], s[74:75], s[12:13]
	s_wait_alu 0xfffe
	s_mul_hi_u32 s77, s12, s75
	s_mul_i32 s76, s12, s75
	s_mul_hi_u32 s52, s12, s74
	s_mul_i32 s79, s13, s74
	s_wait_alu 0xfffe
	s_add_nc_u64 s[76:77], s[52:53], s[76:77]
	s_mul_hi_u32 s78, s13, s74
	s_mul_hi_u32 s80, s13, s75
	s_wait_alu 0xfffe
	s_add_co_u32 s52, s76, s79
	s_add_co_ci_u32 s52, s77, s78
	s_mul_i32 s74, s13, s75
	s_add_co_ci_u32 s75, s80, 0
	s_wait_alu 0xfffe
	s_add_nc_u64 s[74:75], s[52:53], s[74:75]
	s_wait_alu 0xfffe
	s_add_co_u32 s78, s12, s74
	s_cselect_b32 s12, -1, 0
	s_wait_alu 0xfffe
	s_cmp_lg_u32 s12, 0
	s_add_co_ci_u32 s79, s13, s75
	s_ashr_i32 s12, s63, 31
	s_wait_alu 0xfffe
	s_mov_b32 s13, s12
	s_wait_alu 0xfffe
	s_add_nc_u64 s[74:75], s[62:63], s[12:13]
	s_wait_alu 0xfffe
	s_xor_b64 s[74:75], s[74:75], s[12:13]
	s_wait_alu 0xfffe
	s_mul_hi_u32 s77, s74, s79
	s_mul_i32 s76, s74, s79
	s_mul_hi_u32 s52, s74, s78
	s_mul_i32 s82, s75, s78
	s_wait_alu 0xfffe
	s_add_nc_u64 s[76:77], s[52:53], s[76:77]
	s_mul_hi_u32 s81, s75, s78
	s_mul_hi_u32 s80, s75, s79
	s_wait_alu 0xfffe
	s_add_co_u32 s52, s76, s82
	s_add_co_ci_u32 s52, s77, s81
	s_mul_i32 s78, s75, s79
	s_add_co_ci_u32 s79, s80, 0
	s_wait_alu 0xfffe
	s_add_nc_u64 s[76:77], s[52:53], s[78:79]
	s_wait_alu 0xfffe
	s_mul_u64 s[76:77], s[6:7], s[76:77]
	s_wait_alu 0xfffe
	s_sub_co_u32 s52, s74, s76
	s_cselect_b32 s74, -1, 0
	s_sub_co_i32 s76, s75, s77
	s_wait_alu 0xfffe
	s_cmp_lg_u32 s74, 0
	s_sub_co_ci_u32 s76, s76, s7
	s_sub_co_u32 s78, s52, s6
	s_cselect_b32 s79, -1, 0
	s_wait_alu 0xfffe
	s_cmp_lg_u32 s79, 0
	s_sub_co_ci_u32 s80, s76, 0
	s_wait_alu 0xfffe
	s_cmp_ge_u32 s80, s7
	s_cselect_b32 s81, -1, 0
	s_cmp_ge_u32 s78, s6
	s_cselect_b32 s82, -1, 0
	s_cmp_eq_u32 s80, s7
	s_wait_alu 0xfffe
	s_cselect_b32 s81, s82, s81
	s_cmp_lg_u32 s79, 0
	s_sub_co_ci_u32 s76, s76, s7
	s_sub_co_u32 s79, s78, s6
	s_cselect_b32 s82, -1, 0
	s_wait_alu 0xfffe
	s_cmp_lg_u32 s82, 0
	s_sub_co_ci_u32 s76, s76, 0
	s_cmp_lg_u32 s81, 0
	s_cselect_b32 s78, s79, s78
	s_wait_alu 0xfffe
	s_cselect_b32 s76, s76, s80
	s_cmp_lg_u32 s74, 0
	s_sub_co_ci_u32 s74, s75, s77
	s_wait_alu 0xfffe
	s_cmp_ge_u32 s74, s7
	s_cselect_b32 s75, -1, 0
	s_cmp_ge_u32 s52, s6
	s_cselect_b32 s6, -1, 0
	s_cmp_eq_u32 s74, s7
	s_wait_alu 0xfffe
	s_cselect_b32 s6, s6, s75
	s_wait_alu 0xfffe
	s_cmp_lg_u32 s6, 0
	s_cselect_b32 s7, s76, s74
	s_cselect_b32 s6, s78, s52
	s_wait_alu 0xfffe
	s_xor_b64 s[6:7], s[6:7], s[12:13]
	s_wait_alu 0xfffe
	s_sub_nc_u64 s[6:7], s[6:7], s[12:13]
	s_cbranch_execnz .LBB63_252
.LBB63_251:                             ;   in Loop: Header=BB63_32 Depth=1
	v_cvt_f32_u32_e32 v4, s50
	s_sub_co_i32 s7, 0, s50
	s_delay_alu instid0(VALU_DEP_1) | instskip(NEXT) | instid1(TRANS32_DEP_1)
	v_rcp_iflag_f32_e32 v4, v4
	v_mul_f32_e32 v4, 0x4f7ffffe, v4
	s_delay_alu instid0(VALU_DEP_1) | instskip(NEXT) | instid1(VALU_DEP_1)
	v_cvt_u32_f32_e32 v4, v4
	v_readfirstlane_b32 s6, v4
	s_wait_alu 0xfffe
	s_mul_i32 s7, s7, s6
	s_wait_alu 0xfffe
	s_mul_hi_u32 s7, s6, s7
	s_wait_alu 0xfffe
	s_add_co_i32 s6, s6, s7
	s_wait_alu 0xfffe
	s_mul_hi_u32 s6, s62, s6
	s_wait_alu 0xfffe
	s_mul_i32 s6, s6, s50
	s_wait_alu 0xfffe
	s_sub_co_i32 s6, s62, s6
	s_wait_alu 0xfffe
	s_sub_co_i32 s7, s6, s50
	s_cmp_ge_u32 s6, s50
	s_wait_alu 0xfffe
	s_cselect_b32 s6, s7, s6
	s_wait_alu 0xfffe
	s_sub_co_i32 s7, s6, s50
	s_cmp_ge_u32 s6, s50
	s_wait_alu 0xfffe
	s_cselect_b32 s52, s7, s6
	s_wait_alu 0xfffe
	s_mov_b64 s[6:7], s[52:53]
.LBB63_252:                             ;   in Loop: Header=BB63_32 Depth=1
	s_wait_alu 0xfffe
	s_sub_nc_u64 s[12:13], s[62:63], s[6:7]
	s_mov_b32 s7, 0
	s_mov_b32 s74, 0
	s_mov_b32 s52, exec_lo
                                        ; implicit-def: $vgpr54
	s_wait_alu 0xfffe
	v_cmpx_gt_i64_e64 s[12:13], v[0:1]
	s_cbranch_execz .LBB63_264
; %bb.253:                              ;   in Loop: Header=BB63_32 Depth=1
	v_dual_mov_b32 v4, v12 :: v_dual_mov_b32 v5, v13
	v_dual_mov_b32 v9, v1 :: v_dual_mov_b32 v8, v0
                                        ; implicit-def: $sgpr75
	s_branch .LBB63_257
.LBB63_254:                             ;   in Loop: Header=BB63_257 Depth=2
	s_wait_alu 0xfffe
	s_or_b32 exec_lo, exec_lo, s6
	s_wait_loadcnt_dscnt 0x0
	s_barrier_signal -1
	s_barrier_wait -1
	global_inv scope:SCOPE_SE
	ds_load_b32 v10, v3 offset:3072
	s_wait_loadcnt_dscnt 0x0
	s_barrier_signal -1
	s_barrier_wait -1
	global_inv scope:SCOPE_SE
	v_cmp_neq_f16_e32 vcc_lo, 0, v10
	s_cbranch_vccnz .LBB63_260
; %bb.255:                              ;   in Loop: Header=BB63_257 Depth=2
	v_add_co_u32 v8, vcc_lo, v8, s50
	s_wait_alu 0xfffd
	v_add_co_ci_u32_e64 v9, null, 0, v9, vcc_lo
	v_add_co_u32 v4, s6, v4, s54
	s_wait_alu 0xf1ff
	v_add_co_ci_u32_e64 v5, null, s55, v5, s6
	s_delay_alu instid0(VALU_DEP_3)
	v_cmp_le_i64_e32 vcc_lo, s[12:13], v[8:9]
	s_mov_b32 s6, 0
	s_or_not1_b32 s76, vcc_lo, exec_lo
.LBB63_256:                             ;   in Loop: Header=BB63_257 Depth=2
	s_wait_alu 0xfffe
	s_and_b32 s76, exec_lo, s76
	s_wait_alu 0xfffe
	s_or_b32 s74, s76, s74
	s_and_not1_b32 s75, s75, exec_lo
	s_and_b32 s6, s6, exec_lo
	s_wait_alu 0xfffe
	s_or_b32 s75, s75, s6
	s_and_not1_b32 exec_lo, exec_lo, s74
	s_cbranch_execz .LBB63_263
.LBB63_257:                             ;   Parent Loop BB63_32 Depth=1
                                        ; =>  This Inner Loop Header: Depth=2
	s_mov_b32 s6, exec_lo
	s_delay_alu instid0(VALU_DEP_1)
	v_cmpx_gt_i64_e64 s[36:37], v[8:9]
	s_cbranch_execz .LBB63_254
; %bb.258:                              ;   in Loop: Header=BB63_257 Depth=2
	global_load_u16 v10, v[4:5], off
	s_wait_loadcnt 0x0
	v_cmp_lt_i16_e32 vcc_lo, -1, v10
	v_and_b32_e32 v11, 0xffff, v10
	s_wait_alu 0xfffd
	v_cndmask_b32_e32 v29, 0xffff, v52, vcc_lo
	v_cmp_o_f16_e32 vcc_lo, v10, v10
	s_delay_alu instid0(VALU_DEP_2) | instskip(SKIP_1) | instid1(VALU_DEP_1)
	v_xor_b32_e32 v11, v29, v11
	s_wait_alu 0xfffd
	v_cndmask_b32_e32 v11, 0xffff, v11, vcc_lo
	s_delay_alu instid0(VALU_DEP_1) | instskip(NEXT) | instid1(VALU_DEP_1)
	v_and_b32_e32 v11, v11, v53
	v_cmp_eq_u32_e32 vcc_lo, v11, v47
	s_and_b32 exec_lo, exec_lo, vcc_lo
	s_cbranch_execz .LBB63_254
; %bb.259:                              ;   in Loop: Header=BB63_257 Depth=2
	v_perm_b32 v10, v10, s95, 0x5040100
	ds_store_b32 v3, v10 offset:3072
	s_branch .LBB63_254
.LBB63_260:                             ;   in Loop: Header=BB63_257 Depth=2
	s_mov_b32 s76, -1
	s_mov_b32 s6, -1
                                        ; implicit-def: $vgpr8_vgpr9
                                        ; implicit-def: $vgpr4_vgpr5
	s_branch .LBB63_256
.LBB63_261:                             ;   in Loop: Header=BB63_32 Depth=1
                                        ; implicit-def: $sgpr6_sgpr7
	s_branch .LBB63_204
.LBB63_262:                             ;   in Loop: Header=BB63_32 Depth=1
                                        ; implicit-def: $sgpr14_sgpr15
	s_branch .LBB63_221
.LBB63_263:                             ;   in Loop: Header=BB63_32 Depth=1
	s_or_b32 exec_lo, exec_lo, s74
	v_lshrrev_b32_e32 v54, 16, v10
	s_wait_alu 0xfffe
	s_and_b32 s74, s75, exec_lo
.LBB63_264:                             ;   in Loop: Header=BB63_32 Depth=1
	s_or_b32 exec_lo, exec_lo, s52
.LBB63_265:                             ;   in Loop: Header=BB63_32 Depth=1
	s_delay_alu instid0(SALU_CYCLE_1)
	s_and_b32 vcc_lo, exec_lo, s7
	s_wait_alu 0xfffe
	s_cbranch_vccz .LBB63_280
; %bb.266:                              ;   in Loop: Header=BB63_32 Depth=1
	s_add_nc_u64 s[6:7], s[10:11], s[60:61]
	s_mov_b32 s12, s53
	s_wait_alu 0xfffe
	s_mov_b32 s13, s7
	s_wait_alu 0xfffe
	s_cmp_lg_u64 s[12:13], 0
	s_cbranch_scc0 .LBB63_301
; %bb.267:                              ;   in Loop: Header=BB63_32 Depth=1
	s_add_nc_u64 s[12:13], s[50:51], 0
	s_wait_alu 0xfffe
	s_xor_b64 s[12:13], s[12:13], 0
	s_wait_alu 0xfffe
	s_cvt_f32_u32 s52, s12
	s_cvt_f32_u32 s72, s13
	s_sub_nc_u64 s[76:77], 0, s[12:13]
	s_wait_alu 0xfffe
	s_delay_alu instid0(SALU_CYCLE_1) | instskip(SKIP_1) | instid1(SALU_CYCLE_2)
	s_fmamk_f32 s52, s72, 0x4f800000, s52
	s_wait_alu 0xfffe
	v_s_rcp_f32 s52, s52
	s_delay_alu instid0(TRANS32_DEP_1) | instskip(SKIP_1) | instid1(SALU_CYCLE_2)
	s_mul_f32 s52, s52, 0x5f7ffffc
	s_wait_alu 0xfffe
	s_mul_f32 s72, s52, 0x2f800000
	s_wait_alu 0xfffe
	s_delay_alu instid0(SALU_CYCLE_2) | instskip(SKIP_1) | instid1(SALU_CYCLE_2)
	s_trunc_f32 s72, s72
	s_wait_alu 0xfffe
	s_fmamk_f32 s52, s72, 0xcf800000, s52
	s_cvt_u32_f32 s73, s72
	s_wait_alu 0xfffe
	s_delay_alu instid0(SALU_CYCLE_1) | instskip(SKIP_1) | instid1(SALU_CYCLE_2)
	s_cvt_u32_f32 s72, s52
	s_wait_alu 0xfffe
	s_mul_u64 s[78:79], s[76:77], s[72:73]
	s_wait_alu 0xfffe
	s_mul_hi_u32 s81, s72, s79
	s_mul_i32 s80, s72, s79
	s_mul_hi_u32 s52, s72, s78
	s_mul_i32 s82, s73, s78
	s_wait_alu 0xfffe
	s_add_nc_u64 s[80:81], s[52:53], s[80:81]
	s_mul_hi_u32 s75, s73, s78
	s_mul_hi_u32 s83, s73, s79
	s_wait_alu 0xfffe
	s_add_co_u32 s52, s80, s82
	s_add_co_ci_u32 s52, s81, s75
	s_mul_i32 s78, s73, s79
	s_add_co_ci_u32 s79, s83, 0
	s_wait_alu 0xfffe
	s_add_nc_u64 s[78:79], s[52:53], s[78:79]
	s_wait_alu 0xfffe
	s_add_co_u32 s72, s72, s78
	s_cselect_b32 s52, -1, 0
	s_wait_alu 0xfffe
	s_cmp_lg_u32 s52, 0
	s_add_co_ci_u32 s73, s73, s79
	s_wait_alu 0xfffe
	s_mul_u64 s[76:77], s[76:77], s[72:73]
	s_wait_alu 0xfffe
	s_mul_hi_u32 s79, s72, s77
	s_mul_i32 s78, s72, s77
	s_mul_hi_u32 s52, s72, s76
	s_mul_i32 s80, s73, s76
	s_wait_alu 0xfffe
	s_add_nc_u64 s[78:79], s[52:53], s[78:79]
	s_mul_hi_u32 s75, s73, s76
	s_mul_hi_u32 s81, s73, s77
	s_wait_alu 0xfffe
	s_add_co_u32 s52, s78, s80
	s_add_co_ci_u32 s52, s79, s75
	s_mul_i32 s76, s73, s77
	s_add_co_ci_u32 s77, s81, 0
	s_wait_alu 0xfffe
	s_add_nc_u64 s[76:77], s[52:53], s[76:77]
	s_wait_alu 0xfffe
	s_add_co_u32 s75, s72, s76
	s_cselect_b32 s52, -1, 0
	s_wait_alu 0xfffe
	s_cmp_lg_u32 s52, 0
	s_add_co_ci_u32 s80, s73, s77
	s_ashr_i32 s72, s7, 31
	s_wait_alu 0xfffe
	s_mov_b32 s73, s72
	s_wait_alu 0xfffe
	s_add_nc_u64 s[76:77], s[6:7], s[72:73]
	s_wait_alu 0xfffe
	s_xor_b64 s[76:77], s[76:77], s[72:73]
	s_wait_alu 0xfffe
	s_mul_hi_u32 s79, s76, s80
	s_mul_i32 s78, s76, s80
	s_mul_hi_u32 s52, s76, s75
	s_mul_hi_u32 s82, s77, s75
	s_mul_i32 s75, s77, s75
	s_wait_alu 0xfffe
	s_add_nc_u64 s[78:79], s[52:53], s[78:79]
	s_mul_hi_u32 s81, s77, s80
	s_wait_alu 0xfffe
	s_add_co_u32 s52, s78, s75
	s_add_co_ci_u32 s52, s79, s82
	s_mul_i32 s80, s77, s80
	s_add_co_ci_u32 s81, s81, 0
	s_wait_alu 0xfffe
	s_add_nc_u64 s[78:79], s[52:53], s[80:81]
	s_wait_alu 0xfffe
	s_mul_u64 s[78:79], s[12:13], s[78:79]
	s_wait_alu 0xfffe
	s_sub_co_u32 s52, s76, s78
	s_cselect_b32 s75, -1, 0
	s_sub_co_i32 s76, s77, s79
	s_wait_alu 0xfffe
	s_cmp_lg_u32 s75, 0
	s_sub_co_ci_u32 s76, s76, s13
	s_sub_co_u32 s78, s52, s12
	s_cselect_b32 s80, -1, 0
	s_wait_alu 0xfffe
	s_cmp_lg_u32 s80, 0
	s_sub_co_ci_u32 s81, s76, 0
	s_wait_alu 0xfffe
	s_cmp_ge_u32 s81, s13
	s_cselect_b32 s82, -1, 0
	s_cmp_ge_u32 s78, s12
	s_cselect_b32 s83, -1, 0
	s_cmp_eq_u32 s81, s13
	s_wait_alu 0xfffe
	s_cselect_b32 s82, s83, s82
	s_cmp_lg_u32 s80, 0
	s_sub_co_ci_u32 s76, s76, s13
	s_sub_co_u32 s80, s78, s12
	s_cselect_b32 s83, -1, 0
	s_wait_alu 0xfffe
	s_cmp_lg_u32 s83, 0
	s_sub_co_ci_u32 s76, s76, 0
	s_cmp_lg_u32 s82, 0
	s_cselect_b32 s78, s80, s78
	s_wait_alu 0xfffe
	s_cselect_b32 s76, s76, s81
	s_cmp_lg_u32 s75, 0
	s_sub_co_ci_u32 s75, s77, s79
	s_wait_alu 0xfffe
	s_cmp_ge_u32 s75, s13
	s_cselect_b32 s77, -1, 0
	s_cmp_ge_u32 s52, s12
	s_cselect_b32 s12, -1, 0
	s_cmp_eq_u32 s75, s13
	s_wait_alu 0xfffe
	s_cselect_b32 s12, s12, s77
	s_wait_alu 0xfffe
	s_cmp_lg_u32 s12, 0
	s_cselect_b32 s13, s76, s75
	s_cselect_b32 s12, s78, s52
	s_wait_alu 0xfffe
	s_xor_b64 s[12:13], s[12:13], s[72:73]
	s_wait_alu 0xfffe
	s_sub_nc_u64 s[12:13], s[12:13], s[72:73]
	s_cbranch_execnz .LBB63_269
.LBB63_268:                             ;   in Loop: Header=BB63_32 Depth=1
	v_cvt_f32_u32_e32 v4, s50
	s_sub_co_i32 s13, 0, s50
	s_delay_alu instid0(VALU_DEP_1) | instskip(NEXT) | instid1(TRANS32_DEP_1)
	v_rcp_iflag_f32_e32 v4, v4
	v_mul_f32_e32 v4, 0x4f7ffffe, v4
	s_delay_alu instid0(VALU_DEP_1) | instskip(NEXT) | instid1(VALU_DEP_1)
	v_cvt_u32_f32_e32 v4, v4
	v_readfirstlane_b32 s12, v4
	s_wait_alu 0xfffe
	s_mul_i32 s13, s13, s12
	s_wait_alu 0xfffe
	s_mul_hi_u32 s13, s12, s13
	s_wait_alu 0xfffe
	s_add_co_i32 s12, s12, s13
	s_wait_alu 0xfffe
	s_mul_hi_u32 s12, s6, s12
	s_wait_alu 0xfffe
	s_mul_i32 s12, s12, s50
	s_wait_alu 0xfffe
	s_sub_co_i32 s12, s6, s12
	s_wait_alu 0xfffe
	s_sub_co_i32 s13, s12, s50
	s_cmp_ge_u32 s12, s50
	s_wait_alu 0xfffe
	s_cselect_b32 s12, s13, s12
	s_wait_alu 0xfffe
	s_sub_co_i32 s13, s12, s50
	s_cmp_ge_u32 s12, s50
	s_wait_alu 0xfffe
	s_cselect_b32 s52, s13, s12
	s_wait_alu 0xfffe
	s_mov_b64 s[12:13], s[52:53]
.LBB63_269:                             ;   in Loop: Header=BB63_32 Depth=1
	s_wait_alu 0xfffe
	s_sub_nc_u64 s[6:7], s[6:7], s[12:13]
	s_mov_b32 s12, exec_lo
                                        ; implicit-def: $vgpr54
	s_wait_alu 0xfffe
	v_cmpx_gt_i64_e64 s[6:7], v[0:1]
	s_cbranch_execz .LBB63_279
; %bb.270:                              ;   in Loop: Header=BB63_32 Depth=1
	v_dual_mov_b32 v8, v42 :: v_dual_mov_b32 v5, v1
	v_mov_b32_e32 v4, v0
	s_mov_b32 s13, 0
                                        ; implicit-def: $sgpr52
	s_branch .LBB63_274
.LBB63_271:                             ;   in Loop: Header=BB63_274 Depth=2
	s_wait_alu 0xfffe
	s_or_b32 exec_lo, exec_lo, s72
	s_wait_loadcnt_dscnt 0x0
	s_barrier_signal -1
	s_barrier_wait -1
	global_inv scope:SCOPE_SE
	ds_load_b32 v9, v3 offset:3072
	s_wait_loadcnt_dscnt 0x0
	s_barrier_signal -1
	s_barrier_wait -1
	global_inv scope:SCOPE_SE
	v_cmp_eq_f16_e32 vcc_lo, 0, v9
	s_cbranch_vccz .LBB63_277
; %bb.272:                              ;   in Loop: Header=BB63_274 Depth=2
	v_add_co_u32 v4, vcc_lo, v4, s50
	s_wait_alu 0xfffd
	v_add_co_ci_u32_e64 v5, null, 0, v5, vcc_lo
	v_add_nc_u32_e32 v8, s94, v8
	s_mov_b32 s72, 0
	s_delay_alu instid0(VALU_DEP_2)
	v_cmp_le_i64_e32 vcc_lo, s[6:7], v[4:5]
	s_or_not1_b32 s73, vcc_lo, exec_lo
.LBB63_273:                             ;   in Loop: Header=BB63_274 Depth=2
	s_wait_alu 0xfffe
	s_and_b32 s73, exec_lo, s73
	s_wait_alu 0xfffe
	s_or_b32 s13, s73, s13
	s_and_not1_b32 s52, s52, exec_lo
	s_and_b32 s72, s72, exec_lo
	s_wait_alu 0xfffe
	s_or_b32 s52, s52, s72
	s_and_not1_b32 exec_lo, exec_lo, s13
	s_cbranch_execz .LBB63_278
.LBB63_274:                             ;   Parent Loop BB63_32 Depth=1
                                        ; =>  This Inner Loop Header: Depth=2
	s_mov_b32 s72, exec_lo
	s_delay_alu instid0(VALU_DEP_1)
	v_cmpx_gt_u64_e64 s[10:11], v[4:5]
	s_cbranch_execz .LBB63_271
; %bb.275:                              ;   in Loop: Header=BB63_274 Depth=2
	ds_load_u16 v9, v8
	s_wait_dscnt 0x0
	v_cmp_lt_i16_e32 vcc_lo, -1, v9
	s_wait_alu 0xfffd
	v_dual_cndmask_b32 v11, 0xffff, v52 :: v_dual_and_b32 v10, 0xffff, v9
	v_cmp_o_f16_e32 vcc_lo, v9, v9
	s_delay_alu instid0(VALU_DEP_2) | instskip(SKIP_1) | instid1(VALU_DEP_1)
	v_xor_b32_e32 v10, v11, v10
	s_wait_alu 0xfffd
	v_cndmask_b32_e32 v10, 0xffff, v10, vcc_lo
	s_delay_alu instid0(VALU_DEP_1) | instskip(NEXT) | instid1(VALU_DEP_1)
	v_and_b32_e32 v10, v10, v53
	v_cmp_eq_u32_e32 vcc_lo, v10, v47
	s_and_b32 exec_lo, exec_lo, vcc_lo
	s_cbranch_execz .LBB63_271
; %bb.276:                              ;   in Loop: Header=BB63_274 Depth=2
	v_perm_b32 v9, v9, s95, 0x5040100
	ds_store_b32 v3, v9 offset:3072
	s_branch .LBB63_271
.LBB63_277:                             ;   in Loop: Header=BB63_274 Depth=2
	s_mov_b32 s73, -1
	s_mov_b32 s72, -1
                                        ; implicit-def: $vgpr4_vgpr5
                                        ; implicit-def: $vgpr8
	s_branch .LBB63_273
.LBB63_278:                             ;   in Loop: Header=BB63_32 Depth=1
	s_or_b32 exec_lo, exec_lo, s13
	v_lshrrev_b32_e32 v54, 16, v9
	s_and_not1_b32 s6, s74, exec_lo
	s_wait_alu 0xfffe
	s_and_b32 s7, s52, exec_lo
	s_wait_alu 0xfffe
	s_or_b32 s74, s6, s7
.LBB63_279:                             ;   in Loop: Header=BB63_32 Depth=1
	s_or_b32 exec_lo, exec_lo, s12
	s_mov_b32 s72, 0
	s_mov_b32 s73, -1
.LBB63_280:                             ;   in Loop: Header=BB63_32 Depth=1
	s_wait_alu 0xfffe
	s_or_not1_b32 s7, s74, exec_lo
.LBB63_281:                             ;   in Loop: Header=BB63_32 Depth=1
	s_wait_alu 0xfffe
	s_or_b32 exec_lo, exec_lo, s71
	s_mov_b32 s10, 0
	s_and_saveexec_b32 s6, s7
	s_cbranch_execz .LBB63_292
; %bb.282:                              ;   in Loop: Header=BB63_32 Depth=1
	v_mov_b32_e32 v4, 1
	v_dual_mov_b32 v5, 0 :: v_dual_mov_b32 v2, 1
	s_xor_b32 s10, s20, -1
	s_wait_alu 0xfffe
	s_and_saveexec_b32 s7, s10
	s_cbranch_execz .LBB63_291
; %bb.283:                              ;   in Loop: Header=BB63_32 Depth=1
	s_mov_b32 s10, exec_lo
	v_cmpx_ge_i64_e64 s[8:9], v[6:7]
	s_wait_alu 0xfffe
	s_xor_b32 s10, exec_lo, s10
	s_cbranch_execz .LBB63_288
; %bb.284:                              ;   in Loop: Header=BB63_32 Depth=1
	ds_load_b64 v[4:5], v3 offset:5120
	v_or_b32_e32 v47, s16, v47
	v_or_b32_e32 v53, s16, v53
	s_wait_dscnt 0x0
	v_cmp_ne_u64_e32 vcc_lo, 0, v[4:5]
	s_cbranch_vccnz .LBB63_288
; %bb.285:                              ;   in Loop: Header=BB63_32 Depth=1
	s_and_saveexec_b32 s11, s2
; %bb.286:                              ;   in Loop: Header=BB63_32 Depth=1
	v_dual_mov_b32 v4, s8 :: v_dual_mov_b32 v5, s9
	ds_store_b64 v3, v[4:5] offset:5128
; %bb.287:                              ;   in Loop: Header=BB63_32 Depth=1
	s_wait_alu 0xfffe
	s_or_b32 exec_lo, exec_lo, s11
	s_wait_loadcnt_dscnt 0x0
	s_barrier_signal -1
	s_barrier_wait -1
	global_inv scope:SCOPE_SE
.LBB63_288:                             ;   in Loop: Header=BB63_32 Depth=1
	s_wait_alu 0xfffe
	s_and_not1_saveexec_b32 s10, s10
; %bb.289:                              ;   in Loop: Header=BB63_32 Depth=1
	v_sub_co_u32 v6, vcc_lo, v6, s8
	s_wait_alu 0xfffd
	v_subrev_co_ci_u32_e64 v7, null, s9, v7, vcc_lo
; %bb.290:                              ;   in Loop: Header=BB63_32 Depth=1
	s_wait_alu 0xfffe
	s_or_b32 exec_lo, exec_lo, s10
	v_mov_b32_e32 v4, v6
	s_delay_alu instid0(VALU_DEP_2)
	v_dual_mov_b32 v2, 8 :: v_dual_mov_b32 v5, v7
.LBB63_291:                             ;   in Loop: Header=BB63_32 Depth=1
	s_wait_alu 0xfffe
	s_or_b32 exec_lo, exec_lo, s7
	s_delay_alu instid0(VALU_DEP_1)
	v_dual_mov_b32 v7, v5 :: v_dual_mov_b32 v6, v4
	s_mov_b32 s10, exec_lo
.LBB63_292:                             ;   in Loop: Header=BB63_32 Depth=1
	s_wait_alu 0xfffe
	s_or_b32 exec_lo, exec_lo, s6
	s_delay_alu instid0(SALU_CYCLE_1)
	s_or_not1_b32 s6, s10, exec_lo
.LBB63_293:                             ;   in Loop: Header=BB63_32 Depth=1
	s_wait_alu 0xfffe
	s_or_b32 exec_lo, exec_lo, s15
	v_dual_mov_b32 v4, v6 :: v_dual_mov_b32 v5, v7
	s_and_not1_b32 s7, s70, exec_lo
	s_and_b32 s8, s73, exec_lo
	s_and_not1_b32 s9, s25, exec_lo
	s_and_b32 s10, s72, exec_lo
	s_wait_alu 0xfffe
	s_or_b32 s70, s7, s8
	s_or_b32 s25, s9, s10
	s_and_b32 s7, s6, exec_lo
.LBB63_294:                             ;   in Loop: Header=BB63_32 Depth=1
	s_wait_alu 0xfffe
	s_or_b32 exec_lo, exec_lo, s14
	s_delay_alu instid0(SALU_CYCLE_1)
	s_or_not1_b32 s6, s7, exec_lo
.LBB63_295:                             ;   in Loop: Header=BB63_32 Depth=1
	s_wait_alu 0xfffe
	s_or_b32 exec_lo, exec_lo, s24
	v_dual_mov_b32 v9, v5 :: v_dual_mov_b32 v8, v4
	s_and_not1_b32 s7, s22, exec_lo
	s_and_b32 s8, s70, exec_lo
	s_and_not1_b32 s9, s21, exec_lo
	s_and_b32 s10, s25, exec_lo
	s_wait_alu 0xfffe
	s_or_b32 s22, s7, s8
	s_or_b32 s21, s9, s10
	s_and_b32 s7, s6, exec_lo
.LBB63_296:                             ;   in Loop: Header=BB63_32 Depth=1
	s_wait_alu 0xfffe
	s_or_b32 exec_lo, exec_lo, s23
	s_delay_alu instid0(SALU_CYCLE_1)
	s_or_not1_b32 s6, s7, exec_lo
.LBB63_297:                             ;   in Loop: Header=BB63_32 Depth=1
	s_or_b32 exec_lo, exec_lo, s19
	s_mov_b32 s7, 0
	s_wait_alu 0xfffe
	s_and_saveexec_b32 s8, s6
	s_wait_alu 0xfffe
	s_xor_b32 s6, exec_lo, s8
	s_cbranch_execz .LBB63_30
; %bb.298:                              ;   in Loop: Header=BB63_32 Depth=1
	v_and_b32_e32 v2, 7, v2
	s_mov_b32 s8, -1
	s_mov_b32 s7, -1
	s_mov_b32 s9, exec_lo
	s_delay_alu instid0(VALU_DEP_1)
	v_cmpx_eq_u32_e32 0, v2
	s_cbranch_execz .LBB63_29
; %bb.299:                              ;   in Loop: Header=BB63_32 Depth=1
	s_xor_b32 s98, s98, 1
	s_add_co_i32 s10, s96, -2
	s_cmp_eq_u32 s96, 0
	s_wait_alu 0xfffe
	s_mov_b32 s96, s10
	s_cselect_b32 s8, -1, 0
	s_xor_b32 s7, exec_lo, -1
	s_wait_alu 0xfffe
	s_or_not1_b32 s8, s8, exec_lo
	s_branch .LBB63_29
.LBB63_300:                             ;   in Loop: Header=BB63_32 Depth=1
                                        ; implicit-def: $sgpr6_sgpr7
	s_branch .LBB63_251
.LBB63_301:                             ;   in Loop: Header=BB63_32 Depth=1
                                        ; implicit-def: $sgpr12_sgpr13
	s_branch .LBB63_268
.LBB63_302:
	s_or_b32 exec_lo, exec_lo, s97
	s_xor_b32 s5, s104, -1
	s_xor_b32 s1, s102, -1
	;; [unrolled: 1-line block ×3, first 2 shown]
	s_mov_b32 s3, 0
	s_and_saveexec_b32 s6, s1
	s_wait_alu 0xfffe
	s_xor_b32 s1, exec_lo, s6
	s_cbranch_execnz .LBB63_307
; %bb.303:
	s_and_not1_saveexec_b32 s0, s1
	s_cbranch_execnz .LBB63_329
.LBB63_304:
	s_wait_alu 0xfffe
	s_or_b32 exec_lo, exec_lo, s0
	s_and_saveexec_b32 s0, s3
.LBB63_305:
	; divergent unreachable
.LBB63_306:
	s_endpgm
.LBB63_307:
	s_and_saveexec_b32 s3, s5
	s_wait_alu 0xfffe
	s_xor_b32 s3, exec_lo, s3
	s_cbranch_execz .LBB63_327
; %bb.308:
	s_and_saveexec_b32 s5, s4
	s_wait_alu 0xfffe
	s_xor_b32 s4, exec_lo, s5
; %bb.309:
	v_and_b32_e32 v2, 0x8000, v47
	v_mov_b32_e32 v3, 0xffff
	s_delay_alu instid0(VALU_DEP_2) | instskip(SKIP_1) | instid1(VALU_DEP_2)
	v_cmp_eq_u32_e32 vcc_lo, 0, v2
	s_wait_alu 0xfffd
	v_cndmask_b32_e32 v2, 0x8000, v3, vcc_lo
	s_delay_alu instid0(VALU_DEP_1)
	v_xor_b32_e32 v54, v2, v47
; %bb.310:
	s_wait_alu 0xfffe
	s_or_b32 exec_lo, exec_lo, s4
	s_and_saveexec_b32 s4, s2
; %bb.311:
	v_dual_mov_b32 v2, 0 :: v_dual_mov_b32 v3, s36
	ds_store_b32 v2, v3 offset:5140
; %bb.312:
	s_wait_alu 0xfffe
	s_or_b32 exec_lo, exec_lo, s4
	s_wait_loadcnt_dscnt 0x0
	s_barrier_signal -1
	s_barrier_wait -1
	global_inv scope:SCOPE_SE
	s_and_saveexec_b32 s4, s0
	s_cbranch_execz .LBB63_324
; %bb.313:
	v_mov_b32_e32 v2, 0
	v_cmp_u_f16_e32 vcc_lo, v54, v54
	s_mov_b32 s5, 0
                                        ; implicit-def: $sgpr7
                                        ; implicit-def: $sgpr8
                                        ; implicit-def: $sgpr9
	ds_load_b32 v4, v2 offset:5140
	s_xor_b32 s6, vcc_lo, -1
	s_wait_dscnt 0x0
	v_ashrrev_i32_e32 v5, 31, v4
	s_branch .LBB63_316
.LBB63_314:                             ;   in Loop: Header=BB63_316 Depth=1
	s_wait_alu 0xfffe
	s_or_b32 exec_lo, exec_lo, s13
	s_delay_alu instid0(SALU_CYCLE_1)
	s_and_not1_b32 s0, s9, exec_lo
	s_and_b32 s9, s11, exec_lo
	s_and_not1_b32 s8, s8, exec_lo
	s_and_b32 s11, s12, exec_lo
	s_wait_alu 0xfffe
	s_or_b32 s9, s0, s9
	s_or_b32 s8, s8, s11
.LBB63_315:                             ;   in Loop: Header=BB63_316 Depth=1
	s_wait_alu 0xfffe
	s_or_b32 exec_lo, exec_lo, s10
	s_delay_alu instid0(SALU_CYCLE_1)
	s_and_b32 s0, exec_lo, s8
	s_wait_alu 0xfffe
	s_or_b32 s5, s0, s5
	s_and_not1_b32 s0, s7, exec_lo
	s_and_b32 s7, s9, exec_lo
	s_wait_alu 0xfffe
	s_or_b32 s7, s0, s7
	s_and_not1_b32 exec_lo, exec_lo, s5
	s_cbranch_execz .LBB63_319
.LBB63_316:                             ; =>This Inner Loop Header: Depth=1
	v_dual_mov_b32 v3, v1 :: v_dual_mov_b32 v2, v0
	s_or_b32 s9, s9, exec_lo
	s_or_b32 s8, s8, exec_lo
	s_mov_b32 s10, exec_lo
                                        ; implicit-def: $vgpr0_vgpr1
	s_delay_alu instid0(VALU_DEP_1)
	v_cmpx_lt_i64_e64 v[2:3], v[4:5]
	s_cbranch_execz .LBB63_315
; %bb.317:                              ;   in Loop: Header=BB63_316 Depth=1
	global_load_u16 v0, v[12:13], off
	s_mov_b32 s12, -1
	s_wait_loadcnt 0x0
	v_cmp_o_f16_e32 vcc_lo, v0, v0
	v_cmp_neq_f16_e64 s0, v0, v54
                                        ; implicit-def: $vgpr0_vgpr1
	s_wait_alu 0xfffe
	s_or_b32 s11, s6, vcc_lo
	s_wait_alu 0xfffe
	s_and_b32 s0, s0, s11
	s_mov_b32 s11, 0
	s_wait_alu 0xfffe
	s_and_saveexec_b32 s13, s0
	s_cbranch_execz .LBB63_314
; %bb.318:                              ;   in Loop: Header=BB63_316 Depth=1
	v_add_co_u32 v0, vcc_lo, v2, s50
	s_wait_alu 0xfffd
	v_add_co_ci_u32_e64 v1, null, 0, v3, vcc_lo
	v_add_co_u32 v12, s0, v12, s54
	s_wait_alu 0xf1ff
	v_add_co_ci_u32_e64 v13, null, s55, v13, s0
	s_delay_alu instid0(VALU_DEP_3)
	v_cmp_le_i64_e32 vcc_lo, s[36:37], v[0:1]
	s_mov_b32 s11, exec_lo
	s_or_not1_b32 s12, vcc_lo, exec_lo
	s_branch .LBB63_314
.LBB63_319:
	s_or_b32 exec_lo, exec_lo, s5
	s_wait_alu 0xfffe
	s_xor_b32 s0, s7, -1
	s_wait_alu 0xfffe
	s_and_saveexec_b32 s5, s0
	s_wait_alu 0xfffe
	s_xor_b32 s5, exec_lo, s5
	s_cbranch_execz .LBB63_324
; %bb.320:
	s_mov_b32 s5, exec_lo
	s_brev_b32 s0, -2
.LBB63_321:                             ; =>This Inner Loop Header: Depth=1
	s_wait_alu 0xfffe
	s_ctz_i32_b32 s6, s5
	s_wait_alu 0xfffe
	v_readlane_b32 s7, v2, s6
	s_lshl_b32 s6, 1, s6
	s_wait_alu 0xfffe
	s_and_not1_b32 s5, s5, s6
	s_min_i32 s0, s0, s7
	s_wait_alu 0xfffe
	s_cmp_lg_u32 s5, 0
	s_cbranch_scc1 .LBB63_321
; %bb.322:
	v_mbcnt_lo_u32_b32 v0, exec_lo, 0
	s_mov_b32 s5, exec_lo
	s_delay_alu instid0(VALU_DEP_1)
	v_cmpx_eq_u32_e32 0, v0
	s_wait_alu 0xfffe
	s_xor_b32 s5, exec_lo, s5
; %bb.323:
	v_dual_mov_b32 v0, 0 :: v_dual_mov_b32 v1, s0
	ds_min_i32 v0, v1 offset:5140
.LBB63_324:
	s_wait_alu 0xfffe
	s_or_b32 exec_lo, exec_lo, s4
	s_wait_loadcnt_dscnt 0x0
	s_barrier_signal -1
	s_barrier_wait -1
	global_inv scope:SCOPE_SE
	s_and_saveexec_b32 s0, s2
	s_cbranch_execz .LBB63_326
; %bb.325:
	v_mov_b32_e32 v2, 0
	s_mul_u64 s[6:7], s[48:49], s[34:35]
	s_mul_u64 s[4:5], s[40:41], s[28:29]
	s_wait_alu 0xfffe
	s_lshl_b64 s[6:7], s[6:7], 3
	s_lshl_b64 s[4:5], s[4:5], 1
	ds_load_b32 v0, v2 offset:5140
	s_lshl_b64 s[10:11], s[30:31], 3
	s_wait_alu 0xfffe
	s_add_nc_u64 s[6:7], s[46:47], s[6:7]
	s_lshl_b64 s[8:9], s[26:27], 1
	s_add_nc_u64 s[4:5], s[44:45], s[4:5]
	s_wait_alu 0xfffe
	s_add_nc_u64 s[6:7], s[6:7], s[10:11]
	s_add_nc_u64 s[4:5], s[4:5], s[8:9]
	s_wait_dscnt 0x0
	v_ashrrev_i32_e32 v1, 31, v0
	s_clause 0x1
	global_store_b64 v2, v[0:1], s[6:7]
	global_store_b16 v2, v54, s[4:5]
.LBB63_326:
	s_wait_alu 0xfffe
	s_or_b32 exec_lo, exec_lo, s0
.LBB63_327:
	s_wait_alu 0xfffe
	s_or_saveexec_b32 s0, s3
	s_mov_b32 s2, 0
	s_wait_alu 0xfffe
	s_xor_b32 exec_lo, exec_lo, s0
	s_cbranch_execnz .LBB63_330
.LBB63_328:
	s_or_b32 exec_lo, exec_lo, s0
	s_wait_alu 0xfffe
	s_and_b32 s3, s2, exec_lo
	s_and_not1_saveexec_b32 s0, s1
	s_cbranch_execz .LBB63_304
.LBB63_329:
	s_wait_alu 0xfffe
	s_or_b32 s3, s3, exec_lo
	s_trap 2
	s_or_b32 exec_lo, exec_lo, s0
	s_wait_alu 0xfffe
	s_and_saveexec_b32 s0, s3
	s_cbranch_execnz .LBB63_305
	s_branch .LBB63_306
.LBB63_330:
	s_mov_b32 s2, exec_lo
	s_trap 2
	s_branch .LBB63_328
	.section	.rodata,"a",@progbits
	.p2align	6, 0x0
	.amdhsa_kernel _ZN2at6native12_GLOBAL__N_114gatherKthValueIN3c104HalfElLin1EEEvNS_4cuda6detail10TensorInfoIKT_T0_EESA_SA_SA_SA_NS7_IS8_SA_EENS7_IlSA_EE
		.amdhsa_group_segment_fixed_size 5144
		.amdhsa_private_segment_fixed_size 0
		.amdhsa_kernarg_size 1536
		.amdhsa_user_sgpr_count 2
		.amdhsa_user_sgpr_dispatch_ptr 0
		.amdhsa_user_sgpr_queue_ptr 0
		.amdhsa_user_sgpr_kernarg_segment_ptr 1
		.amdhsa_user_sgpr_dispatch_id 0
		.amdhsa_user_sgpr_private_segment_size 0
		.amdhsa_wavefront_size32 1
		.amdhsa_uses_dynamic_stack 0
		.amdhsa_enable_private_segment 0
		.amdhsa_system_sgpr_workgroup_id_x 1
		.amdhsa_system_sgpr_workgroup_id_y 1
		.amdhsa_system_sgpr_workgroup_id_z 1
		.amdhsa_system_sgpr_workgroup_info 0
		.amdhsa_system_vgpr_workitem_id 0
		.amdhsa_next_free_vgpr 65
		.amdhsa_next_free_sgpr 105
		.amdhsa_reserve_vcc 1
		.amdhsa_float_round_mode_32 0
		.amdhsa_float_round_mode_16_64 0
		.amdhsa_float_denorm_mode_32 3
		.amdhsa_float_denorm_mode_16_64 3
		.amdhsa_fp16_overflow 0
		.amdhsa_workgroup_processor_mode 1
		.amdhsa_memory_ordered 1
		.amdhsa_forward_progress 1
		.amdhsa_inst_pref_size 179
		.amdhsa_round_robin_scheduling 0
		.amdhsa_exception_fp_ieee_invalid_op 0
		.amdhsa_exception_fp_denorm_src 0
		.amdhsa_exception_fp_ieee_div_zero 0
		.amdhsa_exception_fp_ieee_overflow 0
		.amdhsa_exception_fp_ieee_underflow 0
		.amdhsa_exception_fp_ieee_inexact 0
		.amdhsa_exception_int_div_zero 0
	.end_amdhsa_kernel
	.section	.text._ZN2at6native12_GLOBAL__N_114gatherKthValueIN3c104HalfElLin1EEEvNS_4cuda6detail10TensorInfoIKT_T0_EESA_SA_SA_SA_NS7_IS8_SA_EENS7_IlSA_EE,"axG",@progbits,_ZN2at6native12_GLOBAL__N_114gatherKthValueIN3c104HalfElLin1EEEvNS_4cuda6detail10TensorInfoIKT_T0_EESA_SA_SA_SA_NS7_IS8_SA_EENS7_IlSA_EE,comdat
.Lfunc_end63:
	.size	_ZN2at6native12_GLOBAL__N_114gatherKthValueIN3c104HalfElLin1EEEvNS_4cuda6detail10TensorInfoIKT_T0_EESA_SA_SA_SA_NS7_IS8_SA_EENS7_IlSA_EE, .Lfunc_end63-_ZN2at6native12_GLOBAL__N_114gatherKthValueIN3c104HalfElLin1EEEvNS_4cuda6detail10TensorInfoIKT_T0_EESA_SA_SA_SA_NS7_IS8_SA_EENS7_IlSA_EE
                                        ; -- End function
	.set _ZN2at6native12_GLOBAL__N_114gatherKthValueIN3c104HalfElLin1EEEvNS_4cuda6detail10TensorInfoIKT_T0_EESA_SA_SA_SA_NS7_IS8_SA_EENS7_IlSA_EE.num_vgpr, 65
	.set _ZN2at6native12_GLOBAL__N_114gatherKthValueIN3c104HalfElLin1EEEvNS_4cuda6detail10TensorInfoIKT_T0_EESA_SA_SA_SA_NS7_IS8_SA_EENS7_IlSA_EE.num_agpr, 0
	.set _ZN2at6native12_GLOBAL__N_114gatherKthValueIN3c104HalfElLin1EEEvNS_4cuda6detail10TensorInfoIKT_T0_EESA_SA_SA_SA_NS7_IS8_SA_EENS7_IlSA_EE.numbered_sgpr, 105
	.set _ZN2at6native12_GLOBAL__N_114gatherKthValueIN3c104HalfElLin1EEEvNS_4cuda6detail10TensorInfoIKT_T0_EESA_SA_SA_SA_NS7_IS8_SA_EENS7_IlSA_EE.num_named_barrier, 0
	.set _ZN2at6native12_GLOBAL__N_114gatherKthValueIN3c104HalfElLin1EEEvNS_4cuda6detail10TensorInfoIKT_T0_EESA_SA_SA_SA_NS7_IS8_SA_EENS7_IlSA_EE.private_seg_size, 0
	.set _ZN2at6native12_GLOBAL__N_114gatherKthValueIN3c104HalfElLin1EEEvNS_4cuda6detail10TensorInfoIKT_T0_EESA_SA_SA_SA_NS7_IS8_SA_EENS7_IlSA_EE.uses_vcc, 1
	.set _ZN2at6native12_GLOBAL__N_114gatherKthValueIN3c104HalfElLin1EEEvNS_4cuda6detail10TensorInfoIKT_T0_EESA_SA_SA_SA_NS7_IS8_SA_EENS7_IlSA_EE.uses_flat_scratch, 0
	.set _ZN2at6native12_GLOBAL__N_114gatherKthValueIN3c104HalfElLin1EEEvNS_4cuda6detail10TensorInfoIKT_T0_EESA_SA_SA_SA_NS7_IS8_SA_EENS7_IlSA_EE.has_dyn_sized_stack, 0
	.set _ZN2at6native12_GLOBAL__N_114gatherKthValueIN3c104HalfElLin1EEEvNS_4cuda6detail10TensorInfoIKT_T0_EESA_SA_SA_SA_NS7_IS8_SA_EENS7_IlSA_EE.has_recursion, 0
	.set _ZN2at6native12_GLOBAL__N_114gatherKthValueIN3c104HalfElLin1EEEvNS_4cuda6detail10TensorInfoIKT_T0_EESA_SA_SA_SA_NS7_IS8_SA_EENS7_IlSA_EE.has_indirect_call, 0
	.section	.AMDGPU.csdata,"",@progbits
; Kernel info:
; codeLenInByte = 22884
; TotalNumSgprs: 107
; NumVgprs: 65
; ScratchSize: 0
; MemoryBound: 0
; FloatMode: 240
; IeeeMode: 1
; LDSByteSize: 5144 bytes/workgroup (compile time only)
; SGPRBlocks: 0
; VGPRBlocks: 8
; NumSGPRsForWavesPerEU: 107
; NumVGPRsForWavesPerEU: 65
; Occupancy: 16
; WaveLimiterHint : 1
; COMPUTE_PGM_RSRC2:SCRATCH_EN: 0
; COMPUTE_PGM_RSRC2:USER_SGPR: 2
; COMPUTE_PGM_RSRC2:TRAP_HANDLER: 0
; COMPUTE_PGM_RSRC2:TGID_X_EN: 1
; COMPUTE_PGM_RSRC2:TGID_Y_EN: 1
; COMPUTE_PGM_RSRC2:TGID_Z_EN: 1
; COMPUTE_PGM_RSRC2:TIDIG_COMP_CNT: 0
	.section	.text._ZN2at6native12_GLOBAL__N_114gatherKthValueIN3c108BFloat16EiLi1EEEvNS_4cuda6detail10TensorInfoIKT_T0_EESA_SA_SA_SA_NS7_IS8_SA_EENS7_IlSA_EE,"axG",@progbits,_ZN2at6native12_GLOBAL__N_114gatherKthValueIN3c108BFloat16EiLi1EEEvNS_4cuda6detail10TensorInfoIKT_T0_EESA_SA_SA_SA_NS7_IS8_SA_EENS7_IlSA_EE,comdat
	.globl	_ZN2at6native12_GLOBAL__N_114gatherKthValueIN3c108BFloat16EiLi1EEEvNS_4cuda6detail10TensorInfoIKT_T0_EESA_SA_SA_SA_NS7_IS8_SA_EENS7_IlSA_EE ; -- Begin function _ZN2at6native12_GLOBAL__N_114gatherKthValueIN3c108BFloat16EiLi1EEEvNS_4cuda6detail10TensorInfoIKT_T0_EESA_SA_SA_SA_NS7_IS8_SA_EENS7_IlSA_EE
	.p2align	8
	.type	_ZN2at6native12_GLOBAL__N_114gatherKthValueIN3c108BFloat16EiLi1EEEvNS_4cuda6detail10TensorInfoIKT_T0_EESA_SA_SA_SA_NS7_IS8_SA_EENS7_IlSA_EE,@function
_ZN2at6native12_GLOBAL__N_114gatherKthValueIN3c108BFloat16EiLi1EEEvNS_4cuda6detail10TensorInfoIKT_T0_EESA_SA_SA_SA_NS7_IS8_SA_EENS7_IlSA_EE: ; @_ZN2at6native12_GLOBAL__N_114gatherKthValueIN3c108BFloat16EiLi1EEEvNS_4cuda6detail10TensorInfoIKT_T0_EESA_SA_SA_SA_NS7_IS8_SA_EENS7_IlSA_EE
; %bb.0:
	s_clause 0x1
	s_load_b64 s[4:5], s[0:1], 0x298
	s_load_b128 s[36:39], s[0:1], 0xd8
	s_lshr_b32 s2, ttmp7, 16
	s_and_b32 s3, ttmp7, 0xffff
	s_wait_kmcnt 0x0
	s_mul_i32 s2, s5, s2
	s_delay_alu instid0(SALU_CYCLE_1) | instskip(NEXT) | instid1(SALU_CYCLE_1)
	s_add_co_i32 s2, s2, s3
	s_mul_i32 s29, s2, s4
	s_delay_alu instid0(SALU_CYCLE_1) | instskip(NEXT) | instid1(SALU_CYCLE_1)
	s_add_co_i32 s29, s29, ttmp9
	s_cmp_ge_i32 s29, s38
	s_cbranch_scc1 .LBB64_233
; %bb.1:
	s_clause 0x1
	s_load_b32 s3, s[0:1], 0x6c
	s_load_b64 s[6:7], s[0:1], 0x0
	v_cmp_eq_u32_e64 s2, 0, v0
	s_add_nc_u64 s[10:11], s[0:1], 0x298
	s_mov_b32 s41, 0
	s_and_saveexec_b32 s5, s2
; %bb.2:
	v_dual_mov_b32 v1, 0 :: v_dual_mov_b32 v2, s36
	s_delay_alu instid0(VALU_DEP_1)
	v_mov_b32_e32 v3, v1
	ds_store_b96 v1, v[1:3] offset:4096
; %bb.3:
	s_or_b32 exec_lo, exec_lo, s5
	s_wait_dscnt 0x0
	s_barrier_signal -1
	s_barrier_wait -1
	global_inv scope:SCOPE_SE
	s_load_b32 s5, s[10:11], 0xc
	v_mbcnt_lo_u32_b32 v15, -1, 0
	s_clause 0x3
	s_load_b32 s33, s[0:1], 0x22c
	s_load_b64 s[30:31], s[0:1], 0x1c0
	s_load_b32 s38, s[0:1], 0x154
	s_load_b64 s[34:35], s[0:1], 0xe8
	v_cmp_gt_u32_e32 vcc_lo, 32, v0
	s_wait_kmcnt 0x0
	s_mul_i32 s8, s3, s29
	v_dual_mov_b32 v7, 0 :: v_dual_lshlrev_b32 v16, 2, v0
	v_cmp_gt_i32_e64 s1, 4, v15
	s_ashr_i32 s9, s8, 31
	v_mul_lo_u32 v5, s39, v0
	s_lshl_b64 s[8:9], s[8:9], 1
	v_dual_mov_b32 v6, v7 :: v_dual_lshlrev_b32 v17, 1, v0
	s_and_b32 s51, vcc_lo, s1
	s_add_nc_u64 s[42:43], s[6:7], s[8:9]
	v_cmp_gt_u32_e64 s0, 2, v0
	s_delay_alu instid0(VALU_DEP_2) | instskip(NEXT) | instid1(VALU_DEP_4)
	v_dual_mov_b32 v33, s37 :: v_dual_add_nc_u32 v18, 0xc00, v17
	v_dual_mov_b32 v30, 0 :: v_dual_lshlrev_b32 v25, 2, v5
	s_and_b32 s50, s5, 0xffff
	s_bfe_u32 s3, s5, 0xb0005
	s_lshl_b32 s52, s50, 2
	s_add_co_i32 s53, s50, -1
	s_cvt_f32_u32 s1, s52
	s_add_co_i32 s62, s53, s36
	s_cmp_gt_i32 s36, 0x600
	s_cvt_f32_u32 s12, s50
	v_rcp_iflag_f32_e32 v1, s1
	s_cselect_b32 s55, -1, 0
	s_cmp_gt_u32 s50, 31
	v_rcp_iflag_f32_e32 v4, s12
	s_cselect_b32 s56, -1, 0
	s_cmp_lt_u32 ttmp9, s4
	v_cmp_gt_u32_e64 s1, s36, v0
	s_cselect_b32 s40, 12, 18
	s_add_co_i32 s4, s3, -1
	s_bfe_u32 s57, s50, 0x30005
	v_readfirstlane_b32 s5, v1
	s_and_b32 s4, s4, 0xffff
	v_lshlrev_b64_e64 v[1:2], v15, -1
	s_cmp_gt_u32 s4, 6
	v_lshlrev_b64_e32 v[2:3], 1, v[5:6]
	s_mul_f32 s4, s5, 0x4f7ffffe
	s_cselect_b32 s58, -1, 0
	s_and_b32 s59, s3, 0x7f8
	s_cmp_lg_u32 s57, 0
	s_cvt_u32_f32 s5, s4
	s_cselect_b32 s60, -1, 0
	s_sub_co_i32 s4, 0, s52
	v_not_b32_e32 v20, v1
	s_mul_i32 s4, s4, s5
	v_add_co_u32 v8, vcc_lo, s42, v2
	s_mul_hi_u32 s13, s5, s4
	v_lshrrev_b32_e32 v2, 1, v0
	s_wait_alu 0xfffe
	s_add_co_i32 s44, s5, s13
	v_add_co_ci_u32_e64 v9, null, s43, v3, vcc_lo
	s_mul_hi_u32 s5, s36, s44
	v_or_b32_e32 v3, 3, v16
	s_mul_i32 s5, s5, s52
	v_cmp_gt_i32_e64 s3, s36, v0
	s_sub_co_i32 s5, s36, s5
	v_cmp_eq_u32_e64 s4, 0, v15
	s_sub_co_i32 s12, s5, s52
	s_cmp_ge_u32 s5, s52
	v_mul_lo_u32 v24, s39, v3
	s_wait_alu 0xfffe
	s_cselect_b32 s5, s12, s5
	v_readfirstlane_b32 s12, v4
	s_sub_co_i32 s13, s5, s52
	s_cmp_ge_u32 s5, s52
	v_mov_b32_e32 v32, 0
	s_wait_alu 0xfffe
	s_cselect_b32 s9, s13, s5
	s_mul_f32 s5, s12, 0x4f7ffffe
	s_sub_co_i32 s61, s36, s9
	s_sub_co_i32 s6, 0, s50
	v_add_nc_u32_e32 v19, s61, v0
	s_cvt_u32_f32 s5, s5
	s_abs_i32 s7, s62
	s_mov_b32 s12, s39
	v_dual_mov_b32 v22, 0 :: v_dual_lshlrev_b32 v27, 3, v0
	v_mul_lo_u32 v1, v19, s39
	s_mul_i32 s6, s6, s5
	s_wait_alu 0xfffe
	v_mad_co_u64_u32 v[12:13], null, s39, v16, s[12:13]
	s_mul_hi_u32 s6, s5, s6
	v_lshl_or_b32 v28, v15, 2, 0xc00
	s_add_co_i32 s46, s5, s6
	s_movk_i32 s5, 0x1f0
	s_mul_hi_u32 s6, s7, s46
	v_and_or_b32 v21, v2, s5, 0xc00
	v_ashrrev_i32_e32 v2, 31, v1
	s_mul_i32 s6, s6, s50
	v_mov_b32_e32 v29, 0x8000
	s_sub_co_i32 s5, s7, s6
	s_ashr_i32 s7, s62, 31
	v_lshlrev_b64_e32 v[1:2], 1, v[1:2]
	s_wait_alu 0xfffe
	s_sub_co_i32 s6, s5, s50
	s_cmp_ge_u32 s5, s50
	v_mov_b32_e32 v31, 0
	s_cselect_b32 s6, s6, s5
	v_cmp_gt_i32_e64 s5, s61, v16
	v_add_co_u32 v10, vcc_lo, s42, v1
	v_add3_u32 v1, s50, s36, v0
	s_sub_co_i32 s8, s6, s50
	s_cmp_ge_u32 s6, s50
	s_wait_alu 0xfffd
	v_add_co_ci_u32_e64 v11, null, s43, v2, vcc_lo
	s_cselect_b32 s8, s8, s6
	v_or_b32_e32 v2, 2, v16
	v_subrev_nc_u32_e32 v1, s9, v1
	s_xor_b32 s8, s8, s7
	v_cmp_gt_u32_e64 s6, s36, v19
	s_wait_alu 0xfffe
	s_sub_co_i32 s8, s7, s8
	v_mul_lo_u32 v23, s39, v2
	v_mul_lo_u32 v26, s39, v1
	s_wait_alu 0xfffe
	s_add_co_i32 s62, s62, s8
	v_cmp_gt_i32_e64 s7, s36, v19
	v_cmp_gt_i32_e64 s8, s62, v0
	s_mul_i32 s54, s39, s50
	s_mov_b32 s45, s41
	s_mov_b32 s47, s41
	s_lshl_b32 s63, s54, 2
	s_lshl_b32 s64, s50, 3
	;; [unrolled: 1-line block ×3, first 2 shown]
	s_mov_b32 s73, 14
	s_add_nc_u64 s[48:49], s[10:11], s[40:41]
	s_movk_i32 s66, 0x3f80
	s_mov_b32 s37, 0
                                        ; implicit-def: $sgpr70
                                        ; implicit-def: $sgpr72
                                        ; implicit-def: $sgpr67
                                        ; implicit-def: $sgpr69
                                        ; implicit-def: $sgpr71
                                        ; implicit-def: $sgpr68
	s_branch .LBB64_7
.LBB64_4:                               ;   in Loop: Header=BB64_7 Depth=1
	s_wait_alu 0xfffe
	s_or_b32 exec_lo, exec_lo, s13
	s_delay_alu instid0(SALU_CYCLE_1)
	s_and_b32 s10, s10, exec_lo
	s_and_not1_b32 s15, s15, exec_lo
	s_and_not1_b32 s14, s14, exec_lo
	s_or_not1_b32 s12, s12, exec_lo
.LBB64_5:                               ;   in Loop: Header=BB64_7 Depth=1
	s_wait_alu 0xfffe
	s_or_b32 exec_lo, exec_lo, s9
	s_delay_alu instid0(SALU_CYCLE_1)
	s_and_not1_b32 s9, s68, exec_lo
	s_and_b32 s10, s10, exec_lo
	s_and_not1_b32 s13, s69, exec_lo
	s_wait_alu 0xfffe
	s_or_b32 s68, s9, s10
	s_and_not1_b32 s9, s71, exec_lo
	s_and_b32 s10, s15, exec_lo
	s_and_b32 s14, s14, exec_lo
	s_wait_alu 0xfffe
	s_or_b32 s71, s9, s10
	s_or_b32 s69, s13, s14
	s_or_not1_b32 s13, s12, exec_lo
.LBB64_6:                               ;   in Loop: Header=BB64_7 Depth=1
	s_wait_alu 0xfffe
	s_or_b32 exec_lo, exec_lo, s11
	s_delay_alu instid0(SALU_CYCLE_1)
	s_and_b32 s9, exec_lo, s13
	v_mov_b32_e32 v33, v4
	s_wait_alu 0xfffe
	s_or_b32 s37, s9, s37
	s_and_not1_b32 s9, s67, exec_lo
	s_and_b32 s10, s68, exec_lo
	s_and_not1_b32 s11, s72, exec_lo
	s_wait_alu 0xfffe
	s_or_b32 s67, s9, s10
	s_and_b32 s9, s71, exec_lo
	s_and_not1_b32 s10, s70, exec_lo
	s_and_b32 s12, s69, exec_lo
	s_wait_alu 0xfffe
	s_or_b32 s72, s11, s9
	s_or_b32 s70, s10, s12
	s_mov_b32 s73, s21
	s_and_not1_b32 exec_lo, exec_lo, s37
	s_cbranch_execz .LBB64_229
.LBB64_7:                               ; =>This Loop Header: Depth=1
                                        ;     Child Loop BB64_12 Depth 2
                                        ;     Child Loop BB64_27 Depth 2
                                        ;     Child Loop BB64_59 Depth 2
                                        ;     Child Loop BB64_63 Depth 2
                                        ;     Child Loop BB64_48 Depth 2
                                        ;     Child Loop BB64_53 Depth 2
                                        ;     Child Loop BB64_42 Depth 2
                                        ;     Child Loop BB64_71 Depth 2
                                        ;     Child Loop BB64_81 Depth 2
                                        ;     Child Loop BB64_92 Depth 2
                                        ;     Child Loop BB64_118 Depth 2
                                        ;     Child Loop BB64_129 Depth 2
                                        ;     Child Loop BB64_155 Depth 2
                                        ;     Child Loop BB64_166 Depth 2
                                        ;     Child Loop BB64_192 Depth 2
                                        ;     Child Loop BB64_203 Depth 2
	ds_load_b64 v[1:2], v7 offset:4096
	s_wait_dscnt 0x0
	v_readfirstlane_b32 s40, v1
	s_cmp_gt_i32 s40, 0
	s_cbranch_scc1 .LBB64_34
; %bb.8:                                ;   in Loop: Header=BB64_7 Depth=1
	s_and_b32 vcc_lo, exec_lo, s55
	s_wait_alu 0xfffe
	s_cbranch_vccz .LBB64_20
; %bb.9:                                ;   in Loop: Header=BB64_7 Depth=1
	v_cmp_gt_i32_e32 vcc_lo, 0x601, v2
	s_mov_b32 s10, 0
	s_mov_b32 s9, 0
	s_cbranch_vccz .LBB64_21
; %bb.10:                               ;   in Loop: Header=BB64_7 Depth=1
	global_load_u16 v2, v[8:9], off
	s_load_u16 s11, s[48:49], 0x0
	s_mov_b32 s12, 0
	s_wait_kmcnt 0x0
	v_add_nc_u32_e32 v1, s11, v0
	s_mul_i32 s13, s39, s11
	s_delay_alu instid0(VALU_DEP_1)
	v_mul_lo_u32 v6, s39, v1
	v_mov_b32_e32 v1, v0
	s_branch .LBB64_12
.LBB64_11:                              ;   in Loop: Header=BB64_12 Depth=2
	s_wait_alu 0xfffe
	s_or_b32 exec_lo, exec_lo, s9
	v_cmp_le_i32_e32 vcc_lo, s36, v1
	v_add_nc_u32_e32 v6, s13, v6
	v_mov_b32_e32 v2, v3
	s_or_b32 s12, vcc_lo, s12
	s_wait_alu 0xfffe
	s_and_not1_b32 exec_lo, exec_lo, s12
	s_cbranch_execz .LBB64_66
.LBB64_12:                              ;   Parent Loop BB64_7 Depth=1
                                        ; =>  This Inner Loop Header: Depth=2
	s_wait_dscnt 0x0
	s_delay_alu instid0(VALU_DEP_1) | instskip(SKIP_2) | instid1(VALU_DEP_2)
	v_dual_mov_b32 v4, 0 :: v_dual_add_nc_u32 v1, s11, v1
	v_mov_b32_e32 v3, 0
	s_mov_b32 s9, exec_lo
	v_cmpx_gt_u32_e64 s36, v1
	s_cbranch_execz .LBB64_14
; %bb.13:                               ;   in Loop: Header=BB64_12 Depth=2
	v_lshlrev_b64_e32 v[13:14], 1, v[6:7]
	s_delay_alu instid0(VALU_DEP_1) | instskip(SKIP_1) | instid1(VALU_DEP_2)
	v_add_co_u32 v13, vcc_lo, s42, v13
	s_wait_alu 0xfffd
	v_add_co_ci_u32_e64 v14, null, s43, v14, vcc_lo
	global_load_u16 v3, v[13:14], off
.LBB64_14:                              ;   in Loop: Header=BB64_12 Depth=2
	s_wait_alu 0xfffe
	s_or_b32 exec_lo, exec_lo, s9
	s_wait_loadcnt 0x0
	v_cmp_lt_i16_e32 vcc_lo, -1, v2
	s_wait_alu 0xfffd
	v_dual_cndmask_b32 v14, 0xffff, v29 :: v_dual_and_b32 v13, 0xffff, v2
	s_delay_alu instid0(VALU_DEP_1) | instskip(SKIP_1) | instid1(VALU_DEP_1)
	v_xor_b32_e32 v13, v14, v13
	v_lshlrev_b32_e32 v34, 16, v2
	v_cmp_o_f32_e32 vcc_lo, v34, v34
	s_wait_alu 0xfffd
	s_delay_alu instid0(VALU_DEP_3) | instskip(NEXT) | instid1(VALU_DEP_1)
	v_cndmask_b32_e32 v13, 0xffff, v13, vcc_lo
	v_and_b32_e32 v13, v13, v31
	s_delay_alu instid0(VALU_DEP_1)
	v_cmp_eq_u32_e32 vcc_lo, v13, v22
	s_cmp_lg_u32 vcc_lo, 0
	s_cselect_b32 s9, -1, 0
	s_wait_alu 0xfffe
	s_and_b32 s9, s4, s9
	s_wait_alu 0xfffe
	s_and_saveexec_b32 s14, s9
	s_cbranch_execz .LBB64_18
; %bb.15:                               ;   in Loop: Header=BB64_12 Depth=2
	s_mov_b32 s17, exec_lo
	s_bcnt1_i32_b32 s15, vcc_lo
	s_wait_alu 0xfffe
	v_mbcnt_lo_u32_b32 v4, s17, 0
	s_mov_b32 s16, exec_lo
                                        ; implicit-def: $vgpr13
	s_delay_alu instid0(VALU_DEP_1)
	v_cmpx_eq_u32_e32 0, v4
; %bb.16:                               ;   in Loop: Header=BB64_12 Depth=2
	s_bcnt1_i32_b32 s9, s17
	s_wait_alu 0xfffe
	s_mul_i32 s9, s15, s9
	s_wait_alu 0xfffe
	v_mov_b32_e32 v13, s9
	ds_add_rtn_u32 v13, v7, v13 offset:4104
; %bb.17:                               ;   in Loop: Header=BB64_12 Depth=2
	s_or_b32 exec_lo, exec_lo, s16
	s_wait_dscnt 0x0
	v_readfirstlane_b32 s9, v13
	s_wait_alu 0xf1ff
	s_delay_alu instid0(VALU_DEP_1)
	v_mad_u32_u24 v4, s15, v4, s9
.LBB64_18:                              ;   in Loop: Header=BB64_12 Depth=2
	s_wait_alu 0xfffe
	s_or_b32 exec_lo, exec_lo, s14
	ds_bpermute_b32 v4, v7, v4
	s_and_saveexec_b32 s9, vcc_lo
	s_cbranch_execz .LBB64_11
; %bb.19:                               ;   in Loop: Header=BB64_12 Depth=2
	v_and_b32_e32 v13, vcc_lo, v20
	s_delay_alu instid0(VALU_DEP_1) | instskip(NEXT) | instid1(VALU_DEP_1)
	v_bcnt_u32_b32 v13, v13, 0
	v_lshlrev_b32_e32 v13, 1, v13
	s_wait_dscnt 0x0
	s_delay_alu instid0(VALU_DEP_1)
	v_lshl_add_u32 v4, v4, 1, v13
	ds_store_b16 v4, v2
	s_branch .LBB64_11
.LBB64_20:                              ;   in Loop: Header=BB64_7 Depth=1
	s_mov_b32 s10, -1
	s_mov_b32 s9, 0
.LBB64_21:                              ;   in Loop: Header=BB64_7 Depth=1
	s_wait_alu 0xfffe
	s_and_b32 vcc_lo, exec_lo, s10
	s_wait_alu 0xfffe
	s_cbranch_vccz .LBB64_32
.LBB64_22:                              ;   in Loop: Header=BB64_7 Depth=1
	v_mov_b32_e32 v1, 0
	s_and_saveexec_b32 s9, s1
	s_cbranch_execz .LBB64_24
; %bb.23:                               ;   in Loop: Header=BB64_7 Depth=1
	global_load_u16 v1, v[8:9], off
.LBB64_24:                              ;   in Loop: Header=BB64_7 Depth=1
	s_wait_alu 0xfffe
	s_or_b32 exec_lo, exec_lo, s9
	s_and_saveexec_b32 s9, s3
	s_cbranch_execz .LBB64_29
; %bb.25:                               ;   in Loop: Header=BB64_7 Depth=1
	s_load_u16 s10, s[48:49], 0x0
	s_mov_b32 s13, 0
	s_wait_kmcnt 0x0
	v_dual_mov_b32 v3, v0 :: v_dual_add_nc_u32 v2, s10, v0
	s_lshl_b32 s11, s10, 1
	s_mul_i32 s12, s39, s10
	s_delay_alu instid0(VALU_DEP_1)
	v_mul_lo_u32 v6, s39, v2
	v_mov_b32_e32 v2, v17
	s_branch .LBB64_27
.LBB64_26:                              ;   in Loop: Header=BB64_27 Depth=2
	s_wait_alu 0xfffe
	s_or_b32 exec_lo, exec_lo, s14
	v_cmp_le_i32_e32 vcc_lo, s36, v3
	s_wait_loadcnt 0x0
	ds_store_b16 v2, v1
	v_dual_mov_b32 v1, v4 :: v_dual_add_nc_u32 v2, s11, v2
	v_add_nc_u32_e32 v6, s12, v6
	s_or_b32 s13, vcc_lo, s13
	s_wait_alu 0xfffe
	s_and_not1_b32 exec_lo, exec_lo, s13
	s_cbranch_execz .LBB64_29
.LBB64_27:                              ;   Parent Loop BB64_7 Depth=1
                                        ; =>  This Inner Loop Header: Depth=2
	v_dual_mov_b32 v4, 0 :: v_dual_add_nc_u32 v3, s10, v3
	s_mov_b32 s14, exec_lo
	s_delay_alu instid0(VALU_DEP_1)
	v_cmpx_gt_u32_e64 s36, v3
	s_cbranch_execz .LBB64_26
; %bb.28:                               ;   in Loop: Header=BB64_27 Depth=2
	s_delay_alu instid0(VALU_DEP_4) | instskip(NEXT) | instid1(VALU_DEP_1)
	v_lshlrev_b64_e32 v[13:14], 1, v[6:7]
	v_add_co_u32 v13, vcc_lo, s42, v13
	s_wait_alu 0xfffd
	s_delay_alu instid0(VALU_DEP_2)
	v_add_co_ci_u32_e64 v14, null, s43, v14, vcc_lo
	global_load_u16 v4, v[13:14], off
	s_branch .LBB64_26
.LBB64_29:                              ;   in Loop: Header=BB64_7 Depth=1
	s_wait_alu 0xfffe
	s_or_b32 exec_lo, exec_lo, s9
	s_wait_loadcnt_dscnt 0x0
	s_barrier_signal -1
	s_barrier_wait -1
	global_inv scope:SCOPE_SE
	s_and_saveexec_b32 s9, s2
; %bb.30:                               ;   in Loop: Header=BB64_7 Depth=1
	v_mov_b32_e32 v1, s36
	ds_store_b32 v7, v1 offset:4096
; %bb.31:                               ;   in Loop: Header=BB64_7 Depth=1
	s_wait_alu 0xfffe
	s_or_b32 exec_lo, exec_lo, s9
	s_mov_b32 s9, -1
	s_wait_loadcnt_dscnt 0x0
	s_barrier_signal -1
	s_barrier_wait -1
.LBB64_32:                              ;   in Loop: Header=BB64_7 Depth=1
	s_wait_alu 0xfffe
	s_and_b32 vcc_lo, exec_lo, s9
	s_wait_alu 0xfffe
	s_cbranch_vccz .LBB64_34
; %bb.33:                               ;   in Loop: Header=BB64_7 Depth=1
	s_wait_loadcnt 0x0
	global_inv scope:SCOPE_SE
	ds_load_b32 v1, v7 offset:4096
	s_wait_dscnt 0x0
	v_readfirstlane_b32 s40, v1
.LBB64_34:                              ;   in Loop: Header=BB64_7 Depth=1
	s_delay_alu instid0(VALU_DEP_1)
	s_cmp_lt_i32 s40, 1
	s_mov_b32 s9, -1
                                        ; implicit-def: $vgpr1
	s_cbranch_scc1 .LBB64_44
; %bb.35:                               ;   in Loop: Header=BB64_7 Depth=1
	s_wait_alu 0xfffe
	s_and_b32 vcc_lo, exec_lo, s9
	s_wait_alu 0xfffe
	s_cbranch_vccnz .LBB64_57
.LBB64_36:                              ;   in Loop: Header=BB64_7 Depth=1
	v_lshlrev_b32_e32 v6, 7, v30
	s_and_saveexec_b32 s9, s4
.LBB64_37:                              ;   in Loop: Header=BB64_7 Depth=1
	s_delay_alu instid0(VALU_DEP_1)
	v_lshl_add_u32 v13, v6, 2, v21
	ds_store_b128 v13, v[1:4]
.LBB64_38:                              ;   in Loop: Header=BB64_7 Depth=1
	s_wait_alu 0xfffe
	s_or_b32 exec_lo, exec_lo, s9
	s_wait_loadcnt_dscnt 0x0
	s_barrier_signal -1
	s_barrier_wait -1
	global_inv scope:SCOPE_SE
	s_and_saveexec_b32 s9, s51
	s_cbranch_execz .LBB64_73
; %bb.39:                               ;   in Loop: Header=BB64_7 Depth=1
	v_mov_b32_e32 v1, 0
	s_and_not1_b32 vcc_lo, exec_lo, s56
	s_wait_alu 0xfffe
	s_cbranch_vccnz .LBB64_72
; %bb.40:                               ;   in Loop: Header=BB64_7 Depth=1
	s_and_not1_b32 vcc_lo, exec_lo, s58
	s_wait_alu 0xfffe
	s_cbranch_vccnz .LBB64_69
; %bb.41:                               ;   in Loop: Header=BB64_7 Depth=1
	v_lshl_add_u32 v2, v30, 9, v28
	v_mov_b32_e32 v1, 0
	s_mov_b32 s10, 0
.LBB64_42:                              ;   Parent Loop BB64_7 Depth=1
                                        ; =>  This Inner Loop Header: Depth=2
	ds_load_2addr_b32 v[3:4], v2 offset1:4
	ds_load_2addr_b32 v[13:14], v2 offset0:8 offset1:12
	ds_load_2addr_b32 v[34:35], v2 offset0:16 offset1:20
	;; [unrolled: 1-line block ×3, first 2 shown]
	v_add_nc_u32_e32 v2, 0x80, v2
	s_wait_alu 0xfffe
	s_add_co_i32 s10, s10, 8
	s_wait_alu 0xfffe
	s_cmp_eq_u32 s59, s10
	s_wait_dscnt 0x3
	v_add3_u32 v1, v3, v1, v4
	s_wait_dscnt 0x2
	s_delay_alu instid0(VALU_DEP_1) | instskip(SKIP_1) | instid1(VALU_DEP_1)
	v_add3_u32 v1, v13, v1, v14
	s_wait_dscnt 0x1
	v_add3_u32 v1, v34, v1, v35
	s_wait_dscnt 0x0
	s_delay_alu instid0(VALU_DEP_1)
	v_add3_u32 v1, v36, v1, v37
	s_cbranch_scc0 .LBB64_42
; %bb.43:                               ;   in Loop: Header=BB64_7 Depth=1
	s_mov_b32 s10, s59
	s_and_not1_b32 vcc_lo, exec_lo, s60
	s_wait_alu 0xfffe
	s_cbranch_vccz .LBB64_70
	s_branch .LBB64_72
.LBB64_44:                              ;   in Loop: Header=BB64_7 Depth=1
	v_dual_mov_b32 v1, 0 :: v_dual_mov_b32 v2, 0
	v_dual_mov_b32 v3, 0 :: v_dual_mov_b32 v4, 0
	s_and_saveexec_b32 s74, s5
	s_cbranch_execnz .LBB64_47
; %bb.45:                               ;   in Loop: Header=BB64_7 Depth=1
	s_wait_alu 0xfffe
	s_or_b32 exec_lo, exec_lo, s74
	v_mov_b32_e32 v34, 0
	s_and_saveexec_b32 s9, s6
	s_cbranch_execnz .LBB64_50
.LBB64_46:                              ;   in Loop: Header=BB64_7 Depth=1
	s_wait_alu 0xfffe
	s_or_b32 exec_lo, exec_lo, s9
	s_and_saveexec_b32 s13, s7
	s_cbranch_execnz .LBB64_51
	s_branch .LBB64_56
.LBB64_47:                              ;   in Loop: Header=BB64_7 Depth=1
	v_mov_b32_e32 v6, v16
	s_mov_b32 s75, 0
	s_mov_b32 s76, 0
	;; [unrolled: 1-line block ×6, first 2 shown]
.LBB64_48:                              ;   Parent Loop BB64_7 Depth=1
                                        ; =>  This Inner Loop Header: Depth=2
	s_wait_alu 0xfffe
	v_add_nc_u32_e32 v1, s76, v25
	v_add_nc_u32_e32 v3, s76, v12
	;; [unrolled: 1-line block ×4, first 2 shown]
	s_add_co_i32 s76, s76, s63
	v_ashrrev_i32_e32 v2, 31, v1
	v_ashrrev_i32_e32 v4, 31, v3
	;; [unrolled: 1-line block ×4, first 2 shown]
	s_delay_alu instid0(VALU_DEP_4) | instskip(NEXT) | instid1(VALU_DEP_4)
	v_lshlrev_b64_e32 v[1:2], 1, v[1:2]
	v_lshlrev_b64_e32 v[3:4], 1, v[3:4]
	s_delay_alu instid0(VALU_DEP_4) | instskip(NEXT) | instid1(VALU_DEP_4)
	v_lshlrev_b64_e32 v[13:14], 1, v[13:14]
	v_lshlrev_b64_e32 v[34:35], 1, v[34:35]
	s_delay_alu instid0(VALU_DEP_4)
	v_add_co_u32 v1, vcc_lo, s42, v1
	s_wait_alu 0xfffd
	v_add_co_ci_u32_e64 v2, null, s43, v2, vcc_lo
	v_add_co_u32 v3, vcc_lo, s42, v3
	s_wait_alu 0xfffd
	v_add_co_ci_u32_e64 v4, null, s43, v4, vcc_lo
	;; [unrolled: 3-line block ×4, first 2 shown]
	s_clause 0x3
	global_load_u16 v1, v[1:2], off
	global_load_u16 v2, v[3:4], off
	;; [unrolled: 1-line block ×4, first 2 shown]
	s_wait_loadcnt 0x3
	v_cmp_lt_i16_e64 s9, -1, v1
	v_and_b32_e32 v13, 0xffff, v1
	v_lshlrev_b32_e32 v1, 16, v1
	s_wait_loadcnt 0x2
	v_and_b32_e32 v34, 0xffff, v2
	s_wait_loadcnt 0x1
	v_and_b32_e32 v36, 0xffff, v3
	s_wait_alu 0xf1ff
	v_cndmask_b32_e64 v14, 0xffff, v29, s9
	v_cmp_lt_i16_e64 s9, -1, v2
	v_lshlrev_b32_e32 v2, 16, v2
	v_cmp_o_f32_e64 s12, v1, v1
	s_wait_loadcnt 0x0
	v_and_b32_e32 v38, 0xffff, v4
	v_xor_b32_e32 v13, v14, v13
	s_wait_alu 0xf1ff
	v_cndmask_b32_e64 v35, 0xffff, v29, s9
	v_cmp_lt_i16_e64 s9, -1, v3
	v_lshlrev_b32_e32 v3, 16, v3
	v_cndmask_b32_e64 v1, 0xffff, v13, s12
	s_delay_alu instid0(VALU_DEP_4)
	v_xor_b32_e32 v14, v35, v34
	s_wait_alu 0xf1ff
	v_cndmask_b32_e64 v37, 0xffff, v29, s9
	v_cmp_lt_i16_e64 s9, -1, v4
	v_lshlrev_b32_e32 v4, 16, v4
	v_cmp_o_f32_e64 s10, v3, v3
	v_and_b32_e32 v13, v1, v31
	v_bfe_u32 v1, v1, s73, 2
	s_wait_alu 0xf1ff
	v_cndmask_b32_e64 v39, 0xffff, v29, s9
	v_cmp_o_f32_e64 s9, v2, v2
	v_xor_b32_e32 v2, v37, v36
	v_cmp_o_f32_e64 s11, v4, v4
	v_cmp_eq_u32_e64 s13, 0, v1
	v_xor_b32_e32 v3, v39, v38
	s_wait_alu 0xf1ff
	v_cndmask_b32_e64 v4, 0xffff, v14, s9
	v_cndmask_b32_e64 v2, 0xffff, v2, s10
	v_cmp_eq_u32_e64 s9, v13, v22
	v_cmp_eq_u32_e64 s17, 1, v1
	v_cndmask_b32_e64 v3, 0xffff, v3, s11
	v_and_b32_e32 v14, v4, v31
	v_bfe_u32 v4, v4, s73, 2
	v_and_b32_e32 v34, v2, v31
	v_bfe_u32 v2, v2, s73, 2
	;; [unrolled: 2-line block ×3, first 2 shown]
	v_cmp_eq_u32_e64 s10, v14, v22
	v_cmp_eq_u32_e64 s14, 0, v4
	;; [unrolled: 1-line block ×4, first 2 shown]
	s_and_b32 s13, s9, s13
	v_cmp_eq_u32_e64 s12, v35, v22
	v_cmp_eq_u32_e64 s16, 0, v3
	;; [unrolled: 1-line block ×4, first 2 shown]
	s_wait_alu 0xfffe
	v_cndmask_b32_e64 v1, 0, 1, s13
	s_and_b32 s13, s10, s14
	v_cmp_eq_u32_e64 s19, 1, v2
	v_cmp_eq_u32_e64 s23, 2, v2
	;; [unrolled: 1-line block ×3, first 2 shown]
	s_wait_alu 0xfffe
	v_cndmask_b32_e64 v2, 0, 1, s13
	s_and_b32 s13, s11, s15
	v_cmp_eq_u32_e64 s18, 1, v4
	v_cmp_eq_u32_e64 s20, 1, v3
	;; [unrolled: 1-line block ×4, first 2 shown]
	s_wait_alu 0xfffe
	v_cndmask_b32_e64 v3, 0, 1, s13
	s_and_b32 s13, s12, s16
	v_cmp_eq_u32_e64 s22, 2, v4
	v_cmp_eq_u32_e64 s26, 3, v4
	s_wait_alu 0xfffe
	v_cndmask_b32_e64 v4, 0, 1, s13
	s_and_b32 s13, s9, s17
	s_wait_alu 0xfffe
	v_cndmask_b32_e64 v13, 0, 1, s13
	s_and_b32 s13, s10, s18
	;; [unrolled: 3-line block ×4, first 2 shown]
	v_cmp_ne_u32_e64 s14, 0, v14
	s_wait_alu 0xfffe
	v_cndmask_b32_e64 v35, 0, 1, s13
	s_and_b32 s13, s9, s21
	s_and_b32 s9, s9, s25
	s_wait_alu 0xfffe
	v_cndmask_b32_e64 v36, 0, 1, s13
	s_and_b32 s13, s10, s22
	v_cndmask_b32_e64 v40, 0, 1, s9
	s_and_b32 s9, s10, s26
	s_wait_alu 0xfffe
	v_cndmask_b32_e64 v37, 0, 1, s13
	s_and_b32 s13, s11, s23
	v_cndmask_b32_e64 v41, 0, 1, s9
	;; [unrolled: 5-line block ×3, first 2 shown]
	s_and_b32 s9, s12, s28
	s_wait_alu 0xfffe
	v_cndmask_b32_e64 v39, 0, 1, s13
	v_cndmask_b32_e64 v43, 0, 1, s9
	v_cmp_ne_u32_e64 s9, 0, v1
	v_cmp_ne_u32_e64 s13, 0, v13
	;; [unrolled: 1-line block ×8, first 2 shown]
	s_bcnt1_i32_b32 s9, s9
	s_bcnt1_i32_b32 s13, s13
	;; [unrolled: 1-line block ×3, first 2 shown]
	v_cmp_ne_u32_e64 s20, 0, v39
	v_cmp_ne_u32_e64 s22, 0, v41
	s_bcnt1_i32_b32 s10, s10
	s_bcnt1_i32_b32 s14, s14
	;; [unrolled: 1-line block ×3, first 2 shown]
	s_wait_alu 0xfffe
	s_add_co_i32 s9, s9, s80
	s_add_co_i32 s13, s13, s79
	;; [unrolled: 1-line block ×3, first 2 shown]
	v_cmp_ne_u32_e64 s15, 0, v34
	v_cmp_ne_u32_e64 s23, 0, v42
	s_bcnt1_i32_b32 s11, s11
	s_bcnt1_i32_b32 s19, s19
	s_wait_alu 0xfffe
	s_add_co_i32 s9, s9, s10
	s_add_co_i32 s10, s13, s14
	;; [unrolled: 1-line block ×3, first 2 shown]
	s_bcnt1_i32_b32 s21, s21
	v_cmp_ne_u32_e64 s12, 0, v4
	v_cmp_ne_u32_e64 s16, 0, v35
	;; [unrolled: 1-line block ×3, first 2 shown]
	s_bcnt1_i32_b32 s20, s20
	s_wait_alu 0xfffe
	s_add_co_i32 s9, s9, s11
	s_add_co_i32 s11, s13, s19
	s_bcnt1_i32_b32 s22, s22
	s_add_co_i32 s21, s21, s77
	s_wait_alu 0xfffe
	s_add_co_i32 s78, s11, s20
	s_wait_alu 0xfffe
	v_dual_mov_b32 v3, s78 :: v_dual_add_nc_u32 v6, s52, v6
	s_bcnt1_i32_b32 s15, s15
	s_bcnt1_i32_b32 s23, s23
	s_add_co_i32 s14, s21, s22
	s_bcnt1_i32_b32 s12, s12
	s_bcnt1_i32_b32 s16, s16
	;; [unrolled: 1-line block ×3, first 2 shown]
	s_wait_alu 0xfffe
	s_add_co_i32 s10, s10, s15
	s_add_co_i32 s13, s14, s23
	v_cmp_le_i32_e32 vcc_lo, s61, v6
	s_add_co_i32 s80, s9, s12
	s_wait_alu 0xfffe
	s_add_co_i32 s79, s10, s16
	s_add_co_i32 s77, s13, s24
	s_wait_alu 0xfffe
	v_dual_mov_b32 v1, s80 :: v_dual_mov_b32 v2, s79
	v_mov_b32_e32 v4, s77
	s_or_b32 s75, vcc_lo, s75
	s_wait_alu 0xfffe
	s_and_not1_b32 exec_lo, exec_lo, s75
	s_cbranch_execnz .LBB64_48
; %bb.49:                               ;   in Loop: Header=BB64_7 Depth=1
	s_or_b32 exec_lo, exec_lo, s75
	s_delay_alu instid0(SALU_CYCLE_1)
	s_or_b32 exec_lo, exec_lo, s74
	v_mov_b32_e32 v34, 0
	s_and_saveexec_b32 s9, s6
	s_cbranch_execz .LBB64_46
.LBB64_50:                              ;   in Loop: Header=BB64_7 Depth=1
	global_load_u16 v34, v[10:11], off
	s_wait_alu 0xfffe
	s_or_b32 exec_lo, exec_lo, s9
	s_and_saveexec_b32 s13, s7
	s_cbranch_execz .LBB64_56
.LBB64_51:                              ;   in Loop: Header=BB64_7 Depth=1
	v_dual_mov_b32 v13, v26 :: v_dual_mov_b32 v6, v19
	s_mov_b32 s14, 0
	s_branch .LBB64_53
.LBB64_52:                              ;   in Loop: Header=BB64_53 Depth=2
	s_wait_alu 0xfffe
	s_or_b32 exec_lo, exec_lo, s9
	s_wait_loadcnt 0x0
	v_cmp_lt_i16_e32 vcc_lo, -1, v34
	v_and_b32_e32 v35, 0xffff, v34
	v_lshlrev_b32_e32 v34, 16, v34
	v_add_nc_u32_e32 v13, s54, v13
	s_wait_alu 0xfffd
	v_cndmask_b32_e32 v36, 0xffff, v29, vcc_lo
	s_delay_alu instid0(VALU_DEP_3) | instskip(NEXT) | instid1(VALU_DEP_2)
	v_cmp_o_f32_e32 vcc_lo, v34, v34
	v_xor_b32_e32 v35, v36, v35
	s_wait_alu 0xfffd
	s_delay_alu instid0(VALU_DEP_1) | instskip(NEXT) | instid1(VALU_DEP_1)
	v_cndmask_b32_e32 v34, 0xffff, v35, vcc_lo
	v_and_b32_e32 v35, v34, v31
	v_bfe_u32 v34, v34, s73, 2
	s_delay_alu instid0(VALU_DEP_2) | instskip(NEXT) | instid1(VALU_DEP_2)
	v_cmp_eq_u32_e32 vcc_lo, v35, v22
	v_cmp_eq_u32_e64 s9, 0, v34
	v_cmp_eq_u32_e64 s10, 1, v34
	;; [unrolled: 1-line block ×4, first 2 shown]
	s_and_b32 s9, vcc_lo, s9
	s_wait_alu 0xfffe
	v_cndmask_b32_e64 v34, 0, 1, s9
	s_and_b32 s9, vcc_lo, s10
	s_wait_alu 0xfffe
	v_cndmask_b32_e64 v35, 0, 1, s9
	;; [unrolled: 3-line block ×3, first 2 shown]
	s_and_b32 s9, vcc_lo, s12
	v_cmp_ne_u32_e32 vcc_lo, 0, v34
	s_wait_alu 0xfffe
	v_cndmask_b32_e64 v37, 0, 1, s9
	v_cmp_ne_u32_e64 s9, 0, v35
	v_cmp_ne_u32_e64 s10, 0, v36
	v_cmp_le_i32_e64 s12, s36, v6
	s_bcnt1_i32_b32 s15, vcc_lo
	v_cmp_ne_u32_e64 s11, 0, v37
	s_bcnt1_i32_b32 s9, s9
	s_bcnt1_i32_b32 s10, s10
	s_wait_alu 0xfffe
	v_add_nc_u32_e32 v1, s15, v1
	v_add_nc_u32_e32 v2, s9, v2
	s_bcnt1_i32_b32 s11, s11
	v_add_nc_u32_e32 v3, s10, v3
	s_wait_alu 0xfffe
	v_add_nc_u32_e32 v4, s11, v4
	v_mov_b32_e32 v34, v14
	s_or_b32 s14, s12, s14
	s_wait_alu 0xfffe
	s_and_not1_b32 exec_lo, exec_lo, s14
	s_cbranch_execz .LBB64_55
.LBB64_53:                              ;   Parent Loop BB64_7 Depth=1
                                        ; =>  This Inner Loop Header: Depth=2
	s_delay_alu instid0(VALU_DEP_1) | instskip(SKIP_2) | instid1(VALU_DEP_2)
	v_add_nc_u32_e32 v6, s50, v6
	v_mov_b32_e32 v14, 0
	s_mov_b32 s9, exec_lo
	v_cmpx_gt_u32_e64 s36, v6
	s_cbranch_execz .LBB64_52
; %bb.54:                               ;   in Loop: Header=BB64_53 Depth=2
	v_ashrrev_i32_e32 v14, 31, v13
	s_delay_alu instid0(VALU_DEP_1) | instskip(NEXT) | instid1(VALU_DEP_1)
	v_lshlrev_b64_e32 v[35:36], 1, v[13:14]
	v_add_co_u32 v35, vcc_lo, s42, v35
	s_wait_alu 0xfffd
	s_delay_alu instid0(VALU_DEP_2)
	v_add_co_ci_u32_e64 v36, null, s43, v36, vcc_lo
	global_load_u16 v14, v[35:36], off
	s_branch .LBB64_52
.LBB64_55:                              ;   in Loop: Header=BB64_7 Depth=1
	s_or_b32 exec_lo, exec_lo, s14
.LBB64_56:                              ;   in Loop: Header=BB64_7 Depth=1
	s_wait_alu 0xfffe
	s_or_b32 exec_lo, exec_lo, s13
	s_branch .LBB64_36
.LBB64_57:                              ;   in Loop: Header=BB64_7 Depth=1
	s_mul_u64 s[10:11], s[40:41], s[44:45]
	v_dual_mov_b32 v1, 0 :: v_dual_mov_b32 v2, 0
	s_wait_alu 0xfffe
	s_mul_i32 s9, s11, s52
	v_dual_mov_b32 v3, 0 :: v_dual_mov_b32 v4, 0
	s_wait_alu 0xfffe
	s_sub_co_i32 s9, s40, s9
	s_mov_b32 s24, exec_lo
	s_wait_alu 0xfffe
	s_sub_co_i32 s10, s9, s52
	s_cmp_ge_u32 s9, s52
	s_wait_alu 0xfffe
	s_cselect_b32 s9, s10, s9
	s_wait_alu 0xfffe
	s_sub_co_i32 s10, s9, s52
	s_cmp_ge_u32 s9, s52
	s_wait_alu 0xfffe
	s_cselect_b32 s9, s10, s9
	s_wait_alu 0xfffe
	s_sub_co_i32 s23, s40, s9
	s_wait_alu 0xfffe
	v_cmpx_gt_u32_e64 s23, v16
	s_cbranch_execz .LBB64_61
; %bb.58:                               ;   in Loop: Header=BB64_7 Depth=1
	v_dual_mov_b32 v6, v27 :: v_dual_mov_b32 v13, v16
	s_mov_b32 s25, 0
	s_mov_b32 s26, 0
	;; [unrolled: 1-line block ×5, first 2 shown]
.LBB64_59:                              ;   Parent Loop BB64_7 Depth=1
                                        ; =>  This Inner Loop Header: Depth=2
	ds_load_b64 v[1:2], v6
	s_wait_dscnt 0x0
	v_cmp_lt_i16_e64 s9, -1, v1
	v_lshrrev_b32_e32 v4, 16, v2
	v_lshrrev_b32_e32 v3, 16, v1
	v_and_b32_e32 v14, 0xffff, v1
	v_lshlrev_b32_e32 v35, 16, v1
	s_wait_loadcnt 0x0
	s_wait_alu 0xf1ff
	v_cndmask_b32_e64 v34, 0xffff, v29, s9
	v_cmp_lt_i16_e64 s9, -1, v2
	v_and_b32_e32 v36, 0xffff, v2
	v_cmp_lt_i16_e64 s10, -1, v4
	v_lshlrev_b32_e32 v38, 16, v2
	v_xor_b32_e32 v14, v34, v14
	s_wait_alu 0xf1ff
	v_cndmask_b32_e64 v37, 0xffff, v29, s9
	v_cmp_lt_i16_e64 s9, -1, v3
	v_and_b32_e32 v1, 0xffff0000, v1
	v_and_b32_e32 v2, 0xffff0000, v2
	s_delay_alu instid0(VALU_DEP_4)
	v_xor_b32_e32 v36, v37, v36
	v_cndmask_b32_e64 v37, 0xffff, v29, s10
	v_cmp_o_f32_e64 s10, v35, v35
	s_wait_alu 0xf1ff
	v_cndmask_b32_e64 v34, 0xffff, v29, s9
	v_cmp_o_f32_e64 s9, v38, v38
	v_xor_b32_e32 v4, v37, v4
	v_cndmask_b32_e64 v14, 0xffff, v14, s10
	s_delay_alu instid0(VALU_DEP_4)
	v_xor_b32_e32 v3, v34, v3
	s_wait_alu 0xf1ff
	v_cndmask_b32_e64 v34, 0xffff, v36, s9
	v_cmp_o_f32_e64 s9, v2, v2
	v_cmp_o_f32_e64 s10, v1, v1
	v_and_b32_e32 v2, v14, v31
	v_bfe_u32 v14, v14, s73, 2
	s_wait_alu 0xf1ff
	s_delay_alu instid0(VALU_DEP_3)
	v_cndmask_b32_e64 v1, 0xffff, v3, s10
	v_cndmask_b32_e64 v3, 0xffff, v4, s9
	v_and_b32_e32 v4, v34, v31
	v_bfe_u32 v34, v34, s73, 2
	v_cmp_eq_u32_e64 s9, v2, v22
	v_cmp_eq_u32_e64 s11, 0, v14
	v_and_b32_e32 v2, v1, v31
	v_cmp_eq_u32_e64 s10, v4, v22
	v_cmp_eq_u32_e64 s12, 0, v34
	v_and_b32_e32 v4, v3, v31
	v_bfe_u32 v1, v1, s73, 2
	v_bfe_u32 v3, v3, s73, 2
	v_cmp_eq_u32_e64 s13, 1, v14
	v_cmp_eq_u32_e64 s15, 2, v14
	s_and_b32 s11, s9, s11
	v_cmp_eq_u32_e64 s14, 1, v34
	v_cmp_eq_u32_e64 s16, 2, v34
	;; [unrolled: 1-line block ×4, first 2 shown]
	s_wait_alu 0xfffe
	v_cndmask_b32_e64 v2, 0, 1, s11
	s_and_b32 s11, s10, s12
	v_cmp_eq_u32_e64 s18, 3, v34
	v_cmp_eq_u32_e64 s20, v4, v22
	;; [unrolled: 1-line block ×4, first 2 shown]
	s_wait_alu 0xfffe
	v_cndmask_b32_e64 v4, 0, 1, s11
	v_cmp_eq_u32_e64 s11, 1, v1
	s_and_b32 s13, s9, s13
	s_and_b32 s15, s9, s15
	s_wait_alu 0xfffe
	v_cndmask_b32_e64 v14, 0, 1, s13
	s_and_b32 s13, s10, s14
	v_cndmask_b32_e64 v35, 0, 1, s15
	s_and_b32 s15, s10, s16
	s_and_b32 s9, s9, s17
	v_cmp_eq_u32_e64 s12, 1, v3
	s_wait_alu 0xfffe
	v_cndmask_b32_e64 v34, 0, 1, s13
	v_cmp_eq_u32_e64 s13, 2, v1
	v_cmp_eq_u32_e64 s14, 2, v3
	v_cndmask_b32_e64 v36, 0, 1, s15
	v_cmp_eq_u32_e64 s15, 3, v1
	v_cmp_eq_u32_e64 s16, 3, v3
	v_cndmask_b32_e64 v1, 0, 1, s9
	s_and_b32 s9, s10, s18
	s_and_b32 s10, s19, s21
	s_and_b32 s17, s20, s22
	s_and_b32 s11, s19, s11
	s_wait_alu 0xfffe
	v_cndmask_b32_e64 v3, 0, 1, s9
	v_cmp_ne_u32_e64 s9, 0, v2
	v_cndmask_b32_e64 v2, 0, 1, s10
	v_cmp_ne_u32_e64 s10, 0, v4
	;; [unrolled: 2-line block ×3, first 2 shown]
	v_cndmask_b32_e64 v14, 0, 1, s11
	s_and_b32 s12, s20, s12
	s_and_b32 s13, s19, s13
	;; [unrolled: 1-line block ×5, first 2 shown]
	v_cmp_ne_u32_e64 s11, 0, v34
	s_wait_alu 0xfffe
	v_cndmask_b32_e64 v34, 0, 1, s12
	v_cmp_ne_u32_e64 s12, 0, v35
	v_cndmask_b32_e64 v35, 0, 1, s13
	v_cmp_ne_u32_e64 s13, 0, v36
	;; [unrolled: 2-line block ×5, first 2 shown]
	s_bcnt1_i32_b32 s17, s17
	s_bcnt1_i32_b32 s20, s11
	v_cmp_ne_u32_e64 s11, 0, v34
	s_bcnt1_i32_b32 s18, s9
	v_cmp_ne_u32_e64 s9, 0, v2
	;; [unrolled: 2-line block ×4, first 2 shown]
	s_wait_alu 0xfffe
	s_add_co_i32 s17, s17, s28
	s_bcnt1_i32_b32 s16, s16
	s_bcnt1_i32_b32 s19, s10
	s_wait_alu 0xfffe
	s_add_co_i32 s16, s17, s16
	v_cmp_ne_u32_e64 s10, 0, v4
	s_bcnt1_i32_b32 s22, s13
	v_cmp_ne_u32_e64 s13, 0, v36
	s_bcnt1_i32_b32 s76, s15
	;; [unrolled: 2-line block ×3, first 2 shown]
	s_wait_alu 0xfffe
	s_add_co_i32 s16, s16, s20
	s_add_co_i32 s18, s18, s74
	;; [unrolled: 1-line block ×4, first 2 shown]
	s_bcnt1_i32_b32 s9, s9
	s_bcnt1_i32_b32 s12, s12
	;; [unrolled: 1-line block ×3, first 2 shown]
	s_wait_alu 0xfffe
	s_add_co_i32 s28, s16, s11
	s_wait_alu 0xfffe
	v_dual_mov_b32 v2, s28 :: v_dual_add_nc_u32 v13, s52, v13
	s_add_co_i32 s9, s18, s9
	s_add_co_i32 s12, s21, s12
	;; [unrolled: 1-line block ×3, first 2 shown]
	s_bcnt1_i32_b32 s10, s10
	s_bcnt1_i32_b32 s13, s13
	s_bcnt1_i32_b32 s15, s15
	s_wait_alu 0xfffe
	s_add_co_i32 s9, s9, s19
	s_add_co_i32 s12, s12, s22
	;; [unrolled: 1-line block ×3, first 2 shown]
	v_cmp_le_i32_e32 vcc_lo, s23, v13
	s_wait_alu 0xfffe
	s_add_co_i32 s74, s9, s10
	s_add_co_i32 s27, s12, s13
	;; [unrolled: 1-line block ×3, first 2 shown]
	s_wait_alu 0xfffe
	v_dual_mov_b32 v1, s74 :: v_dual_add_nc_u32 v6, s64, v6
	v_dual_mov_b32 v3, s27 :: v_dual_mov_b32 v4, s26
	s_or_b32 s25, vcc_lo, s25
	s_wait_alu 0xfffe
	s_and_not1_b32 exec_lo, exec_lo, s25
	s_cbranch_execnz .LBB64_59
; %bb.60:                               ;   in Loop: Header=BB64_7 Depth=1
	s_or_b32 exec_lo, exec_lo, s25
.LBB64_61:                              ;   in Loop: Header=BB64_7 Depth=1
	s_delay_alu instid0(SALU_CYCLE_1) | instskip(SKIP_2) | instid1(VALU_DEP_1)
	s_or_b32 exec_lo, exec_lo, s24
	v_add_nc_u32_e32 v6, s23, v0
	s_mov_b32 s14, exec_lo
	v_cmpx_gt_i32_e64 s40, v6
	s_cbranch_execz .LBB64_65
; %bb.62:                               ;   in Loop: Header=BB64_7 Depth=1
	v_lshlrev_b32_e32 v13, 1, v6
	s_mov_b32 s15, 0
.LBB64_63:                              ;   Parent Loop BB64_7 Depth=1
                                        ; =>  This Inner Loop Header: Depth=2
	ds_load_u16 v14, v13
	v_add_nc_u32_e32 v6, s50, v6
	v_add_nc_u32_e32 v13, s65, v13
	s_delay_alu instid0(VALU_DEP_2)
	v_cmp_le_i32_e32 vcc_lo, s40, v6
	s_wait_dscnt 0x0
	v_cmp_lt_i16_e64 s9, -1, v14
	s_wait_loadcnt 0x0
	v_and_b32_e32 v34, 0xffff, v14
	v_lshlrev_b32_e32 v14, 16, v14
	s_wait_alu 0xf1ff
	v_cndmask_b32_e64 v35, 0xffff, v29, s9
	s_delay_alu instid0(VALU_DEP_2) | instskip(NEXT) | instid1(VALU_DEP_2)
	v_cmp_o_f32_e64 s9, v14, v14
	v_xor_b32_e32 v34, v35, v34
	s_wait_alu 0xf1ff
	s_delay_alu instid0(VALU_DEP_1) | instskip(NEXT) | instid1(VALU_DEP_1)
	v_cndmask_b32_e64 v14, 0xffff, v34, s9
	v_and_b32_e32 v34, v14, v31
	v_bfe_u32 v14, v14, s73, 2
	s_delay_alu instid0(VALU_DEP_2) | instskip(NEXT) | instid1(VALU_DEP_2)
	v_cmp_eq_u32_e64 s9, v34, v22
	v_cmp_eq_u32_e64 s10, 0, v14
	;; [unrolled: 1-line block ×5, first 2 shown]
	s_and_b32 s10, s9, s10
	s_wait_alu 0xfffe
	v_cndmask_b32_e64 v14, 0, 1, s10
	s_and_b32 s10, s9, s11
	s_wait_alu 0xfffe
	v_cndmask_b32_e64 v34, 0, 1, s10
	s_and_b32 s10, s9, s12
	s_and_b32 s9, s9, s13
	s_wait_alu 0xfffe
	v_cndmask_b32_e64 v35, 0, 1, s10
	v_cndmask_b32_e64 v36, 0, 1, s9
	v_cmp_ne_u32_e64 s9, 0, v14
	v_cmp_ne_u32_e64 s10, 0, v34
	s_delay_alu instid0(VALU_DEP_4) | instskip(NEXT) | instid1(VALU_DEP_4)
	v_cmp_ne_u32_e64 s11, 0, v35
	v_cmp_ne_u32_e64 s12, 0, v36
	s_bcnt1_i32_b32 s9, s9
	s_bcnt1_i32_b32 s10, s10
	s_wait_alu 0xfffe
	v_add_nc_u32_e32 v1, s9, v1
	s_bcnt1_i32_b32 s11, s11
	s_bcnt1_i32_b32 s12, s12
	v_add_nc_u32_e32 v2, s10, v2
	s_wait_alu 0xfffe
	v_add_nc_u32_e32 v3, s11, v3
	v_add_nc_u32_e32 v4, s12, v4
	s_or_b32 s15, vcc_lo, s15
	s_wait_alu 0xfffe
	s_and_not1_b32 exec_lo, exec_lo, s15
	s_cbranch_execnz .LBB64_63
; %bb.64:                               ;   in Loop: Header=BB64_7 Depth=1
	s_or_b32 exec_lo, exec_lo, s15
.LBB64_65:                              ;   in Loop: Header=BB64_7 Depth=1
	s_wait_alu 0xfffe
	s_or_b32 exec_lo, exec_lo, s14
	v_lshlrev_b32_e32 v6, 7, v30
	s_and_saveexec_b32 s9, s4
	s_cbranch_execnz .LBB64_37
	s_branch .LBB64_38
.LBB64_66:                              ;   in Loop: Header=BB64_7 Depth=1
	s_or_b32 exec_lo, exec_lo, s12
	s_wait_dscnt 0x0
	s_barrier_signal -1
	s_barrier_wait -1
	global_inv scope:SCOPE_SE
	s_and_saveexec_b32 s9, s2
	s_cbranch_execz .LBB64_68
; %bb.67:                               ;   in Loop: Header=BB64_7 Depth=1
	ds_load_b32 v1, v7 offset:4104
	s_wait_dscnt 0x0
	ds_store_b32 v7, v1 offset:4096
.LBB64_68:                              ;   in Loop: Header=BB64_7 Depth=1
	s_wait_alu 0xfffe
	s_or_b32 exec_lo, exec_lo, s9
	s_wait_loadcnt_dscnt 0x0
	s_barrier_signal -1
	s_mov_b32 s9, -1
	s_barrier_wait -1
	s_and_b32 vcc_lo, exec_lo, s10
	s_wait_alu 0xfffe
	s_cbranch_vccnz .LBB64_22
	s_branch .LBB64_32
.LBB64_69:                              ;   in Loop: Header=BB64_7 Depth=1
	v_mov_b32_e32 v1, 0
	s_mov_b32 s10, 0
	s_and_not1_b32 vcc_lo, exec_lo, s60
	s_wait_alu 0xfffe
	s_cbranch_vccnz .LBB64_72
.LBB64_70:                              ;   in Loop: Header=BB64_7 Depth=1
	v_lshlrev_b32_e32 v2, 9, v30
	s_lshl_b32 s10, s10, 4
	s_wait_alu 0xfffe
	s_delay_alu instid0(VALU_DEP_1)
	v_add3_u32 v2, v2, s10, v28
	s_mov_b32 s10, s57
.LBB64_71:                              ;   Parent Loop BB64_7 Depth=1
                                        ; =>  This Inner Loop Header: Depth=2
	ds_load_b32 v3, v2
	v_add_nc_u32_e32 v2, 16, v2
	s_wait_alu 0xfffe
	s_add_co_i32 s10, s10, -1
	s_wait_alu 0xfffe
	s_cmp_lg_u32 s10, 0
	s_wait_dscnt 0x0
	v_add_nc_u32_e32 v1, v3, v1
	s_cbranch_scc1 .LBB64_71
.LBB64_72:                              ;   in Loop: Header=BB64_7 Depth=1
	v_add_lshl_u32 v2, v6, v15, 2
	ds_store_b32 v2, v1 offset:3072
.LBB64_73:                              ;   in Loop: Header=BB64_7 Depth=1
	s_wait_alu 0xfffe
	s_or_b32 exec_lo, exec_lo, s9
	v_lshlrev_b32_e32 v1, 2, v6
	s_wait_loadcnt_dscnt 0x0
	s_barrier_signal -1
	s_barrier_wait -1
	global_inv scope:SCOPE_SE
	ds_load_b128 v[1:4], v1 offset:3072
	s_lshl_b32 s10, 3, s73
	v_cmp_eq_u32_e32 vcc_lo, 1, v33
	s_wait_alu 0xfffe
	s_not_b32 s17, s10
	s_mov_b32 s13, -1
	s_mov_b32 s15, -1
                                        ; implicit-def: $sgpr20
                                        ; implicit-def: $sgpr18
	s_wait_dscnt 0x0
	v_readfirstlane_b32 s12, v1
	v_readfirstlane_b32 s19, v2
	;; [unrolled: 1-line block ×4, first 2 shown]
	s_cmp_eq_u32 s12, 1
	s_cselect_b32 s11, -1, 0
	s_wait_alu 0xfffe
	s_and_b32 s14, s11, vcc_lo
	s_wait_alu 0xfffe
	s_and_saveexec_b32 s11, s14
	s_cbranch_execz .LBB64_99
; %bb.74:                               ;   in Loop: Header=BB64_7 Depth=1
	ds_load_b32 v1, v7 offset:4096
	s_wait_loadcnt_dscnt 0x0
	s_barrier_signal -1
	s_barrier_wait -1
	global_inv scope:SCOPE_SE
	v_readfirstlane_b32 s15, v1
	s_and_saveexec_b32 s18, s0
; %bb.75:                               ;   in Loop: Header=BB64_7 Depth=1
	ds_store_b16 v18, v7
; %bb.76:                               ;   in Loop: Header=BB64_7 Depth=1
	s_wait_alu 0xfffe
	s_or_b32 exec_lo, exec_lo, s18
	v_and_b32_e32 v22, s17, v22
	v_or_b32_e32 v31, s10, v31
	s_mov_b32 s18, -1
	s_mov_b32 s20, 0
	s_cmp_lt_i32 s15, 1
	s_mov_b32 s21, 0
	s_mov_b32 s22, -1
	s_wait_loadcnt_dscnt 0x0
	s_barrier_signal -1
	s_barrier_wait -1
	global_inv scope:SCOPE_SE
                                        ; implicit-def: $vgpr32
	s_cbranch_scc0 .LBB64_87
; %bb.77:                               ;   in Loop: Header=BB64_7 Depth=1
	s_mov_b32 s22, 0
                                        ; implicit-def: $vgpr32
	s_and_saveexec_b32 s23, s8
	s_cbranch_execz .LBB64_86
; %bb.78:                               ;   in Loop: Header=BB64_7 Depth=1
	v_mov_b32_e32 v1, v5
	v_mov_b32_e32 v3, v0
                                        ; implicit-def: $sgpr24
	s_branch .LBB64_81
.LBB64_79:                              ;   in Loop: Header=BB64_81 Depth=2
	s_wait_alu 0xfffe
	s_or_b32 exec_lo, exec_lo, s25
	s_wait_loadcnt_dscnt 0x0
	s_barrier_signal -1
	s_barrier_wait -1
	global_inv scope:SCOPE_SE
	ds_load_b32 v2, v7 offset:3072
	s_mov_b32 s25, -1
	s_mov_b32 s26, -1
	s_wait_loadcnt_dscnt 0x0
	s_barrier_signal -1
	s_barrier_wait -1
	global_inv scope:SCOPE_SE
	v_and_b32_e32 v4, 0x7fff, v2
	s_delay_alu instid0(VALU_DEP_1)
	v_cmp_ne_u32_e32 vcc_lo, 0, v4
	s_cbranch_vccz .LBB64_84
.LBB64_80:                              ;   in Loop: Header=BB64_81 Depth=2
	s_wait_alu 0xfffe
	s_and_b32 s25, exec_lo, s25
	s_wait_alu 0xfffe
	s_or_b32 s21, s25, s21
	s_and_not1_b32 s24, s24, exec_lo
	s_and_b32 s25, s26, exec_lo
	s_wait_alu 0xfffe
	s_or_b32 s24, s24, s25
	s_and_not1_b32 exec_lo, exec_lo, s21
	s_cbranch_execz .LBB64_85
.LBB64_81:                              ;   Parent Loop BB64_7 Depth=1
                                        ; =>  This Inner Loop Header: Depth=2
	s_mov_b32 s25, exec_lo
	s_delay_alu instid0(VALU_DEP_1)
	v_cmpx_gt_i32_e64 s36, v3
	s_cbranch_execz .LBB64_79
; %bb.82:                               ;   in Loop: Header=BB64_81 Depth=2
	v_ashrrev_i32_e32 v2, 31, v1
	s_delay_alu instid0(VALU_DEP_1) | instskip(NEXT) | instid1(VALU_DEP_1)
	v_lshlrev_b64_e32 v[13:14], 1, v[1:2]
	v_add_co_u32 v13, vcc_lo, s42, v13
	s_wait_alu 0xfffd
	s_delay_alu instid0(VALU_DEP_2)
	v_add_co_ci_u32_e64 v14, null, s43, v14, vcc_lo
	global_load_u16 v2, v[13:14], off
	s_wait_loadcnt 0x0
	v_cmp_lt_i16_e32 vcc_lo, -1, v2
	v_and_b32_e32 v4, 0xffff, v2
	s_wait_alu 0xfffd
	v_dual_cndmask_b32 v6, 0xffff, v29 :: v_dual_lshlrev_b32 v13, 16, v2
	s_delay_alu instid0(VALU_DEP_1) | instskip(NEXT) | instid1(VALU_DEP_2)
	v_cmp_o_f32_e32 vcc_lo, v13, v13
	v_xor_b32_e32 v4, v6, v4
	s_wait_alu 0xfffd
	s_delay_alu instid0(VALU_DEP_1) | instskip(NEXT) | instid1(VALU_DEP_1)
	v_cndmask_b32_e32 v4, 0xffff, v4, vcc_lo
	v_and_b32_e32 v4, v4, v31
	s_delay_alu instid0(VALU_DEP_1)
	v_cmp_eq_u32_e32 vcc_lo, v4, v22
	s_and_b32 exec_lo, exec_lo, vcc_lo
	s_cbranch_execz .LBB64_79
; %bb.83:                               ;   in Loop: Header=BB64_81 Depth=2
	v_perm_b32 v2, v2, s66, 0x5040100
	ds_store_b32 v7, v2 offset:3072
	s_branch .LBB64_79
.LBB64_84:                              ;   in Loop: Header=BB64_81 Depth=2
	v_add_nc_u32_e32 v3, s50, v3
	v_add_nc_u32_e32 v1, s54, v1
	s_mov_b32 s26, 0
	s_delay_alu instid0(VALU_DEP_2)
	v_cmp_le_i32_e32 vcc_lo, s62, v3
	s_or_not1_b32 s25, vcc_lo, exec_lo
	s_branch .LBB64_80
.LBB64_85:                              ;   in Loop: Header=BB64_7 Depth=1
	s_or_b32 exec_lo, exec_lo, s21
	v_lshrrev_b32_e32 v32, 16, v2
	s_wait_alu 0xfffe
	s_and_b32 s21, s24, exec_lo
.LBB64_86:                              ;   in Loop: Header=BB64_7 Depth=1
	s_wait_alu 0xfffe
	s_or_b32 exec_lo, exec_lo, s23
.LBB64_87:                              ;   in Loop: Header=BB64_7 Depth=1
	s_wait_alu 0xfffe
	s_and_b32 vcc_lo, exec_lo, s22
	s_wait_alu 0xfffe
	s_cbranch_vccz .LBB64_98
; %bb.88:                               ;   in Loop: Header=BB64_7 Depth=1
	s_add_co_i32 s20, s15, s53
                                        ; implicit-def: $vgpr32
	s_wait_alu 0xfffe
	s_abs_i32 s40, s20
	s_wait_alu 0xfffe
	s_mul_u64 s[22:23], s[40:41], s[46:47]
	s_ashr_i32 s22, s20, 31
	s_wait_alu 0xfffe
	s_mul_i32 s18, s23, s50
	s_wait_alu 0xfffe
	s_sub_co_i32 s18, s40, s18
	s_wait_alu 0xfffe
	s_sub_co_i32 s23, s18, s50
	s_cmp_ge_u32 s18, s50
	s_wait_alu 0xfffe
	s_cselect_b32 s18, s23, s18
	s_wait_alu 0xfffe
	s_sub_co_i32 s23, s18, s50
	s_cmp_ge_u32 s18, s50
	s_wait_alu 0xfffe
	s_cselect_b32 s18, s23, s18
	s_wait_alu 0xfffe
	s_xor_b32 s18, s18, s22
	s_wait_alu 0xfffe
	s_sub_co_i32 s18, s22, s18
	s_wait_alu 0xfffe
	s_add_co_i32 s20, s20, s18
	s_mov_b32 s18, exec_lo
	s_wait_alu 0xfffe
	v_cmpx_gt_i32_e64 s20, v0
	s_cbranch_execz .LBB64_97
; %bb.89:                               ;   in Loop: Header=BB64_7 Depth=1
	v_dual_mov_b32 v1, v17 :: v_dual_mov_b32 v2, v0
	s_mov_b32 s22, 0
                                        ; implicit-def: $sgpr23
	s_branch .LBB64_92
.LBB64_90:                              ;   in Loop: Header=BB64_92 Depth=2
	s_wait_alu 0xfffe
	s_or_b32 exec_lo, exec_lo, s24
	s_wait_loadcnt_dscnt 0x0
	s_barrier_signal -1
	s_barrier_wait -1
	global_inv scope:SCOPE_SE
	ds_load_b32 v3, v7 offset:3072
	s_mov_b32 s24, -1
	s_mov_b32 s25, -1
	s_wait_loadcnt_dscnt 0x0
	s_barrier_signal -1
	s_barrier_wait -1
	global_inv scope:SCOPE_SE
	v_and_b32_e32 v4, 0x7fff, v3
	s_delay_alu instid0(VALU_DEP_1)
	v_cmp_ne_u32_e32 vcc_lo, 0, v4
	s_cbranch_vccz .LBB64_95
.LBB64_91:                              ;   in Loop: Header=BB64_92 Depth=2
	s_wait_alu 0xfffe
	s_and_b32 s24, exec_lo, s24
	s_wait_alu 0xfffe
	s_or_b32 s22, s24, s22
	s_and_not1_b32 s23, s23, exec_lo
	s_and_b32 s24, s25, exec_lo
	s_wait_alu 0xfffe
	s_or_b32 s23, s23, s24
	s_and_not1_b32 exec_lo, exec_lo, s22
	s_cbranch_execz .LBB64_96
.LBB64_92:                              ;   Parent Loop BB64_7 Depth=1
                                        ; =>  This Inner Loop Header: Depth=2
	s_mov_b32 s24, exec_lo
	s_delay_alu instid0(VALU_DEP_1)
	v_cmpx_gt_i32_e64 s15, v2
	s_cbranch_execz .LBB64_90
; %bb.93:                               ;   in Loop: Header=BB64_92 Depth=2
	ds_load_u16 v3, v1
	s_wait_dscnt 0x0
	v_cmp_lt_i16_e32 vcc_lo, -1, v3
	v_and_b32_e32 v4, 0xffff, v3
	s_wait_alu 0xfffd
	v_dual_cndmask_b32 v6, 0xffff, v29 :: v_dual_lshlrev_b32 v13, 16, v3
	s_delay_alu instid0(VALU_DEP_1) | instskip(NEXT) | instid1(VALU_DEP_2)
	v_cmp_o_f32_e32 vcc_lo, v13, v13
	v_xor_b32_e32 v4, v6, v4
	s_wait_alu 0xfffd
	s_delay_alu instid0(VALU_DEP_1) | instskip(NEXT) | instid1(VALU_DEP_1)
	v_cndmask_b32_e32 v4, 0xffff, v4, vcc_lo
	v_and_b32_e32 v4, v4, v31
	s_delay_alu instid0(VALU_DEP_1)
	v_cmp_eq_u32_e32 vcc_lo, v4, v22
	s_and_b32 exec_lo, exec_lo, vcc_lo
	s_cbranch_execz .LBB64_90
; %bb.94:                               ;   in Loop: Header=BB64_92 Depth=2
	v_perm_b32 v3, v3, s66, 0x5040100
	ds_store_b32 v7, v3 offset:3072
	s_branch .LBB64_90
.LBB64_95:                              ;   in Loop: Header=BB64_92 Depth=2
	v_add_nc_u32_e32 v2, s50, v2
	v_add_nc_u32_e32 v1, s65, v1
	s_mov_b32 s25, 0
	s_delay_alu instid0(VALU_DEP_2)
	v_cmp_le_i32_e32 vcc_lo, s20, v2
	s_or_not1_b32 s24, vcc_lo, exec_lo
	s_branch .LBB64_91
.LBB64_96:                              ;   in Loop: Header=BB64_7 Depth=1
	s_or_b32 exec_lo, exec_lo, s22
	s_delay_alu instid0(SALU_CYCLE_1)
	s_and_not1_b32 s15, s21, exec_lo
	s_wait_alu 0xfffe
	s_and_b32 s20, s23, exec_lo
	v_lshrrev_b32_e32 v32, 16, v3
	s_wait_alu 0xfffe
	s_or_b32 s21, s15, s20
.LBB64_97:                              ;   in Loop: Header=BB64_7 Depth=1
	s_or_b32 exec_lo, exec_lo, s18
	s_mov_b32 s18, 0
	s_mov_b32 s20, -1
.LBB64_98:                              ;   in Loop: Header=BB64_7 Depth=1
	s_wait_alu 0xfffe
	s_or_not1_b32 s15, s21, exec_lo
.LBB64_99:                              ;   in Loop: Header=BB64_7 Depth=1
	s_wait_alu 0xfffe
	s_or_b32 exec_lo, exec_lo, s11
	v_readfirstlane_b32 s21, v0
	s_and_not1_b32 s11, s71, exec_lo
	s_and_b32 s20, s20, exec_lo
	s_and_not1_b32 s22, s69, exec_lo
	s_and_b32 s18, s18, exec_lo
	s_and_not1_b32 s68, s68, exec_lo
	s_wait_alu 0xfffe
	s_or_b32 s71, s11, s20
	s_or_b32 s69, s22, s18
                                        ; implicit-def: $vgpr4
	s_and_saveexec_b32 s11, s15
	s_cbranch_execz .LBB64_6
; %bb.100:                              ;   in Loop: Header=BB64_7 Depth=1
	v_dual_mov_b32 v4, 1 :: v_dual_mov_b32 v3, 1
	s_xor_b32 s14, s14, -1
	s_mov_b32 s20, 0
	s_wait_alu 0xfffe
	s_and_saveexec_b32 s13, s14
	s_cbranch_execz .LBB64_109
; %bb.101:                              ;   in Loop: Header=BB64_7 Depth=1
	s_mov_b32 s14, exec_lo
	v_cmpx_ge_i32_e64 s12, v33
	s_wait_alu 0xfffe
	s_xor_b32 s14, exec_lo, s14
	s_cbranch_execz .LBB64_106
; %bb.102:                              ;   in Loop: Header=BB64_7 Depth=1
	ds_load_b32 v1, v7 offset:4096
	v_and_b32_e32 v22, s17, v22
	v_or_b32_e32 v31, s10, v31
	s_wait_dscnt 0x0
	v_cmp_ne_u32_e32 vcc_lo, 0, v1
	s_cbranch_vccnz .LBB64_106
; %bb.103:                              ;   in Loop: Header=BB64_7 Depth=1
	s_and_saveexec_b32 s15, s2
; %bb.104:                              ;   in Loop: Header=BB64_7 Depth=1
	v_mov_b32_e32 v1, s12
	ds_store_b32 v7, v1 offset:4100
; %bb.105:                              ;   in Loop: Header=BB64_7 Depth=1
	s_wait_alu 0xfffe
	s_or_b32 exec_lo, exec_lo, s15
	s_wait_loadcnt_dscnt 0x0
	s_barrier_signal -1
	s_barrier_wait -1
	global_inv scope:SCOPE_SE
.LBB64_106:                             ;   in Loop: Header=BB64_7 Depth=1
	s_wait_alu 0xfffe
	s_or_saveexec_b32 s14, s14
	v_mov_b32_e32 v3, 8
	s_mov_b32 s15, 0
	s_wait_alu 0xfffe
	s_xor_b32 exec_lo, exec_lo, s14
; %bb.107:                              ;   in Loop: Header=BB64_7 Depth=1
	v_subrev_nc_u32_e32 v33, s12, v33
	v_mov_b32_e32 v3, 0
	s_mov_b32 s15, exec_lo
; %bb.108:                              ;   in Loop: Header=BB64_7 Depth=1
	s_or_b32 exec_lo, exec_lo, s14
	s_delay_alu instid0(VALU_DEP_2)
	v_mov_b32_e32 v4, v33
	s_wait_alu 0xfffe
	s_and_b32 s20, s15, exec_lo
.LBB64_109:                             ;   in Loop: Header=BB64_7 Depth=1
	s_wait_alu 0xfffe
	s_or_b32 exec_lo, exec_lo, s13
	s_mov_b32 s12, -1
	s_mov_b32 s18, -1
                                        ; implicit-def: $sgpr14
                                        ; implicit-def: $sgpr15
	s_and_saveexec_b32 s13, s20
	s_wait_alu 0xfffe
	s_xor_b32 s13, exec_lo, s13
	s_cbranch_execz .LBB64_226
; %bb.110:                              ;   in Loop: Header=BB64_7 Depth=1
	v_cmp_eq_u32_e32 vcc_lo, 1, v4
	s_cmp_eq_u32 s19, 1
	s_mov_b32 s21, -1
	s_cselect_b32 s14, -1, 0
                                        ; implicit-def: $sgpr15
	s_wait_alu 0xfffe
	s_and_b32 s20, s14, vcc_lo
                                        ; implicit-def: $sgpr14
	s_wait_alu 0xfffe
	s_and_saveexec_b32 s18, s20
	s_cbranch_execz .LBB64_136
; %bb.111:                              ;   in Loop: Header=BB64_7 Depth=1
	ds_load_b32 v1, v7 offset:4096
	s_wait_loadcnt_dscnt 0x0
	s_barrier_signal -1
	s_barrier_wait -1
	global_inv scope:SCOPE_SE
	v_readfirstlane_b32 s21, v1
	s_and_saveexec_b32 s14, s0
; %bb.112:                              ;   in Loop: Header=BB64_7 Depth=1
	ds_store_b16 v18, v7
; %bb.113:                              ;   in Loop: Header=BB64_7 Depth=1
	s_wait_alu 0xfffe
	s_or_b32 exec_lo, exec_lo, s14
	s_lshl_b32 s14, 1, s73
	v_or_b32_e32 v31, s10, v31
	s_wait_alu 0xfffe
	v_and_or_b32 v22, v22, s17, s14
	s_mov_b32 s14, -1
	s_mov_b32 s15, 0
	s_cmp_gt_i32 s21, 0
	s_mov_b32 s22, 0
	s_mov_b32 s23, -1
	s_wait_loadcnt_dscnt 0x0
	s_barrier_signal -1
	s_barrier_wait -1
	global_inv scope:SCOPE_SE
                                        ; implicit-def: $vgpr32
	s_cbranch_scc1 .LBB64_124
; %bb.114:                              ;   in Loop: Header=BB64_7 Depth=1
	s_mov_b32 s23, 0
                                        ; implicit-def: $vgpr32
	s_and_saveexec_b32 s24, s8
	s_cbranch_execz .LBB64_123
; %bb.115:                              ;   in Loop: Header=BB64_7 Depth=1
	v_dual_mov_b32 v1, v5 :: v_dual_mov_b32 v6, v0
                                        ; implicit-def: $sgpr25
	s_branch .LBB64_118
.LBB64_116:                             ;   in Loop: Header=BB64_118 Depth=2
	s_wait_alu 0xfffe
	s_or_b32 exec_lo, exec_lo, s26
	s_wait_loadcnt_dscnt 0x0
	s_barrier_signal -1
	s_barrier_wait -1
	global_inv scope:SCOPE_SE
	ds_load_b32 v2, v7 offset:3072
	s_mov_b32 s26, -1
	s_mov_b32 s27, -1
	s_wait_loadcnt_dscnt 0x0
	s_barrier_signal -1
	s_barrier_wait -1
	global_inv scope:SCOPE_SE
	v_and_b32_e32 v13, 0x7fff, v2
	s_delay_alu instid0(VALU_DEP_1)
	v_cmp_ne_u32_e32 vcc_lo, 0, v13
	s_cbranch_vccz .LBB64_121
.LBB64_117:                             ;   in Loop: Header=BB64_118 Depth=2
	s_wait_alu 0xfffe
	s_and_b32 s26, exec_lo, s26
	s_wait_alu 0xfffe
	s_or_b32 s22, s26, s22
	s_and_not1_b32 s25, s25, exec_lo
	s_and_b32 s26, s27, exec_lo
	s_wait_alu 0xfffe
	s_or_b32 s25, s25, s26
	s_and_not1_b32 exec_lo, exec_lo, s22
	s_cbranch_execz .LBB64_122
.LBB64_118:                             ;   Parent Loop BB64_7 Depth=1
                                        ; =>  This Inner Loop Header: Depth=2
	s_mov_b32 s26, exec_lo
	s_delay_alu instid0(VALU_DEP_1)
	v_cmpx_gt_i32_e64 s36, v6
	s_cbranch_execz .LBB64_116
; %bb.119:                              ;   in Loop: Header=BB64_118 Depth=2
	v_ashrrev_i32_e32 v2, 31, v1
	s_delay_alu instid0(VALU_DEP_1) | instskip(NEXT) | instid1(VALU_DEP_1)
	v_lshlrev_b64_e32 v[13:14], 1, v[1:2]
	v_add_co_u32 v13, vcc_lo, s42, v13
	s_wait_alu 0xfffd
	s_delay_alu instid0(VALU_DEP_2)
	v_add_co_ci_u32_e64 v14, null, s43, v14, vcc_lo
	global_load_u16 v2, v[13:14], off
	s_wait_loadcnt 0x0
	v_cmp_lt_i16_e32 vcc_lo, -1, v2
	s_wait_alu 0xfffd
	v_dual_cndmask_b32 v14, 0xffff, v29 :: v_dual_and_b32 v13, 0xffff, v2
	s_delay_alu instid0(VALU_DEP_1) | instskip(SKIP_1) | instid1(VALU_DEP_1)
	v_xor_b32_e32 v13, v14, v13
	v_lshlrev_b32_e32 v32, 16, v2
	v_cmp_o_f32_e32 vcc_lo, v32, v32
	s_wait_alu 0xfffd
	s_delay_alu instid0(VALU_DEP_3) | instskip(NEXT) | instid1(VALU_DEP_1)
	v_cndmask_b32_e32 v13, 0xffff, v13, vcc_lo
	v_and_b32_e32 v13, v13, v31
	s_delay_alu instid0(VALU_DEP_1)
	v_cmp_eq_u32_e32 vcc_lo, v13, v22
	s_and_b32 exec_lo, exec_lo, vcc_lo
	s_cbranch_execz .LBB64_116
; %bb.120:                              ;   in Loop: Header=BB64_118 Depth=2
	v_perm_b32 v2, v2, s66, 0x5040100
	ds_store_b32 v7, v2 offset:3072
	s_branch .LBB64_116
.LBB64_121:                             ;   in Loop: Header=BB64_118 Depth=2
	v_add_nc_u32_e32 v6, s50, v6
	v_add_nc_u32_e32 v1, s54, v1
	s_mov_b32 s27, 0
	s_delay_alu instid0(VALU_DEP_2)
	v_cmp_le_i32_e32 vcc_lo, s62, v6
	s_or_not1_b32 s26, vcc_lo, exec_lo
	s_branch .LBB64_117
.LBB64_122:                             ;   in Loop: Header=BB64_7 Depth=1
	s_or_b32 exec_lo, exec_lo, s22
	v_lshrrev_b32_e32 v32, 16, v2
	s_wait_alu 0xfffe
	s_and_b32 s22, s25, exec_lo
.LBB64_123:                             ;   in Loop: Header=BB64_7 Depth=1
	s_wait_alu 0xfffe
	s_or_b32 exec_lo, exec_lo, s24
.LBB64_124:                             ;   in Loop: Header=BB64_7 Depth=1
	s_wait_alu 0xfffe
	s_and_b32 vcc_lo, exec_lo, s23
	s_wait_alu 0xfffe
	s_cbranch_vccz .LBB64_135
; %bb.125:                              ;   in Loop: Header=BB64_7 Depth=1
	s_add_co_i32 s23, s21, s53
                                        ; implicit-def: $vgpr32
	s_wait_alu 0xfffe
	s_abs_i32 s40, s23
	s_wait_alu 0xfffe
	s_mul_u64 s[14:15], s[40:41], s[46:47]
	s_wait_alu 0xfffe
	s_mul_i32 s14, s15, s50
	s_ashr_i32 s15, s23, 31
	s_wait_alu 0xfffe
	s_sub_co_i32 s14, s40, s14
	s_wait_alu 0xfffe
	s_sub_co_i32 s24, s14, s50
	s_cmp_ge_u32 s14, s50
	s_wait_alu 0xfffe
	s_cselect_b32 s14, s24, s14
	s_wait_alu 0xfffe
	s_sub_co_i32 s24, s14, s50
	s_cmp_ge_u32 s14, s50
	s_wait_alu 0xfffe
	s_cselect_b32 s14, s24, s14
	s_wait_alu 0xfffe
	s_xor_b32 s14, s14, s15
	s_wait_alu 0xfffe
	s_sub_co_i32 s14, s15, s14
	s_wait_alu 0xfffe
	s_add_co_i32 s15, s23, s14
	s_mov_b32 s14, exec_lo
	s_wait_alu 0xfffe
	v_cmpx_gt_i32_e64 s15, v0
	s_cbranch_execz .LBB64_134
; %bb.126:                              ;   in Loop: Header=BB64_7 Depth=1
	v_dual_mov_b32 v1, v17 :: v_dual_mov_b32 v2, v0
	s_mov_b32 s23, 0
                                        ; implicit-def: $sgpr24
	s_branch .LBB64_129
.LBB64_127:                             ;   in Loop: Header=BB64_129 Depth=2
	s_wait_alu 0xfffe
	s_or_b32 exec_lo, exec_lo, s25
	s_wait_loadcnt_dscnt 0x0
	s_barrier_signal -1
	s_barrier_wait -1
	global_inv scope:SCOPE_SE
	ds_load_b32 v6, v7 offset:3072
	s_mov_b32 s25, -1
	s_mov_b32 s26, -1
	s_wait_loadcnt_dscnt 0x0
	s_barrier_signal -1
	s_barrier_wait -1
	global_inv scope:SCOPE_SE
	v_and_b32_e32 v13, 0x7fff, v6
	s_delay_alu instid0(VALU_DEP_1)
	v_cmp_eq_u32_e32 vcc_lo, 0, v13
	s_cbranch_vccnz .LBB64_132
.LBB64_128:                             ;   in Loop: Header=BB64_129 Depth=2
	s_wait_alu 0xfffe
	s_and_b32 s25, exec_lo, s25
	s_wait_alu 0xfffe
	s_or_b32 s23, s25, s23
	s_and_not1_b32 s24, s24, exec_lo
	s_and_b32 s25, s26, exec_lo
	s_wait_alu 0xfffe
	s_or_b32 s24, s24, s25
	s_and_not1_b32 exec_lo, exec_lo, s23
	s_cbranch_execz .LBB64_133
.LBB64_129:                             ;   Parent Loop BB64_7 Depth=1
                                        ; =>  This Inner Loop Header: Depth=2
	s_mov_b32 s25, exec_lo
	s_delay_alu instid0(VALU_DEP_1)
	v_cmpx_gt_i32_e64 s21, v2
	s_cbranch_execz .LBB64_127
; %bb.130:                              ;   in Loop: Header=BB64_129 Depth=2
	ds_load_u16 v6, v1
	s_wait_dscnt 0x0
	v_cmp_lt_i16_e32 vcc_lo, -1, v6
	s_wait_alu 0xfffd
	v_dual_cndmask_b32 v14, 0xffff, v29 :: v_dual_and_b32 v13, 0xffff, v6
	s_delay_alu instid0(VALU_DEP_1) | instskip(SKIP_1) | instid1(VALU_DEP_1)
	v_xor_b32_e32 v13, v14, v13
	v_lshlrev_b32_e32 v32, 16, v6
	v_cmp_o_f32_e32 vcc_lo, v32, v32
	s_wait_alu 0xfffd
	s_delay_alu instid0(VALU_DEP_3) | instskip(NEXT) | instid1(VALU_DEP_1)
	v_cndmask_b32_e32 v13, 0xffff, v13, vcc_lo
	v_and_b32_e32 v13, v13, v31
	s_delay_alu instid0(VALU_DEP_1)
	v_cmp_eq_u32_e32 vcc_lo, v13, v22
	s_and_b32 exec_lo, exec_lo, vcc_lo
	s_cbranch_execz .LBB64_127
; %bb.131:                              ;   in Loop: Header=BB64_129 Depth=2
	v_perm_b32 v6, v6, s66, 0x5040100
	ds_store_b32 v7, v6 offset:3072
	s_branch .LBB64_127
.LBB64_132:                             ;   in Loop: Header=BB64_129 Depth=2
	v_add_nc_u32_e32 v2, s50, v2
	v_add_nc_u32_e32 v1, s65, v1
	s_mov_b32 s26, 0
	s_delay_alu instid0(VALU_DEP_2)
	v_cmp_le_i32_e32 vcc_lo, s15, v2
	s_or_not1_b32 s25, vcc_lo, exec_lo
	s_branch .LBB64_128
.LBB64_133:                             ;   in Loop: Header=BB64_7 Depth=1
	s_or_b32 exec_lo, exec_lo, s23
	v_lshrrev_b32_e32 v32, 16, v6
	s_and_not1_b32 s15, s22, exec_lo
	s_wait_alu 0xfffe
	s_and_b32 s21, s24, exec_lo
	s_wait_alu 0xfffe
	s_or_b32 s22, s15, s21
.LBB64_134:                             ;   in Loop: Header=BB64_7 Depth=1
	s_or_b32 exec_lo, exec_lo, s14
	s_mov_b32 s14, 0
	s_mov_b32 s15, -1
.LBB64_135:                             ;   in Loop: Header=BB64_7 Depth=1
	s_wait_alu 0xfffe
	s_or_not1_b32 s21, s22, exec_lo
.LBB64_136:                             ;   in Loop: Header=BB64_7 Depth=1
	s_wait_alu 0xfffe
	s_or_b32 exec_lo, exec_lo, s18
	s_mov_b32 s22, 0
	s_and_saveexec_b32 s18, s21
	s_cbranch_execz .LBB64_225
; %bb.137:                              ;   in Loop: Header=BB64_7 Depth=1
	v_dual_mov_b32 v6, 1 :: v_dual_mov_b32 v3, 1
	s_xor_b32 s21, s20, -1
	s_mov_b32 s23, 0
	s_wait_alu 0xfffe
	s_and_saveexec_b32 s20, s21
	s_cbranch_execz .LBB64_146
; %bb.138:                              ;   in Loop: Header=BB64_7 Depth=1
	s_mov_b32 s21, exec_lo
	v_cmpx_ge_i32_e64 s19, v4
	s_wait_alu 0xfffe
	s_xor_b32 s21, exec_lo, s21
	s_cbranch_execz .LBB64_143
; %bb.139:                              ;   in Loop: Header=BB64_7 Depth=1
	ds_load_b32 v1, v7 offset:4096
	s_lshl_b32 s22, 1, s73
	v_or_b32_e32 v31, s10, v31
	s_wait_alu 0xfffe
	v_and_or_b32 v22, v22, s17, s22
	s_wait_dscnt 0x0
	v_cmp_ne_u32_e32 vcc_lo, 0, v1
	s_cbranch_vccnz .LBB64_143
; %bb.140:                              ;   in Loop: Header=BB64_7 Depth=1
	s_and_saveexec_b32 s22, s2
; %bb.141:                              ;   in Loop: Header=BB64_7 Depth=1
	v_mov_b32_e32 v1, s19
	ds_store_b32 v7, v1 offset:4100
; %bb.142:                              ;   in Loop: Header=BB64_7 Depth=1
	s_wait_alu 0xfffe
	s_or_b32 exec_lo, exec_lo, s22
	s_wait_loadcnt_dscnt 0x0
	s_barrier_signal -1
	s_barrier_wait -1
	global_inv scope:SCOPE_SE
.LBB64_143:                             ;   in Loop: Header=BB64_7 Depth=1
	s_wait_alu 0xfffe
	s_or_saveexec_b32 s21, s21
	v_mov_b32_e32 v3, 8
	s_mov_b32 s22, 0
	s_wait_alu 0xfffe
	s_xor_b32 exec_lo, exec_lo, s21
; %bb.144:                              ;   in Loop: Header=BB64_7 Depth=1
	v_subrev_nc_u32_e32 v4, s19, v4
	v_mov_b32_e32 v3, 0
	s_mov_b32 s22, exec_lo
; %bb.145:                              ;   in Loop: Header=BB64_7 Depth=1
	s_or_b32 exec_lo, exec_lo, s21
	s_delay_alu instid0(VALU_DEP_2)
	v_mov_b32_e32 v6, v4
	s_wait_alu 0xfffe
	s_and_b32 s23, s22, exec_lo
.LBB64_146:                             ;   in Loop: Header=BB64_7 Depth=1
	s_wait_alu 0xfffe
	s_or_b32 exec_lo, exec_lo, s20
	s_mov_b32 s22, -1
                                        ; implicit-def: $sgpr20
                                        ; implicit-def: $sgpr21
	s_and_saveexec_b32 s19, s23
	s_cbranch_execz .LBB64_224
; %bb.147:                              ;   in Loop: Header=BB64_7 Depth=1
	v_cmp_eq_u32_e32 vcc_lo, 1, v6
	s_cmp_eq_u32 s16, 1
	s_mov_b32 s24, -1
	s_cselect_b32 s20, -1, 0
                                        ; implicit-def: $sgpr21
	s_wait_alu 0xfffe
	s_and_b32 s23, s20, vcc_lo
                                        ; implicit-def: $sgpr20
	s_wait_alu 0xfffe
	s_and_saveexec_b32 s22, s23
	s_cbranch_execz .LBB64_173
; %bb.148:                              ;   in Loop: Header=BB64_7 Depth=1
	ds_load_b32 v1, v7 offset:4096
	s_wait_loadcnt_dscnt 0x0
	s_barrier_signal -1
	s_barrier_wait -1
	global_inv scope:SCOPE_SE
	v_readfirstlane_b32 s24, v1
	s_and_saveexec_b32 s20, s0
; %bb.149:                              ;   in Loop: Header=BB64_7 Depth=1
	ds_store_b16 v18, v7
; %bb.150:                              ;   in Loop: Header=BB64_7 Depth=1
	s_wait_alu 0xfffe
	s_or_b32 exec_lo, exec_lo, s20
	s_lshl_b32 s20, 2, s73
	v_or_b32_e32 v31, s10, v31
	s_wait_alu 0xfffe
	v_and_or_b32 v22, v22, s17, s20
	s_mov_b32 s20, -1
	s_mov_b32 s21, 0
	s_cmp_gt_i32 s24, 0
	s_mov_b32 s25, 0
	s_mov_b32 s26, -1
	s_wait_loadcnt_dscnt 0x0
	s_barrier_signal -1
	s_barrier_wait -1
	global_inv scope:SCOPE_SE
                                        ; implicit-def: $vgpr32
	s_cbranch_scc1 .LBB64_161
; %bb.151:                              ;   in Loop: Header=BB64_7 Depth=1
	s_mov_b32 s26, 0
                                        ; implicit-def: $vgpr32
	s_and_saveexec_b32 s27, s8
	s_cbranch_execz .LBB64_160
; %bb.152:                              ;   in Loop: Header=BB64_7 Depth=1
	v_dual_mov_b32 v1, v5 :: v_dual_mov_b32 v4, v0
                                        ; implicit-def: $sgpr28
	s_branch .LBB64_155
.LBB64_153:                             ;   in Loop: Header=BB64_155 Depth=2
	s_wait_alu 0xfffe
	s_or_b32 exec_lo, exec_lo, s40
	s_wait_loadcnt_dscnt 0x0
	s_barrier_signal -1
	s_barrier_wait -1
	global_inv scope:SCOPE_SE
	ds_load_b32 v2, v7 offset:3072
	s_mov_b32 s40, -1
	s_mov_b32 s74, -1
	s_wait_loadcnt_dscnt 0x0
	s_barrier_signal -1
	s_barrier_wait -1
	global_inv scope:SCOPE_SE
	v_and_b32_e32 v13, 0x7fff, v2
	s_delay_alu instid0(VALU_DEP_1)
	v_cmp_ne_u32_e32 vcc_lo, 0, v13
	s_cbranch_vccz .LBB64_158
.LBB64_154:                             ;   in Loop: Header=BB64_155 Depth=2
	s_wait_alu 0xfffe
	s_and_b32 s40, exec_lo, s40
	s_wait_alu 0xfffe
	s_or_b32 s25, s40, s25
	s_and_not1_b32 s28, s28, exec_lo
	s_and_b32 s40, s74, exec_lo
	s_wait_alu 0xfffe
	s_or_b32 s28, s28, s40
	s_and_not1_b32 exec_lo, exec_lo, s25
	s_cbranch_execz .LBB64_159
.LBB64_155:                             ;   Parent Loop BB64_7 Depth=1
                                        ; =>  This Inner Loop Header: Depth=2
	s_mov_b32 s40, exec_lo
	s_delay_alu instid0(VALU_DEP_1)
	v_cmpx_gt_i32_e64 s36, v4
	s_cbranch_execz .LBB64_153
; %bb.156:                              ;   in Loop: Header=BB64_155 Depth=2
	v_ashrrev_i32_e32 v2, 31, v1
	s_delay_alu instid0(VALU_DEP_1) | instskip(NEXT) | instid1(VALU_DEP_1)
	v_lshlrev_b64_e32 v[13:14], 1, v[1:2]
	v_add_co_u32 v13, vcc_lo, s42, v13
	s_wait_alu 0xfffd
	s_delay_alu instid0(VALU_DEP_2)
	v_add_co_ci_u32_e64 v14, null, s43, v14, vcc_lo
	global_load_u16 v2, v[13:14], off
	s_wait_loadcnt 0x0
	v_cmp_lt_i16_e32 vcc_lo, -1, v2
	s_wait_alu 0xfffd
	v_dual_cndmask_b32 v14, 0xffff, v29 :: v_dual_and_b32 v13, 0xffff, v2
	s_delay_alu instid0(VALU_DEP_1) | instskip(SKIP_1) | instid1(VALU_DEP_1)
	v_xor_b32_e32 v13, v14, v13
	v_lshlrev_b32_e32 v32, 16, v2
	v_cmp_o_f32_e32 vcc_lo, v32, v32
	s_wait_alu 0xfffd
	s_delay_alu instid0(VALU_DEP_3) | instskip(NEXT) | instid1(VALU_DEP_1)
	v_cndmask_b32_e32 v13, 0xffff, v13, vcc_lo
	v_and_b32_e32 v13, v13, v31
	s_delay_alu instid0(VALU_DEP_1)
	v_cmp_eq_u32_e32 vcc_lo, v13, v22
	s_and_b32 exec_lo, exec_lo, vcc_lo
	s_cbranch_execz .LBB64_153
; %bb.157:                              ;   in Loop: Header=BB64_155 Depth=2
	v_perm_b32 v2, v2, s66, 0x5040100
	ds_store_b32 v7, v2 offset:3072
	s_branch .LBB64_153
.LBB64_158:                             ;   in Loop: Header=BB64_155 Depth=2
	v_add_nc_u32_e32 v4, s50, v4
	v_add_nc_u32_e32 v1, s54, v1
	s_mov_b32 s74, 0
	s_delay_alu instid0(VALU_DEP_2)
	v_cmp_le_i32_e32 vcc_lo, s62, v4
	s_or_not1_b32 s40, vcc_lo, exec_lo
	s_branch .LBB64_154
.LBB64_159:                             ;   in Loop: Header=BB64_7 Depth=1
	s_or_b32 exec_lo, exec_lo, s25
	v_lshrrev_b32_e32 v32, 16, v2
	s_wait_alu 0xfffe
	s_and_b32 s25, s28, exec_lo
.LBB64_160:                             ;   in Loop: Header=BB64_7 Depth=1
	s_wait_alu 0xfffe
	s_or_b32 exec_lo, exec_lo, s27
.LBB64_161:                             ;   in Loop: Header=BB64_7 Depth=1
	s_wait_alu 0xfffe
	s_and_b32 vcc_lo, exec_lo, s26
	s_wait_alu 0xfffe
	s_cbranch_vccz .LBB64_172
; %bb.162:                              ;   in Loop: Header=BB64_7 Depth=1
	s_add_co_i32 s26, s24, s53
                                        ; implicit-def: $vgpr32
	s_wait_alu 0xfffe
	s_abs_i32 s40, s26
	s_wait_alu 0xfffe
	s_mul_u64 s[20:21], s[40:41], s[46:47]
	s_wait_alu 0xfffe
	s_mul_i32 s20, s21, s50
	s_ashr_i32 s21, s26, 31
	s_wait_alu 0xfffe
	s_sub_co_i32 s20, s40, s20
	s_wait_alu 0xfffe
	s_sub_co_i32 s27, s20, s50
	s_cmp_ge_u32 s20, s50
	s_wait_alu 0xfffe
	s_cselect_b32 s20, s27, s20
	s_wait_alu 0xfffe
	s_sub_co_i32 s27, s20, s50
	s_cmp_ge_u32 s20, s50
	s_wait_alu 0xfffe
	s_cselect_b32 s20, s27, s20
	s_wait_alu 0xfffe
	s_xor_b32 s20, s20, s21
	s_wait_alu 0xfffe
	s_sub_co_i32 s20, s21, s20
	s_wait_alu 0xfffe
	s_add_co_i32 s21, s26, s20
	s_mov_b32 s20, exec_lo
	s_wait_alu 0xfffe
	v_cmpx_gt_i32_e64 s21, v0
	s_cbranch_execz .LBB64_171
; %bb.163:                              ;   in Loop: Header=BB64_7 Depth=1
	v_dual_mov_b32 v1, v17 :: v_dual_mov_b32 v2, v0
	s_mov_b32 s26, 0
                                        ; implicit-def: $sgpr27
	s_branch .LBB64_166
.LBB64_164:                             ;   in Loop: Header=BB64_166 Depth=2
	s_wait_alu 0xfffe
	s_or_b32 exec_lo, exec_lo, s28
	s_wait_loadcnt_dscnt 0x0
	s_barrier_signal -1
	s_barrier_wait -1
	global_inv scope:SCOPE_SE
	ds_load_b32 v4, v7 offset:3072
	s_mov_b32 s28, -1
	s_mov_b32 s40, -1
	s_wait_loadcnt_dscnt 0x0
	s_barrier_signal -1
	s_barrier_wait -1
	global_inv scope:SCOPE_SE
	v_and_b32_e32 v13, 0x7fff, v4
	s_delay_alu instid0(VALU_DEP_1)
	v_cmp_eq_u32_e32 vcc_lo, 0, v13
	s_cbranch_vccnz .LBB64_169
.LBB64_165:                             ;   in Loop: Header=BB64_166 Depth=2
	s_wait_alu 0xfffe
	s_and_b32 s28, exec_lo, s28
	s_wait_alu 0xfffe
	s_or_b32 s26, s28, s26
	s_and_not1_b32 s27, s27, exec_lo
	s_and_b32 s28, s40, exec_lo
	s_wait_alu 0xfffe
	s_or_b32 s27, s27, s28
	s_and_not1_b32 exec_lo, exec_lo, s26
	s_cbranch_execz .LBB64_170
.LBB64_166:                             ;   Parent Loop BB64_7 Depth=1
                                        ; =>  This Inner Loop Header: Depth=2
	s_mov_b32 s28, exec_lo
	s_delay_alu instid0(VALU_DEP_1)
	v_cmpx_gt_i32_e64 s24, v2
	s_cbranch_execz .LBB64_164
; %bb.167:                              ;   in Loop: Header=BB64_166 Depth=2
	ds_load_u16 v4, v1
	s_wait_dscnt 0x0
	v_cmp_lt_i16_e32 vcc_lo, -1, v4
	s_wait_alu 0xfffd
	v_dual_cndmask_b32 v14, 0xffff, v29 :: v_dual_and_b32 v13, 0xffff, v4
	s_delay_alu instid0(VALU_DEP_1) | instskip(SKIP_1) | instid1(VALU_DEP_1)
	v_xor_b32_e32 v13, v14, v13
	v_lshlrev_b32_e32 v32, 16, v4
	v_cmp_o_f32_e32 vcc_lo, v32, v32
	s_wait_alu 0xfffd
	s_delay_alu instid0(VALU_DEP_3) | instskip(NEXT) | instid1(VALU_DEP_1)
	v_cndmask_b32_e32 v13, 0xffff, v13, vcc_lo
	v_and_b32_e32 v13, v13, v31
	s_delay_alu instid0(VALU_DEP_1)
	v_cmp_eq_u32_e32 vcc_lo, v13, v22
	s_and_b32 exec_lo, exec_lo, vcc_lo
	s_cbranch_execz .LBB64_164
; %bb.168:                              ;   in Loop: Header=BB64_166 Depth=2
	v_perm_b32 v4, v4, s66, 0x5040100
	ds_store_b32 v7, v4 offset:3072
	s_branch .LBB64_164
.LBB64_169:                             ;   in Loop: Header=BB64_166 Depth=2
	v_add_nc_u32_e32 v2, s50, v2
	v_add_nc_u32_e32 v1, s65, v1
	s_mov_b32 s40, 0
	s_delay_alu instid0(VALU_DEP_2)
	v_cmp_le_i32_e32 vcc_lo, s21, v2
	s_or_not1_b32 s28, vcc_lo, exec_lo
	s_branch .LBB64_165
.LBB64_170:                             ;   in Loop: Header=BB64_7 Depth=1
	s_or_b32 exec_lo, exec_lo, s26
	v_lshrrev_b32_e32 v32, 16, v4
	s_and_not1_b32 s21, s25, exec_lo
	s_wait_alu 0xfffe
	s_and_b32 s24, s27, exec_lo
	s_wait_alu 0xfffe
	s_or_b32 s25, s21, s24
.LBB64_171:                             ;   in Loop: Header=BB64_7 Depth=1
	s_or_b32 exec_lo, exec_lo, s20
	s_mov_b32 s20, 0
	s_mov_b32 s21, -1
.LBB64_172:                             ;   in Loop: Header=BB64_7 Depth=1
	s_wait_alu 0xfffe
	s_or_not1_b32 s24, s25, exec_lo
.LBB64_173:                             ;   in Loop: Header=BB64_7 Depth=1
	s_wait_alu 0xfffe
	s_or_b32 exec_lo, exec_lo, s22
	s_mov_b32 s25, 0
	s_and_saveexec_b32 s22, s24
	s_cbranch_execz .LBB64_223
; %bb.174:                              ;   in Loop: Header=BB64_7 Depth=1
	v_dual_mov_b32 v4, 1 :: v_dual_mov_b32 v3, 1
	s_xor_b32 s24, s23, -1
	s_wait_alu 0xfffe
	s_and_saveexec_b32 s23, s24
	s_cbranch_execz .LBB64_183
; %bb.175:                              ;   in Loop: Header=BB64_7 Depth=1
	s_mov_b32 s24, exec_lo
	v_cmpx_ge_i32_e64 s16, v6
	s_wait_alu 0xfffe
	s_xor_b32 s24, exec_lo, s24
	s_cbranch_execz .LBB64_180
; %bb.176:                              ;   in Loop: Header=BB64_7 Depth=1
	ds_load_b32 v1, v7 offset:4096
	s_lshl_b32 s25, 2, s73
	v_or_b32_e32 v31, s10, v31
	s_wait_alu 0xfffe
	v_and_or_b32 v22, v22, s17, s25
	s_wait_dscnt 0x0
	v_cmp_ne_u32_e32 vcc_lo, 0, v1
	s_cbranch_vccnz .LBB64_180
; %bb.177:                              ;   in Loop: Header=BB64_7 Depth=1
	s_and_saveexec_b32 s17, s2
; %bb.178:                              ;   in Loop: Header=BB64_7 Depth=1
	v_mov_b32_e32 v1, s16
	ds_store_b32 v7, v1 offset:4100
; %bb.179:                              ;   in Loop: Header=BB64_7 Depth=1
	s_wait_alu 0xfffe
	s_or_b32 exec_lo, exec_lo, s17
	s_wait_loadcnt_dscnt 0x0
	s_barrier_signal -1
	s_barrier_wait -1
	global_inv scope:SCOPE_SE
.LBB64_180:                             ;   in Loop: Header=BB64_7 Depth=1
	s_wait_alu 0xfffe
	s_or_saveexec_b32 s17, s24
	v_mov_b32_e32 v3, 8
	s_mov_b32 s24, 0
	s_wait_alu 0xfffe
	s_xor_b32 exec_lo, exec_lo, s17
; %bb.181:                              ;   in Loop: Header=BB64_7 Depth=1
	v_subrev_nc_u32_e32 v6, s16, v6
	v_mov_b32_e32 v3, 0
	s_mov_b32 s24, exec_lo
; %bb.182:                              ;   in Loop: Header=BB64_7 Depth=1
	s_or_b32 exec_lo, exec_lo, s17
	s_delay_alu instid0(VALU_DEP_2)
	v_mov_b32_e32 v4, v6
	s_wait_alu 0xfffe
	s_and_b32 s25, s24, exec_lo
.LBB64_183:                             ;   in Loop: Header=BB64_7 Depth=1
	s_wait_alu 0xfffe
	s_or_b32 exec_lo, exec_lo, s23
	s_mov_b32 s17, -1
                                        ; implicit-def: $sgpr24
                                        ; implicit-def: $sgpr23
	s_and_saveexec_b32 s16, s25
	s_cbranch_execz .LBB64_222
; %bb.184:                              ;   in Loop: Header=BB64_7 Depth=1
	v_cmp_eq_u32_e32 vcc_lo, 1, v4
	s_cmp_eq_u32 s9, 1
	s_mov_b32 s26, -1
	s_cselect_b32 s17, -1, 0
                                        ; implicit-def: $sgpr24
                                        ; implicit-def: $sgpr23
	s_wait_alu 0xfffe
	s_and_b32 s17, s17, vcc_lo
	s_wait_alu 0xfffe
	s_and_saveexec_b32 s25, s17
	s_cbranch_execz .LBB64_210
; %bb.185:                              ;   in Loop: Header=BB64_7 Depth=1
	ds_load_b32 v1, v7 offset:4096
	s_wait_loadcnt_dscnt 0x0
	s_barrier_signal -1
	s_barrier_wait -1
	global_inv scope:SCOPE_SE
	v_readfirstlane_b32 s26, v1
	s_and_saveexec_b32 s23, s0
; %bb.186:                              ;   in Loop: Header=BB64_7 Depth=1
	ds_store_b16 v18, v7
; %bb.187:                              ;   in Loop: Header=BB64_7 Depth=1
	s_wait_alu 0xfffe
	s_or_b32 exec_lo, exec_lo, s23
	v_or_b32_e32 v22, s10, v22
	v_or_b32_e32 v31, s10, v31
	s_mov_b32 s23, -1
	s_mov_b32 s24, 0
	s_cmp_gt_i32 s26, 0
	s_mov_b32 s27, 0
	s_mov_b32 s28, -1
	s_wait_loadcnt_dscnt 0x0
	s_barrier_signal -1
	s_barrier_wait -1
	global_inv scope:SCOPE_SE
                                        ; implicit-def: $vgpr32
	s_cbranch_scc1 .LBB64_198
; %bb.188:                              ;   in Loop: Header=BB64_7 Depth=1
	s_mov_b32 s28, 0
                                        ; implicit-def: $vgpr32
	s_and_saveexec_b32 s40, s8
	s_cbranch_execz .LBB64_197
; %bb.189:                              ;   in Loop: Header=BB64_7 Depth=1
	v_dual_mov_b32 v1, v5 :: v_dual_mov_b32 v6, v0
                                        ; implicit-def: $sgpr74
	s_branch .LBB64_192
.LBB64_190:                             ;   in Loop: Header=BB64_192 Depth=2
	s_wait_alu 0xfffe
	s_or_b32 exec_lo, exec_lo, s75
	s_wait_loadcnt_dscnt 0x0
	s_barrier_signal -1
	s_barrier_wait -1
	global_inv scope:SCOPE_SE
	ds_load_b32 v2, v7 offset:3072
	s_mov_b32 s75, -1
	s_mov_b32 s76, -1
	s_wait_loadcnt_dscnt 0x0
	s_barrier_signal -1
	s_barrier_wait -1
	global_inv scope:SCOPE_SE
	v_and_b32_e32 v13, 0x7fff, v2
	s_delay_alu instid0(VALU_DEP_1)
	v_cmp_ne_u32_e32 vcc_lo, 0, v13
	s_cbranch_vccz .LBB64_195
.LBB64_191:                             ;   in Loop: Header=BB64_192 Depth=2
	s_wait_alu 0xfffe
	s_and_b32 s75, exec_lo, s75
	s_wait_alu 0xfffe
	s_or_b32 s27, s75, s27
	s_and_not1_b32 s74, s74, exec_lo
	s_and_b32 s75, s76, exec_lo
	s_wait_alu 0xfffe
	s_or_b32 s74, s74, s75
	s_and_not1_b32 exec_lo, exec_lo, s27
	s_cbranch_execz .LBB64_196
.LBB64_192:                             ;   Parent Loop BB64_7 Depth=1
                                        ; =>  This Inner Loop Header: Depth=2
	s_mov_b32 s75, exec_lo
	s_delay_alu instid0(VALU_DEP_1)
	v_cmpx_gt_i32_e64 s36, v6
	s_cbranch_execz .LBB64_190
; %bb.193:                              ;   in Loop: Header=BB64_192 Depth=2
	v_ashrrev_i32_e32 v2, 31, v1
	s_delay_alu instid0(VALU_DEP_1) | instskip(NEXT) | instid1(VALU_DEP_1)
	v_lshlrev_b64_e32 v[13:14], 1, v[1:2]
	v_add_co_u32 v13, vcc_lo, s42, v13
	s_wait_alu 0xfffd
	s_delay_alu instid0(VALU_DEP_2)
	v_add_co_ci_u32_e64 v14, null, s43, v14, vcc_lo
	global_load_u16 v2, v[13:14], off
	s_wait_loadcnt 0x0
	v_cmp_lt_i16_e32 vcc_lo, -1, v2
	s_wait_alu 0xfffd
	v_dual_cndmask_b32 v14, 0xffff, v29 :: v_dual_and_b32 v13, 0xffff, v2
	s_delay_alu instid0(VALU_DEP_1) | instskip(SKIP_1) | instid1(VALU_DEP_1)
	v_xor_b32_e32 v13, v14, v13
	v_lshlrev_b32_e32 v32, 16, v2
	v_cmp_o_f32_e32 vcc_lo, v32, v32
	s_wait_alu 0xfffd
	s_delay_alu instid0(VALU_DEP_3) | instskip(NEXT) | instid1(VALU_DEP_1)
	v_cndmask_b32_e32 v13, 0xffff, v13, vcc_lo
	v_and_b32_e32 v13, v13, v31
	s_delay_alu instid0(VALU_DEP_1)
	v_cmp_eq_u32_e32 vcc_lo, v13, v22
	s_and_b32 exec_lo, exec_lo, vcc_lo
	s_cbranch_execz .LBB64_190
; %bb.194:                              ;   in Loop: Header=BB64_192 Depth=2
	v_perm_b32 v2, v2, s66, 0x5040100
	ds_store_b32 v7, v2 offset:3072
	s_branch .LBB64_190
.LBB64_195:                             ;   in Loop: Header=BB64_192 Depth=2
	v_add_nc_u32_e32 v6, s50, v6
	v_add_nc_u32_e32 v1, s54, v1
	s_mov_b32 s76, 0
	s_delay_alu instid0(VALU_DEP_2)
	v_cmp_le_i32_e32 vcc_lo, s62, v6
	s_or_not1_b32 s75, vcc_lo, exec_lo
	s_branch .LBB64_191
.LBB64_196:                             ;   in Loop: Header=BB64_7 Depth=1
	s_or_b32 exec_lo, exec_lo, s27
	v_lshrrev_b32_e32 v32, 16, v2
	s_wait_alu 0xfffe
	s_and_b32 s27, s74, exec_lo
.LBB64_197:                             ;   in Loop: Header=BB64_7 Depth=1
	s_wait_alu 0xfffe
	s_or_b32 exec_lo, exec_lo, s40
.LBB64_198:                             ;   in Loop: Header=BB64_7 Depth=1
	s_wait_alu 0xfffe
	s_and_b32 vcc_lo, exec_lo, s28
	s_wait_alu 0xfffe
	s_cbranch_vccz .LBB64_209
; %bb.199:                              ;   in Loop: Header=BB64_7 Depth=1
	s_add_co_i32 s24, s26, s53
                                        ; implicit-def: $vgpr32
	s_wait_alu 0xfffe
	s_abs_i32 s40, s24
	s_ashr_i32 s28, s24, 31
	s_wait_alu 0xfffe
	s_mul_u64 s[74:75], s[40:41], s[46:47]
	s_wait_alu 0xfffe
	s_mul_i32 s23, s75, s50
	s_wait_alu 0xfffe
	s_sub_co_i32 s23, s40, s23
	s_wait_alu 0xfffe
	s_sub_co_i32 s40, s23, s50
	s_cmp_ge_u32 s23, s50
	s_wait_alu 0xfffe
	s_cselect_b32 s23, s40, s23
	s_wait_alu 0xfffe
	s_sub_co_i32 s40, s23, s50
	s_cmp_ge_u32 s23, s50
	s_wait_alu 0xfffe
	s_cselect_b32 s23, s40, s23
	s_wait_alu 0xfffe
	s_xor_b32 s23, s23, s28
	s_wait_alu 0xfffe
	s_sub_co_i32 s23, s28, s23
	s_wait_alu 0xfffe
	s_add_co_i32 s24, s24, s23
	s_mov_b32 s23, exec_lo
	s_wait_alu 0xfffe
	v_cmpx_gt_i32_e64 s24, v0
	s_cbranch_execz .LBB64_208
; %bb.200:                              ;   in Loop: Header=BB64_7 Depth=1
	v_dual_mov_b32 v1, v17 :: v_dual_mov_b32 v2, v0
	s_mov_b32 s28, 0
                                        ; implicit-def: $sgpr40
	s_branch .LBB64_203
.LBB64_201:                             ;   in Loop: Header=BB64_203 Depth=2
	s_wait_alu 0xfffe
	s_or_b32 exec_lo, exec_lo, s74
	s_wait_loadcnt_dscnt 0x0
	s_barrier_signal -1
	s_barrier_wait -1
	global_inv scope:SCOPE_SE
	ds_load_b32 v6, v7 offset:3072
	s_mov_b32 s74, -1
	s_mov_b32 s75, -1
	s_wait_loadcnt_dscnt 0x0
	s_barrier_signal -1
	s_barrier_wait -1
	global_inv scope:SCOPE_SE
	v_and_b32_e32 v13, 0x7fff, v6
	s_delay_alu instid0(VALU_DEP_1)
	v_cmp_eq_u32_e32 vcc_lo, 0, v13
	s_cbranch_vccnz .LBB64_206
.LBB64_202:                             ;   in Loop: Header=BB64_203 Depth=2
	s_wait_alu 0xfffe
	s_and_b32 s74, exec_lo, s74
	s_wait_alu 0xfffe
	s_or_b32 s28, s74, s28
	s_and_not1_b32 s40, s40, exec_lo
	s_and_b32 s74, s75, exec_lo
	s_wait_alu 0xfffe
	s_or_b32 s40, s40, s74
	s_and_not1_b32 exec_lo, exec_lo, s28
	s_cbranch_execz .LBB64_207
.LBB64_203:                             ;   Parent Loop BB64_7 Depth=1
                                        ; =>  This Inner Loop Header: Depth=2
	s_mov_b32 s74, exec_lo
	s_delay_alu instid0(VALU_DEP_1)
	v_cmpx_gt_i32_e64 s26, v2
	s_cbranch_execz .LBB64_201
; %bb.204:                              ;   in Loop: Header=BB64_203 Depth=2
	ds_load_u16 v6, v1
	s_wait_dscnt 0x0
	v_cmp_lt_i16_e32 vcc_lo, -1, v6
	s_wait_alu 0xfffd
	v_dual_cndmask_b32 v14, 0xffff, v29 :: v_dual_and_b32 v13, 0xffff, v6
	s_delay_alu instid0(VALU_DEP_1) | instskip(SKIP_1) | instid1(VALU_DEP_1)
	v_xor_b32_e32 v13, v14, v13
	v_lshlrev_b32_e32 v32, 16, v6
	v_cmp_o_f32_e32 vcc_lo, v32, v32
	s_wait_alu 0xfffd
	s_delay_alu instid0(VALU_DEP_3) | instskip(NEXT) | instid1(VALU_DEP_1)
	v_cndmask_b32_e32 v13, 0xffff, v13, vcc_lo
	v_and_b32_e32 v13, v13, v31
	s_delay_alu instid0(VALU_DEP_1)
	v_cmp_eq_u32_e32 vcc_lo, v13, v22
	s_and_b32 exec_lo, exec_lo, vcc_lo
	s_cbranch_execz .LBB64_201
; %bb.205:                              ;   in Loop: Header=BB64_203 Depth=2
	v_perm_b32 v6, v6, s66, 0x5040100
	ds_store_b32 v7, v6 offset:3072
	s_branch .LBB64_201
.LBB64_206:                             ;   in Loop: Header=BB64_203 Depth=2
	v_add_nc_u32_e32 v2, s50, v2
	v_add_nc_u32_e32 v1, s65, v1
	s_mov_b32 s75, 0
	s_delay_alu instid0(VALU_DEP_2)
	v_cmp_le_i32_e32 vcc_lo, s24, v2
	s_or_not1_b32 s74, vcc_lo, exec_lo
	s_branch .LBB64_202
.LBB64_207:                             ;   in Loop: Header=BB64_7 Depth=1
	s_or_b32 exec_lo, exec_lo, s28
	v_lshrrev_b32_e32 v32, 16, v6
	s_and_not1_b32 s24, s27, exec_lo
	s_wait_alu 0xfffe
	s_and_b32 s26, s40, exec_lo
	s_wait_alu 0xfffe
	s_or_b32 s27, s24, s26
.LBB64_208:                             ;   in Loop: Header=BB64_7 Depth=1
	s_or_b32 exec_lo, exec_lo, s23
	s_mov_b32 s23, 0
	s_mov_b32 s24, -1
.LBB64_209:                             ;   in Loop: Header=BB64_7 Depth=1
	s_wait_alu 0xfffe
	s_or_not1_b32 s26, s27, exec_lo
.LBB64_210:                             ;   in Loop: Header=BB64_7 Depth=1
	s_wait_alu 0xfffe
	s_or_b32 exec_lo, exec_lo, s25
	s_mov_b32 s27, 0
	s_and_saveexec_b32 s25, s26
	s_cbranch_execz .LBB64_221
; %bb.211:                              ;   in Loop: Header=BB64_7 Depth=1
	v_mov_b32_e32 v3, 1
	v_mov_b32_e32 v1, 1
	s_xor_b32 s26, s17, -1
	s_wait_alu 0xfffe
	s_and_saveexec_b32 s17, s26
	s_cbranch_execz .LBB64_220
; %bb.212:                              ;   in Loop: Header=BB64_7 Depth=1
	s_mov_b32 s26, exec_lo
	v_cmpx_ge_i32_e64 s9, v4
	s_wait_alu 0xfffe
	s_xor_b32 s26, exec_lo, s26
	s_cbranch_execz .LBB64_217
; %bb.213:                              ;   in Loop: Header=BB64_7 Depth=1
	ds_load_b32 v1, v7 offset:4096
	v_or_b32_e32 v22, s10, v22
	v_or_b32_e32 v31, s10, v31
	s_wait_dscnt 0x0
	v_cmp_ne_u32_e32 vcc_lo, 0, v1
	s_cbranch_vccnz .LBB64_217
; %bb.214:                              ;   in Loop: Header=BB64_7 Depth=1
	s_and_saveexec_b32 s10, s2
; %bb.215:                              ;   in Loop: Header=BB64_7 Depth=1
	v_mov_b32_e32 v1, s9
	ds_store_b32 v7, v1 offset:4100
; %bb.216:                              ;   in Loop: Header=BB64_7 Depth=1
	s_wait_alu 0xfffe
	s_or_b32 exec_lo, exec_lo, s10
	s_wait_loadcnt_dscnt 0x0
	s_barrier_signal -1
	s_barrier_wait -1
	global_inv scope:SCOPE_SE
.LBB64_217:                             ;   in Loop: Header=BB64_7 Depth=1
	s_wait_alu 0xfffe
	s_and_not1_saveexec_b32 s10, s26
; %bb.218:                              ;   in Loop: Header=BB64_7 Depth=1
	v_subrev_nc_u32_e32 v4, s9, v4
; %bb.219:                              ;   in Loop: Header=BB64_7 Depth=1
	s_wait_alu 0xfffe
	s_or_b32 exec_lo, exec_lo, s10
	v_mov_b32_e32 v3, 8
	s_delay_alu instid0(VALU_DEP_2)
	v_mov_b32_e32 v1, v4
.LBB64_220:                             ;   in Loop: Header=BB64_7 Depth=1
	s_wait_alu 0xfffe
	s_or_b32 exec_lo, exec_lo, s17
	s_delay_alu instid0(VALU_DEP_1)
	v_mov_b32_e32 v4, v1
	s_mov_b32 s27, exec_lo
.LBB64_221:                             ;   in Loop: Header=BB64_7 Depth=1
	s_wait_alu 0xfffe
	s_or_b32 exec_lo, exec_lo, s25
	s_delay_alu instid0(SALU_CYCLE_1)
	s_or_not1_b32 s17, s27, exec_lo
.LBB64_222:                             ;   in Loop: Header=BB64_7 Depth=1
	s_wait_alu 0xfffe
	s_or_b32 exec_lo, exec_lo, s16
	v_mov_b32_e32 v6, v4
	s_and_not1_b32 s9, s21, exec_lo
	s_and_b32 s10, s24, exec_lo
	s_and_not1_b32 s16, s20, exec_lo
	s_and_b32 s20, s23, exec_lo
	s_wait_alu 0xfffe
	s_or_b32 s21, s9, s10
	s_or_b32 s20, s16, s20
	s_and_b32 s25, s17, exec_lo
.LBB64_223:                             ;   in Loop: Header=BB64_7 Depth=1
	s_wait_alu 0xfffe
	s_or_b32 exec_lo, exec_lo, s22
	s_delay_alu instid0(SALU_CYCLE_1)
	s_or_not1_b32 s22, s25, exec_lo
.LBB64_224:                             ;   in Loop: Header=BB64_7 Depth=1
	s_wait_alu 0xfffe
	s_or_b32 exec_lo, exec_lo, s19
	v_mov_b32_e32 v4, v6
	s_and_not1_b32 s9, s15, exec_lo
	s_and_b32 s10, s21, exec_lo
	s_and_not1_b32 s14, s14, exec_lo
	s_and_b32 s16, s20, exec_lo
	s_wait_alu 0xfffe
	s_or_b32 s15, s9, s10
	s_or_b32 s14, s14, s16
	s_and_b32 s22, s22, exec_lo
.LBB64_225:                             ;   in Loop: Header=BB64_7 Depth=1
	s_wait_alu 0xfffe
	s_or_b32 exec_lo, exec_lo, s18
	s_delay_alu instid0(SALU_CYCLE_1)
	s_or_not1_b32 s18, s22, exec_lo
.LBB64_226:                             ;   in Loop: Header=BB64_7 Depth=1
	s_wait_alu 0xfffe
	s_or_b32 exec_lo, exec_lo, s13
	s_mov_b32 s10, 0
                                        ; implicit-def: $sgpr21
	s_and_saveexec_b32 s9, s18
	s_wait_alu 0xfffe
	s_xor_b32 s9, exec_lo, s9
	s_cbranch_execz .LBB64_5
; %bb.227:                              ;   in Loop: Header=BB64_7 Depth=1
	v_and_b32_e32 v1, 7, v3
	s_mov_b32 s12, -1
	s_mov_b32 s10, -1
	s_mov_b32 s13, exec_lo
                                        ; implicit-def: $sgpr21
	s_delay_alu instid0(VALU_DEP_1)
	v_cmpx_eq_u32_e32 0, v1
	s_cbranch_execz .LBB64_4
; %bb.228:                              ;   in Loop: Header=BB64_7 Depth=1
	s_add_co_i32 s21, s73, -2
	s_cmp_eq_u32 s73, 0
	v_xor_b32_e32 v30, 1, v30
	s_cselect_b32 s12, -1, 0
	s_xor_b32 s10, exec_lo, -1
	s_wait_alu 0xfffe
	s_or_not1_b32 s12, s12, exec_lo
	s_branch .LBB64_4
.LBB64_229:
	s_or_b32 exec_lo, exec_lo, s37
	s_wait_alu 0xfffe
	s_xor_b32 s3, s72, -1
	s_xor_b32 s1, s70, -1
	;; [unrolled: 1-line block ×3, first 2 shown]
	s_mov_b32 s0, 0
	s_wait_alu 0xfffe
	s_and_saveexec_b32 s5, s1
	s_wait_alu 0xfffe
	s_xor_b32 s1, exec_lo, s5
	s_cbranch_execnz .LBB64_234
; %bb.230:
	s_wait_alu 0xfffe
	s_and_not1_saveexec_b32 s1, s1
	s_cbranch_execnz .LBB64_254
.LBB64_231:
	s_wait_alu 0xfffe
	s_or_b32 exec_lo, exec_lo, s1
	s_and_saveexec_b32 s1, s0
.LBB64_232:
	; divergent unreachable
.LBB64_233:
	s_endpgm
.LBB64_234:
	s_and_saveexec_b32 s0, s3
	s_wait_alu 0xfffe
	s_xor_b32 s3, exec_lo, s0
	s_cbranch_execz .LBB64_252
; %bb.235:
	s_and_saveexec_b32 s0, s4
	s_wait_alu 0xfffe
	s_xor_b32 s0, exec_lo, s0
; %bb.236:
	v_and_b32_e32 v1, 0x8000, v22
	v_mov_b32_e32 v2, 0xffff
	s_delay_alu instid0(VALU_DEP_2) | instskip(SKIP_1) | instid1(VALU_DEP_2)
	v_cmp_eq_u32_e32 vcc_lo, 0, v1
	s_wait_alu 0xfffd
	v_cndmask_b32_e32 v1, 0x8000, v2, vcc_lo
	s_delay_alu instid0(VALU_DEP_1)
	v_xor_b32_e32 v32, v1, v22
; %bb.237:
	s_wait_alu 0xfffe
	s_or_b32 exec_lo, exec_lo, s0
	s_and_saveexec_b32 s0, s2
; %bb.238:
	v_dual_mov_b32 v1, 0 :: v_dual_mov_b32 v2, s36
	ds_store_b32 v1, v2 offset:4108
; %bb.239:
	s_wait_alu 0xfffe
	s_or_b32 exec_lo, exec_lo, s0
	v_mov_b32_e32 v1, 0
	s_wait_loadcnt_dscnt 0x0
	s_barrier_signal -1
	s_barrier_wait -1
	global_inv scope:SCOPE_SE
	ds_load_b32 v1, v1 offset:4108
	s_mov_b32 s4, exec_lo
	s_wait_dscnt 0x0
	v_min_i32_e32 v1, s36, v1
	s_delay_alu instid0(VALU_DEP_1)
	v_cmpx_lt_i32_e64 v0, v1
	s_cbranch_execz .LBB64_249
; %bb.240:
	v_lshlrev_b32_e32 v2, 16, v32
	s_mov_b32 s5, 0
                                        ; implicit-def: $sgpr6
                                        ; implicit-def: $sgpr9
                                        ; implicit-def: $sgpr8
	s_delay_alu instid0(VALU_DEP_1)
	v_cmp_u_f32_e32 vcc_lo, v2, v2
	s_xor_b32 s7, vcc_lo, -1
	s_branch .LBB64_242
.LBB64_241:                             ;   in Loop: Header=BB64_242 Depth=1
	s_wait_alu 0xfffe
	s_or_b32 exec_lo, exec_lo, s0
	s_delay_alu instid0(SALU_CYCLE_1)
	s_and_b32 s0, exec_lo, s9
	s_wait_alu 0xfffe
	s_or_b32 s5, s0, s5
	s_and_not1_b32 s0, s6, exec_lo
	s_and_b32 s6, s8, exec_lo
	s_wait_alu 0xfffe
	s_or_b32 s6, s0, s6
	s_and_not1_b32 exec_lo, exec_lo, s5
	s_cbranch_execz .LBB64_244
.LBB64_242:                             ; =>This Inner Loop Header: Depth=1
	v_ashrrev_i32_e32 v6, 31, v5
	s_or_b32 s8, s8, exec_lo
	s_or_b32 s9, s9, exec_lo
	s_delay_alu instid0(VALU_DEP_1) | instskip(NEXT) | instid1(VALU_DEP_1)
	v_lshlrev_b64_e32 v[3:4], 1, v[5:6]
	v_add_co_u32 v3, vcc_lo, s42, v3
	s_wait_alu 0xfffd
	s_delay_alu instid0(VALU_DEP_2) | instskip(SKIP_3) | instid1(VALU_DEP_1)
	v_add_co_ci_u32_e64 v4, null, s43, v4, vcc_lo
	global_load_u16 v3, v[3:4], off
	s_wait_loadcnt 0x0
	v_lshlrev_b32_e32 v3, 16, v3
	v_cmp_o_f32_e32 vcc_lo, v3, v3
	v_cmp_neq_f32_e64 s0, v3, v2
	v_mov_b32_e32 v3, v0
                                        ; implicit-def: $vgpr0
	s_or_b32 s10, s7, vcc_lo
	s_wait_alu 0xfffe
	s_and_b32 s10, s0, s10
	s_wait_alu 0xfffe
	s_and_saveexec_b32 s0, s10
	s_cbranch_execz .LBB64_241
; %bb.243:                              ;   in Loop: Header=BB64_242 Depth=1
	v_add_nc_u32_e32 v0, s50, v3
	v_add_nc_u32_e32 v5, s54, v5
	s_and_not1_b32 s9, s9, exec_lo
	s_and_not1_b32 s8, s8, exec_lo
	s_delay_alu instid0(VALU_DEP_2)
	v_cmp_ge_i32_e32 vcc_lo, v0, v1
	s_and_b32 s10, vcc_lo, exec_lo
	s_wait_alu 0xfffe
	s_or_b32 s9, s9, s10
	s_branch .LBB64_241
.LBB64_244:
	s_or_b32 exec_lo, exec_lo, s5
	s_and_saveexec_b32 s0, s6
	s_wait_alu 0xfffe
	s_xor_b32 s0, exec_lo, s0
	s_cbranch_execz .LBB64_249
; %bb.245:
	s_mov_b32 s5, exec_lo
	s_brev_b32 s0, -2
.LBB64_246:                             ; =>This Inner Loop Header: Depth=1
	s_wait_alu 0xfffe
	s_ctz_i32_b32 s6, s5
	s_wait_alu 0xfffe
	v_readlane_b32 s7, v3, s6
	s_lshl_b32 s6, 1, s6
	s_wait_alu 0xfffe
	s_and_not1_b32 s5, s5, s6
	s_min_i32 s0, s0, s7
	s_wait_alu 0xfffe
	s_cmp_lg_u32 s5, 0
	s_cbranch_scc1 .LBB64_246
; %bb.247:
	v_mbcnt_lo_u32_b32 v0, exec_lo, 0
	s_mov_b32 s5, exec_lo
	s_delay_alu instid0(VALU_DEP_1)
	v_cmpx_eq_u32_e32 0, v0
	s_wait_alu 0xfffe
	s_xor_b32 s5, exec_lo, s5
; %bb.248:
	v_dual_mov_b32 v0, 0 :: v_dual_mov_b32 v1, s0
	ds_min_i32 v0, v1 offset:4108
.LBB64_249:
	s_wait_alu 0xfffe
	s_or_b32 exec_lo, exec_lo, s4
	s_wait_loadcnt_dscnt 0x0
	s_barrier_signal -1
	s_barrier_wait -1
	global_inv scope:SCOPE_SE
	s_and_saveexec_b32 s0, s2
	s_cbranch_execz .LBB64_251
; %bb.250:
	v_mov_b32_e32 v2, 0
	s_mul_i32 s6, s33, s29
	s_mul_i32 s4, s38, s29
	s_wait_alu 0xfffe
	s_ashr_i32 s7, s6, 31
	s_ashr_i32 s5, s4, 31
	ds_load_b32 v0, v2 offset:4108
	s_wait_alu 0xfffe
	s_lshl_b64 s[6:7], s[6:7], 3
	s_lshl_b64 s[4:5], s[4:5], 1
	s_wait_alu 0xfffe
	s_add_nc_u64 s[6:7], s[30:31], s[6:7]
	s_add_nc_u64 s[4:5], s[34:35], s[4:5]
	s_wait_dscnt 0x0
	v_ashrrev_i32_e32 v1, 31, v0
	s_clause 0x1
	global_store_b64 v2, v[0:1], s[6:7]
	global_store_b16 v2, v32, s[4:5]
.LBB64_251:
	s_wait_alu 0xfffe
	s_or_b32 exec_lo, exec_lo, s0
.LBB64_252:
	s_or_saveexec_b32 s0, s3
	s_mov_b32 s2, 0
	s_wait_alu 0xfffe
	s_xor_b32 exec_lo, exec_lo, s0
	s_cbranch_execnz .LBB64_255
.LBB64_253:
	s_or_b32 exec_lo, exec_lo, s0
	s_delay_alu instid0(SALU_CYCLE_1)
	s_and_b32 s0, s2, exec_lo
	s_and_not1_saveexec_b32 s1, s1
	s_cbranch_execz .LBB64_231
.LBB64_254:
	s_wait_alu 0xfffe
	s_or_b32 s0, s0, exec_lo
	s_trap 2
	s_or_b32 exec_lo, exec_lo, s1
	s_wait_alu 0xfffe
	s_and_saveexec_b32 s1, s0
	s_cbranch_execnz .LBB64_232
	s_branch .LBB64_233
.LBB64_255:
	s_mov_b32 s2, exec_lo
	s_trap 2
	s_branch .LBB64_253
	.section	.rodata,"a",@progbits
	.p2align	6, 0x0
	.amdhsa_kernel _ZN2at6native12_GLOBAL__N_114gatherKthValueIN3c108BFloat16EiLi1EEEvNS_4cuda6detail10TensorInfoIKT_T0_EESA_SA_SA_SA_NS7_IS8_SA_EENS7_IlSA_EE
		.amdhsa_group_segment_fixed_size 4112
		.amdhsa_private_segment_fixed_size 0
		.amdhsa_kernarg_size 920
		.amdhsa_user_sgpr_count 2
		.amdhsa_user_sgpr_dispatch_ptr 0
		.amdhsa_user_sgpr_queue_ptr 0
		.amdhsa_user_sgpr_kernarg_segment_ptr 1
		.amdhsa_user_sgpr_dispatch_id 0
		.amdhsa_user_sgpr_private_segment_size 0
		.amdhsa_wavefront_size32 1
		.amdhsa_uses_dynamic_stack 0
		.amdhsa_enable_private_segment 0
		.amdhsa_system_sgpr_workgroup_id_x 1
		.amdhsa_system_sgpr_workgroup_id_y 1
		.amdhsa_system_sgpr_workgroup_id_z 1
		.amdhsa_system_sgpr_workgroup_info 0
		.amdhsa_system_vgpr_workitem_id 0
		.amdhsa_next_free_vgpr 44
		.amdhsa_next_free_sgpr 81
		.amdhsa_reserve_vcc 1
		.amdhsa_float_round_mode_32 0
		.amdhsa_float_round_mode_16_64 0
		.amdhsa_float_denorm_mode_32 3
		.amdhsa_float_denorm_mode_16_64 3
		.amdhsa_fp16_overflow 0
		.amdhsa_workgroup_processor_mode 1
		.amdhsa_memory_ordered 1
		.amdhsa_forward_progress 1
		.amdhsa_inst_pref_size 93
		.amdhsa_round_robin_scheduling 0
		.amdhsa_exception_fp_ieee_invalid_op 0
		.amdhsa_exception_fp_denorm_src 0
		.amdhsa_exception_fp_ieee_div_zero 0
		.amdhsa_exception_fp_ieee_overflow 0
		.amdhsa_exception_fp_ieee_underflow 0
		.amdhsa_exception_fp_ieee_inexact 0
		.amdhsa_exception_int_div_zero 0
	.end_amdhsa_kernel
	.section	.text._ZN2at6native12_GLOBAL__N_114gatherKthValueIN3c108BFloat16EiLi1EEEvNS_4cuda6detail10TensorInfoIKT_T0_EESA_SA_SA_SA_NS7_IS8_SA_EENS7_IlSA_EE,"axG",@progbits,_ZN2at6native12_GLOBAL__N_114gatherKthValueIN3c108BFloat16EiLi1EEEvNS_4cuda6detail10TensorInfoIKT_T0_EESA_SA_SA_SA_NS7_IS8_SA_EENS7_IlSA_EE,comdat
.Lfunc_end64:
	.size	_ZN2at6native12_GLOBAL__N_114gatherKthValueIN3c108BFloat16EiLi1EEEvNS_4cuda6detail10TensorInfoIKT_T0_EESA_SA_SA_SA_NS7_IS8_SA_EENS7_IlSA_EE, .Lfunc_end64-_ZN2at6native12_GLOBAL__N_114gatherKthValueIN3c108BFloat16EiLi1EEEvNS_4cuda6detail10TensorInfoIKT_T0_EESA_SA_SA_SA_NS7_IS8_SA_EENS7_IlSA_EE
                                        ; -- End function
	.set _ZN2at6native12_GLOBAL__N_114gatherKthValueIN3c108BFloat16EiLi1EEEvNS_4cuda6detail10TensorInfoIKT_T0_EESA_SA_SA_SA_NS7_IS8_SA_EENS7_IlSA_EE.num_vgpr, 44
	.set _ZN2at6native12_GLOBAL__N_114gatherKthValueIN3c108BFloat16EiLi1EEEvNS_4cuda6detail10TensorInfoIKT_T0_EESA_SA_SA_SA_NS7_IS8_SA_EENS7_IlSA_EE.num_agpr, 0
	.set _ZN2at6native12_GLOBAL__N_114gatherKthValueIN3c108BFloat16EiLi1EEEvNS_4cuda6detail10TensorInfoIKT_T0_EESA_SA_SA_SA_NS7_IS8_SA_EENS7_IlSA_EE.numbered_sgpr, 81
	.set _ZN2at6native12_GLOBAL__N_114gatherKthValueIN3c108BFloat16EiLi1EEEvNS_4cuda6detail10TensorInfoIKT_T0_EESA_SA_SA_SA_NS7_IS8_SA_EENS7_IlSA_EE.num_named_barrier, 0
	.set _ZN2at6native12_GLOBAL__N_114gatherKthValueIN3c108BFloat16EiLi1EEEvNS_4cuda6detail10TensorInfoIKT_T0_EESA_SA_SA_SA_NS7_IS8_SA_EENS7_IlSA_EE.private_seg_size, 0
	.set _ZN2at6native12_GLOBAL__N_114gatherKthValueIN3c108BFloat16EiLi1EEEvNS_4cuda6detail10TensorInfoIKT_T0_EESA_SA_SA_SA_NS7_IS8_SA_EENS7_IlSA_EE.uses_vcc, 1
	.set _ZN2at6native12_GLOBAL__N_114gatherKthValueIN3c108BFloat16EiLi1EEEvNS_4cuda6detail10TensorInfoIKT_T0_EESA_SA_SA_SA_NS7_IS8_SA_EENS7_IlSA_EE.uses_flat_scratch, 0
	.set _ZN2at6native12_GLOBAL__N_114gatherKthValueIN3c108BFloat16EiLi1EEEvNS_4cuda6detail10TensorInfoIKT_T0_EESA_SA_SA_SA_NS7_IS8_SA_EENS7_IlSA_EE.has_dyn_sized_stack, 0
	.set _ZN2at6native12_GLOBAL__N_114gatherKthValueIN3c108BFloat16EiLi1EEEvNS_4cuda6detail10TensorInfoIKT_T0_EESA_SA_SA_SA_NS7_IS8_SA_EENS7_IlSA_EE.has_recursion, 0
	.set _ZN2at6native12_GLOBAL__N_114gatherKthValueIN3c108BFloat16EiLi1EEEvNS_4cuda6detail10TensorInfoIKT_T0_EESA_SA_SA_SA_NS7_IS8_SA_EENS7_IlSA_EE.has_indirect_call, 0
	.section	.AMDGPU.csdata,"",@progbits
; Kernel info:
; codeLenInByte = 11860
; TotalNumSgprs: 83
; NumVgprs: 44
; ScratchSize: 0
; MemoryBound: 0
; FloatMode: 240
; IeeeMode: 1
; LDSByteSize: 4112 bytes/workgroup (compile time only)
; SGPRBlocks: 0
; VGPRBlocks: 5
; NumSGPRsForWavesPerEU: 83
; NumVGPRsForWavesPerEU: 44
; Occupancy: 16
; WaveLimiterHint : 1
; COMPUTE_PGM_RSRC2:SCRATCH_EN: 0
; COMPUTE_PGM_RSRC2:USER_SGPR: 2
; COMPUTE_PGM_RSRC2:TRAP_HANDLER: 0
; COMPUTE_PGM_RSRC2:TGID_X_EN: 1
; COMPUTE_PGM_RSRC2:TGID_Y_EN: 1
; COMPUTE_PGM_RSRC2:TGID_Z_EN: 1
; COMPUTE_PGM_RSRC2:TIDIG_COMP_CNT: 0
	.section	.text._ZN2at6native12_GLOBAL__N_114gatherKthValueIN3c108BFloat16EiLi2EEEvNS_4cuda6detail10TensorInfoIKT_T0_EESA_SA_SA_SA_NS7_IS8_SA_EENS7_IlSA_EE,"axG",@progbits,_ZN2at6native12_GLOBAL__N_114gatherKthValueIN3c108BFloat16EiLi2EEEvNS_4cuda6detail10TensorInfoIKT_T0_EESA_SA_SA_SA_NS7_IS8_SA_EENS7_IlSA_EE,comdat
	.globl	_ZN2at6native12_GLOBAL__N_114gatherKthValueIN3c108BFloat16EiLi2EEEvNS_4cuda6detail10TensorInfoIKT_T0_EESA_SA_SA_SA_NS7_IS8_SA_EENS7_IlSA_EE ; -- Begin function _ZN2at6native12_GLOBAL__N_114gatherKthValueIN3c108BFloat16EiLi2EEEvNS_4cuda6detail10TensorInfoIKT_T0_EESA_SA_SA_SA_NS7_IS8_SA_EENS7_IlSA_EE
	.p2align	8
	.type	_ZN2at6native12_GLOBAL__N_114gatherKthValueIN3c108BFloat16EiLi2EEEvNS_4cuda6detail10TensorInfoIKT_T0_EESA_SA_SA_SA_NS7_IS8_SA_EENS7_IlSA_EE,@function
_ZN2at6native12_GLOBAL__N_114gatherKthValueIN3c108BFloat16EiLi2EEEvNS_4cuda6detail10TensorInfoIKT_T0_EESA_SA_SA_SA_NS7_IS8_SA_EENS7_IlSA_EE: ; @_ZN2at6native12_GLOBAL__N_114gatherKthValueIN3c108BFloat16EiLi2EEEvNS_4cuda6detail10TensorInfoIKT_T0_EESA_SA_SA_SA_NS7_IS8_SA_EENS7_IlSA_EE
; %bb.0:
	s_clause 0x1
	s_load_b64 s[4:5], s[0:1], 0x298
	s_load_b128 s[36:39], s[0:1], 0xd8
	s_lshr_b32 s2, ttmp7, 16
	s_and_b32 s3, ttmp7, 0xffff
	s_wait_kmcnt 0x0
	s_mul_i32 s2, s5, s2
	s_delay_alu instid0(SALU_CYCLE_1) | instskip(NEXT) | instid1(SALU_CYCLE_1)
	s_add_co_i32 s2, s2, s3
	s_mul_i32 s33, s2, s4
	s_delay_alu instid0(SALU_CYCLE_1) | instskip(NEXT) | instid1(SALU_CYCLE_1)
	s_add_co_i32 s33, s33, ttmp9
	s_cmp_ge_i32 s33, s38
	s_cbranch_scc1 .LBB65_233
; %bb.1:
	s_clause 0x4
	s_load_b32 s5, s[0:1], 0xc
	s_load_b32 s58, s[0:1], 0xf4
	;; [unrolled: 1-line block ×3, first 2 shown]
	s_load_b64 s[6:7], s[0:1], 0x6c
	s_load_b64 s[30:31], s[0:1], 0x154
	s_mov_b32 s51, 0
	s_abs_i32 s40, s33
	s_mov_b32 s41, s51
	s_add_nc_u64 s[10:11], s[0:1], 0x298
	s_ashr_i32 s61, s33, 31
	s_wait_kmcnt 0x0
	s_abs_i32 s14, s5
	s_abs_i32 s60, s58
	s_cvt_f32_u32 s2, s14
	s_abs_i32 s59, s38
	s_cvt_f32_u32 s3, s60
	s_cvt_f32_u32 s8, s59
	v_rcp_iflag_f32_e32 v1, s2
	s_sub_co_i32 s13, 0, s14
	v_rcp_iflag_f32_e32 v2, s3
	v_rcp_iflag_f32_e32 v3, s8
	s_clause 0x1
	s_load_b64 s[8:9], s[0:1], 0x0
	s_load_b64 s[34:35], s[0:1], 0x22c
	s_sub_co_i32 s16, 0, s60
	s_ashr_i32 s15, s5, 31
	s_delay_alu instid0(TRANS32_DEP_3) | instskip(NEXT) | instid1(TRANS32_DEP_2)
	v_readfirstlane_b32 s2, v1
	v_readfirstlane_b32 s3, v2
	s_delay_alu instid0(TRANS32_DEP_1)
	v_readfirstlane_b32 s12, v3
	s_mul_f32 s2, s2, 0x4f7ffffe
	s_mul_f32 s3, s3, 0x4f7ffffe
	;; [unrolled: 1-line block ×3, first 2 shown]
	s_wait_alu 0xfffe
	s_cvt_u32_f32 s2, s2
	s_cvt_u32_f32 s17, s3
	;; [unrolled: 1-line block ×3, first 2 shown]
	s_wait_alu 0xfffe
	s_mul_i32 s13, s13, s2
	s_sub_co_i32 s3, 0, s59
	s_mul_hi_u32 s13, s2, s13
	s_wait_alu 0xfffe
	s_mul_i32 s3, s3, s12
	s_add_co_i32 s50, s2, s13
	s_mul_i32 s16, s16, s17
	s_wait_alu 0xfffe
	s_mul_hi_u32 s13, s12, s3
	s_mul_u64 s[2:3], s[40:41], s[50:51]
	v_cmp_eq_u32_e64 s2, 0, v0
	s_mul_hi_u32 s16, s17, s16
	s_add_co_i32 s12, s12, s13
	s_add_co_i32 s50, s17, s16
	s_mov_b32 s13, s51
	s_wait_alu 0xfffe
	s_and_saveexec_b32 s16, s2
; %bb.2:
	v_dual_mov_b32 v1, 0 :: v_dual_mov_b32 v2, s36
	s_delay_alu instid0(VALU_DEP_1)
	v_mov_b32_e32 v3, v1
	ds_store_b96 v1, v[1:3] offset:4096
; %bb.3:
	s_or_b32 exec_lo, exec_lo, s16
	s_mul_i32 s16, s3, s14
	s_ashr_i32 s63, s58, 31
	s_sub_co_i32 s16, s40, s16
	s_ashr_i32 s62, s38, 31
	s_xor_b32 s15, s61, s15
	s_add_co_i32 s17, s3, 1
	s_sub_co_i32 s18, s16, s14
	s_cmp_ge_u32 s16, s14
	s_wait_dscnt 0x0
	s_cselect_b32 s3, s17, s3
	s_cselect_b32 s16, s18, s16
	s_wait_alu 0xfffe
	s_add_co_i32 s17, s3, 1
	s_cmp_ge_u32 s16, s14
	s_barrier_signal -1
	s_barrier_wait -1
	global_inv scope:SCOPE_SE
	s_load_b32 s14, s[10:11], 0xc
	s_cselect_b32 s3, s17, s3
	s_mul_u64 s[46:47], s[40:41], s[50:51]
	s_wait_alu 0xfffe
	s_xor_b32 s3, s3, s15
	s_mul_u64 s[28:29], s[40:41], s[12:13]
	s_wait_alu 0xfffe
	s_sub_co_i32 s3, s3, s15
	s_clause 0x1
	s_load_b64 s[42:43], s[0:1], 0x1c0
	s_load_b64 s[44:45], s[0:1], 0xe8
	s_mul_i32 s5, s3, s5
	s_mul_i32 s3, s3, s6
	s_sub_co_i32 s5, s33, s5
	v_mbcnt_lo_u32_b32 v15, -1, 0
	s_mul_i32 s5, s5, s7
	v_cmp_gt_u32_e32 vcc_lo, 32, v0
	s_wait_alu 0xfffe
	s_add_co_i32 s0, s3, s5
	v_dual_mov_b32 v7, 0 :: v_dual_lshlrev_b32 v16, 2, v0
	s_ashr_i32 s1, s0, 31
	v_mul_lo_u32 v5, s39, v0
	s_lshl_b64 s[0:1], s[0:1], 1
	s_delay_alu instid0(VALU_DEP_2)
	v_dual_mov_b32 v6, v7 :: v_dual_lshlrev_b32 v17, 1, v0
	s_wait_kmcnt 0x0
	s_and_b32 s41, s14, 0xffff
	s_add_nc_u64 s[48:49], s[8:9], s[0:1]
	s_lshl_b32 s46, s41, 2
	v_cmp_gt_i32_e64 s0, 4, v15
	s_cvt_f32_u32 s3, s46
	s_add_co_i32 s64, s41, -1
	s_bfe_u32 s1, s14, 0xb0005
	s_add_co_i32 s74, s64, s36
	s_wait_alu 0xfffe
	v_rcp_iflag_f32_e32 v1, s3
	s_and_b32 s66, vcc_lo, s0
	s_cmp_gt_i32 s36, 0x600
	s_mov_b32 s12, s39
	s_cselect_b32 s67, -1, 0
	s_cmp_gt_u32 s41, 31
	v_mad_co_u64_u32 v[12:13], null, s39, v16, s[12:13]
	s_cselect_b32 s68, -1, 0
	s_cmp_lt_u32 ttmp9, s4
	s_delay_alu instid0(TRANS32_DEP_1)
	v_readfirstlane_b32 s4, v1
	s_cselect_b32 s50, 12, 18
	s_add_co_i32 s3, s1, -1
	s_bfe_u32 s69, s41, 0x30005
	s_wait_alu 0xfffe
	s_and_b32 s3, s3, 0xffff
	v_lshlrev_b64_e32 v[1:2], 1, v[5:6]
	s_wait_alu 0xfffe
	s_cmp_gt_u32 s3, 6
	s_mul_f32 s3, s4, 0x4f7ffffe
	s_cselect_b32 s70, -1, 0
	s_and_b32 s71, s1, 0x7f8
	s_cmp_lg_u32 s69, 0
	s_wait_alu 0xfffe
	s_cvt_u32_f32 s3, s3
	s_cselect_b32 s72, -1, 0
	s_sub_co_i32 s4, 0, s46
	v_add_co_u32 v8, vcc_lo, s48, v1
	s_wait_alu 0xfffe
	s_mul_i32 s4, s4, s3
	v_add_co_ci_u32_e64 v9, null, s49, v2, vcc_lo
	s_mul_hi_u32 s4, s3, s4
	v_lshlrev_b64_e64 v[1:2], v15, -1
	s_add_co_i32 s52, s3, s4
	s_cvt_f32_u32 s3, s41
	s_mul_hi_u32 s4, s36, s52
	v_lshrrev_b32_e32 v2, 1, v0
	s_mul_i32 s4, s4, s46
	s_wait_alu 0xfffe
	v_rcp_iflag_f32_e32 v3, s3
	s_sub_co_i32 s4, s36, s4
	v_not_b32_e32 v20, v1
	s_sub_co_i32 s5, s4, s46
	s_cmp_ge_u32 s4, s46
	v_mov_b32_e32 v32, 0
	s_cselect_b32 s4, s5, s4
	v_cmp_eq_u32_e64 s0, 0, v15
	s_sub_co_i32 s6, s4, s46
	s_cmp_ge_u32 s4, s46
	v_readfirstlane_b32 s5, v3
	s_cselect_b32 s9, s6, s4
	s_sub_co_i32 s6, 0, s41
	s_wait_alu 0xfffe
	s_sub_co_i32 s73, s36, s9
	s_abs_i32 s7, s74
	s_mul_f32 s5, s5, 0x4f7ffffe
	v_add_nc_u32_e32 v19, s73, v0
	v_or_b32_e32 v3, 3, v16
	v_cmp_gt_u32_e64 s1, 2, v0
	s_cvt_u32_f32 s5, s5
	v_dual_mov_b32 v33, s37 :: v_dual_add_nc_u32 v18, 0xc00, v17
	v_mul_lo_u32 v1, v19, s39
	s_delay_alu instid0(SALU_CYCLE_1)
	s_mul_i32 s6, s6, s5
	v_mul_lo_u32 v24, s39, v3
	s_mul_hi_u32 s6, s5, s6
	v_cmp_gt_u32_e64 s3, s36, v0
	s_add_co_i32 s54, s5, s6
	s_movk_i32 s5, 0x1f0
	s_mul_hi_u32 s6, s7, s54
	v_and_or_b32 v21, v2, s5, 0xc00
	v_ashrrev_i32_e32 v2, 31, v1
	s_mul_i32 s6, s6, s41
	v_cmp_gt_i32_e64 s4, s36, v0
	s_sub_co_i32 s5, s7, s6
	s_ashr_i32 s7, s74, 31
	v_lshlrev_b64_e32 v[1:2], 1, v[1:2]
	s_wait_alu 0xfffe
	s_sub_co_i32 s6, s5, s41
	s_cmp_ge_u32 s5, s41
	v_dual_mov_b32 v30, 0 :: v_dual_lshlrev_b32 v25, 2, v5
	s_cselect_b32 s6, s6, s5
	v_add_co_u32 v10, vcc_lo, s48, v1
	v_add3_u32 v1, s41, s36, v0
	s_sub_co_i32 s8, s6, s41
	s_cmp_ge_u32 s6, s41
	s_wait_alu 0xfffd
	v_add_co_ci_u32_e64 v11, null, s49, v2, vcc_lo
	s_wait_alu 0xfffe
	s_cselect_b32 s8, s8, s6
	v_or_b32_e32 v2, 2, v16
	v_subrev_nc_u32_e32 v1, s9, v1
	s_wait_alu 0xfffe
	s_xor_b32 s8, s8, s7
	v_cmp_gt_i32_e64 s5, s73, v16
	s_wait_alu 0xfffe
	s_sub_co_i32 s8, s7, s8
	v_mul_lo_u32 v23, s39, v2
	v_mul_lo_u32 v26, s39, v1
	s_wait_alu 0xfffe
	s_add_co_i32 s74, s74, s8
	v_cmp_gt_u32_e64 s6, s36, v19
	v_cmp_gt_i32_e64 s7, s36, v19
	v_cmp_gt_i32_e64 s8, s74, v0
	v_dual_mov_b32 v22, 0 :: v_dual_lshlrev_b32 v27, 3, v0
	v_lshl_or_b32 v28, v15, 2, 0xc00
	v_mov_b32_e32 v29, 0x8000
	v_mov_b32_e32 v31, 0
	s_mul_i32 s65, s39, s41
	s_mov_b32 s53, s51
	s_mov_b32 s55, s51
	s_lshl_b32 s75, s65, 2
	s_lshl_b32 s76, s41, 3
	;; [unrolled: 1-line block ×3, first 2 shown]
	s_mov_b32 s85, 14
	s_add_nc_u64 s[56:57], s[10:11], s[50:51]
	s_movk_i32 s78, 0x3f80
	s_mov_b32 s37, s51
                                        ; implicit-def: $sgpr82
                                        ; implicit-def: $sgpr84
                                        ; implicit-def: $sgpr79
                                        ; implicit-def: $sgpr81
                                        ; implicit-def: $sgpr83
                                        ; implicit-def: $sgpr80
	s_branch .LBB65_7
.LBB65_4:                               ;   in Loop: Header=BB65_7 Depth=1
	s_wait_alu 0xfffe
	s_or_b32 exec_lo, exec_lo, s13
	s_delay_alu instid0(SALU_CYCLE_1)
	s_and_b32 s10, s10, exec_lo
	s_and_not1_b32 s15, s15, exec_lo
	s_and_not1_b32 s14, s14, exec_lo
	s_or_not1_b32 s12, s12, exec_lo
.LBB65_5:                               ;   in Loop: Header=BB65_7 Depth=1
	s_wait_alu 0xfffe
	s_or_b32 exec_lo, exec_lo, s9
	s_delay_alu instid0(SALU_CYCLE_1)
	s_and_not1_b32 s9, s80, exec_lo
	s_and_b32 s10, s10, exec_lo
	s_and_not1_b32 s13, s81, exec_lo
	s_wait_alu 0xfffe
	s_or_b32 s80, s9, s10
	s_and_not1_b32 s9, s83, exec_lo
	s_and_b32 s10, s15, exec_lo
	s_and_b32 s14, s14, exec_lo
	s_wait_alu 0xfffe
	s_or_b32 s83, s9, s10
	s_or_b32 s81, s13, s14
	s_or_not1_b32 s13, s12, exec_lo
.LBB65_6:                               ;   in Loop: Header=BB65_7 Depth=1
	s_wait_alu 0xfffe
	s_or_b32 exec_lo, exec_lo, s11
	s_delay_alu instid0(SALU_CYCLE_1)
	s_and_b32 s9, exec_lo, s13
	v_mov_b32_e32 v33, v4
	s_wait_alu 0xfffe
	s_or_b32 s37, s9, s37
	s_and_not1_b32 s9, s79, exec_lo
	s_and_b32 s10, s80, exec_lo
	s_and_not1_b32 s11, s84, exec_lo
	s_wait_alu 0xfffe
	s_or_b32 s79, s9, s10
	s_and_b32 s9, s83, exec_lo
	s_and_not1_b32 s10, s82, exec_lo
	s_and_b32 s12, s81, exec_lo
	s_wait_alu 0xfffe
	s_or_b32 s84, s11, s9
	s_or_b32 s82, s10, s12
	s_mov_b32 s85, s21
	s_and_not1_b32 exec_lo, exec_lo, s37
	s_cbranch_execz .LBB65_229
.LBB65_7:                               ; =>This Loop Header: Depth=1
                                        ;     Child Loop BB65_12 Depth 2
                                        ;     Child Loop BB65_27 Depth 2
	;; [unrolled: 1-line block ×16, first 2 shown]
	ds_load_b64 v[1:2], v7 offset:4096
	s_wait_dscnt 0x0
	v_readfirstlane_b32 s50, v1
	s_cmp_gt_i32 s50, 0
	s_cbranch_scc1 .LBB65_34
; %bb.8:                                ;   in Loop: Header=BB65_7 Depth=1
	s_and_b32 vcc_lo, exec_lo, s67
	s_wait_alu 0xfffe
	s_cbranch_vccz .LBB65_20
; %bb.9:                                ;   in Loop: Header=BB65_7 Depth=1
	v_cmp_gt_i32_e32 vcc_lo, 0x601, v2
	s_mov_b32 s10, 0
	s_mov_b32 s9, 0
	s_cbranch_vccz .LBB65_21
; %bb.10:                               ;   in Loop: Header=BB65_7 Depth=1
	global_load_u16 v2, v[8:9], off
	s_load_u16 s11, s[56:57], 0x0
	s_mov_b32 s12, 0
	s_wait_kmcnt 0x0
	v_add_nc_u32_e32 v1, s11, v0
	s_mul_i32 s13, s39, s11
	s_delay_alu instid0(VALU_DEP_1)
	v_mul_lo_u32 v6, s39, v1
	v_mov_b32_e32 v1, v0
	s_branch .LBB65_12
.LBB65_11:                              ;   in Loop: Header=BB65_12 Depth=2
	s_wait_alu 0xfffe
	s_or_b32 exec_lo, exec_lo, s9
	v_cmp_le_i32_e32 vcc_lo, s36, v1
	v_add_nc_u32_e32 v6, s13, v6
	v_mov_b32_e32 v2, v3
	s_or_b32 s12, vcc_lo, s12
	s_wait_alu 0xfffe
	s_and_not1_b32 exec_lo, exec_lo, s12
	s_cbranch_execz .LBB65_66
.LBB65_12:                              ;   Parent Loop BB65_7 Depth=1
                                        ; =>  This Inner Loop Header: Depth=2
	s_wait_dscnt 0x0
	s_delay_alu instid0(VALU_DEP_1) | instskip(SKIP_2) | instid1(VALU_DEP_2)
	v_dual_mov_b32 v4, 0 :: v_dual_add_nc_u32 v1, s11, v1
	v_mov_b32_e32 v3, 0
	s_mov_b32 s9, exec_lo
	v_cmpx_gt_u32_e64 s36, v1
	s_cbranch_execz .LBB65_14
; %bb.13:                               ;   in Loop: Header=BB65_12 Depth=2
	v_lshlrev_b64_e32 v[13:14], 1, v[6:7]
	s_delay_alu instid0(VALU_DEP_1) | instskip(SKIP_1) | instid1(VALU_DEP_2)
	v_add_co_u32 v13, vcc_lo, s48, v13
	s_wait_alu 0xfffd
	v_add_co_ci_u32_e64 v14, null, s49, v14, vcc_lo
	global_load_u16 v3, v[13:14], off
.LBB65_14:                              ;   in Loop: Header=BB65_12 Depth=2
	s_wait_alu 0xfffe
	s_or_b32 exec_lo, exec_lo, s9
	s_wait_loadcnt 0x0
	v_cmp_lt_i16_e32 vcc_lo, -1, v2
	s_wait_alu 0xfffd
	v_dual_cndmask_b32 v14, 0xffff, v29 :: v_dual_and_b32 v13, 0xffff, v2
	s_delay_alu instid0(VALU_DEP_1) | instskip(SKIP_1) | instid1(VALU_DEP_1)
	v_xor_b32_e32 v13, v14, v13
	v_lshlrev_b32_e32 v34, 16, v2
	v_cmp_o_f32_e32 vcc_lo, v34, v34
	s_wait_alu 0xfffd
	s_delay_alu instid0(VALU_DEP_3) | instskip(NEXT) | instid1(VALU_DEP_1)
	v_cndmask_b32_e32 v13, 0xffff, v13, vcc_lo
	v_and_b32_e32 v13, v13, v31
	s_delay_alu instid0(VALU_DEP_1)
	v_cmp_eq_u32_e32 vcc_lo, v13, v22
	s_cmp_lg_u32 vcc_lo, 0
	s_cselect_b32 s9, -1, 0
	s_wait_alu 0xfffe
	s_and_b32 s9, s0, s9
	s_wait_alu 0xfffe
	s_and_saveexec_b32 s14, s9
	s_cbranch_execz .LBB65_18
; %bb.15:                               ;   in Loop: Header=BB65_12 Depth=2
	s_mov_b32 s17, exec_lo
	s_bcnt1_i32_b32 s15, vcc_lo
	s_wait_alu 0xfffe
	v_mbcnt_lo_u32_b32 v4, s17, 0
	s_mov_b32 s16, exec_lo
                                        ; implicit-def: $vgpr13
	s_delay_alu instid0(VALU_DEP_1)
	v_cmpx_eq_u32_e32 0, v4
; %bb.16:                               ;   in Loop: Header=BB65_12 Depth=2
	s_bcnt1_i32_b32 s9, s17
	s_wait_alu 0xfffe
	s_mul_i32 s9, s15, s9
	s_wait_alu 0xfffe
	v_mov_b32_e32 v13, s9
	ds_add_rtn_u32 v13, v7, v13 offset:4104
; %bb.17:                               ;   in Loop: Header=BB65_12 Depth=2
	s_or_b32 exec_lo, exec_lo, s16
	s_wait_dscnt 0x0
	v_readfirstlane_b32 s9, v13
	s_wait_alu 0xf1ff
	s_delay_alu instid0(VALU_DEP_1)
	v_mad_u32_u24 v4, s15, v4, s9
.LBB65_18:                              ;   in Loop: Header=BB65_12 Depth=2
	s_wait_alu 0xfffe
	s_or_b32 exec_lo, exec_lo, s14
	ds_bpermute_b32 v4, v7, v4
	s_and_saveexec_b32 s9, vcc_lo
	s_cbranch_execz .LBB65_11
; %bb.19:                               ;   in Loop: Header=BB65_12 Depth=2
	v_and_b32_e32 v13, vcc_lo, v20
	s_delay_alu instid0(VALU_DEP_1) | instskip(NEXT) | instid1(VALU_DEP_1)
	v_bcnt_u32_b32 v13, v13, 0
	v_lshlrev_b32_e32 v13, 1, v13
	s_wait_dscnt 0x0
	s_delay_alu instid0(VALU_DEP_1)
	v_lshl_add_u32 v4, v4, 1, v13
	ds_store_b16 v4, v2
	s_branch .LBB65_11
.LBB65_20:                              ;   in Loop: Header=BB65_7 Depth=1
	s_mov_b32 s10, -1
	s_mov_b32 s9, 0
.LBB65_21:                              ;   in Loop: Header=BB65_7 Depth=1
	s_wait_alu 0xfffe
	s_and_b32 vcc_lo, exec_lo, s10
	s_wait_alu 0xfffe
	s_cbranch_vccz .LBB65_32
.LBB65_22:                              ;   in Loop: Header=BB65_7 Depth=1
	v_mov_b32_e32 v1, 0
	s_and_saveexec_b32 s9, s3
	s_cbranch_execz .LBB65_24
; %bb.23:                               ;   in Loop: Header=BB65_7 Depth=1
	global_load_u16 v1, v[8:9], off
.LBB65_24:                              ;   in Loop: Header=BB65_7 Depth=1
	s_wait_alu 0xfffe
	s_or_b32 exec_lo, exec_lo, s9
	s_and_saveexec_b32 s9, s4
	s_cbranch_execz .LBB65_29
; %bb.25:                               ;   in Loop: Header=BB65_7 Depth=1
	s_load_u16 s10, s[56:57], 0x0
	s_mov_b32 s13, 0
	s_wait_kmcnt 0x0
	v_dual_mov_b32 v3, v0 :: v_dual_add_nc_u32 v2, s10, v0
	s_lshl_b32 s11, s10, 1
	s_mul_i32 s12, s39, s10
	s_delay_alu instid0(VALU_DEP_1)
	v_mul_lo_u32 v6, s39, v2
	v_mov_b32_e32 v2, v17
	s_branch .LBB65_27
.LBB65_26:                              ;   in Loop: Header=BB65_27 Depth=2
	s_wait_alu 0xfffe
	s_or_b32 exec_lo, exec_lo, s14
	v_cmp_le_i32_e32 vcc_lo, s36, v3
	s_wait_loadcnt 0x0
	ds_store_b16 v2, v1
	v_dual_mov_b32 v1, v4 :: v_dual_add_nc_u32 v2, s11, v2
	v_add_nc_u32_e32 v6, s12, v6
	s_or_b32 s13, vcc_lo, s13
	s_wait_alu 0xfffe
	s_and_not1_b32 exec_lo, exec_lo, s13
	s_cbranch_execz .LBB65_29
.LBB65_27:                              ;   Parent Loop BB65_7 Depth=1
                                        ; =>  This Inner Loop Header: Depth=2
	v_dual_mov_b32 v4, 0 :: v_dual_add_nc_u32 v3, s10, v3
	s_mov_b32 s14, exec_lo
	s_delay_alu instid0(VALU_DEP_1)
	v_cmpx_gt_u32_e64 s36, v3
	s_cbranch_execz .LBB65_26
; %bb.28:                               ;   in Loop: Header=BB65_27 Depth=2
	s_delay_alu instid0(VALU_DEP_4) | instskip(NEXT) | instid1(VALU_DEP_1)
	v_lshlrev_b64_e32 v[13:14], 1, v[6:7]
	v_add_co_u32 v13, vcc_lo, s48, v13
	s_wait_alu 0xfffd
	s_delay_alu instid0(VALU_DEP_2)
	v_add_co_ci_u32_e64 v14, null, s49, v14, vcc_lo
	global_load_u16 v4, v[13:14], off
	s_branch .LBB65_26
.LBB65_29:                              ;   in Loop: Header=BB65_7 Depth=1
	s_wait_alu 0xfffe
	s_or_b32 exec_lo, exec_lo, s9
	s_wait_loadcnt_dscnt 0x0
	s_barrier_signal -1
	s_barrier_wait -1
	global_inv scope:SCOPE_SE
	s_and_saveexec_b32 s9, s2
; %bb.30:                               ;   in Loop: Header=BB65_7 Depth=1
	v_mov_b32_e32 v1, s36
	ds_store_b32 v7, v1 offset:4096
; %bb.31:                               ;   in Loop: Header=BB65_7 Depth=1
	s_wait_alu 0xfffe
	s_or_b32 exec_lo, exec_lo, s9
	s_mov_b32 s9, -1
	s_wait_loadcnt_dscnt 0x0
	s_barrier_signal -1
	s_barrier_wait -1
.LBB65_32:                              ;   in Loop: Header=BB65_7 Depth=1
	s_wait_alu 0xfffe
	s_and_b32 vcc_lo, exec_lo, s9
	s_wait_alu 0xfffe
	s_cbranch_vccz .LBB65_34
; %bb.33:                               ;   in Loop: Header=BB65_7 Depth=1
	s_wait_loadcnt 0x0
	global_inv scope:SCOPE_SE
	ds_load_b32 v1, v7 offset:4096
	s_wait_dscnt 0x0
	v_readfirstlane_b32 s50, v1
.LBB65_34:                              ;   in Loop: Header=BB65_7 Depth=1
	s_delay_alu instid0(VALU_DEP_1)
	s_cmp_lt_i32 s50, 1
	s_mov_b32 s9, -1
                                        ; implicit-def: $vgpr1
	s_cbranch_scc1 .LBB65_44
; %bb.35:                               ;   in Loop: Header=BB65_7 Depth=1
	s_wait_alu 0xfffe
	s_and_b32 vcc_lo, exec_lo, s9
	s_wait_alu 0xfffe
	s_cbranch_vccnz .LBB65_57
.LBB65_36:                              ;   in Loop: Header=BB65_7 Depth=1
	v_lshlrev_b32_e32 v6, 7, v30
	s_and_saveexec_b32 s9, s0
.LBB65_37:                              ;   in Loop: Header=BB65_7 Depth=1
	s_delay_alu instid0(VALU_DEP_1)
	v_lshl_add_u32 v13, v6, 2, v21
	ds_store_b128 v13, v[1:4]
.LBB65_38:                              ;   in Loop: Header=BB65_7 Depth=1
	s_wait_alu 0xfffe
	s_or_b32 exec_lo, exec_lo, s9
	s_wait_loadcnt_dscnt 0x0
	s_barrier_signal -1
	s_barrier_wait -1
	global_inv scope:SCOPE_SE
	s_and_saveexec_b32 s9, s66
	s_cbranch_execz .LBB65_73
; %bb.39:                               ;   in Loop: Header=BB65_7 Depth=1
	v_mov_b32_e32 v1, 0
	s_and_not1_b32 vcc_lo, exec_lo, s68
	s_wait_alu 0xfffe
	s_cbranch_vccnz .LBB65_72
; %bb.40:                               ;   in Loop: Header=BB65_7 Depth=1
	s_and_not1_b32 vcc_lo, exec_lo, s70
	s_wait_alu 0xfffe
	s_cbranch_vccnz .LBB65_69
; %bb.41:                               ;   in Loop: Header=BB65_7 Depth=1
	v_lshl_add_u32 v2, v30, 9, v28
	v_mov_b32_e32 v1, 0
	s_mov_b32 s10, 0
.LBB65_42:                              ;   Parent Loop BB65_7 Depth=1
                                        ; =>  This Inner Loop Header: Depth=2
	ds_load_2addr_b32 v[3:4], v2 offset1:4
	ds_load_2addr_b32 v[13:14], v2 offset0:8 offset1:12
	ds_load_2addr_b32 v[34:35], v2 offset0:16 offset1:20
	;; [unrolled: 1-line block ×3, first 2 shown]
	v_add_nc_u32_e32 v2, 0x80, v2
	s_wait_alu 0xfffe
	s_add_co_i32 s10, s10, 8
	s_wait_alu 0xfffe
	s_cmp_eq_u32 s71, s10
	s_wait_dscnt 0x3
	v_add3_u32 v1, v3, v1, v4
	s_wait_dscnt 0x2
	s_delay_alu instid0(VALU_DEP_1) | instskip(SKIP_1) | instid1(VALU_DEP_1)
	v_add3_u32 v1, v13, v1, v14
	s_wait_dscnt 0x1
	v_add3_u32 v1, v34, v1, v35
	s_wait_dscnt 0x0
	s_delay_alu instid0(VALU_DEP_1)
	v_add3_u32 v1, v36, v1, v37
	s_cbranch_scc0 .LBB65_42
; %bb.43:                               ;   in Loop: Header=BB65_7 Depth=1
	s_mov_b32 s10, s71
	s_and_not1_b32 vcc_lo, exec_lo, s72
	s_wait_alu 0xfffe
	s_cbranch_vccz .LBB65_70
	s_branch .LBB65_72
.LBB65_44:                              ;   in Loop: Header=BB65_7 Depth=1
	v_dual_mov_b32 v1, 0 :: v_dual_mov_b32 v2, 0
	v_dual_mov_b32 v3, 0 :: v_dual_mov_b32 v4, 0
	s_and_saveexec_b32 s86, s5
	s_cbranch_execnz .LBB65_47
; %bb.45:                               ;   in Loop: Header=BB65_7 Depth=1
	s_wait_alu 0xfffe
	s_or_b32 exec_lo, exec_lo, s86
	v_mov_b32_e32 v34, 0
	s_and_saveexec_b32 s9, s6
	s_cbranch_execnz .LBB65_50
.LBB65_46:                              ;   in Loop: Header=BB65_7 Depth=1
	s_wait_alu 0xfffe
	s_or_b32 exec_lo, exec_lo, s9
	s_and_saveexec_b32 s13, s7
	s_cbranch_execnz .LBB65_51
	s_branch .LBB65_56
.LBB65_47:                              ;   in Loop: Header=BB65_7 Depth=1
	v_mov_b32_e32 v6, v16
	s_mov_b32 s87, 0
	s_mov_b32 s88, 0
	;; [unrolled: 1-line block ×6, first 2 shown]
.LBB65_48:                              ;   Parent Loop BB65_7 Depth=1
                                        ; =>  This Inner Loop Header: Depth=2
	s_wait_alu 0xfffe
	v_add_nc_u32_e32 v1, s88, v25
	v_add_nc_u32_e32 v3, s88, v12
	;; [unrolled: 1-line block ×4, first 2 shown]
	s_add_co_i32 s88, s88, s75
	v_ashrrev_i32_e32 v2, 31, v1
	v_ashrrev_i32_e32 v4, 31, v3
	;; [unrolled: 1-line block ×4, first 2 shown]
	s_delay_alu instid0(VALU_DEP_4) | instskip(NEXT) | instid1(VALU_DEP_4)
	v_lshlrev_b64_e32 v[1:2], 1, v[1:2]
	v_lshlrev_b64_e32 v[3:4], 1, v[3:4]
	s_delay_alu instid0(VALU_DEP_4) | instskip(NEXT) | instid1(VALU_DEP_4)
	v_lshlrev_b64_e32 v[13:14], 1, v[13:14]
	v_lshlrev_b64_e32 v[34:35], 1, v[34:35]
	s_delay_alu instid0(VALU_DEP_4)
	v_add_co_u32 v1, vcc_lo, s48, v1
	s_wait_alu 0xfffd
	v_add_co_ci_u32_e64 v2, null, s49, v2, vcc_lo
	v_add_co_u32 v3, vcc_lo, s48, v3
	s_wait_alu 0xfffd
	v_add_co_ci_u32_e64 v4, null, s49, v4, vcc_lo
	;; [unrolled: 3-line block ×4, first 2 shown]
	s_clause 0x3
	global_load_u16 v1, v[1:2], off
	global_load_u16 v2, v[3:4], off
	;; [unrolled: 1-line block ×4, first 2 shown]
	s_wait_loadcnt 0x3
	v_cmp_lt_i16_e64 s9, -1, v1
	v_and_b32_e32 v13, 0xffff, v1
	v_lshlrev_b32_e32 v1, 16, v1
	s_wait_loadcnt 0x2
	v_and_b32_e32 v34, 0xffff, v2
	s_wait_loadcnt 0x1
	v_and_b32_e32 v36, 0xffff, v3
	s_wait_alu 0xf1ff
	v_cndmask_b32_e64 v14, 0xffff, v29, s9
	v_cmp_lt_i16_e64 s9, -1, v2
	v_lshlrev_b32_e32 v2, 16, v2
	v_cmp_o_f32_e64 s12, v1, v1
	s_wait_loadcnt 0x0
	v_and_b32_e32 v38, 0xffff, v4
	v_xor_b32_e32 v13, v14, v13
	s_wait_alu 0xf1ff
	v_cndmask_b32_e64 v35, 0xffff, v29, s9
	v_cmp_lt_i16_e64 s9, -1, v3
	v_lshlrev_b32_e32 v3, 16, v3
	v_cndmask_b32_e64 v1, 0xffff, v13, s12
	s_delay_alu instid0(VALU_DEP_4)
	v_xor_b32_e32 v14, v35, v34
	s_wait_alu 0xf1ff
	v_cndmask_b32_e64 v37, 0xffff, v29, s9
	v_cmp_lt_i16_e64 s9, -1, v4
	v_lshlrev_b32_e32 v4, 16, v4
	v_cmp_o_f32_e64 s10, v3, v3
	v_and_b32_e32 v13, v1, v31
	v_bfe_u32 v1, v1, s85, 2
	s_wait_alu 0xf1ff
	v_cndmask_b32_e64 v39, 0xffff, v29, s9
	v_cmp_o_f32_e64 s9, v2, v2
	v_xor_b32_e32 v2, v37, v36
	v_cmp_o_f32_e64 s11, v4, v4
	v_cmp_eq_u32_e64 s13, 0, v1
	v_xor_b32_e32 v3, v39, v38
	s_wait_alu 0xf1ff
	v_cndmask_b32_e64 v4, 0xffff, v14, s9
	v_cndmask_b32_e64 v2, 0xffff, v2, s10
	v_cmp_eq_u32_e64 s9, v13, v22
	v_cmp_eq_u32_e64 s17, 1, v1
	v_cndmask_b32_e64 v3, 0xffff, v3, s11
	v_and_b32_e32 v14, v4, v31
	v_bfe_u32 v4, v4, s85, 2
	v_and_b32_e32 v34, v2, v31
	v_bfe_u32 v2, v2, s85, 2
	v_and_b32_e32 v35, v3, v31
	v_bfe_u32 v3, v3, s85, 2
	v_cmp_eq_u32_e64 s10, v14, v22
	v_cmp_eq_u32_e64 s14, 0, v4
	;; [unrolled: 1-line block ×4, first 2 shown]
	s_and_b32 s13, s9, s13
	v_cmp_eq_u32_e64 s12, v35, v22
	v_cmp_eq_u32_e64 s16, 0, v3
	;; [unrolled: 1-line block ×4, first 2 shown]
	s_wait_alu 0xfffe
	v_cndmask_b32_e64 v1, 0, 1, s13
	s_and_b32 s13, s10, s14
	v_cmp_eq_u32_e64 s19, 1, v2
	v_cmp_eq_u32_e64 s23, 2, v2
	;; [unrolled: 1-line block ×3, first 2 shown]
	s_wait_alu 0xfffe
	v_cndmask_b32_e64 v2, 0, 1, s13
	s_and_b32 s13, s11, s15
	v_cmp_eq_u32_e64 s18, 1, v4
	v_cmp_eq_u32_e64 s20, 1, v3
	v_cmp_eq_u32_e64 s24, 2, v3
	v_cmp_eq_u32_e64 s28, 3, v3
	s_wait_alu 0xfffe
	v_cndmask_b32_e64 v3, 0, 1, s13
	s_and_b32 s13, s12, s16
	v_cmp_eq_u32_e64 s22, 2, v4
	v_cmp_eq_u32_e64 s26, 3, v4
	s_wait_alu 0xfffe
	v_cndmask_b32_e64 v4, 0, 1, s13
	s_and_b32 s13, s9, s17
	s_wait_alu 0xfffe
	v_cndmask_b32_e64 v13, 0, 1, s13
	s_and_b32 s13, s10, s18
	;; [unrolled: 3-line block ×4, first 2 shown]
	v_cmp_ne_u32_e64 s14, 0, v14
	s_wait_alu 0xfffe
	v_cndmask_b32_e64 v35, 0, 1, s13
	s_and_b32 s13, s9, s21
	s_and_b32 s9, s9, s25
	s_wait_alu 0xfffe
	v_cndmask_b32_e64 v36, 0, 1, s13
	s_and_b32 s13, s10, s22
	v_cndmask_b32_e64 v40, 0, 1, s9
	s_and_b32 s9, s10, s26
	s_wait_alu 0xfffe
	v_cndmask_b32_e64 v37, 0, 1, s13
	s_and_b32 s13, s11, s23
	v_cndmask_b32_e64 v41, 0, 1, s9
	;; [unrolled: 5-line block ×3, first 2 shown]
	s_and_b32 s9, s12, s28
	s_wait_alu 0xfffe
	v_cndmask_b32_e64 v39, 0, 1, s13
	v_cndmask_b32_e64 v43, 0, 1, s9
	v_cmp_ne_u32_e64 s9, 0, v1
	v_cmp_ne_u32_e64 s13, 0, v13
	;; [unrolled: 1-line block ×8, first 2 shown]
	s_bcnt1_i32_b32 s9, s9
	s_bcnt1_i32_b32 s13, s13
	;; [unrolled: 1-line block ×3, first 2 shown]
	v_cmp_ne_u32_e64 s20, 0, v39
	v_cmp_ne_u32_e64 s22, 0, v41
	s_bcnt1_i32_b32 s10, s10
	s_bcnt1_i32_b32 s14, s14
	;; [unrolled: 1-line block ×3, first 2 shown]
	s_wait_alu 0xfffe
	s_add_co_i32 s9, s9, s92
	s_add_co_i32 s13, s13, s91
	;; [unrolled: 1-line block ×3, first 2 shown]
	v_cmp_ne_u32_e64 s15, 0, v34
	v_cmp_ne_u32_e64 s23, 0, v42
	s_bcnt1_i32_b32 s11, s11
	s_bcnt1_i32_b32 s19, s19
	s_wait_alu 0xfffe
	s_add_co_i32 s9, s9, s10
	s_add_co_i32 s10, s13, s14
	;; [unrolled: 1-line block ×3, first 2 shown]
	s_bcnt1_i32_b32 s21, s21
	v_cmp_ne_u32_e64 s12, 0, v4
	v_cmp_ne_u32_e64 s16, 0, v35
	;; [unrolled: 1-line block ×3, first 2 shown]
	s_bcnt1_i32_b32 s20, s20
	s_wait_alu 0xfffe
	s_add_co_i32 s9, s9, s11
	s_add_co_i32 s11, s13, s19
	s_bcnt1_i32_b32 s22, s22
	s_add_co_i32 s21, s21, s89
	s_wait_alu 0xfffe
	s_add_co_i32 s90, s11, s20
	s_wait_alu 0xfffe
	v_dual_mov_b32 v3, s90 :: v_dual_add_nc_u32 v6, s46, v6
	s_bcnt1_i32_b32 s15, s15
	s_bcnt1_i32_b32 s23, s23
	s_add_co_i32 s14, s21, s22
	s_bcnt1_i32_b32 s12, s12
	s_bcnt1_i32_b32 s16, s16
	;; [unrolled: 1-line block ×3, first 2 shown]
	s_wait_alu 0xfffe
	s_add_co_i32 s10, s10, s15
	s_add_co_i32 s13, s14, s23
	v_cmp_le_i32_e32 vcc_lo, s73, v6
	s_add_co_i32 s92, s9, s12
	s_wait_alu 0xfffe
	s_add_co_i32 s91, s10, s16
	s_add_co_i32 s89, s13, s24
	s_wait_alu 0xfffe
	v_dual_mov_b32 v1, s92 :: v_dual_mov_b32 v2, s91
	v_mov_b32_e32 v4, s89
	s_or_b32 s87, vcc_lo, s87
	s_wait_alu 0xfffe
	s_and_not1_b32 exec_lo, exec_lo, s87
	s_cbranch_execnz .LBB65_48
; %bb.49:                               ;   in Loop: Header=BB65_7 Depth=1
	s_or_b32 exec_lo, exec_lo, s87
	s_delay_alu instid0(SALU_CYCLE_1)
	s_or_b32 exec_lo, exec_lo, s86
	v_mov_b32_e32 v34, 0
	s_and_saveexec_b32 s9, s6
	s_cbranch_execz .LBB65_46
.LBB65_50:                              ;   in Loop: Header=BB65_7 Depth=1
	global_load_u16 v34, v[10:11], off
	s_wait_alu 0xfffe
	s_or_b32 exec_lo, exec_lo, s9
	s_and_saveexec_b32 s13, s7
	s_cbranch_execz .LBB65_56
.LBB65_51:                              ;   in Loop: Header=BB65_7 Depth=1
	v_dual_mov_b32 v13, v26 :: v_dual_mov_b32 v6, v19
	s_mov_b32 s14, 0
	s_branch .LBB65_53
.LBB65_52:                              ;   in Loop: Header=BB65_53 Depth=2
	s_wait_alu 0xfffe
	s_or_b32 exec_lo, exec_lo, s9
	s_wait_loadcnt 0x0
	v_cmp_lt_i16_e32 vcc_lo, -1, v34
	v_and_b32_e32 v35, 0xffff, v34
	v_lshlrev_b32_e32 v34, 16, v34
	v_add_nc_u32_e32 v13, s65, v13
	s_wait_alu 0xfffd
	v_cndmask_b32_e32 v36, 0xffff, v29, vcc_lo
	s_delay_alu instid0(VALU_DEP_3) | instskip(NEXT) | instid1(VALU_DEP_2)
	v_cmp_o_f32_e32 vcc_lo, v34, v34
	v_xor_b32_e32 v35, v36, v35
	s_wait_alu 0xfffd
	s_delay_alu instid0(VALU_DEP_1) | instskip(NEXT) | instid1(VALU_DEP_1)
	v_cndmask_b32_e32 v34, 0xffff, v35, vcc_lo
	v_and_b32_e32 v35, v34, v31
	v_bfe_u32 v34, v34, s85, 2
	s_delay_alu instid0(VALU_DEP_2) | instskip(NEXT) | instid1(VALU_DEP_2)
	v_cmp_eq_u32_e32 vcc_lo, v35, v22
	v_cmp_eq_u32_e64 s9, 0, v34
	v_cmp_eq_u32_e64 s10, 1, v34
	;; [unrolled: 1-line block ×4, first 2 shown]
	s_and_b32 s9, vcc_lo, s9
	s_wait_alu 0xfffe
	v_cndmask_b32_e64 v34, 0, 1, s9
	s_and_b32 s9, vcc_lo, s10
	s_wait_alu 0xfffe
	v_cndmask_b32_e64 v35, 0, 1, s9
	s_and_b32 s9, vcc_lo, s11
	s_wait_alu 0xfffe
	v_cndmask_b32_e64 v36, 0, 1, s9
	s_and_b32 s9, vcc_lo, s12
	v_cmp_ne_u32_e32 vcc_lo, 0, v34
	s_wait_alu 0xfffe
	v_cndmask_b32_e64 v37, 0, 1, s9
	v_cmp_ne_u32_e64 s9, 0, v35
	v_cmp_ne_u32_e64 s10, 0, v36
	v_cmp_le_i32_e64 s12, s36, v6
	s_bcnt1_i32_b32 s15, vcc_lo
	v_cmp_ne_u32_e64 s11, 0, v37
	s_bcnt1_i32_b32 s9, s9
	s_bcnt1_i32_b32 s10, s10
	s_wait_alu 0xfffe
	v_add_nc_u32_e32 v1, s15, v1
	v_add_nc_u32_e32 v2, s9, v2
	s_bcnt1_i32_b32 s11, s11
	v_add_nc_u32_e32 v3, s10, v3
	s_wait_alu 0xfffe
	v_add_nc_u32_e32 v4, s11, v4
	v_mov_b32_e32 v34, v14
	s_or_b32 s14, s12, s14
	s_wait_alu 0xfffe
	s_and_not1_b32 exec_lo, exec_lo, s14
	s_cbranch_execz .LBB65_55
.LBB65_53:                              ;   Parent Loop BB65_7 Depth=1
                                        ; =>  This Inner Loop Header: Depth=2
	s_delay_alu instid0(VALU_DEP_1) | instskip(SKIP_2) | instid1(VALU_DEP_2)
	v_add_nc_u32_e32 v6, s41, v6
	v_mov_b32_e32 v14, 0
	s_mov_b32 s9, exec_lo
	v_cmpx_gt_u32_e64 s36, v6
	s_cbranch_execz .LBB65_52
; %bb.54:                               ;   in Loop: Header=BB65_53 Depth=2
	v_ashrrev_i32_e32 v14, 31, v13
	s_delay_alu instid0(VALU_DEP_1) | instskip(NEXT) | instid1(VALU_DEP_1)
	v_lshlrev_b64_e32 v[35:36], 1, v[13:14]
	v_add_co_u32 v35, vcc_lo, s48, v35
	s_wait_alu 0xfffd
	s_delay_alu instid0(VALU_DEP_2)
	v_add_co_ci_u32_e64 v36, null, s49, v36, vcc_lo
	global_load_u16 v14, v[35:36], off
	s_branch .LBB65_52
.LBB65_55:                              ;   in Loop: Header=BB65_7 Depth=1
	s_or_b32 exec_lo, exec_lo, s14
.LBB65_56:                              ;   in Loop: Header=BB65_7 Depth=1
	s_wait_alu 0xfffe
	s_or_b32 exec_lo, exec_lo, s13
	s_branch .LBB65_36
.LBB65_57:                              ;   in Loop: Header=BB65_7 Depth=1
	s_mul_u64 s[10:11], s[50:51], s[52:53]
	v_dual_mov_b32 v1, 0 :: v_dual_mov_b32 v2, 0
	s_wait_alu 0xfffe
	s_mul_i32 s9, s11, s46
	v_dual_mov_b32 v3, 0 :: v_dual_mov_b32 v4, 0
	s_wait_alu 0xfffe
	s_sub_co_i32 s9, s50, s9
	s_mov_b32 s24, exec_lo
	s_wait_alu 0xfffe
	s_sub_co_i32 s10, s9, s46
	s_cmp_ge_u32 s9, s46
	s_wait_alu 0xfffe
	s_cselect_b32 s9, s10, s9
	s_wait_alu 0xfffe
	s_sub_co_i32 s10, s9, s46
	s_cmp_ge_u32 s9, s46
	s_wait_alu 0xfffe
	s_cselect_b32 s9, s10, s9
	s_wait_alu 0xfffe
	s_sub_co_i32 s23, s50, s9
	s_wait_alu 0xfffe
	v_cmpx_gt_u32_e64 s23, v16
	s_cbranch_execz .LBB65_61
; %bb.58:                               ;   in Loop: Header=BB65_7 Depth=1
	v_dual_mov_b32 v6, v27 :: v_dual_mov_b32 v13, v16
	s_mov_b32 s25, 0
	s_mov_b32 s26, 0
	;; [unrolled: 1-line block ×5, first 2 shown]
.LBB65_59:                              ;   Parent Loop BB65_7 Depth=1
                                        ; =>  This Inner Loop Header: Depth=2
	ds_load_b64 v[1:2], v6
	s_wait_dscnt 0x0
	v_cmp_lt_i16_e64 s9, -1, v1
	v_lshrrev_b32_e32 v4, 16, v2
	v_lshrrev_b32_e32 v3, 16, v1
	v_and_b32_e32 v14, 0xffff, v1
	v_lshlrev_b32_e32 v35, 16, v1
	s_wait_loadcnt 0x0
	s_wait_alu 0xf1ff
	v_cndmask_b32_e64 v34, 0xffff, v29, s9
	v_cmp_lt_i16_e64 s9, -1, v2
	v_and_b32_e32 v36, 0xffff, v2
	v_cmp_lt_i16_e64 s10, -1, v4
	v_lshlrev_b32_e32 v38, 16, v2
	v_xor_b32_e32 v14, v34, v14
	s_wait_alu 0xf1ff
	v_cndmask_b32_e64 v37, 0xffff, v29, s9
	v_cmp_lt_i16_e64 s9, -1, v3
	v_and_b32_e32 v1, 0xffff0000, v1
	v_and_b32_e32 v2, 0xffff0000, v2
	s_delay_alu instid0(VALU_DEP_4)
	v_xor_b32_e32 v36, v37, v36
	v_cndmask_b32_e64 v37, 0xffff, v29, s10
	v_cmp_o_f32_e64 s10, v35, v35
	s_wait_alu 0xf1ff
	v_cndmask_b32_e64 v34, 0xffff, v29, s9
	v_cmp_o_f32_e64 s9, v38, v38
	v_xor_b32_e32 v4, v37, v4
	v_cndmask_b32_e64 v14, 0xffff, v14, s10
	s_delay_alu instid0(VALU_DEP_4)
	v_xor_b32_e32 v3, v34, v3
	s_wait_alu 0xf1ff
	v_cndmask_b32_e64 v34, 0xffff, v36, s9
	v_cmp_o_f32_e64 s9, v2, v2
	v_cmp_o_f32_e64 s10, v1, v1
	v_and_b32_e32 v2, v14, v31
	v_bfe_u32 v14, v14, s85, 2
	s_wait_alu 0xf1ff
	s_delay_alu instid0(VALU_DEP_3)
	v_cndmask_b32_e64 v1, 0xffff, v3, s10
	v_cndmask_b32_e64 v3, 0xffff, v4, s9
	v_and_b32_e32 v4, v34, v31
	v_bfe_u32 v34, v34, s85, 2
	v_cmp_eq_u32_e64 s9, v2, v22
	v_cmp_eq_u32_e64 s11, 0, v14
	v_and_b32_e32 v2, v1, v31
	v_cmp_eq_u32_e64 s10, v4, v22
	v_cmp_eq_u32_e64 s12, 0, v34
	v_and_b32_e32 v4, v3, v31
	v_bfe_u32 v1, v1, s85, 2
	v_bfe_u32 v3, v3, s85, 2
	v_cmp_eq_u32_e64 s13, 1, v14
	v_cmp_eq_u32_e64 s15, 2, v14
	s_and_b32 s11, s9, s11
	v_cmp_eq_u32_e64 s14, 1, v34
	v_cmp_eq_u32_e64 s16, 2, v34
	;; [unrolled: 1-line block ×4, first 2 shown]
	s_wait_alu 0xfffe
	v_cndmask_b32_e64 v2, 0, 1, s11
	s_and_b32 s11, s10, s12
	v_cmp_eq_u32_e64 s18, 3, v34
	v_cmp_eq_u32_e64 s20, v4, v22
	;; [unrolled: 1-line block ×4, first 2 shown]
	s_wait_alu 0xfffe
	v_cndmask_b32_e64 v4, 0, 1, s11
	v_cmp_eq_u32_e64 s11, 1, v1
	s_and_b32 s13, s9, s13
	s_and_b32 s15, s9, s15
	s_wait_alu 0xfffe
	v_cndmask_b32_e64 v14, 0, 1, s13
	s_and_b32 s13, s10, s14
	v_cndmask_b32_e64 v35, 0, 1, s15
	s_and_b32 s15, s10, s16
	s_and_b32 s9, s9, s17
	v_cmp_eq_u32_e64 s12, 1, v3
	s_wait_alu 0xfffe
	v_cndmask_b32_e64 v34, 0, 1, s13
	v_cmp_eq_u32_e64 s13, 2, v1
	v_cmp_eq_u32_e64 s14, 2, v3
	v_cndmask_b32_e64 v36, 0, 1, s15
	v_cmp_eq_u32_e64 s15, 3, v1
	v_cmp_eq_u32_e64 s16, 3, v3
	v_cndmask_b32_e64 v1, 0, 1, s9
	s_and_b32 s9, s10, s18
	s_and_b32 s10, s19, s21
	;; [unrolled: 1-line block ×4, first 2 shown]
	s_wait_alu 0xfffe
	v_cndmask_b32_e64 v3, 0, 1, s9
	v_cmp_ne_u32_e64 s9, 0, v2
	v_cndmask_b32_e64 v2, 0, 1, s10
	v_cmp_ne_u32_e64 s10, 0, v4
	;; [unrolled: 2-line block ×3, first 2 shown]
	v_cndmask_b32_e64 v14, 0, 1, s11
	s_and_b32 s12, s20, s12
	s_and_b32 s13, s19, s13
	;; [unrolled: 1-line block ×5, first 2 shown]
	v_cmp_ne_u32_e64 s11, 0, v34
	s_wait_alu 0xfffe
	v_cndmask_b32_e64 v34, 0, 1, s12
	v_cmp_ne_u32_e64 s12, 0, v35
	v_cndmask_b32_e64 v35, 0, 1, s13
	v_cmp_ne_u32_e64 s13, 0, v36
	;; [unrolled: 2-line block ×5, first 2 shown]
	s_bcnt1_i32_b32 s17, s17
	s_bcnt1_i32_b32 s20, s11
	v_cmp_ne_u32_e64 s11, 0, v34
	s_bcnt1_i32_b32 s18, s9
	v_cmp_ne_u32_e64 s9, 0, v2
	;; [unrolled: 2-line block ×4, first 2 shown]
	s_wait_alu 0xfffe
	s_add_co_i32 s17, s17, s28
	s_bcnt1_i32_b32 s16, s16
	s_bcnt1_i32_b32 s19, s10
	s_wait_alu 0xfffe
	s_add_co_i32 s16, s17, s16
	v_cmp_ne_u32_e64 s10, 0, v4
	s_bcnt1_i32_b32 s22, s13
	v_cmp_ne_u32_e64 s13, 0, v36
	s_bcnt1_i32_b32 s88, s15
	;; [unrolled: 2-line block ×3, first 2 shown]
	s_wait_alu 0xfffe
	s_add_co_i32 s16, s16, s20
	s_add_co_i32 s18, s18, s86
	;; [unrolled: 1-line block ×4, first 2 shown]
	s_bcnt1_i32_b32 s9, s9
	s_bcnt1_i32_b32 s12, s12
	s_bcnt1_i32_b32 s14, s14
	s_wait_alu 0xfffe
	s_add_co_i32 s28, s16, s11
	s_wait_alu 0xfffe
	v_dual_mov_b32 v2, s28 :: v_dual_add_nc_u32 v13, s46, v13
	s_add_co_i32 s9, s18, s9
	s_add_co_i32 s12, s21, s12
	;; [unrolled: 1-line block ×3, first 2 shown]
	s_bcnt1_i32_b32 s10, s10
	s_bcnt1_i32_b32 s13, s13
	s_bcnt1_i32_b32 s15, s15
	s_wait_alu 0xfffe
	s_add_co_i32 s9, s9, s19
	s_add_co_i32 s12, s12, s22
	;; [unrolled: 1-line block ×3, first 2 shown]
	v_cmp_le_i32_e32 vcc_lo, s23, v13
	s_wait_alu 0xfffe
	s_add_co_i32 s86, s9, s10
	s_add_co_i32 s27, s12, s13
	;; [unrolled: 1-line block ×3, first 2 shown]
	s_wait_alu 0xfffe
	v_dual_mov_b32 v1, s86 :: v_dual_add_nc_u32 v6, s76, v6
	v_dual_mov_b32 v3, s27 :: v_dual_mov_b32 v4, s26
	s_or_b32 s25, vcc_lo, s25
	s_wait_alu 0xfffe
	s_and_not1_b32 exec_lo, exec_lo, s25
	s_cbranch_execnz .LBB65_59
; %bb.60:                               ;   in Loop: Header=BB65_7 Depth=1
	s_or_b32 exec_lo, exec_lo, s25
.LBB65_61:                              ;   in Loop: Header=BB65_7 Depth=1
	s_delay_alu instid0(SALU_CYCLE_1) | instskip(SKIP_2) | instid1(VALU_DEP_1)
	s_or_b32 exec_lo, exec_lo, s24
	v_add_nc_u32_e32 v6, s23, v0
	s_mov_b32 s14, exec_lo
	v_cmpx_gt_i32_e64 s50, v6
	s_cbranch_execz .LBB65_65
; %bb.62:                               ;   in Loop: Header=BB65_7 Depth=1
	v_lshlrev_b32_e32 v13, 1, v6
	s_mov_b32 s15, 0
.LBB65_63:                              ;   Parent Loop BB65_7 Depth=1
                                        ; =>  This Inner Loop Header: Depth=2
	ds_load_u16 v14, v13
	v_add_nc_u32_e32 v6, s41, v6
	v_add_nc_u32_e32 v13, s77, v13
	s_delay_alu instid0(VALU_DEP_2)
	v_cmp_le_i32_e32 vcc_lo, s50, v6
	s_wait_dscnt 0x0
	v_cmp_lt_i16_e64 s9, -1, v14
	s_wait_loadcnt 0x0
	v_and_b32_e32 v34, 0xffff, v14
	v_lshlrev_b32_e32 v14, 16, v14
	s_wait_alu 0xf1ff
	v_cndmask_b32_e64 v35, 0xffff, v29, s9
	s_delay_alu instid0(VALU_DEP_2) | instskip(NEXT) | instid1(VALU_DEP_2)
	v_cmp_o_f32_e64 s9, v14, v14
	v_xor_b32_e32 v34, v35, v34
	s_wait_alu 0xf1ff
	s_delay_alu instid0(VALU_DEP_1) | instskip(NEXT) | instid1(VALU_DEP_1)
	v_cndmask_b32_e64 v14, 0xffff, v34, s9
	v_and_b32_e32 v34, v14, v31
	v_bfe_u32 v14, v14, s85, 2
	s_delay_alu instid0(VALU_DEP_2) | instskip(NEXT) | instid1(VALU_DEP_2)
	v_cmp_eq_u32_e64 s9, v34, v22
	v_cmp_eq_u32_e64 s10, 0, v14
	;; [unrolled: 1-line block ×5, first 2 shown]
	s_and_b32 s10, s9, s10
	s_wait_alu 0xfffe
	v_cndmask_b32_e64 v14, 0, 1, s10
	s_and_b32 s10, s9, s11
	s_wait_alu 0xfffe
	v_cndmask_b32_e64 v34, 0, 1, s10
	s_and_b32 s10, s9, s12
	s_and_b32 s9, s9, s13
	s_wait_alu 0xfffe
	v_cndmask_b32_e64 v35, 0, 1, s10
	v_cndmask_b32_e64 v36, 0, 1, s9
	v_cmp_ne_u32_e64 s9, 0, v14
	v_cmp_ne_u32_e64 s10, 0, v34
	s_delay_alu instid0(VALU_DEP_4) | instskip(NEXT) | instid1(VALU_DEP_4)
	v_cmp_ne_u32_e64 s11, 0, v35
	v_cmp_ne_u32_e64 s12, 0, v36
	s_bcnt1_i32_b32 s9, s9
	s_bcnt1_i32_b32 s10, s10
	s_wait_alu 0xfffe
	v_add_nc_u32_e32 v1, s9, v1
	s_bcnt1_i32_b32 s11, s11
	s_bcnt1_i32_b32 s12, s12
	v_add_nc_u32_e32 v2, s10, v2
	s_wait_alu 0xfffe
	v_add_nc_u32_e32 v3, s11, v3
	v_add_nc_u32_e32 v4, s12, v4
	s_or_b32 s15, vcc_lo, s15
	s_wait_alu 0xfffe
	s_and_not1_b32 exec_lo, exec_lo, s15
	s_cbranch_execnz .LBB65_63
; %bb.64:                               ;   in Loop: Header=BB65_7 Depth=1
	s_or_b32 exec_lo, exec_lo, s15
.LBB65_65:                              ;   in Loop: Header=BB65_7 Depth=1
	s_wait_alu 0xfffe
	s_or_b32 exec_lo, exec_lo, s14
	v_lshlrev_b32_e32 v6, 7, v30
	s_and_saveexec_b32 s9, s0
	s_cbranch_execnz .LBB65_37
	s_branch .LBB65_38
.LBB65_66:                              ;   in Loop: Header=BB65_7 Depth=1
	s_or_b32 exec_lo, exec_lo, s12
	s_wait_dscnt 0x0
	s_barrier_signal -1
	s_barrier_wait -1
	global_inv scope:SCOPE_SE
	s_and_saveexec_b32 s9, s2
	s_cbranch_execz .LBB65_68
; %bb.67:                               ;   in Loop: Header=BB65_7 Depth=1
	ds_load_b32 v1, v7 offset:4104
	s_wait_dscnt 0x0
	ds_store_b32 v7, v1 offset:4096
.LBB65_68:                              ;   in Loop: Header=BB65_7 Depth=1
	s_wait_alu 0xfffe
	s_or_b32 exec_lo, exec_lo, s9
	s_wait_loadcnt_dscnt 0x0
	s_barrier_signal -1
	s_mov_b32 s9, -1
	s_barrier_wait -1
	s_and_b32 vcc_lo, exec_lo, s10
	s_wait_alu 0xfffe
	s_cbranch_vccnz .LBB65_22
	s_branch .LBB65_32
.LBB65_69:                              ;   in Loop: Header=BB65_7 Depth=1
	v_mov_b32_e32 v1, 0
	s_mov_b32 s10, 0
	s_and_not1_b32 vcc_lo, exec_lo, s72
	s_wait_alu 0xfffe
	s_cbranch_vccnz .LBB65_72
.LBB65_70:                              ;   in Loop: Header=BB65_7 Depth=1
	v_lshlrev_b32_e32 v2, 9, v30
	s_lshl_b32 s10, s10, 4
	s_wait_alu 0xfffe
	s_delay_alu instid0(VALU_DEP_1)
	v_add3_u32 v2, v2, s10, v28
	s_mov_b32 s10, s69
.LBB65_71:                              ;   Parent Loop BB65_7 Depth=1
                                        ; =>  This Inner Loop Header: Depth=2
	ds_load_b32 v3, v2
	v_add_nc_u32_e32 v2, 16, v2
	s_wait_alu 0xfffe
	s_add_co_i32 s10, s10, -1
	s_wait_alu 0xfffe
	s_cmp_lg_u32 s10, 0
	s_wait_dscnt 0x0
	v_add_nc_u32_e32 v1, v3, v1
	s_cbranch_scc1 .LBB65_71
.LBB65_72:                              ;   in Loop: Header=BB65_7 Depth=1
	v_add_lshl_u32 v2, v6, v15, 2
	ds_store_b32 v2, v1 offset:3072
.LBB65_73:                              ;   in Loop: Header=BB65_7 Depth=1
	s_wait_alu 0xfffe
	s_or_b32 exec_lo, exec_lo, s9
	v_lshlrev_b32_e32 v1, 2, v6
	s_wait_loadcnt_dscnt 0x0
	s_barrier_signal -1
	s_barrier_wait -1
	global_inv scope:SCOPE_SE
	ds_load_b128 v[1:4], v1 offset:3072
	s_lshl_b32 s10, 3, s85
	v_cmp_eq_u32_e32 vcc_lo, 1, v33
	s_wait_alu 0xfffe
	s_not_b32 s17, s10
	s_mov_b32 s13, -1
	s_mov_b32 s15, -1
                                        ; implicit-def: $sgpr20
                                        ; implicit-def: $sgpr18
	s_wait_dscnt 0x0
	v_readfirstlane_b32 s12, v1
	v_readfirstlane_b32 s19, v2
	;; [unrolled: 1-line block ×4, first 2 shown]
	s_cmp_eq_u32 s12, 1
	s_cselect_b32 s11, -1, 0
	s_wait_alu 0xfffe
	s_and_b32 s14, s11, vcc_lo
	s_wait_alu 0xfffe
	s_and_saveexec_b32 s11, s14
	s_cbranch_execz .LBB65_99
; %bb.74:                               ;   in Loop: Header=BB65_7 Depth=1
	ds_load_b32 v1, v7 offset:4096
	s_wait_loadcnt_dscnt 0x0
	s_barrier_signal -1
	s_barrier_wait -1
	global_inv scope:SCOPE_SE
	v_readfirstlane_b32 s15, v1
	s_and_saveexec_b32 s18, s1
; %bb.75:                               ;   in Loop: Header=BB65_7 Depth=1
	ds_store_b16 v18, v7
; %bb.76:                               ;   in Loop: Header=BB65_7 Depth=1
	s_wait_alu 0xfffe
	s_or_b32 exec_lo, exec_lo, s18
	v_and_b32_e32 v22, s17, v22
	v_or_b32_e32 v31, s10, v31
	s_mov_b32 s18, -1
	s_mov_b32 s20, 0
	s_cmp_lt_i32 s15, 1
	s_mov_b32 s21, 0
	s_mov_b32 s22, -1
	s_wait_loadcnt_dscnt 0x0
	s_barrier_signal -1
	s_barrier_wait -1
	global_inv scope:SCOPE_SE
                                        ; implicit-def: $vgpr32
	s_cbranch_scc0 .LBB65_87
; %bb.77:                               ;   in Loop: Header=BB65_7 Depth=1
	s_mov_b32 s22, 0
                                        ; implicit-def: $vgpr32
	s_and_saveexec_b32 s23, s8
	s_cbranch_execz .LBB65_86
; %bb.78:                               ;   in Loop: Header=BB65_7 Depth=1
	v_mov_b32_e32 v1, v5
	v_mov_b32_e32 v3, v0
                                        ; implicit-def: $sgpr24
	s_branch .LBB65_81
.LBB65_79:                              ;   in Loop: Header=BB65_81 Depth=2
	s_wait_alu 0xfffe
	s_or_b32 exec_lo, exec_lo, s25
	s_wait_loadcnt_dscnt 0x0
	s_barrier_signal -1
	s_barrier_wait -1
	global_inv scope:SCOPE_SE
	ds_load_b32 v2, v7 offset:3072
	s_mov_b32 s25, -1
	s_mov_b32 s26, -1
	s_wait_loadcnt_dscnt 0x0
	s_barrier_signal -1
	s_barrier_wait -1
	global_inv scope:SCOPE_SE
	v_and_b32_e32 v4, 0x7fff, v2
	s_delay_alu instid0(VALU_DEP_1)
	v_cmp_ne_u32_e32 vcc_lo, 0, v4
	s_cbranch_vccz .LBB65_84
.LBB65_80:                              ;   in Loop: Header=BB65_81 Depth=2
	s_wait_alu 0xfffe
	s_and_b32 s25, exec_lo, s25
	s_wait_alu 0xfffe
	s_or_b32 s21, s25, s21
	s_and_not1_b32 s24, s24, exec_lo
	s_and_b32 s25, s26, exec_lo
	s_wait_alu 0xfffe
	s_or_b32 s24, s24, s25
	s_and_not1_b32 exec_lo, exec_lo, s21
	s_cbranch_execz .LBB65_85
.LBB65_81:                              ;   Parent Loop BB65_7 Depth=1
                                        ; =>  This Inner Loop Header: Depth=2
	s_mov_b32 s25, exec_lo
	s_delay_alu instid0(VALU_DEP_1)
	v_cmpx_gt_i32_e64 s36, v3
	s_cbranch_execz .LBB65_79
; %bb.82:                               ;   in Loop: Header=BB65_81 Depth=2
	v_ashrrev_i32_e32 v2, 31, v1
	s_delay_alu instid0(VALU_DEP_1) | instskip(NEXT) | instid1(VALU_DEP_1)
	v_lshlrev_b64_e32 v[13:14], 1, v[1:2]
	v_add_co_u32 v13, vcc_lo, s48, v13
	s_wait_alu 0xfffd
	s_delay_alu instid0(VALU_DEP_2)
	v_add_co_ci_u32_e64 v14, null, s49, v14, vcc_lo
	global_load_u16 v2, v[13:14], off
	s_wait_loadcnt 0x0
	v_cmp_lt_i16_e32 vcc_lo, -1, v2
	v_and_b32_e32 v4, 0xffff, v2
	s_wait_alu 0xfffd
	v_dual_cndmask_b32 v6, 0xffff, v29 :: v_dual_lshlrev_b32 v13, 16, v2
	s_delay_alu instid0(VALU_DEP_1) | instskip(NEXT) | instid1(VALU_DEP_2)
	v_cmp_o_f32_e32 vcc_lo, v13, v13
	v_xor_b32_e32 v4, v6, v4
	s_wait_alu 0xfffd
	s_delay_alu instid0(VALU_DEP_1) | instskip(NEXT) | instid1(VALU_DEP_1)
	v_cndmask_b32_e32 v4, 0xffff, v4, vcc_lo
	v_and_b32_e32 v4, v4, v31
	s_delay_alu instid0(VALU_DEP_1)
	v_cmp_eq_u32_e32 vcc_lo, v4, v22
	s_and_b32 exec_lo, exec_lo, vcc_lo
	s_cbranch_execz .LBB65_79
; %bb.83:                               ;   in Loop: Header=BB65_81 Depth=2
	v_perm_b32 v2, v2, s78, 0x5040100
	ds_store_b32 v7, v2 offset:3072
	s_branch .LBB65_79
.LBB65_84:                              ;   in Loop: Header=BB65_81 Depth=2
	v_add_nc_u32_e32 v3, s41, v3
	v_add_nc_u32_e32 v1, s65, v1
	s_mov_b32 s26, 0
	s_delay_alu instid0(VALU_DEP_2)
	v_cmp_le_i32_e32 vcc_lo, s74, v3
	s_or_not1_b32 s25, vcc_lo, exec_lo
	s_branch .LBB65_80
.LBB65_85:                              ;   in Loop: Header=BB65_7 Depth=1
	s_or_b32 exec_lo, exec_lo, s21
	v_lshrrev_b32_e32 v32, 16, v2
	s_wait_alu 0xfffe
	s_and_b32 s21, s24, exec_lo
.LBB65_86:                              ;   in Loop: Header=BB65_7 Depth=1
	s_wait_alu 0xfffe
	s_or_b32 exec_lo, exec_lo, s23
.LBB65_87:                              ;   in Loop: Header=BB65_7 Depth=1
	s_wait_alu 0xfffe
	s_and_b32 vcc_lo, exec_lo, s22
	s_wait_alu 0xfffe
	s_cbranch_vccz .LBB65_98
; %bb.88:                               ;   in Loop: Header=BB65_7 Depth=1
	s_add_co_i32 s20, s15, s64
                                        ; implicit-def: $vgpr32
	s_wait_alu 0xfffe
	s_abs_i32 s50, s20
	s_wait_alu 0xfffe
	s_mul_u64 s[22:23], s[50:51], s[54:55]
	s_ashr_i32 s22, s20, 31
	s_wait_alu 0xfffe
	s_mul_i32 s18, s23, s41
	s_wait_alu 0xfffe
	s_sub_co_i32 s18, s50, s18
	s_wait_alu 0xfffe
	s_sub_co_i32 s23, s18, s41
	s_cmp_ge_u32 s18, s41
	s_wait_alu 0xfffe
	s_cselect_b32 s18, s23, s18
	s_wait_alu 0xfffe
	s_sub_co_i32 s23, s18, s41
	s_cmp_ge_u32 s18, s41
	s_wait_alu 0xfffe
	s_cselect_b32 s18, s23, s18
	s_wait_alu 0xfffe
	s_xor_b32 s18, s18, s22
	s_wait_alu 0xfffe
	s_sub_co_i32 s18, s22, s18
	s_wait_alu 0xfffe
	s_add_co_i32 s20, s20, s18
	s_mov_b32 s18, exec_lo
	s_wait_alu 0xfffe
	v_cmpx_gt_i32_e64 s20, v0
	s_cbranch_execz .LBB65_97
; %bb.89:                               ;   in Loop: Header=BB65_7 Depth=1
	v_dual_mov_b32 v1, v17 :: v_dual_mov_b32 v2, v0
	s_mov_b32 s22, 0
                                        ; implicit-def: $sgpr23
	s_branch .LBB65_92
.LBB65_90:                              ;   in Loop: Header=BB65_92 Depth=2
	s_wait_alu 0xfffe
	s_or_b32 exec_lo, exec_lo, s24
	s_wait_loadcnt_dscnt 0x0
	s_barrier_signal -1
	s_barrier_wait -1
	global_inv scope:SCOPE_SE
	ds_load_b32 v3, v7 offset:3072
	s_mov_b32 s24, -1
	s_mov_b32 s25, -1
	s_wait_loadcnt_dscnt 0x0
	s_barrier_signal -1
	s_barrier_wait -1
	global_inv scope:SCOPE_SE
	v_and_b32_e32 v4, 0x7fff, v3
	s_delay_alu instid0(VALU_DEP_1)
	v_cmp_ne_u32_e32 vcc_lo, 0, v4
	s_cbranch_vccz .LBB65_95
.LBB65_91:                              ;   in Loop: Header=BB65_92 Depth=2
	s_wait_alu 0xfffe
	s_and_b32 s24, exec_lo, s24
	s_wait_alu 0xfffe
	s_or_b32 s22, s24, s22
	s_and_not1_b32 s23, s23, exec_lo
	s_and_b32 s24, s25, exec_lo
	s_wait_alu 0xfffe
	s_or_b32 s23, s23, s24
	s_and_not1_b32 exec_lo, exec_lo, s22
	s_cbranch_execz .LBB65_96
.LBB65_92:                              ;   Parent Loop BB65_7 Depth=1
                                        ; =>  This Inner Loop Header: Depth=2
	s_mov_b32 s24, exec_lo
	s_delay_alu instid0(VALU_DEP_1)
	v_cmpx_gt_i32_e64 s15, v2
	s_cbranch_execz .LBB65_90
; %bb.93:                               ;   in Loop: Header=BB65_92 Depth=2
	ds_load_u16 v3, v1
	s_wait_dscnt 0x0
	v_cmp_lt_i16_e32 vcc_lo, -1, v3
	v_and_b32_e32 v4, 0xffff, v3
	s_wait_alu 0xfffd
	v_dual_cndmask_b32 v6, 0xffff, v29 :: v_dual_lshlrev_b32 v13, 16, v3
	s_delay_alu instid0(VALU_DEP_1) | instskip(NEXT) | instid1(VALU_DEP_2)
	v_cmp_o_f32_e32 vcc_lo, v13, v13
	v_xor_b32_e32 v4, v6, v4
	s_wait_alu 0xfffd
	s_delay_alu instid0(VALU_DEP_1) | instskip(NEXT) | instid1(VALU_DEP_1)
	v_cndmask_b32_e32 v4, 0xffff, v4, vcc_lo
	v_and_b32_e32 v4, v4, v31
	s_delay_alu instid0(VALU_DEP_1)
	v_cmp_eq_u32_e32 vcc_lo, v4, v22
	s_and_b32 exec_lo, exec_lo, vcc_lo
	s_cbranch_execz .LBB65_90
; %bb.94:                               ;   in Loop: Header=BB65_92 Depth=2
	v_perm_b32 v3, v3, s78, 0x5040100
	ds_store_b32 v7, v3 offset:3072
	s_branch .LBB65_90
.LBB65_95:                              ;   in Loop: Header=BB65_92 Depth=2
	v_add_nc_u32_e32 v2, s41, v2
	v_add_nc_u32_e32 v1, s77, v1
	s_mov_b32 s25, 0
	s_delay_alu instid0(VALU_DEP_2)
	v_cmp_le_i32_e32 vcc_lo, s20, v2
	s_or_not1_b32 s24, vcc_lo, exec_lo
	s_branch .LBB65_91
.LBB65_96:                              ;   in Loop: Header=BB65_7 Depth=1
	s_or_b32 exec_lo, exec_lo, s22
	s_delay_alu instid0(SALU_CYCLE_1)
	s_and_not1_b32 s15, s21, exec_lo
	s_wait_alu 0xfffe
	s_and_b32 s20, s23, exec_lo
	v_lshrrev_b32_e32 v32, 16, v3
	s_wait_alu 0xfffe
	s_or_b32 s21, s15, s20
.LBB65_97:                              ;   in Loop: Header=BB65_7 Depth=1
	s_or_b32 exec_lo, exec_lo, s18
	s_mov_b32 s18, 0
	s_mov_b32 s20, -1
.LBB65_98:                              ;   in Loop: Header=BB65_7 Depth=1
	s_wait_alu 0xfffe
	s_or_not1_b32 s15, s21, exec_lo
.LBB65_99:                              ;   in Loop: Header=BB65_7 Depth=1
	s_wait_alu 0xfffe
	s_or_b32 exec_lo, exec_lo, s11
	v_readfirstlane_b32 s21, v0
	s_and_not1_b32 s11, s83, exec_lo
	s_and_b32 s20, s20, exec_lo
	s_and_not1_b32 s22, s81, exec_lo
	s_and_b32 s18, s18, exec_lo
	s_and_not1_b32 s80, s80, exec_lo
	s_wait_alu 0xfffe
	s_or_b32 s83, s11, s20
	s_or_b32 s81, s22, s18
                                        ; implicit-def: $vgpr4
	s_and_saveexec_b32 s11, s15
	s_cbranch_execz .LBB65_6
; %bb.100:                              ;   in Loop: Header=BB65_7 Depth=1
	v_dual_mov_b32 v4, 1 :: v_dual_mov_b32 v3, 1
	s_xor_b32 s14, s14, -1
	s_mov_b32 s20, 0
	s_wait_alu 0xfffe
	s_and_saveexec_b32 s13, s14
	s_cbranch_execz .LBB65_109
; %bb.101:                              ;   in Loop: Header=BB65_7 Depth=1
	s_mov_b32 s14, exec_lo
	v_cmpx_ge_i32_e64 s12, v33
	s_wait_alu 0xfffe
	s_xor_b32 s14, exec_lo, s14
	s_cbranch_execz .LBB65_106
; %bb.102:                              ;   in Loop: Header=BB65_7 Depth=1
	ds_load_b32 v1, v7 offset:4096
	v_and_b32_e32 v22, s17, v22
	v_or_b32_e32 v31, s10, v31
	s_wait_dscnt 0x0
	v_cmp_ne_u32_e32 vcc_lo, 0, v1
	s_cbranch_vccnz .LBB65_106
; %bb.103:                              ;   in Loop: Header=BB65_7 Depth=1
	s_and_saveexec_b32 s15, s2
; %bb.104:                              ;   in Loop: Header=BB65_7 Depth=1
	v_mov_b32_e32 v1, s12
	ds_store_b32 v7, v1 offset:4100
; %bb.105:                              ;   in Loop: Header=BB65_7 Depth=1
	s_wait_alu 0xfffe
	s_or_b32 exec_lo, exec_lo, s15
	s_wait_loadcnt_dscnt 0x0
	s_barrier_signal -1
	s_barrier_wait -1
	global_inv scope:SCOPE_SE
.LBB65_106:                             ;   in Loop: Header=BB65_7 Depth=1
	s_wait_alu 0xfffe
	s_or_saveexec_b32 s14, s14
	v_mov_b32_e32 v3, 8
	s_mov_b32 s15, 0
	s_wait_alu 0xfffe
	s_xor_b32 exec_lo, exec_lo, s14
; %bb.107:                              ;   in Loop: Header=BB65_7 Depth=1
	v_subrev_nc_u32_e32 v33, s12, v33
	v_mov_b32_e32 v3, 0
	s_mov_b32 s15, exec_lo
; %bb.108:                              ;   in Loop: Header=BB65_7 Depth=1
	s_or_b32 exec_lo, exec_lo, s14
	s_delay_alu instid0(VALU_DEP_2)
	v_mov_b32_e32 v4, v33
	s_wait_alu 0xfffe
	s_and_b32 s20, s15, exec_lo
.LBB65_109:                             ;   in Loop: Header=BB65_7 Depth=1
	s_wait_alu 0xfffe
	s_or_b32 exec_lo, exec_lo, s13
	s_mov_b32 s12, -1
	s_mov_b32 s18, -1
                                        ; implicit-def: $sgpr14
                                        ; implicit-def: $sgpr15
	s_and_saveexec_b32 s13, s20
	s_wait_alu 0xfffe
	s_xor_b32 s13, exec_lo, s13
	s_cbranch_execz .LBB65_226
; %bb.110:                              ;   in Loop: Header=BB65_7 Depth=1
	v_cmp_eq_u32_e32 vcc_lo, 1, v4
	s_cmp_eq_u32 s19, 1
	s_mov_b32 s21, -1
	s_cselect_b32 s14, -1, 0
                                        ; implicit-def: $sgpr15
	s_wait_alu 0xfffe
	s_and_b32 s20, s14, vcc_lo
                                        ; implicit-def: $sgpr14
	s_wait_alu 0xfffe
	s_and_saveexec_b32 s18, s20
	s_cbranch_execz .LBB65_136
; %bb.111:                              ;   in Loop: Header=BB65_7 Depth=1
	ds_load_b32 v1, v7 offset:4096
	s_wait_loadcnt_dscnt 0x0
	s_barrier_signal -1
	s_barrier_wait -1
	global_inv scope:SCOPE_SE
	v_readfirstlane_b32 s21, v1
	s_and_saveexec_b32 s14, s1
; %bb.112:                              ;   in Loop: Header=BB65_7 Depth=1
	ds_store_b16 v18, v7
; %bb.113:                              ;   in Loop: Header=BB65_7 Depth=1
	s_wait_alu 0xfffe
	s_or_b32 exec_lo, exec_lo, s14
	s_lshl_b32 s14, 1, s85
	v_or_b32_e32 v31, s10, v31
	s_wait_alu 0xfffe
	v_and_or_b32 v22, v22, s17, s14
	s_mov_b32 s14, -1
	s_mov_b32 s15, 0
	s_cmp_gt_i32 s21, 0
	s_mov_b32 s22, 0
	s_mov_b32 s23, -1
	s_wait_loadcnt_dscnt 0x0
	s_barrier_signal -1
	s_barrier_wait -1
	global_inv scope:SCOPE_SE
                                        ; implicit-def: $vgpr32
	s_cbranch_scc1 .LBB65_124
; %bb.114:                              ;   in Loop: Header=BB65_7 Depth=1
	s_mov_b32 s23, 0
                                        ; implicit-def: $vgpr32
	s_and_saveexec_b32 s24, s8
	s_cbranch_execz .LBB65_123
; %bb.115:                              ;   in Loop: Header=BB65_7 Depth=1
	v_dual_mov_b32 v1, v5 :: v_dual_mov_b32 v6, v0
                                        ; implicit-def: $sgpr25
	s_branch .LBB65_118
.LBB65_116:                             ;   in Loop: Header=BB65_118 Depth=2
	s_wait_alu 0xfffe
	s_or_b32 exec_lo, exec_lo, s26
	s_wait_loadcnt_dscnt 0x0
	s_barrier_signal -1
	s_barrier_wait -1
	global_inv scope:SCOPE_SE
	ds_load_b32 v2, v7 offset:3072
	s_mov_b32 s26, -1
	s_mov_b32 s27, -1
	s_wait_loadcnt_dscnt 0x0
	s_barrier_signal -1
	s_barrier_wait -1
	global_inv scope:SCOPE_SE
	v_and_b32_e32 v13, 0x7fff, v2
	s_delay_alu instid0(VALU_DEP_1)
	v_cmp_ne_u32_e32 vcc_lo, 0, v13
	s_cbranch_vccz .LBB65_121
.LBB65_117:                             ;   in Loop: Header=BB65_118 Depth=2
	s_wait_alu 0xfffe
	s_and_b32 s26, exec_lo, s26
	s_wait_alu 0xfffe
	s_or_b32 s22, s26, s22
	s_and_not1_b32 s25, s25, exec_lo
	s_and_b32 s26, s27, exec_lo
	s_wait_alu 0xfffe
	s_or_b32 s25, s25, s26
	s_and_not1_b32 exec_lo, exec_lo, s22
	s_cbranch_execz .LBB65_122
.LBB65_118:                             ;   Parent Loop BB65_7 Depth=1
                                        ; =>  This Inner Loop Header: Depth=2
	s_mov_b32 s26, exec_lo
	s_delay_alu instid0(VALU_DEP_1)
	v_cmpx_gt_i32_e64 s36, v6
	s_cbranch_execz .LBB65_116
; %bb.119:                              ;   in Loop: Header=BB65_118 Depth=2
	v_ashrrev_i32_e32 v2, 31, v1
	s_delay_alu instid0(VALU_DEP_1) | instskip(NEXT) | instid1(VALU_DEP_1)
	v_lshlrev_b64_e32 v[13:14], 1, v[1:2]
	v_add_co_u32 v13, vcc_lo, s48, v13
	s_wait_alu 0xfffd
	s_delay_alu instid0(VALU_DEP_2)
	v_add_co_ci_u32_e64 v14, null, s49, v14, vcc_lo
	global_load_u16 v2, v[13:14], off
	s_wait_loadcnt 0x0
	v_cmp_lt_i16_e32 vcc_lo, -1, v2
	s_wait_alu 0xfffd
	v_dual_cndmask_b32 v14, 0xffff, v29 :: v_dual_and_b32 v13, 0xffff, v2
	s_delay_alu instid0(VALU_DEP_1) | instskip(SKIP_1) | instid1(VALU_DEP_1)
	v_xor_b32_e32 v13, v14, v13
	v_lshlrev_b32_e32 v32, 16, v2
	v_cmp_o_f32_e32 vcc_lo, v32, v32
	s_wait_alu 0xfffd
	s_delay_alu instid0(VALU_DEP_3) | instskip(NEXT) | instid1(VALU_DEP_1)
	v_cndmask_b32_e32 v13, 0xffff, v13, vcc_lo
	v_and_b32_e32 v13, v13, v31
	s_delay_alu instid0(VALU_DEP_1)
	v_cmp_eq_u32_e32 vcc_lo, v13, v22
	s_and_b32 exec_lo, exec_lo, vcc_lo
	s_cbranch_execz .LBB65_116
; %bb.120:                              ;   in Loop: Header=BB65_118 Depth=2
	v_perm_b32 v2, v2, s78, 0x5040100
	ds_store_b32 v7, v2 offset:3072
	s_branch .LBB65_116
.LBB65_121:                             ;   in Loop: Header=BB65_118 Depth=2
	v_add_nc_u32_e32 v6, s41, v6
	v_add_nc_u32_e32 v1, s65, v1
	s_mov_b32 s27, 0
	s_delay_alu instid0(VALU_DEP_2)
	v_cmp_le_i32_e32 vcc_lo, s74, v6
	s_or_not1_b32 s26, vcc_lo, exec_lo
	s_branch .LBB65_117
.LBB65_122:                             ;   in Loop: Header=BB65_7 Depth=1
	s_or_b32 exec_lo, exec_lo, s22
	v_lshrrev_b32_e32 v32, 16, v2
	s_wait_alu 0xfffe
	s_and_b32 s22, s25, exec_lo
.LBB65_123:                             ;   in Loop: Header=BB65_7 Depth=1
	s_wait_alu 0xfffe
	s_or_b32 exec_lo, exec_lo, s24
.LBB65_124:                             ;   in Loop: Header=BB65_7 Depth=1
	s_wait_alu 0xfffe
	s_and_b32 vcc_lo, exec_lo, s23
	s_wait_alu 0xfffe
	s_cbranch_vccz .LBB65_135
; %bb.125:                              ;   in Loop: Header=BB65_7 Depth=1
	s_add_co_i32 s23, s21, s64
                                        ; implicit-def: $vgpr32
	s_wait_alu 0xfffe
	s_abs_i32 s50, s23
	s_wait_alu 0xfffe
	s_mul_u64 s[14:15], s[50:51], s[54:55]
	s_wait_alu 0xfffe
	s_mul_i32 s14, s15, s41
	s_ashr_i32 s15, s23, 31
	s_wait_alu 0xfffe
	s_sub_co_i32 s14, s50, s14
	s_wait_alu 0xfffe
	s_sub_co_i32 s24, s14, s41
	s_cmp_ge_u32 s14, s41
	s_wait_alu 0xfffe
	s_cselect_b32 s14, s24, s14
	s_wait_alu 0xfffe
	s_sub_co_i32 s24, s14, s41
	s_cmp_ge_u32 s14, s41
	s_wait_alu 0xfffe
	s_cselect_b32 s14, s24, s14
	s_wait_alu 0xfffe
	s_xor_b32 s14, s14, s15
	s_wait_alu 0xfffe
	s_sub_co_i32 s14, s15, s14
	s_wait_alu 0xfffe
	s_add_co_i32 s15, s23, s14
	s_mov_b32 s14, exec_lo
	s_wait_alu 0xfffe
	v_cmpx_gt_i32_e64 s15, v0
	s_cbranch_execz .LBB65_134
; %bb.126:                              ;   in Loop: Header=BB65_7 Depth=1
	v_dual_mov_b32 v1, v17 :: v_dual_mov_b32 v2, v0
	s_mov_b32 s23, 0
                                        ; implicit-def: $sgpr24
	s_branch .LBB65_129
.LBB65_127:                             ;   in Loop: Header=BB65_129 Depth=2
	s_wait_alu 0xfffe
	s_or_b32 exec_lo, exec_lo, s25
	s_wait_loadcnt_dscnt 0x0
	s_barrier_signal -1
	s_barrier_wait -1
	global_inv scope:SCOPE_SE
	ds_load_b32 v6, v7 offset:3072
	s_mov_b32 s25, -1
	s_mov_b32 s26, -1
	s_wait_loadcnt_dscnt 0x0
	s_barrier_signal -1
	s_barrier_wait -1
	global_inv scope:SCOPE_SE
	v_and_b32_e32 v13, 0x7fff, v6
	s_delay_alu instid0(VALU_DEP_1)
	v_cmp_eq_u32_e32 vcc_lo, 0, v13
	s_cbranch_vccnz .LBB65_132
.LBB65_128:                             ;   in Loop: Header=BB65_129 Depth=2
	s_wait_alu 0xfffe
	s_and_b32 s25, exec_lo, s25
	s_wait_alu 0xfffe
	s_or_b32 s23, s25, s23
	s_and_not1_b32 s24, s24, exec_lo
	s_and_b32 s25, s26, exec_lo
	s_wait_alu 0xfffe
	s_or_b32 s24, s24, s25
	s_and_not1_b32 exec_lo, exec_lo, s23
	s_cbranch_execz .LBB65_133
.LBB65_129:                             ;   Parent Loop BB65_7 Depth=1
                                        ; =>  This Inner Loop Header: Depth=2
	s_mov_b32 s25, exec_lo
	s_delay_alu instid0(VALU_DEP_1)
	v_cmpx_gt_i32_e64 s21, v2
	s_cbranch_execz .LBB65_127
; %bb.130:                              ;   in Loop: Header=BB65_129 Depth=2
	ds_load_u16 v6, v1
	s_wait_dscnt 0x0
	v_cmp_lt_i16_e32 vcc_lo, -1, v6
	s_wait_alu 0xfffd
	v_dual_cndmask_b32 v14, 0xffff, v29 :: v_dual_and_b32 v13, 0xffff, v6
	s_delay_alu instid0(VALU_DEP_1) | instskip(SKIP_1) | instid1(VALU_DEP_1)
	v_xor_b32_e32 v13, v14, v13
	v_lshlrev_b32_e32 v32, 16, v6
	v_cmp_o_f32_e32 vcc_lo, v32, v32
	s_wait_alu 0xfffd
	s_delay_alu instid0(VALU_DEP_3) | instskip(NEXT) | instid1(VALU_DEP_1)
	v_cndmask_b32_e32 v13, 0xffff, v13, vcc_lo
	v_and_b32_e32 v13, v13, v31
	s_delay_alu instid0(VALU_DEP_1)
	v_cmp_eq_u32_e32 vcc_lo, v13, v22
	s_and_b32 exec_lo, exec_lo, vcc_lo
	s_cbranch_execz .LBB65_127
; %bb.131:                              ;   in Loop: Header=BB65_129 Depth=2
	v_perm_b32 v6, v6, s78, 0x5040100
	ds_store_b32 v7, v6 offset:3072
	s_branch .LBB65_127
.LBB65_132:                             ;   in Loop: Header=BB65_129 Depth=2
	v_add_nc_u32_e32 v2, s41, v2
	v_add_nc_u32_e32 v1, s77, v1
	s_mov_b32 s26, 0
	s_delay_alu instid0(VALU_DEP_2)
	v_cmp_le_i32_e32 vcc_lo, s15, v2
	s_or_not1_b32 s25, vcc_lo, exec_lo
	s_branch .LBB65_128
.LBB65_133:                             ;   in Loop: Header=BB65_7 Depth=1
	s_or_b32 exec_lo, exec_lo, s23
	v_lshrrev_b32_e32 v32, 16, v6
	s_and_not1_b32 s15, s22, exec_lo
	s_wait_alu 0xfffe
	s_and_b32 s21, s24, exec_lo
	s_wait_alu 0xfffe
	s_or_b32 s22, s15, s21
.LBB65_134:                             ;   in Loop: Header=BB65_7 Depth=1
	s_or_b32 exec_lo, exec_lo, s14
	s_mov_b32 s14, 0
	s_mov_b32 s15, -1
.LBB65_135:                             ;   in Loop: Header=BB65_7 Depth=1
	s_wait_alu 0xfffe
	s_or_not1_b32 s21, s22, exec_lo
.LBB65_136:                             ;   in Loop: Header=BB65_7 Depth=1
	s_wait_alu 0xfffe
	s_or_b32 exec_lo, exec_lo, s18
	s_mov_b32 s22, 0
	s_and_saveexec_b32 s18, s21
	s_cbranch_execz .LBB65_225
; %bb.137:                              ;   in Loop: Header=BB65_7 Depth=1
	v_dual_mov_b32 v6, 1 :: v_dual_mov_b32 v3, 1
	s_xor_b32 s21, s20, -1
	s_mov_b32 s23, 0
	s_wait_alu 0xfffe
	s_and_saveexec_b32 s20, s21
	s_cbranch_execz .LBB65_146
; %bb.138:                              ;   in Loop: Header=BB65_7 Depth=1
	s_mov_b32 s21, exec_lo
	v_cmpx_ge_i32_e64 s19, v4
	s_wait_alu 0xfffe
	s_xor_b32 s21, exec_lo, s21
	s_cbranch_execz .LBB65_143
; %bb.139:                              ;   in Loop: Header=BB65_7 Depth=1
	ds_load_b32 v1, v7 offset:4096
	s_lshl_b32 s22, 1, s85
	v_or_b32_e32 v31, s10, v31
	s_wait_alu 0xfffe
	v_and_or_b32 v22, v22, s17, s22
	s_wait_dscnt 0x0
	v_cmp_ne_u32_e32 vcc_lo, 0, v1
	s_cbranch_vccnz .LBB65_143
; %bb.140:                              ;   in Loop: Header=BB65_7 Depth=1
	s_and_saveexec_b32 s22, s2
; %bb.141:                              ;   in Loop: Header=BB65_7 Depth=1
	v_mov_b32_e32 v1, s19
	ds_store_b32 v7, v1 offset:4100
; %bb.142:                              ;   in Loop: Header=BB65_7 Depth=1
	s_wait_alu 0xfffe
	s_or_b32 exec_lo, exec_lo, s22
	s_wait_loadcnt_dscnt 0x0
	s_barrier_signal -1
	s_barrier_wait -1
	global_inv scope:SCOPE_SE
.LBB65_143:                             ;   in Loop: Header=BB65_7 Depth=1
	s_wait_alu 0xfffe
	s_or_saveexec_b32 s21, s21
	v_mov_b32_e32 v3, 8
	s_mov_b32 s22, 0
	s_wait_alu 0xfffe
	s_xor_b32 exec_lo, exec_lo, s21
; %bb.144:                              ;   in Loop: Header=BB65_7 Depth=1
	v_subrev_nc_u32_e32 v4, s19, v4
	v_mov_b32_e32 v3, 0
	s_mov_b32 s22, exec_lo
; %bb.145:                              ;   in Loop: Header=BB65_7 Depth=1
	s_or_b32 exec_lo, exec_lo, s21
	s_delay_alu instid0(VALU_DEP_2)
	v_mov_b32_e32 v6, v4
	s_wait_alu 0xfffe
	s_and_b32 s23, s22, exec_lo
.LBB65_146:                             ;   in Loop: Header=BB65_7 Depth=1
	s_wait_alu 0xfffe
	s_or_b32 exec_lo, exec_lo, s20
	s_mov_b32 s22, -1
                                        ; implicit-def: $sgpr20
                                        ; implicit-def: $sgpr21
	s_and_saveexec_b32 s19, s23
	s_cbranch_execz .LBB65_224
; %bb.147:                              ;   in Loop: Header=BB65_7 Depth=1
	v_cmp_eq_u32_e32 vcc_lo, 1, v6
	s_cmp_eq_u32 s16, 1
	s_mov_b32 s24, -1
	s_cselect_b32 s20, -1, 0
                                        ; implicit-def: $sgpr21
	s_wait_alu 0xfffe
	s_and_b32 s23, s20, vcc_lo
                                        ; implicit-def: $sgpr20
	s_wait_alu 0xfffe
	s_and_saveexec_b32 s22, s23
	s_cbranch_execz .LBB65_173
; %bb.148:                              ;   in Loop: Header=BB65_7 Depth=1
	ds_load_b32 v1, v7 offset:4096
	s_wait_loadcnt_dscnt 0x0
	s_barrier_signal -1
	s_barrier_wait -1
	global_inv scope:SCOPE_SE
	v_readfirstlane_b32 s24, v1
	s_and_saveexec_b32 s20, s1
; %bb.149:                              ;   in Loop: Header=BB65_7 Depth=1
	ds_store_b16 v18, v7
; %bb.150:                              ;   in Loop: Header=BB65_7 Depth=1
	s_wait_alu 0xfffe
	s_or_b32 exec_lo, exec_lo, s20
	s_lshl_b32 s20, 2, s85
	v_or_b32_e32 v31, s10, v31
	s_wait_alu 0xfffe
	v_and_or_b32 v22, v22, s17, s20
	s_mov_b32 s20, -1
	s_mov_b32 s21, 0
	s_cmp_gt_i32 s24, 0
	s_mov_b32 s25, 0
	s_mov_b32 s26, -1
	s_wait_loadcnt_dscnt 0x0
	s_barrier_signal -1
	s_barrier_wait -1
	global_inv scope:SCOPE_SE
                                        ; implicit-def: $vgpr32
	s_cbranch_scc1 .LBB65_161
; %bb.151:                              ;   in Loop: Header=BB65_7 Depth=1
	s_mov_b32 s26, 0
                                        ; implicit-def: $vgpr32
	s_and_saveexec_b32 s27, s8
	s_cbranch_execz .LBB65_160
; %bb.152:                              ;   in Loop: Header=BB65_7 Depth=1
	v_dual_mov_b32 v1, v5 :: v_dual_mov_b32 v4, v0
                                        ; implicit-def: $sgpr28
	s_branch .LBB65_155
.LBB65_153:                             ;   in Loop: Header=BB65_155 Depth=2
	s_wait_alu 0xfffe
	s_or_b32 exec_lo, exec_lo, s50
	s_wait_loadcnt_dscnt 0x0
	s_barrier_signal -1
	s_barrier_wait -1
	global_inv scope:SCOPE_SE
	ds_load_b32 v2, v7 offset:3072
	s_mov_b32 s50, -1
	s_mov_b32 s86, -1
	s_wait_loadcnt_dscnt 0x0
	s_barrier_signal -1
	s_barrier_wait -1
	global_inv scope:SCOPE_SE
	v_and_b32_e32 v13, 0x7fff, v2
	s_delay_alu instid0(VALU_DEP_1)
	v_cmp_ne_u32_e32 vcc_lo, 0, v13
	s_cbranch_vccz .LBB65_158
.LBB65_154:                             ;   in Loop: Header=BB65_155 Depth=2
	s_wait_alu 0xfffe
	s_and_b32 s50, exec_lo, s50
	s_wait_alu 0xfffe
	s_or_b32 s25, s50, s25
	s_and_not1_b32 s28, s28, exec_lo
	s_and_b32 s50, s86, exec_lo
	s_wait_alu 0xfffe
	s_or_b32 s28, s28, s50
	s_and_not1_b32 exec_lo, exec_lo, s25
	s_cbranch_execz .LBB65_159
.LBB65_155:                             ;   Parent Loop BB65_7 Depth=1
                                        ; =>  This Inner Loop Header: Depth=2
	s_mov_b32 s50, exec_lo
	s_delay_alu instid0(VALU_DEP_1)
	v_cmpx_gt_i32_e64 s36, v4
	s_cbranch_execz .LBB65_153
; %bb.156:                              ;   in Loop: Header=BB65_155 Depth=2
	v_ashrrev_i32_e32 v2, 31, v1
	s_delay_alu instid0(VALU_DEP_1) | instskip(NEXT) | instid1(VALU_DEP_1)
	v_lshlrev_b64_e32 v[13:14], 1, v[1:2]
	v_add_co_u32 v13, vcc_lo, s48, v13
	s_wait_alu 0xfffd
	s_delay_alu instid0(VALU_DEP_2)
	v_add_co_ci_u32_e64 v14, null, s49, v14, vcc_lo
	global_load_u16 v2, v[13:14], off
	s_wait_loadcnt 0x0
	v_cmp_lt_i16_e32 vcc_lo, -1, v2
	s_wait_alu 0xfffd
	v_dual_cndmask_b32 v14, 0xffff, v29 :: v_dual_and_b32 v13, 0xffff, v2
	s_delay_alu instid0(VALU_DEP_1) | instskip(SKIP_1) | instid1(VALU_DEP_1)
	v_xor_b32_e32 v13, v14, v13
	v_lshlrev_b32_e32 v32, 16, v2
	v_cmp_o_f32_e32 vcc_lo, v32, v32
	s_wait_alu 0xfffd
	s_delay_alu instid0(VALU_DEP_3) | instskip(NEXT) | instid1(VALU_DEP_1)
	v_cndmask_b32_e32 v13, 0xffff, v13, vcc_lo
	v_and_b32_e32 v13, v13, v31
	s_delay_alu instid0(VALU_DEP_1)
	v_cmp_eq_u32_e32 vcc_lo, v13, v22
	s_and_b32 exec_lo, exec_lo, vcc_lo
	s_cbranch_execz .LBB65_153
; %bb.157:                              ;   in Loop: Header=BB65_155 Depth=2
	v_perm_b32 v2, v2, s78, 0x5040100
	ds_store_b32 v7, v2 offset:3072
	s_branch .LBB65_153
.LBB65_158:                             ;   in Loop: Header=BB65_155 Depth=2
	v_add_nc_u32_e32 v4, s41, v4
	v_add_nc_u32_e32 v1, s65, v1
	s_mov_b32 s86, 0
	s_delay_alu instid0(VALU_DEP_2)
	v_cmp_le_i32_e32 vcc_lo, s74, v4
	s_or_not1_b32 s50, vcc_lo, exec_lo
	s_branch .LBB65_154
.LBB65_159:                             ;   in Loop: Header=BB65_7 Depth=1
	s_or_b32 exec_lo, exec_lo, s25
	v_lshrrev_b32_e32 v32, 16, v2
	s_wait_alu 0xfffe
	s_and_b32 s25, s28, exec_lo
.LBB65_160:                             ;   in Loop: Header=BB65_7 Depth=1
	s_wait_alu 0xfffe
	s_or_b32 exec_lo, exec_lo, s27
.LBB65_161:                             ;   in Loop: Header=BB65_7 Depth=1
	s_wait_alu 0xfffe
	s_and_b32 vcc_lo, exec_lo, s26
	s_wait_alu 0xfffe
	s_cbranch_vccz .LBB65_172
; %bb.162:                              ;   in Loop: Header=BB65_7 Depth=1
	s_add_co_i32 s26, s24, s64
                                        ; implicit-def: $vgpr32
	s_wait_alu 0xfffe
	s_abs_i32 s50, s26
	s_wait_alu 0xfffe
	s_mul_u64 s[20:21], s[50:51], s[54:55]
	s_wait_alu 0xfffe
	s_mul_i32 s20, s21, s41
	s_ashr_i32 s21, s26, 31
	s_wait_alu 0xfffe
	s_sub_co_i32 s20, s50, s20
	s_wait_alu 0xfffe
	s_sub_co_i32 s27, s20, s41
	s_cmp_ge_u32 s20, s41
	s_wait_alu 0xfffe
	s_cselect_b32 s20, s27, s20
	s_wait_alu 0xfffe
	s_sub_co_i32 s27, s20, s41
	s_cmp_ge_u32 s20, s41
	s_wait_alu 0xfffe
	s_cselect_b32 s20, s27, s20
	s_wait_alu 0xfffe
	s_xor_b32 s20, s20, s21
	s_wait_alu 0xfffe
	s_sub_co_i32 s20, s21, s20
	s_wait_alu 0xfffe
	s_add_co_i32 s21, s26, s20
	s_mov_b32 s20, exec_lo
	s_wait_alu 0xfffe
	v_cmpx_gt_i32_e64 s21, v0
	s_cbranch_execz .LBB65_171
; %bb.163:                              ;   in Loop: Header=BB65_7 Depth=1
	v_dual_mov_b32 v1, v17 :: v_dual_mov_b32 v2, v0
	s_mov_b32 s26, 0
                                        ; implicit-def: $sgpr27
	s_branch .LBB65_166
.LBB65_164:                             ;   in Loop: Header=BB65_166 Depth=2
	s_wait_alu 0xfffe
	s_or_b32 exec_lo, exec_lo, s28
	s_wait_loadcnt_dscnt 0x0
	s_barrier_signal -1
	s_barrier_wait -1
	global_inv scope:SCOPE_SE
	ds_load_b32 v4, v7 offset:3072
	s_mov_b32 s28, -1
	s_mov_b32 s50, -1
	s_wait_loadcnt_dscnt 0x0
	s_barrier_signal -1
	s_barrier_wait -1
	global_inv scope:SCOPE_SE
	v_and_b32_e32 v13, 0x7fff, v4
	s_delay_alu instid0(VALU_DEP_1)
	v_cmp_eq_u32_e32 vcc_lo, 0, v13
	s_cbranch_vccnz .LBB65_169
.LBB65_165:                             ;   in Loop: Header=BB65_166 Depth=2
	s_wait_alu 0xfffe
	s_and_b32 s28, exec_lo, s28
	s_wait_alu 0xfffe
	s_or_b32 s26, s28, s26
	s_and_not1_b32 s27, s27, exec_lo
	s_and_b32 s28, s50, exec_lo
	s_wait_alu 0xfffe
	s_or_b32 s27, s27, s28
	s_and_not1_b32 exec_lo, exec_lo, s26
	s_cbranch_execz .LBB65_170
.LBB65_166:                             ;   Parent Loop BB65_7 Depth=1
                                        ; =>  This Inner Loop Header: Depth=2
	s_mov_b32 s28, exec_lo
	s_delay_alu instid0(VALU_DEP_1)
	v_cmpx_gt_i32_e64 s24, v2
	s_cbranch_execz .LBB65_164
; %bb.167:                              ;   in Loop: Header=BB65_166 Depth=2
	ds_load_u16 v4, v1
	s_wait_dscnt 0x0
	v_cmp_lt_i16_e32 vcc_lo, -1, v4
	s_wait_alu 0xfffd
	v_dual_cndmask_b32 v14, 0xffff, v29 :: v_dual_and_b32 v13, 0xffff, v4
	s_delay_alu instid0(VALU_DEP_1) | instskip(SKIP_1) | instid1(VALU_DEP_1)
	v_xor_b32_e32 v13, v14, v13
	v_lshlrev_b32_e32 v32, 16, v4
	v_cmp_o_f32_e32 vcc_lo, v32, v32
	s_wait_alu 0xfffd
	s_delay_alu instid0(VALU_DEP_3) | instskip(NEXT) | instid1(VALU_DEP_1)
	v_cndmask_b32_e32 v13, 0xffff, v13, vcc_lo
	v_and_b32_e32 v13, v13, v31
	s_delay_alu instid0(VALU_DEP_1)
	v_cmp_eq_u32_e32 vcc_lo, v13, v22
	s_and_b32 exec_lo, exec_lo, vcc_lo
	s_cbranch_execz .LBB65_164
; %bb.168:                              ;   in Loop: Header=BB65_166 Depth=2
	v_perm_b32 v4, v4, s78, 0x5040100
	ds_store_b32 v7, v4 offset:3072
	s_branch .LBB65_164
.LBB65_169:                             ;   in Loop: Header=BB65_166 Depth=2
	v_add_nc_u32_e32 v2, s41, v2
	v_add_nc_u32_e32 v1, s77, v1
	s_mov_b32 s50, 0
	s_delay_alu instid0(VALU_DEP_2)
	v_cmp_le_i32_e32 vcc_lo, s21, v2
	s_or_not1_b32 s28, vcc_lo, exec_lo
	s_branch .LBB65_165
.LBB65_170:                             ;   in Loop: Header=BB65_7 Depth=1
	s_or_b32 exec_lo, exec_lo, s26
	v_lshrrev_b32_e32 v32, 16, v4
	s_and_not1_b32 s21, s25, exec_lo
	s_wait_alu 0xfffe
	s_and_b32 s24, s27, exec_lo
	s_wait_alu 0xfffe
	s_or_b32 s25, s21, s24
.LBB65_171:                             ;   in Loop: Header=BB65_7 Depth=1
	s_or_b32 exec_lo, exec_lo, s20
	s_mov_b32 s20, 0
	s_mov_b32 s21, -1
.LBB65_172:                             ;   in Loop: Header=BB65_7 Depth=1
	s_wait_alu 0xfffe
	s_or_not1_b32 s24, s25, exec_lo
.LBB65_173:                             ;   in Loop: Header=BB65_7 Depth=1
	s_wait_alu 0xfffe
	s_or_b32 exec_lo, exec_lo, s22
	s_mov_b32 s25, 0
	s_and_saveexec_b32 s22, s24
	s_cbranch_execz .LBB65_223
; %bb.174:                              ;   in Loop: Header=BB65_7 Depth=1
	v_dual_mov_b32 v4, 1 :: v_dual_mov_b32 v3, 1
	s_xor_b32 s24, s23, -1
	s_wait_alu 0xfffe
	s_and_saveexec_b32 s23, s24
	s_cbranch_execz .LBB65_183
; %bb.175:                              ;   in Loop: Header=BB65_7 Depth=1
	s_mov_b32 s24, exec_lo
	v_cmpx_ge_i32_e64 s16, v6
	s_wait_alu 0xfffe
	s_xor_b32 s24, exec_lo, s24
	s_cbranch_execz .LBB65_180
; %bb.176:                              ;   in Loop: Header=BB65_7 Depth=1
	ds_load_b32 v1, v7 offset:4096
	s_lshl_b32 s25, 2, s85
	v_or_b32_e32 v31, s10, v31
	s_wait_alu 0xfffe
	v_and_or_b32 v22, v22, s17, s25
	s_wait_dscnt 0x0
	v_cmp_ne_u32_e32 vcc_lo, 0, v1
	s_cbranch_vccnz .LBB65_180
; %bb.177:                              ;   in Loop: Header=BB65_7 Depth=1
	s_and_saveexec_b32 s17, s2
; %bb.178:                              ;   in Loop: Header=BB65_7 Depth=1
	v_mov_b32_e32 v1, s16
	ds_store_b32 v7, v1 offset:4100
; %bb.179:                              ;   in Loop: Header=BB65_7 Depth=1
	s_wait_alu 0xfffe
	s_or_b32 exec_lo, exec_lo, s17
	s_wait_loadcnt_dscnt 0x0
	s_barrier_signal -1
	s_barrier_wait -1
	global_inv scope:SCOPE_SE
.LBB65_180:                             ;   in Loop: Header=BB65_7 Depth=1
	s_wait_alu 0xfffe
	s_or_saveexec_b32 s17, s24
	v_mov_b32_e32 v3, 8
	s_mov_b32 s24, 0
	s_wait_alu 0xfffe
	s_xor_b32 exec_lo, exec_lo, s17
; %bb.181:                              ;   in Loop: Header=BB65_7 Depth=1
	v_subrev_nc_u32_e32 v6, s16, v6
	v_mov_b32_e32 v3, 0
	s_mov_b32 s24, exec_lo
; %bb.182:                              ;   in Loop: Header=BB65_7 Depth=1
	s_or_b32 exec_lo, exec_lo, s17
	s_delay_alu instid0(VALU_DEP_2)
	v_mov_b32_e32 v4, v6
	s_wait_alu 0xfffe
	s_and_b32 s25, s24, exec_lo
.LBB65_183:                             ;   in Loop: Header=BB65_7 Depth=1
	s_wait_alu 0xfffe
	s_or_b32 exec_lo, exec_lo, s23
	s_mov_b32 s17, -1
                                        ; implicit-def: $sgpr24
                                        ; implicit-def: $sgpr23
	s_and_saveexec_b32 s16, s25
	s_cbranch_execz .LBB65_222
; %bb.184:                              ;   in Loop: Header=BB65_7 Depth=1
	v_cmp_eq_u32_e32 vcc_lo, 1, v4
	s_cmp_eq_u32 s9, 1
	s_mov_b32 s26, -1
	s_cselect_b32 s17, -1, 0
                                        ; implicit-def: $sgpr24
                                        ; implicit-def: $sgpr23
	s_wait_alu 0xfffe
	s_and_b32 s17, s17, vcc_lo
	s_wait_alu 0xfffe
	s_and_saveexec_b32 s25, s17
	s_cbranch_execz .LBB65_210
; %bb.185:                              ;   in Loop: Header=BB65_7 Depth=1
	ds_load_b32 v1, v7 offset:4096
	s_wait_loadcnt_dscnt 0x0
	s_barrier_signal -1
	s_barrier_wait -1
	global_inv scope:SCOPE_SE
	v_readfirstlane_b32 s26, v1
	s_and_saveexec_b32 s23, s1
; %bb.186:                              ;   in Loop: Header=BB65_7 Depth=1
	ds_store_b16 v18, v7
; %bb.187:                              ;   in Loop: Header=BB65_7 Depth=1
	s_wait_alu 0xfffe
	s_or_b32 exec_lo, exec_lo, s23
	v_or_b32_e32 v22, s10, v22
	v_or_b32_e32 v31, s10, v31
	s_mov_b32 s23, -1
	s_mov_b32 s24, 0
	s_cmp_gt_i32 s26, 0
	s_mov_b32 s27, 0
	s_mov_b32 s28, -1
	s_wait_loadcnt_dscnt 0x0
	s_barrier_signal -1
	s_barrier_wait -1
	global_inv scope:SCOPE_SE
                                        ; implicit-def: $vgpr32
	s_cbranch_scc1 .LBB65_198
; %bb.188:                              ;   in Loop: Header=BB65_7 Depth=1
	s_mov_b32 s28, 0
                                        ; implicit-def: $vgpr32
	s_and_saveexec_b32 s50, s8
	s_cbranch_execz .LBB65_197
; %bb.189:                              ;   in Loop: Header=BB65_7 Depth=1
	v_dual_mov_b32 v1, v5 :: v_dual_mov_b32 v6, v0
                                        ; implicit-def: $sgpr86
	s_branch .LBB65_192
.LBB65_190:                             ;   in Loop: Header=BB65_192 Depth=2
	s_wait_alu 0xfffe
	s_or_b32 exec_lo, exec_lo, s87
	s_wait_loadcnt_dscnt 0x0
	s_barrier_signal -1
	s_barrier_wait -1
	global_inv scope:SCOPE_SE
	ds_load_b32 v2, v7 offset:3072
	s_mov_b32 s87, -1
	s_mov_b32 s88, -1
	s_wait_loadcnt_dscnt 0x0
	s_barrier_signal -1
	s_barrier_wait -1
	global_inv scope:SCOPE_SE
	v_and_b32_e32 v13, 0x7fff, v2
	s_delay_alu instid0(VALU_DEP_1)
	v_cmp_ne_u32_e32 vcc_lo, 0, v13
	s_cbranch_vccz .LBB65_195
.LBB65_191:                             ;   in Loop: Header=BB65_192 Depth=2
	s_wait_alu 0xfffe
	s_and_b32 s87, exec_lo, s87
	s_wait_alu 0xfffe
	s_or_b32 s27, s87, s27
	s_and_not1_b32 s86, s86, exec_lo
	s_and_b32 s87, s88, exec_lo
	s_wait_alu 0xfffe
	s_or_b32 s86, s86, s87
	s_and_not1_b32 exec_lo, exec_lo, s27
	s_cbranch_execz .LBB65_196
.LBB65_192:                             ;   Parent Loop BB65_7 Depth=1
                                        ; =>  This Inner Loop Header: Depth=2
	s_mov_b32 s87, exec_lo
	s_delay_alu instid0(VALU_DEP_1)
	v_cmpx_gt_i32_e64 s36, v6
	s_cbranch_execz .LBB65_190
; %bb.193:                              ;   in Loop: Header=BB65_192 Depth=2
	v_ashrrev_i32_e32 v2, 31, v1
	s_delay_alu instid0(VALU_DEP_1) | instskip(NEXT) | instid1(VALU_DEP_1)
	v_lshlrev_b64_e32 v[13:14], 1, v[1:2]
	v_add_co_u32 v13, vcc_lo, s48, v13
	s_wait_alu 0xfffd
	s_delay_alu instid0(VALU_DEP_2)
	v_add_co_ci_u32_e64 v14, null, s49, v14, vcc_lo
	global_load_u16 v2, v[13:14], off
	s_wait_loadcnt 0x0
	v_cmp_lt_i16_e32 vcc_lo, -1, v2
	s_wait_alu 0xfffd
	v_dual_cndmask_b32 v14, 0xffff, v29 :: v_dual_and_b32 v13, 0xffff, v2
	s_delay_alu instid0(VALU_DEP_1) | instskip(SKIP_1) | instid1(VALU_DEP_1)
	v_xor_b32_e32 v13, v14, v13
	v_lshlrev_b32_e32 v32, 16, v2
	v_cmp_o_f32_e32 vcc_lo, v32, v32
	s_wait_alu 0xfffd
	s_delay_alu instid0(VALU_DEP_3) | instskip(NEXT) | instid1(VALU_DEP_1)
	v_cndmask_b32_e32 v13, 0xffff, v13, vcc_lo
	v_and_b32_e32 v13, v13, v31
	s_delay_alu instid0(VALU_DEP_1)
	v_cmp_eq_u32_e32 vcc_lo, v13, v22
	s_and_b32 exec_lo, exec_lo, vcc_lo
	s_cbranch_execz .LBB65_190
; %bb.194:                              ;   in Loop: Header=BB65_192 Depth=2
	v_perm_b32 v2, v2, s78, 0x5040100
	ds_store_b32 v7, v2 offset:3072
	s_branch .LBB65_190
.LBB65_195:                             ;   in Loop: Header=BB65_192 Depth=2
	v_add_nc_u32_e32 v6, s41, v6
	v_add_nc_u32_e32 v1, s65, v1
	s_mov_b32 s88, 0
	s_delay_alu instid0(VALU_DEP_2)
	v_cmp_le_i32_e32 vcc_lo, s74, v6
	s_or_not1_b32 s87, vcc_lo, exec_lo
	s_branch .LBB65_191
.LBB65_196:                             ;   in Loop: Header=BB65_7 Depth=1
	s_or_b32 exec_lo, exec_lo, s27
	v_lshrrev_b32_e32 v32, 16, v2
	s_wait_alu 0xfffe
	s_and_b32 s27, s86, exec_lo
.LBB65_197:                             ;   in Loop: Header=BB65_7 Depth=1
	s_wait_alu 0xfffe
	s_or_b32 exec_lo, exec_lo, s50
.LBB65_198:                             ;   in Loop: Header=BB65_7 Depth=1
	s_wait_alu 0xfffe
	s_and_b32 vcc_lo, exec_lo, s28
	s_wait_alu 0xfffe
	s_cbranch_vccz .LBB65_209
; %bb.199:                              ;   in Loop: Header=BB65_7 Depth=1
	s_add_co_i32 s24, s26, s64
                                        ; implicit-def: $vgpr32
	s_wait_alu 0xfffe
	s_abs_i32 s50, s24
	s_ashr_i32 s28, s24, 31
	s_wait_alu 0xfffe
	s_mul_u64 s[86:87], s[50:51], s[54:55]
	s_wait_alu 0xfffe
	s_mul_i32 s23, s87, s41
	s_wait_alu 0xfffe
	s_sub_co_i32 s23, s50, s23
	s_wait_alu 0xfffe
	s_sub_co_i32 s50, s23, s41
	s_cmp_ge_u32 s23, s41
	s_wait_alu 0xfffe
	s_cselect_b32 s23, s50, s23
	s_wait_alu 0xfffe
	s_sub_co_i32 s50, s23, s41
	s_cmp_ge_u32 s23, s41
	s_wait_alu 0xfffe
	s_cselect_b32 s23, s50, s23
	s_wait_alu 0xfffe
	s_xor_b32 s23, s23, s28
	s_wait_alu 0xfffe
	s_sub_co_i32 s23, s28, s23
	s_wait_alu 0xfffe
	s_add_co_i32 s24, s24, s23
	s_mov_b32 s23, exec_lo
	s_wait_alu 0xfffe
	v_cmpx_gt_i32_e64 s24, v0
	s_cbranch_execz .LBB65_208
; %bb.200:                              ;   in Loop: Header=BB65_7 Depth=1
	v_dual_mov_b32 v1, v17 :: v_dual_mov_b32 v2, v0
	s_mov_b32 s28, 0
                                        ; implicit-def: $sgpr50
	s_branch .LBB65_203
.LBB65_201:                             ;   in Loop: Header=BB65_203 Depth=2
	s_wait_alu 0xfffe
	s_or_b32 exec_lo, exec_lo, s86
	s_wait_loadcnt_dscnt 0x0
	s_barrier_signal -1
	s_barrier_wait -1
	global_inv scope:SCOPE_SE
	ds_load_b32 v6, v7 offset:3072
	s_mov_b32 s86, -1
	s_mov_b32 s87, -1
	s_wait_loadcnt_dscnt 0x0
	s_barrier_signal -1
	s_barrier_wait -1
	global_inv scope:SCOPE_SE
	v_and_b32_e32 v13, 0x7fff, v6
	s_delay_alu instid0(VALU_DEP_1)
	v_cmp_eq_u32_e32 vcc_lo, 0, v13
	s_cbranch_vccnz .LBB65_206
.LBB65_202:                             ;   in Loop: Header=BB65_203 Depth=2
	s_wait_alu 0xfffe
	s_and_b32 s86, exec_lo, s86
	s_wait_alu 0xfffe
	s_or_b32 s28, s86, s28
	s_and_not1_b32 s50, s50, exec_lo
	s_and_b32 s86, s87, exec_lo
	s_wait_alu 0xfffe
	s_or_b32 s50, s50, s86
	s_and_not1_b32 exec_lo, exec_lo, s28
	s_cbranch_execz .LBB65_207
.LBB65_203:                             ;   Parent Loop BB65_7 Depth=1
                                        ; =>  This Inner Loop Header: Depth=2
	s_mov_b32 s86, exec_lo
	s_delay_alu instid0(VALU_DEP_1)
	v_cmpx_gt_i32_e64 s26, v2
	s_cbranch_execz .LBB65_201
; %bb.204:                              ;   in Loop: Header=BB65_203 Depth=2
	ds_load_u16 v6, v1
	s_wait_dscnt 0x0
	v_cmp_lt_i16_e32 vcc_lo, -1, v6
	s_wait_alu 0xfffd
	v_dual_cndmask_b32 v14, 0xffff, v29 :: v_dual_and_b32 v13, 0xffff, v6
	s_delay_alu instid0(VALU_DEP_1) | instskip(SKIP_1) | instid1(VALU_DEP_1)
	v_xor_b32_e32 v13, v14, v13
	v_lshlrev_b32_e32 v32, 16, v6
	v_cmp_o_f32_e32 vcc_lo, v32, v32
	s_wait_alu 0xfffd
	s_delay_alu instid0(VALU_DEP_3) | instskip(NEXT) | instid1(VALU_DEP_1)
	v_cndmask_b32_e32 v13, 0xffff, v13, vcc_lo
	v_and_b32_e32 v13, v13, v31
	s_delay_alu instid0(VALU_DEP_1)
	v_cmp_eq_u32_e32 vcc_lo, v13, v22
	s_and_b32 exec_lo, exec_lo, vcc_lo
	s_cbranch_execz .LBB65_201
; %bb.205:                              ;   in Loop: Header=BB65_203 Depth=2
	v_perm_b32 v6, v6, s78, 0x5040100
	ds_store_b32 v7, v6 offset:3072
	s_branch .LBB65_201
.LBB65_206:                             ;   in Loop: Header=BB65_203 Depth=2
	v_add_nc_u32_e32 v2, s41, v2
	v_add_nc_u32_e32 v1, s77, v1
	s_mov_b32 s87, 0
	s_delay_alu instid0(VALU_DEP_2)
	v_cmp_le_i32_e32 vcc_lo, s24, v2
	s_or_not1_b32 s86, vcc_lo, exec_lo
	s_branch .LBB65_202
.LBB65_207:                             ;   in Loop: Header=BB65_7 Depth=1
	s_or_b32 exec_lo, exec_lo, s28
	v_lshrrev_b32_e32 v32, 16, v6
	s_and_not1_b32 s24, s27, exec_lo
	s_wait_alu 0xfffe
	s_and_b32 s26, s50, exec_lo
	s_wait_alu 0xfffe
	s_or_b32 s27, s24, s26
.LBB65_208:                             ;   in Loop: Header=BB65_7 Depth=1
	s_or_b32 exec_lo, exec_lo, s23
	s_mov_b32 s23, 0
	s_mov_b32 s24, -1
.LBB65_209:                             ;   in Loop: Header=BB65_7 Depth=1
	s_wait_alu 0xfffe
	s_or_not1_b32 s26, s27, exec_lo
.LBB65_210:                             ;   in Loop: Header=BB65_7 Depth=1
	s_wait_alu 0xfffe
	s_or_b32 exec_lo, exec_lo, s25
	s_mov_b32 s27, 0
	s_and_saveexec_b32 s25, s26
	s_cbranch_execz .LBB65_221
; %bb.211:                              ;   in Loop: Header=BB65_7 Depth=1
	v_mov_b32_e32 v3, 1
	v_mov_b32_e32 v1, 1
	s_xor_b32 s26, s17, -1
	s_wait_alu 0xfffe
	s_and_saveexec_b32 s17, s26
	s_cbranch_execz .LBB65_220
; %bb.212:                              ;   in Loop: Header=BB65_7 Depth=1
	s_mov_b32 s26, exec_lo
	v_cmpx_ge_i32_e64 s9, v4
	s_wait_alu 0xfffe
	s_xor_b32 s26, exec_lo, s26
	s_cbranch_execz .LBB65_217
; %bb.213:                              ;   in Loop: Header=BB65_7 Depth=1
	ds_load_b32 v1, v7 offset:4096
	v_or_b32_e32 v22, s10, v22
	v_or_b32_e32 v31, s10, v31
	s_wait_dscnt 0x0
	v_cmp_ne_u32_e32 vcc_lo, 0, v1
	s_cbranch_vccnz .LBB65_217
; %bb.214:                              ;   in Loop: Header=BB65_7 Depth=1
	s_and_saveexec_b32 s10, s2
; %bb.215:                              ;   in Loop: Header=BB65_7 Depth=1
	v_mov_b32_e32 v1, s9
	ds_store_b32 v7, v1 offset:4100
; %bb.216:                              ;   in Loop: Header=BB65_7 Depth=1
	s_wait_alu 0xfffe
	s_or_b32 exec_lo, exec_lo, s10
	s_wait_loadcnt_dscnt 0x0
	s_barrier_signal -1
	s_barrier_wait -1
	global_inv scope:SCOPE_SE
.LBB65_217:                             ;   in Loop: Header=BB65_7 Depth=1
	s_wait_alu 0xfffe
	s_and_not1_saveexec_b32 s10, s26
; %bb.218:                              ;   in Loop: Header=BB65_7 Depth=1
	v_subrev_nc_u32_e32 v4, s9, v4
; %bb.219:                              ;   in Loop: Header=BB65_7 Depth=1
	s_wait_alu 0xfffe
	s_or_b32 exec_lo, exec_lo, s10
	v_mov_b32_e32 v3, 8
	s_delay_alu instid0(VALU_DEP_2)
	v_mov_b32_e32 v1, v4
.LBB65_220:                             ;   in Loop: Header=BB65_7 Depth=1
	s_wait_alu 0xfffe
	s_or_b32 exec_lo, exec_lo, s17
	s_delay_alu instid0(VALU_DEP_1)
	v_mov_b32_e32 v4, v1
	s_mov_b32 s27, exec_lo
.LBB65_221:                             ;   in Loop: Header=BB65_7 Depth=1
	s_wait_alu 0xfffe
	s_or_b32 exec_lo, exec_lo, s25
	s_delay_alu instid0(SALU_CYCLE_1)
	s_or_not1_b32 s17, s27, exec_lo
.LBB65_222:                             ;   in Loop: Header=BB65_7 Depth=1
	s_wait_alu 0xfffe
	s_or_b32 exec_lo, exec_lo, s16
	v_mov_b32_e32 v6, v4
	s_and_not1_b32 s9, s21, exec_lo
	s_and_b32 s10, s24, exec_lo
	s_and_not1_b32 s16, s20, exec_lo
	s_and_b32 s20, s23, exec_lo
	s_wait_alu 0xfffe
	s_or_b32 s21, s9, s10
	s_or_b32 s20, s16, s20
	s_and_b32 s25, s17, exec_lo
.LBB65_223:                             ;   in Loop: Header=BB65_7 Depth=1
	s_wait_alu 0xfffe
	s_or_b32 exec_lo, exec_lo, s22
	s_delay_alu instid0(SALU_CYCLE_1)
	s_or_not1_b32 s22, s25, exec_lo
.LBB65_224:                             ;   in Loop: Header=BB65_7 Depth=1
	s_wait_alu 0xfffe
	s_or_b32 exec_lo, exec_lo, s19
	v_mov_b32_e32 v4, v6
	s_and_not1_b32 s9, s15, exec_lo
	s_and_b32 s10, s21, exec_lo
	s_and_not1_b32 s14, s14, exec_lo
	s_and_b32 s16, s20, exec_lo
	s_wait_alu 0xfffe
	s_or_b32 s15, s9, s10
	s_or_b32 s14, s14, s16
	s_and_b32 s22, s22, exec_lo
.LBB65_225:                             ;   in Loop: Header=BB65_7 Depth=1
	s_wait_alu 0xfffe
	s_or_b32 exec_lo, exec_lo, s18
	s_delay_alu instid0(SALU_CYCLE_1)
	s_or_not1_b32 s18, s22, exec_lo
.LBB65_226:                             ;   in Loop: Header=BB65_7 Depth=1
	s_wait_alu 0xfffe
	s_or_b32 exec_lo, exec_lo, s13
	s_mov_b32 s10, 0
                                        ; implicit-def: $sgpr21
	s_and_saveexec_b32 s9, s18
	s_wait_alu 0xfffe
	s_xor_b32 s9, exec_lo, s9
	s_cbranch_execz .LBB65_5
; %bb.227:                              ;   in Loop: Header=BB65_7 Depth=1
	v_and_b32_e32 v1, 7, v3
	s_mov_b32 s12, -1
	s_mov_b32 s10, -1
	s_mov_b32 s13, exec_lo
                                        ; implicit-def: $sgpr21
	s_delay_alu instid0(VALU_DEP_1)
	v_cmpx_eq_u32_e32 0, v1
	s_cbranch_execz .LBB65_4
; %bb.228:                              ;   in Loop: Header=BB65_7 Depth=1
	s_add_co_i32 s21, s85, -2
	s_cmp_eq_u32 s85, 0
	v_xor_b32_e32 v30, 1, v30
	s_cselect_b32 s12, -1, 0
	s_xor_b32 s10, exec_lo, -1
	s_wait_alu 0xfffe
	s_or_not1_b32 s12, s12, exec_lo
	s_branch .LBB65_4
.LBB65_229:
	s_or_b32 exec_lo, exec_lo, s37
	s_wait_alu 0xfffe
	s_xor_b32 s3, s84, -1
	s_xor_b32 s1, s82, -1
	s_xor_b32 s4, s79, -1
	s_mov_b32 s0, 0
	s_and_saveexec_b32 s5, s1
	s_wait_alu 0xfffe
	s_xor_b32 s1, exec_lo, s5
	s_cbranch_execnz .LBB65_234
; %bb.230:
	s_and_not1_saveexec_b32 s1, s1
	s_cbranch_execnz .LBB65_254
.LBB65_231:
	s_wait_alu 0xfffe
	s_or_b32 exec_lo, exec_lo, s1
	s_and_saveexec_b32 s1, s0
.LBB65_232:
	; divergent unreachable
.LBB65_233:
	s_endpgm
.LBB65_234:
	s_and_saveexec_b32 s0, s3
	s_delay_alu instid0(SALU_CYCLE_1)
	s_xor_b32 s3, exec_lo, s0
	s_cbranch_execz .LBB65_252
; %bb.235:
	s_and_saveexec_b32 s0, s4
	s_delay_alu instid0(SALU_CYCLE_1)
	s_xor_b32 s0, exec_lo, s0
; %bb.236:
	v_and_b32_e32 v1, 0x8000, v22
	v_mov_b32_e32 v2, 0xffff
	s_delay_alu instid0(VALU_DEP_2) | instskip(SKIP_1) | instid1(VALU_DEP_2)
	v_cmp_eq_u32_e32 vcc_lo, 0, v1
	s_wait_alu 0xfffd
	v_cndmask_b32_e32 v1, 0x8000, v2, vcc_lo
	s_delay_alu instid0(VALU_DEP_1)
	v_xor_b32_e32 v32, v1, v22
; %bb.237:
	s_or_b32 exec_lo, exec_lo, s0
	s_and_saveexec_b32 s0, s2
; %bb.238:
	v_dual_mov_b32 v1, 0 :: v_dual_mov_b32 v2, s36
	ds_store_b32 v1, v2 offset:4108
; %bb.239:
	s_or_b32 exec_lo, exec_lo, s0
	v_mov_b32_e32 v1, 0
	s_wait_loadcnt_dscnt 0x0
	s_barrier_signal -1
	s_barrier_wait -1
	global_inv scope:SCOPE_SE
	ds_load_b32 v1, v1 offset:4108
	s_mov_b32 s4, exec_lo
	s_wait_dscnt 0x0
	v_min_i32_e32 v1, s36, v1
	s_delay_alu instid0(VALU_DEP_1)
	v_cmpx_lt_i32_e64 v0, v1
	s_cbranch_execz .LBB65_249
; %bb.240:
	v_lshlrev_b32_e32 v2, 16, v32
	s_mov_b32 s5, 0
                                        ; implicit-def: $sgpr6
                                        ; implicit-def: $sgpr9
                                        ; implicit-def: $sgpr8
	s_delay_alu instid0(VALU_DEP_1)
	v_cmp_u_f32_e32 vcc_lo, v2, v2
	s_xor_b32 s7, vcc_lo, -1
	s_branch .LBB65_242
.LBB65_241:                             ;   in Loop: Header=BB65_242 Depth=1
	s_or_b32 exec_lo, exec_lo, s0
	s_wait_alu 0xfffe
	s_and_b32 s0, exec_lo, s9
	s_delay_alu instid0(SALU_CYCLE_1) | instskip(SKIP_2) | instid1(SALU_CYCLE_1)
	s_or_b32 s5, s0, s5
	s_and_not1_b32 s0, s6, exec_lo
	s_and_b32 s6, s8, exec_lo
	s_or_b32 s6, s0, s6
	s_wait_alu 0xfffe
	s_and_not1_b32 exec_lo, exec_lo, s5
	s_cbranch_execz .LBB65_244
.LBB65_242:                             ; =>This Inner Loop Header: Depth=1
	v_ashrrev_i32_e32 v6, 31, v5
	s_or_b32 s8, s8, exec_lo
	s_or_b32 s9, s9, exec_lo
	s_delay_alu instid0(VALU_DEP_1) | instskip(NEXT) | instid1(VALU_DEP_1)
	v_lshlrev_b64_e32 v[3:4], 1, v[5:6]
	v_add_co_u32 v3, vcc_lo, s48, v3
	s_wait_alu 0xfffd
	s_delay_alu instid0(VALU_DEP_2) | instskip(SKIP_3) | instid1(VALU_DEP_1)
	v_add_co_ci_u32_e64 v4, null, s49, v4, vcc_lo
	global_load_u16 v3, v[3:4], off
	s_wait_loadcnt 0x0
	v_lshlrev_b32_e32 v3, 16, v3
	v_cmp_o_f32_e32 vcc_lo, v3, v3
	v_cmp_neq_f32_e64 s0, v3, v2
	v_mov_b32_e32 v3, v0
                                        ; implicit-def: $vgpr0
	s_or_b32 s10, s7, vcc_lo
	s_wait_alu 0xfffe
	s_and_b32 s10, s0, s10
	s_wait_alu 0xfffe
	s_and_saveexec_b32 s0, s10
	s_cbranch_execz .LBB65_241
; %bb.243:                              ;   in Loop: Header=BB65_242 Depth=1
	v_add_nc_u32_e32 v0, s41, v3
	v_add_nc_u32_e32 v5, s65, v5
	s_and_not1_b32 s9, s9, exec_lo
	s_and_not1_b32 s8, s8, exec_lo
	s_delay_alu instid0(VALU_DEP_2)
	v_cmp_ge_i32_e32 vcc_lo, v0, v1
	s_and_b32 s10, vcc_lo, exec_lo
	s_wait_alu 0xfffe
	s_or_b32 s9, s9, s10
	s_branch .LBB65_241
.LBB65_244:
	s_or_b32 exec_lo, exec_lo, s5
	s_and_saveexec_b32 s0, s6
	s_delay_alu instid0(SALU_CYCLE_1)
	s_xor_b32 s0, exec_lo, s0
	s_cbranch_execz .LBB65_249
; %bb.245:
	s_mov_b32 s5, exec_lo
	s_brev_b32 s0, -2
.LBB65_246:                             ; =>This Inner Loop Header: Depth=1
	s_wait_alu 0xfffe
	s_ctz_i32_b32 s6, s5
	s_wait_alu 0xfffe
	v_readlane_b32 s7, v3, s6
	s_lshl_b32 s6, 1, s6
	s_wait_alu 0xfffe
	s_and_not1_b32 s5, s5, s6
	s_min_i32 s0, s0, s7
	s_wait_alu 0xfffe
	s_cmp_lg_u32 s5, 0
	s_cbranch_scc1 .LBB65_246
; %bb.247:
	v_mbcnt_lo_u32_b32 v0, exec_lo, 0
	s_mov_b32 s5, exec_lo
	s_delay_alu instid0(VALU_DEP_1)
	v_cmpx_eq_u32_e32 0, v0
	s_wait_alu 0xfffe
	s_xor_b32 s5, exec_lo, s5
; %bb.248:
	v_dual_mov_b32 v0, 0 :: v_dual_mov_b32 v1, s0
	ds_min_i32 v0, v1 offset:4108
.LBB65_249:
	s_wait_alu 0xfffe
	s_or_b32 exec_lo, exec_lo, s4
	s_wait_loadcnt_dscnt 0x0
	s_barrier_signal -1
	s_barrier_wait -1
	global_inv scope:SCOPE_SE
	s_and_saveexec_b32 s0, s2
	s_cbranch_execz .LBB65_251
; %bb.250:
	s_mul_i32 s2, s47, s60
	s_xor_b32 s4, s61, s63
	s_wait_alu 0xfffe
	s_sub_co_i32 s2, s40, s2
	s_add_co_i32 s5, s47, 1
	s_wait_alu 0xfffe
	s_sub_co_i32 s6, s2, s60
	s_cmp_ge_u32 s2, s60
	v_mov_b32_e32 v2, 0
	s_cselect_b32 s5, s5, s47
	s_wait_alu 0xfffe
	s_cselect_b32 s2, s6, s2
	s_add_co_i32 s6, s5, 1
	s_wait_alu 0xfffe
	s_cmp_ge_u32 s2, s60
	s_mul_i32 s2, s29, s59
	s_cselect_b32 s5, s6, s5
	s_wait_alu 0xfffe
	s_sub_co_i32 s2, s40, s2
	s_xor_b32 s5, s5, s4
	s_xor_b32 s6, s61, s62
	s_wait_alu 0xfffe
	s_sub_co_i32 s4, s5, s4
	s_add_co_i32 s7, s29, 1
	s_wait_alu 0xfffe
	s_mul_i32 s5, s4, s58
	s_mul_i32 s4, s4, s30
	s_wait_alu 0xfffe
	s_sub_co_i32 s5, s33, s5
	s_sub_co_i32 s8, s2, s59
	s_wait_alu 0xfffe
	s_mul_i32 s5, s5, s31
	ds_load_b32 v0, v2 offset:4108
	s_wait_alu 0xfffe
	s_add_co_i32 s4, s4, s5
	s_cmp_ge_u32 s2, s59
	s_cselect_b32 s5, s7, s29
	s_cselect_b32 s2, s8, s2
	s_wait_alu 0xfffe
	s_add_co_i32 s7, s5, 1
	s_cmp_ge_u32 s2, s59
	s_wait_alu 0xfffe
	s_cselect_b32 s2, s7, s5
	s_wait_alu 0xfffe
	s_xor_b32 s2, s2, s6
	s_wait_alu 0xfffe
	s_sub_co_i32 s2, s2, s6
	s_wait_alu 0xfffe
	s_mul_i32 s5, s2, s38
	s_mul_i32 s2, s2, s34
	s_wait_alu 0xfffe
	s_sub_co_i32 s5, s33, s5
	s_wait_alu 0xfffe
	s_mul_i32 s5, s5, s35
	s_wait_dscnt 0x0
	v_ashrrev_i32_e32 v1, 31, v0
	s_wait_alu 0xfffe
	s_add_co_i32 s6, s2, s5
	s_ashr_i32 s5, s4, 31
	s_wait_alu 0xfffe
	s_ashr_i32 s7, s6, 31
	s_lshl_b64 s[4:5], s[4:5], 1
	s_wait_alu 0xfffe
	s_lshl_b64 s[6:7], s[6:7], 3
	s_add_nc_u64 s[4:5], s[44:45], s[4:5]
	s_wait_alu 0xfffe
	s_add_nc_u64 s[6:7], s[42:43], s[6:7]
	s_clause 0x1
	global_store_b64 v2, v[0:1], s[6:7]
	global_store_b16 v2, v32, s[4:5]
.LBB65_251:
	s_wait_alu 0xfffe
	s_or_b32 exec_lo, exec_lo, s0
.LBB65_252:
	s_wait_alu 0xfffe
	s_or_saveexec_b32 s0, s3
	s_mov_b32 s2, 0
	s_wait_alu 0xfffe
	s_xor_b32 exec_lo, exec_lo, s0
	s_cbranch_execnz .LBB65_255
.LBB65_253:
	s_or_b32 exec_lo, exec_lo, s0
	s_wait_alu 0xfffe
	s_and_b32 s0, s2, exec_lo
	s_and_not1_saveexec_b32 s1, s1
	s_cbranch_execz .LBB65_231
.LBB65_254:
	s_wait_alu 0xfffe
	s_or_b32 s0, s0, exec_lo
	s_trap 2
	s_or_b32 exec_lo, exec_lo, s1
	s_wait_alu 0xfffe
	s_and_saveexec_b32 s1, s0
	s_cbranch_execnz .LBB65_232
	s_branch .LBB65_233
.LBB65_255:
	s_mov_b32 s2, exec_lo
	s_trap 2
	s_branch .LBB65_253
	.section	.rodata,"a",@progbits
	.p2align	6, 0x0
	.amdhsa_kernel _ZN2at6native12_GLOBAL__N_114gatherKthValueIN3c108BFloat16EiLi2EEEvNS_4cuda6detail10TensorInfoIKT_T0_EESA_SA_SA_SA_NS7_IS8_SA_EENS7_IlSA_EE
		.amdhsa_group_segment_fixed_size 4112
		.amdhsa_private_segment_fixed_size 0
		.amdhsa_kernarg_size 920
		.amdhsa_user_sgpr_count 2
		.amdhsa_user_sgpr_dispatch_ptr 0
		.amdhsa_user_sgpr_queue_ptr 0
		.amdhsa_user_sgpr_kernarg_segment_ptr 1
		.amdhsa_user_sgpr_dispatch_id 0
		.amdhsa_user_sgpr_private_segment_size 0
		.amdhsa_wavefront_size32 1
		.amdhsa_uses_dynamic_stack 0
		.amdhsa_enable_private_segment 0
		.amdhsa_system_sgpr_workgroup_id_x 1
		.amdhsa_system_sgpr_workgroup_id_y 1
		.amdhsa_system_sgpr_workgroup_id_z 1
		.amdhsa_system_sgpr_workgroup_info 0
		.amdhsa_system_vgpr_workitem_id 0
		.amdhsa_next_free_vgpr 44
		.amdhsa_next_free_sgpr 93
		.amdhsa_reserve_vcc 1
		.amdhsa_float_round_mode_32 0
		.amdhsa_float_round_mode_16_64 0
		.amdhsa_float_denorm_mode_32 3
		.amdhsa_float_denorm_mode_16_64 3
		.amdhsa_fp16_overflow 0
		.amdhsa_workgroup_processor_mode 1
		.amdhsa_memory_ordered 1
		.amdhsa_forward_progress 1
		.amdhsa_inst_pref_size 97
		.amdhsa_round_robin_scheduling 0
		.amdhsa_exception_fp_ieee_invalid_op 0
		.amdhsa_exception_fp_denorm_src 0
		.amdhsa_exception_fp_ieee_div_zero 0
		.amdhsa_exception_fp_ieee_overflow 0
		.amdhsa_exception_fp_ieee_underflow 0
		.amdhsa_exception_fp_ieee_inexact 0
		.amdhsa_exception_int_div_zero 0
	.end_amdhsa_kernel
	.section	.text._ZN2at6native12_GLOBAL__N_114gatherKthValueIN3c108BFloat16EiLi2EEEvNS_4cuda6detail10TensorInfoIKT_T0_EESA_SA_SA_SA_NS7_IS8_SA_EENS7_IlSA_EE,"axG",@progbits,_ZN2at6native12_GLOBAL__N_114gatherKthValueIN3c108BFloat16EiLi2EEEvNS_4cuda6detail10TensorInfoIKT_T0_EESA_SA_SA_SA_NS7_IS8_SA_EENS7_IlSA_EE,comdat
.Lfunc_end65:
	.size	_ZN2at6native12_GLOBAL__N_114gatherKthValueIN3c108BFloat16EiLi2EEEvNS_4cuda6detail10TensorInfoIKT_T0_EESA_SA_SA_SA_NS7_IS8_SA_EENS7_IlSA_EE, .Lfunc_end65-_ZN2at6native12_GLOBAL__N_114gatherKthValueIN3c108BFloat16EiLi2EEEvNS_4cuda6detail10TensorInfoIKT_T0_EESA_SA_SA_SA_NS7_IS8_SA_EENS7_IlSA_EE
                                        ; -- End function
	.set _ZN2at6native12_GLOBAL__N_114gatherKthValueIN3c108BFloat16EiLi2EEEvNS_4cuda6detail10TensorInfoIKT_T0_EESA_SA_SA_SA_NS7_IS8_SA_EENS7_IlSA_EE.num_vgpr, 44
	.set _ZN2at6native12_GLOBAL__N_114gatherKthValueIN3c108BFloat16EiLi2EEEvNS_4cuda6detail10TensorInfoIKT_T0_EESA_SA_SA_SA_NS7_IS8_SA_EENS7_IlSA_EE.num_agpr, 0
	.set _ZN2at6native12_GLOBAL__N_114gatherKthValueIN3c108BFloat16EiLi2EEEvNS_4cuda6detail10TensorInfoIKT_T0_EESA_SA_SA_SA_NS7_IS8_SA_EENS7_IlSA_EE.numbered_sgpr, 93
	.set _ZN2at6native12_GLOBAL__N_114gatherKthValueIN3c108BFloat16EiLi2EEEvNS_4cuda6detail10TensorInfoIKT_T0_EESA_SA_SA_SA_NS7_IS8_SA_EENS7_IlSA_EE.num_named_barrier, 0
	.set _ZN2at6native12_GLOBAL__N_114gatherKthValueIN3c108BFloat16EiLi2EEEvNS_4cuda6detail10TensorInfoIKT_T0_EESA_SA_SA_SA_NS7_IS8_SA_EENS7_IlSA_EE.private_seg_size, 0
	.set _ZN2at6native12_GLOBAL__N_114gatherKthValueIN3c108BFloat16EiLi2EEEvNS_4cuda6detail10TensorInfoIKT_T0_EESA_SA_SA_SA_NS7_IS8_SA_EENS7_IlSA_EE.uses_vcc, 1
	.set _ZN2at6native12_GLOBAL__N_114gatherKthValueIN3c108BFloat16EiLi2EEEvNS_4cuda6detail10TensorInfoIKT_T0_EESA_SA_SA_SA_NS7_IS8_SA_EENS7_IlSA_EE.uses_flat_scratch, 0
	.set _ZN2at6native12_GLOBAL__N_114gatherKthValueIN3c108BFloat16EiLi2EEEvNS_4cuda6detail10TensorInfoIKT_T0_EESA_SA_SA_SA_NS7_IS8_SA_EENS7_IlSA_EE.has_dyn_sized_stack, 0
	.set _ZN2at6native12_GLOBAL__N_114gatherKthValueIN3c108BFloat16EiLi2EEEvNS_4cuda6detail10TensorInfoIKT_T0_EESA_SA_SA_SA_NS7_IS8_SA_EENS7_IlSA_EE.has_recursion, 0
	.set _ZN2at6native12_GLOBAL__N_114gatherKthValueIN3c108BFloat16EiLi2EEEvNS_4cuda6detail10TensorInfoIKT_T0_EESA_SA_SA_SA_NS7_IS8_SA_EENS7_IlSA_EE.has_indirect_call, 0
	.section	.AMDGPU.csdata,"",@progbits
; Kernel info:
; codeLenInByte = 12396
; TotalNumSgprs: 95
; NumVgprs: 44
; ScratchSize: 0
; MemoryBound: 0
; FloatMode: 240
; IeeeMode: 1
; LDSByteSize: 4112 bytes/workgroup (compile time only)
; SGPRBlocks: 0
; VGPRBlocks: 5
; NumSGPRsForWavesPerEU: 95
; NumVGPRsForWavesPerEU: 44
; Occupancy: 16
; WaveLimiterHint : 1
; COMPUTE_PGM_RSRC2:SCRATCH_EN: 0
; COMPUTE_PGM_RSRC2:USER_SGPR: 2
; COMPUTE_PGM_RSRC2:TRAP_HANDLER: 0
; COMPUTE_PGM_RSRC2:TGID_X_EN: 1
; COMPUTE_PGM_RSRC2:TGID_Y_EN: 1
; COMPUTE_PGM_RSRC2:TGID_Z_EN: 1
; COMPUTE_PGM_RSRC2:TIDIG_COMP_CNT: 0
	.section	.text._ZN2at6native12_GLOBAL__N_114gatherKthValueIN3c108BFloat16EiLi3EEEvNS_4cuda6detail10TensorInfoIKT_T0_EESA_SA_SA_SA_NS7_IS8_SA_EENS7_IlSA_EE,"axG",@progbits,_ZN2at6native12_GLOBAL__N_114gatherKthValueIN3c108BFloat16EiLi3EEEvNS_4cuda6detail10TensorInfoIKT_T0_EESA_SA_SA_SA_NS7_IS8_SA_EENS7_IlSA_EE,comdat
	.globl	_ZN2at6native12_GLOBAL__N_114gatherKthValueIN3c108BFloat16EiLi3EEEvNS_4cuda6detail10TensorInfoIKT_T0_EESA_SA_SA_SA_NS7_IS8_SA_EENS7_IlSA_EE ; -- Begin function _ZN2at6native12_GLOBAL__N_114gatherKthValueIN3c108BFloat16EiLi3EEEvNS_4cuda6detail10TensorInfoIKT_T0_EESA_SA_SA_SA_NS7_IS8_SA_EENS7_IlSA_EE
	.p2align	8
	.type	_ZN2at6native12_GLOBAL__N_114gatherKthValueIN3c108BFloat16EiLi3EEEvNS_4cuda6detail10TensorInfoIKT_T0_EESA_SA_SA_SA_NS7_IS8_SA_EENS7_IlSA_EE,@function
_ZN2at6native12_GLOBAL__N_114gatherKthValueIN3c108BFloat16EiLi3EEEvNS_4cuda6detail10TensorInfoIKT_T0_EESA_SA_SA_SA_NS7_IS8_SA_EENS7_IlSA_EE: ; @_ZN2at6native12_GLOBAL__N_114gatherKthValueIN3c108BFloat16EiLi3EEEvNS_4cuda6detail10TensorInfoIKT_T0_EESA_SA_SA_SA_NS7_IS8_SA_EENS7_IlSA_EE
; %bb.0:
	s_clause 0x1
	s_load_b64 s[8:9], s[0:1], 0x298
	s_load_b128 s[36:39], s[0:1], 0xd8
	s_lshr_b32 s2, ttmp7, 16
	s_and_b32 s3, ttmp7, 0xffff
	s_wait_kmcnt 0x0
	s_mul_i32 s2, s9, s2
	s_delay_alu instid0(SALU_CYCLE_1) | instskip(NEXT) | instid1(SALU_CYCLE_1)
	s_add_co_i32 s2, s2, s3
	s_mul_i32 s33, s2, s8
	s_delay_alu instid0(SALU_CYCLE_1) | instskip(NEXT) | instid1(SALU_CYCLE_1)
	s_add_co_i32 s33, s33, ttmp9
	s_cmp_ge_i32 s33, s38
	s_cbranch_scc1 .LBB66_233
; %bb.1:
	s_clause 0x2
	s_load_b64 s[12:13], s[0:1], 0xc
	s_load_b64 s[30:31], s[0:1], 0xf4
	;; [unrolled: 1-line block ×3, first 2 shown]
	s_abs_i32 s10, s33
	s_ashr_i32 s11, s33, 31
	s_mov_b32 s59, 0
	s_delay_alu instid0(SALU_CYCLE_1) | instskip(SKIP_3) | instid1(SALU_CYCLE_1)
	s_mov_b32 s49, s59
	s_mov_b32 s51, s59
	s_wait_kmcnt 0x0
	s_abs_i32 s2, s13
	s_cvt_f32_u32 s3, s2
	s_sub_co_i32 s4, 0, s2
	s_delay_alu instid0(SALU_CYCLE_2) | instskip(NEXT) | instid1(TRANS32_DEP_1)
	v_rcp_iflag_f32_e32 v1, s3
	v_readfirstlane_b32 s3, v1
	s_mul_f32 s3, s3, 0x4f7ffffe
	s_wait_alu 0xfffe
	s_delay_alu instid0(SALU_CYCLE_2) | instskip(SKIP_1) | instid1(SALU_CYCLE_2)
	s_cvt_u32_f32 s3, s3
	s_wait_alu 0xfffe
	s_mul_i32 s4, s4, s3
	s_delay_alu instid0(SALU_CYCLE_1) | instskip(NEXT) | instid1(SALU_CYCLE_1)
	s_mul_hi_u32 s4, s3, s4
	s_add_co_i32 s3, s3, s4
	s_ashr_i32 s4, s13, 31
	s_wait_alu 0xfffe
	s_mul_hi_u32 s3, s10, s3
	s_xor_b32 s7, s11, s4
	s_wait_alu 0xfffe
	s_mul_i32 s5, s3, s2
	s_delay_alu instid0(SALU_CYCLE_1)
	s_sub_co_i32 s4, s10, s5
	s_add_co_i32 s5, s3, 1
	s_sub_co_i32 s6, s4, s2
	s_cmp_ge_u32 s4, s2
	s_cselect_b32 s3, s5, s3
	s_cselect_b32 s4, s6, s4
	s_wait_alu 0xfffe
	s_add_co_i32 s9, s3, 1
	s_cmp_ge_u32 s4, s2
	s_load_b96 s[4:6], s[0:1], 0x6c
	s_cselect_b32 s2, s9, s3
	s_abs_i32 s3, s31
	s_abs_i32 s9, s12
	s_wait_alu 0xfffe
	s_cvt_f32_u32 s14, s3
	s_cvt_f32_u32 s15, s9
	s_xor_b32 s2, s2, s7
	s_sub_co_i32 s17, 0, s9
	v_rcp_iflag_f32_e32 v1, s14
	v_rcp_iflag_f32_e32 v2, s15
	s_ashr_i32 s15, s31, 31
	s_wait_alu 0xfffe
	s_sub_co_i32 s7, s2, s7
	s_xor_b32 s18, s11, s15
	s_sub_co_i32 s15, 0, s3
	s_ashr_i32 s20, s12, 31
	s_ashr_i32 s21, s7, 31
	s_delay_alu instid0(TRANS32_DEP_2) | instskip(NEXT) | instid1(TRANS32_DEP_1)
	v_readfirstlane_b32 s14, v1
	v_readfirstlane_b32 s16, v2
	s_mul_f32 s14, s14, 0x4f7ffffe
	s_wait_alu 0xfffe
	s_delay_alu instid0(SALU_CYCLE_2) | instskip(SKIP_2) | instid1(SALU_CYCLE_1)
	s_cvt_u32_f32 s2, s14
	s_mul_f32 s14, s16, 0x4f7ffffe
	s_wait_alu 0xfffe
	s_mul_i32 s15, s15, s2
	s_delay_alu instid0(SALU_CYCLE_1)
	s_cvt_u32_f32 s16, s14
	s_wait_alu 0xfffe
	s_mul_hi_u32 s15, s2, s15
	s_abs_i32 s14, s7
	s_wait_alu 0xfffe
	s_add_co_i32 s2, s2, s15
	s_mul_i32 s17, s17, s16
	s_wait_alu 0xfffe
	s_mul_hi_u32 s2, s10, s2
	s_mul_hi_u32 s15, s16, s17
	s_wait_alu 0xfffe
	s_mul_i32 s17, s2, s3
	s_add_co_i32 s58, s16, s15
	s_sub_co_i32 s15, s10, s17
	s_add_co_i32 s16, s2, 1
	s_wait_alu 0xfffe
	s_sub_co_i32 s17, s15, s3
	s_cmp_ge_u32 s15, s3
	s_cselect_b32 s2, s16, s2
	s_cselect_b32 s15, s17, s15
	s_wait_alu 0xfffe
	s_add_co_i32 s16, s2, 1
	s_cmp_ge_u32 s15, s3
	s_mov_b32 s15, s59
	s_cselect_b32 s16, s16, s2
	s_abs_i32 s17, s35
	s_abs_i32 s68, s30
	s_cvt_f32_u32 s2, s17
	s_cvt_f32_u32 s3, s68
	s_xor_b32 s16, s16, s18
	s_sub_co_i32 s22, 0, s68
	s_wait_alu 0xfffe
	v_rcp_iflag_f32_e32 v1, s2
	v_rcp_iflag_f32_e32 v2, s3
	s_mul_u64 s[2:3], s[14:15], s[58:59]
	s_ashr_i32 s2, s35, 31
	s_sub_co_i32 s43, s16, s18
	s_wait_alu 0xfffe
	s_xor_b32 s23, s11, s2
	s_abs_i32 s48, s43
	s_delay_alu instid0(TRANS32_DEP_2) | instskip(NEXT) | instid1(TRANS32_DEP_1)
	v_readfirstlane_b32 s19, v1
	v_readfirstlane_b32 s15, v2
	s_mul_f32 s19, s19, 0x4f7ffffe
	s_mul_f32 s11, s15, 0x4f7ffffe
	s_sub_co_i32 s15, 0, s17
	s_delay_alu instid0(SALU_CYCLE_1) | instskip(NEXT) | instid1(SALU_CYCLE_1)
	s_cvt_u32_f32 s2, s19
	s_cvt_u32_f32 s11, s11
	s_wait_alu 0xfffe
	s_delay_alu instid0(SALU_CYCLE_1) | instskip(NEXT) | instid1(SALU_CYCLE_1)
	s_mul_i32 s15, s15, s2
	s_mul_i32 s22, s22, s11
	s_wait_alu 0xfffe
	s_mul_hi_u32 s15, s2, s15
	s_wait_alu 0xfffe
	s_add_co_i32 s2, s2, s15
	s_mul_hi_u32 s15, s11, s22
	s_wait_alu 0xfffe
	s_mul_hi_u32 s2, s10, s2
	s_add_co_i32 s58, s11, s15
	s_wait_alu 0xfffe
	s_mul_i32 s16, s2, s17
	s_add_co_i32 s11, s2, 1
	s_sub_co_i32 s10, s10, s16
	s_delay_alu instid0(SALU_CYCLE_1)
	s_sub_co_i32 s15, s10, s17
	s_cmp_ge_u32 s10, s17
	s_cselect_b32 s2, s11, s2
	s_wait_alu 0xfffe
	s_cselect_b32 s10, s15, s10
	s_add_co_i32 s11, s2, 1
	s_cmp_ge_u32 s10, s17
	s_load_b64 s[16:17], s[0:1], 0x0
	s_cselect_b32 s15, s11, s2
	s_abs_i32 s38, s34
	s_wait_alu 0xfffe
	s_xor_b32 s15, s15, s23
	s_cvt_f32_u32 s2, s38
	s_sub_co_i32 s19, 0, s38
	s_wait_alu 0xfffe
	s_sub_co_i32 s47, s15, s23
	s_add_nc_u64 s[10:11], s[0:1], 0x298
	v_rcp_iflag_f32_e32 v1, s2
	s_abs_i32 s50, s47
	s_delay_alu instid0(TRANS32_DEP_1) | instskip(SKIP_2) | instid1(SALU_CYCLE_2)
	v_readfirstlane_b32 s2, v1
	s_mul_f32 s18, s2, 0x4f7ffffe
	v_cmp_eq_u32_e64 s2, 0, v0
	s_cvt_u32_f32 s18, s18
	s_delay_alu instid0(SALU_CYCLE_3) | instskip(NEXT) | instid1(SALU_CYCLE_1)
	s_mul_i32 s19, s19, s18
	s_mul_hi_u32 s15, s18, s19
	s_mov_b32 s19, s59
	s_wait_alu 0xfffe
	s_add_co_i32 s18, s18, s15
	s_and_saveexec_b32 s15, s2
; %bb.2:
	v_dual_mov_b32 v1, 0 :: v_dual_mov_b32 v2, s36
	s_delay_alu instid0(VALU_DEP_1)
	v_mov_b32_e32 v3, v1
	ds_store_b96 v1, v[1:3] offset:4096
; %bb.3:
	s_wait_alu 0xfffe
	s_or_b32 exec_lo, exec_lo, s15
	s_mul_i32 s15, s3, s9
	s_mul_i32 s13, s7, s13
	s_wait_alu 0xfffe
	s_sub_co_i32 s14, s14, s15
	s_ashr_i32 s71, s43, 31
	s_ashr_i32 s72, s30, 31
	;; [unrolled: 1-line block ×4, first 2 shown]
	s_sub_co_i32 s13, s33, s13
	s_xor_b32 s20, s21, s20
	s_add_co_i32 s15, s3, 1
	s_wait_alu 0xfffe
	s_sub_co_i32 s21, s14, s9
	s_cmp_ge_u32 s14, s9
	s_wait_dscnt 0x0
	s_cselect_b32 s3, s15, s3
	s_cselect_b32 s14, s21, s14
	s_wait_alu 0xfffe
	s_add_co_i32 s15, s3, 1
	s_cmp_ge_u32 s14, s9
	s_barrier_signal -1
	s_barrier_wait -1
	global_inv scope:SCOPE_SE
	s_load_b32 s9, s[10:11], 0xc
	s_cselect_b32 s3, s15, s3
	s_wait_kmcnt 0x0
	s_mul_i32 s13, s13, s6
	s_wait_alu 0xfffe
	s_xor_b32 s3, s3, s20
	s_mul_u64 s[56:57], s[48:49], s[58:59]
	s_wait_alu 0xfffe
	s_sub_co_i32 s3, s3, s20
	s_clause 0x1
	s_load_b96 s[40:42], s[0:1], 0x22c
	s_load_b64 s[52:53], s[0:1], 0x1c0
	s_mul_i32 s12, s3, s12
	s_mul_i32 s3, s3, s4
	s_sub_co_i32 s7, s7, s12
	s_clause 0x1
	s_load_b96 s[44:46], s[0:1], 0x154
	s_load_b64 s[54:55], s[0:1], 0xe8
	s_mul_i32 s5, s7, s5
	s_mul_u64 s[28:29], s[50:51], s[18:19]
	s_add_co_i32 s5, s5, s13
	v_mbcnt_lo_u32_b32 v15, -1, 0
	s_add_co_i32 s0, s5, s3
	v_cmp_gt_u32_e32 vcc_lo, 32, v0
	s_ashr_i32 s1, s0, 31
	v_dual_mov_b32 v7, 0 :: v_dual_lshlrev_b32 v16, 2, v0
	s_and_b32 s49, s9, 0xffff
	s_lshl_b64 s[0:1], s[0:1], 1
	s_lshl_b32 s51, s49, 2
	s_add_nc_u64 s[60:61], s[16:17], s[0:1]
	s_cvt_f32_u32 s3, s51
	v_cmp_gt_i32_e64 s0, 4, v15
	s_add_co_i32 s56, s49, -1
	s_bfe_u32 s1, s9, 0xb0005
	s_wait_alu 0xfffe
	v_rcp_iflag_f32_e32 v1, s3
	s_add_co_i32 s82, s56, s36
	s_and_b32 s74, vcc_lo, s0
	s_cmp_gt_i32 s36, 0x600
	v_mul_lo_u32 v5, s39, v0
	s_cselect_b32 s75, -1, 0
	s_cmp_gt_u32 s49, 31
	v_dual_mov_b32 v6, v7 :: v_dual_lshlrev_b32 v17, 1, v0
	s_cselect_b32 s76, -1, 0
	s_cmp_lt_u32 ttmp9, s8
	v_readfirstlane_b32 s4, v1
	s_cselect_b32 s58, 12, 18
	s_add_co_i32 s3, s1, -1
	s_bfe_u32 s77, s49, 0x30005
	s_wait_alu 0xfffe
	s_and_b32 s3, s3, 0xffff
	v_lshlrev_b64_e32 v[1:2], 1, v[5:6]
	s_wait_alu 0xfffe
	s_cmp_gt_u32 s3, 6
	s_mul_f32 s3, s4, 0x4f7ffffe
	s_cselect_b32 s78, -1, 0
	s_and_b32 s79, s1, 0x7f8
	s_cmp_lg_u32 s77, 0
	s_wait_alu 0xfffe
	s_cvt_u32_f32 s3, s3
	s_cselect_b32 s80, -1, 0
	s_sub_co_i32 s4, 0, s51
	v_add_co_u32 v8, vcc_lo, s60, v1
	s_wait_alu 0xfffe
	s_mul_i32 s4, s4, s3
	v_add_co_ci_u32_e64 v9, null, s61, v2, vcc_lo
	s_mul_hi_u32 s4, s3, s4
	v_lshlrev_b64_e64 v[1:2], v15, -1
	s_add_co_i32 s62, s3, s4
	s_cvt_f32_u32 s3, s49
	s_mul_hi_u32 s4, s36, s62
	v_lshrrev_b32_e32 v2, 1, v0
	s_mul_i32 s4, s4, s51
	s_wait_alu 0xfffe
	v_rcp_iflag_f32_e32 v3, s3
	s_sub_co_i32 s4, s36, s4
	v_not_b32_e32 v20, v1
	s_sub_co_i32 s5, s4, s51
	s_cmp_ge_u32 s4, s51
	v_mov_b32_e32 v32, 0
	s_cselect_b32 s4, s5, s4
	s_mov_b32 s12, s39
	s_sub_co_i32 s6, s4, s51
	s_cmp_ge_u32 s4, s51
	v_readfirstlane_b32 s5, v3
	s_cselect_b32 s9, s6, s4
	s_sub_co_i32 s6, 0, s49
	s_sub_co_i32 s81, s36, s9
	s_abs_i32 s7, s82
	s_mul_f32 s5, s5, 0x4f7ffffe
	v_add_nc_u32_e32 v19, s81, v0
	v_or_b32_e32 v3, 3, v16
	v_mad_co_u64_u32 v[12:13], null, s39, v16, s[12:13]
	s_cvt_u32_f32 s5, s5
	v_mul_lo_u32 v1, v19, s39
	v_mul_lo_u32 v24, s39, v3
	v_cmp_eq_u32_e64 s0, 0, v15
	s_mul_i32 s6, s6, s5
	v_cmp_gt_u32_e64 s1, 2, v0
	s_mul_hi_u32 s6, s5, s6
	v_dual_mov_b32 v33, s37 :: v_dual_add_nc_u32 v18, 0xc00, v17
	s_add_co_i32 s64, s5, s6
	s_movk_i32 s5, 0x1f0
	s_mul_hi_u32 s6, s7, s64
	v_and_or_b32 v21, v2, s5, 0xc00
	v_ashrrev_i32_e32 v2, 31, v1
	s_mul_i32 s6, s6, s49
	v_cmp_gt_u32_e64 s3, s36, v0
	s_sub_co_i32 s5, s7, s6
	s_ashr_i32 s7, s82, 31
	v_lshlrev_b64_e32 v[1:2], 1, v[1:2]
	s_wait_alu 0xfffe
	s_sub_co_i32 s6, s5, s49
	s_cmp_ge_u32 s5, s49
	v_cmp_gt_i32_e64 s4, s36, v0
	s_cselect_b32 s6, s6, s5
	v_cmp_gt_i32_e64 s5, s81, v16
	v_add_co_u32 v10, vcc_lo, s60, v1
	v_add3_u32 v1, s49, s36, v0
	s_sub_co_i32 s8, s6, s49
	s_cmp_ge_u32 s6, s49
	s_wait_alu 0xfffd
	v_add_co_ci_u32_e64 v11, null, s61, v2, vcc_lo
	s_cselect_b32 s8, s8, s6
	v_or_b32_e32 v2, 2, v16
	v_subrev_nc_u32_e32 v1, s9, v1
	s_xor_b32 s8, s8, s7
	v_cmp_gt_u32_e64 s6, s36, v19
	s_wait_alu 0xfffe
	s_sub_co_i32 s8, s7, s8
	v_mul_lo_u32 v23, s39, v2
	v_mul_lo_u32 v26, s39, v1
	s_wait_alu 0xfffe
	s_add_co_i32 s82, s82, s8
	v_cmp_gt_i32_e64 s7, s36, v19
	v_cmp_gt_i32_e64 s8, s82, v0
	v_dual_mov_b32 v30, 0 :: v_dual_lshlrev_b32 v25, 2, v5
	v_dual_mov_b32 v22, 0 :: v_dual_lshlrev_b32 v27, 3, v0
	v_lshl_or_b32 v28, v15, 2, 0xc00
	v_mov_b32_e32 v29, 0x8000
	v_mov_b32_e32 v31, 0
	s_mul_i32 s73, s39, s49
	s_mov_b32 s63, s59
	s_mov_b32 s65, s59
	s_lshl_b32 s83, s73, 2
	s_lshl_b32 s84, s49, 3
	;; [unrolled: 1-line block ×3, first 2 shown]
	s_mov_b32 s93, 14
	s_add_nc_u64 s[66:67], s[10:11], s[58:59]
	s_movk_i32 s86, 0x3f80
	s_mov_b32 s37, s59
                                        ; implicit-def: $sgpr90
                                        ; implicit-def: $sgpr92
                                        ; implicit-def: $sgpr87
                                        ; implicit-def: $sgpr89
                                        ; implicit-def: $sgpr91
                                        ; implicit-def: $sgpr88
	s_branch .LBB66_7
.LBB66_4:                               ;   in Loop: Header=BB66_7 Depth=1
	s_wait_alu 0xfffe
	s_or_b32 exec_lo, exec_lo, s13
	s_delay_alu instid0(SALU_CYCLE_1)
	s_and_b32 s10, s10, exec_lo
	s_and_not1_b32 s15, s15, exec_lo
	s_and_not1_b32 s14, s14, exec_lo
	s_or_not1_b32 s12, s12, exec_lo
.LBB66_5:                               ;   in Loop: Header=BB66_7 Depth=1
	s_wait_alu 0xfffe
	s_or_b32 exec_lo, exec_lo, s9
	s_delay_alu instid0(SALU_CYCLE_1)
	s_and_not1_b32 s9, s88, exec_lo
	s_and_b32 s10, s10, exec_lo
	s_and_not1_b32 s13, s89, exec_lo
	s_wait_alu 0xfffe
	s_or_b32 s88, s9, s10
	s_and_not1_b32 s9, s91, exec_lo
	s_and_b32 s10, s15, exec_lo
	s_and_b32 s14, s14, exec_lo
	s_wait_alu 0xfffe
	s_or_b32 s91, s9, s10
	s_or_b32 s89, s13, s14
	s_or_not1_b32 s13, s12, exec_lo
.LBB66_6:                               ;   in Loop: Header=BB66_7 Depth=1
	s_wait_alu 0xfffe
	s_or_b32 exec_lo, exec_lo, s11
	s_delay_alu instid0(SALU_CYCLE_1)
	s_and_b32 s9, exec_lo, s13
	v_mov_b32_e32 v33, v4
	s_wait_alu 0xfffe
	s_or_b32 s37, s9, s37
	s_and_not1_b32 s9, s87, exec_lo
	s_and_b32 s10, s88, exec_lo
	s_and_not1_b32 s11, s92, exec_lo
	s_wait_alu 0xfffe
	s_or_b32 s87, s9, s10
	s_and_b32 s9, s91, exec_lo
	s_and_not1_b32 s10, s90, exec_lo
	s_and_b32 s12, s89, exec_lo
	s_wait_alu 0xfffe
	s_or_b32 s92, s11, s9
	s_or_b32 s90, s10, s12
	s_mov_b32 s93, s21
	s_and_not1_b32 exec_lo, exec_lo, s37
	s_cbranch_execz .LBB66_229
.LBB66_7:                               ; =>This Loop Header: Depth=1
                                        ;     Child Loop BB66_12 Depth 2
                                        ;     Child Loop BB66_27 Depth 2
	;; [unrolled: 1-line block ×16, first 2 shown]
	ds_load_b64 v[1:2], v7 offset:4096
	s_wait_dscnt 0x0
	v_readfirstlane_b32 s58, v1
	s_cmp_gt_i32 s58, 0
	s_cbranch_scc1 .LBB66_34
; %bb.8:                                ;   in Loop: Header=BB66_7 Depth=1
	s_and_b32 vcc_lo, exec_lo, s75
	s_wait_alu 0xfffe
	s_cbranch_vccz .LBB66_20
; %bb.9:                                ;   in Loop: Header=BB66_7 Depth=1
	v_cmp_gt_i32_e32 vcc_lo, 0x601, v2
	s_mov_b32 s10, 0
	s_mov_b32 s9, 0
	s_cbranch_vccz .LBB66_21
; %bb.10:                               ;   in Loop: Header=BB66_7 Depth=1
	global_load_u16 v2, v[8:9], off
	s_load_u16 s11, s[66:67], 0x0
	s_mov_b32 s12, 0
	s_wait_kmcnt 0x0
	v_add_nc_u32_e32 v1, s11, v0
	s_mul_i32 s13, s39, s11
	s_delay_alu instid0(VALU_DEP_1)
	v_mul_lo_u32 v6, s39, v1
	v_mov_b32_e32 v1, v0
	s_branch .LBB66_12
.LBB66_11:                              ;   in Loop: Header=BB66_12 Depth=2
	s_wait_alu 0xfffe
	s_or_b32 exec_lo, exec_lo, s9
	v_cmp_le_i32_e32 vcc_lo, s36, v1
	v_add_nc_u32_e32 v6, s13, v6
	v_mov_b32_e32 v2, v3
	s_or_b32 s12, vcc_lo, s12
	s_wait_alu 0xfffe
	s_and_not1_b32 exec_lo, exec_lo, s12
	s_cbranch_execz .LBB66_66
.LBB66_12:                              ;   Parent Loop BB66_7 Depth=1
                                        ; =>  This Inner Loop Header: Depth=2
	s_wait_dscnt 0x0
	s_delay_alu instid0(VALU_DEP_1) | instskip(SKIP_2) | instid1(VALU_DEP_2)
	v_dual_mov_b32 v4, 0 :: v_dual_add_nc_u32 v1, s11, v1
	v_mov_b32_e32 v3, 0
	s_mov_b32 s9, exec_lo
	v_cmpx_gt_u32_e64 s36, v1
	s_cbranch_execz .LBB66_14
; %bb.13:                               ;   in Loop: Header=BB66_12 Depth=2
	v_lshlrev_b64_e32 v[13:14], 1, v[6:7]
	s_delay_alu instid0(VALU_DEP_1) | instskip(SKIP_1) | instid1(VALU_DEP_2)
	v_add_co_u32 v13, vcc_lo, s60, v13
	s_wait_alu 0xfffd
	v_add_co_ci_u32_e64 v14, null, s61, v14, vcc_lo
	global_load_u16 v3, v[13:14], off
.LBB66_14:                              ;   in Loop: Header=BB66_12 Depth=2
	s_wait_alu 0xfffe
	s_or_b32 exec_lo, exec_lo, s9
	s_wait_loadcnt 0x0
	v_cmp_lt_i16_e32 vcc_lo, -1, v2
	s_wait_alu 0xfffd
	v_dual_cndmask_b32 v14, 0xffff, v29 :: v_dual_and_b32 v13, 0xffff, v2
	s_delay_alu instid0(VALU_DEP_1) | instskip(SKIP_1) | instid1(VALU_DEP_1)
	v_xor_b32_e32 v13, v14, v13
	v_lshlrev_b32_e32 v34, 16, v2
	v_cmp_o_f32_e32 vcc_lo, v34, v34
	s_wait_alu 0xfffd
	s_delay_alu instid0(VALU_DEP_3) | instskip(NEXT) | instid1(VALU_DEP_1)
	v_cndmask_b32_e32 v13, 0xffff, v13, vcc_lo
	v_and_b32_e32 v13, v13, v31
	s_delay_alu instid0(VALU_DEP_1)
	v_cmp_eq_u32_e32 vcc_lo, v13, v22
	s_cmp_lg_u32 vcc_lo, 0
	s_cselect_b32 s9, -1, 0
	s_wait_alu 0xfffe
	s_and_b32 s9, s0, s9
	s_wait_alu 0xfffe
	s_and_saveexec_b32 s14, s9
	s_cbranch_execz .LBB66_18
; %bb.15:                               ;   in Loop: Header=BB66_12 Depth=2
	s_mov_b32 s17, exec_lo
	s_bcnt1_i32_b32 s15, vcc_lo
	s_wait_alu 0xfffe
	v_mbcnt_lo_u32_b32 v4, s17, 0
	s_mov_b32 s16, exec_lo
                                        ; implicit-def: $vgpr13
	s_delay_alu instid0(VALU_DEP_1)
	v_cmpx_eq_u32_e32 0, v4
; %bb.16:                               ;   in Loop: Header=BB66_12 Depth=2
	s_bcnt1_i32_b32 s9, s17
	s_wait_alu 0xfffe
	s_mul_i32 s9, s15, s9
	s_wait_alu 0xfffe
	v_mov_b32_e32 v13, s9
	ds_add_rtn_u32 v13, v7, v13 offset:4104
; %bb.17:                               ;   in Loop: Header=BB66_12 Depth=2
	s_or_b32 exec_lo, exec_lo, s16
	s_wait_dscnt 0x0
	v_readfirstlane_b32 s9, v13
	s_wait_alu 0xf1ff
	s_delay_alu instid0(VALU_DEP_1)
	v_mad_u32_u24 v4, s15, v4, s9
.LBB66_18:                              ;   in Loop: Header=BB66_12 Depth=2
	s_wait_alu 0xfffe
	s_or_b32 exec_lo, exec_lo, s14
	ds_bpermute_b32 v4, v7, v4
	s_and_saveexec_b32 s9, vcc_lo
	s_cbranch_execz .LBB66_11
; %bb.19:                               ;   in Loop: Header=BB66_12 Depth=2
	v_and_b32_e32 v13, vcc_lo, v20
	s_delay_alu instid0(VALU_DEP_1) | instskip(NEXT) | instid1(VALU_DEP_1)
	v_bcnt_u32_b32 v13, v13, 0
	v_lshlrev_b32_e32 v13, 1, v13
	s_wait_dscnt 0x0
	s_delay_alu instid0(VALU_DEP_1)
	v_lshl_add_u32 v4, v4, 1, v13
	ds_store_b16 v4, v2
	s_branch .LBB66_11
.LBB66_20:                              ;   in Loop: Header=BB66_7 Depth=1
	s_mov_b32 s10, -1
	s_mov_b32 s9, 0
.LBB66_21:                              ;   in Loop: Header=BB66_7 Depth=1
	s_wait_alu 0xfffe
	s_and_b32 vcc_lo, exec_lo, s10
	s_wait_alu 0xfffe
	s_cbranch_vccz .LBB66_32
.LBB66_22:                              ;   in Loop: Header=BB66_7 Depth=1
	v_mov_b32_e32 v1, 0
	s_and_saveexec_b32 s9, s3
	s_cbranch_execz .LBB66_24
; %bb.23:                               ;   in Loop: Header=BB66_7 Depth=1
	global_load_u16 v1, v[8:9], off
.LBB66_24:                              ;   in Loop: Header=BB66_7 Depth=1
	s_wait_alu 0xfffe
	s_or_b32 exec_lo, exec_lo, s9
	s_and_saveexec_b32 s9, s4
	s_cbranch_execz .LBB66_29
; %bb.25:                               ;   in Loop: Header=BB66_7 Depth=1
	s_load_u16 s10, s[66:67], 0x0
	s_mov_b32 s13, 0
	s_wait_kmcnt 0x0
	v_dual_mov_b32 v3, v0 :: v_dual_add_nc_u32 v2, s10, v0
	s_lshl_b32 s11, s10, 1
	s_mul_i32 s12, s39, s10
	s_delay_alu instid0(VALU_DEP_1)
	v_mul_lo_u32 v6, s39, v2
	v_mov_b32_e32 v2, v17
	s_branch .LBB66_27
.LBB66_26:                              ;   in Loop: Header=BB66_27 Depth=2
	s_wait_alu 0xfffe
	s_or_b32 exec_lo, exec_lo, s14
	v_cmp_le_i32_e32 vcc_lo, s36, v3
	s_wait_loadcnt 0x0
	ds_store_b16 v2, v1
	v_dual_mov_b32 v1, v4 :: v_dual_add_nc_u32 v2, s11, v2
	v_add_nc_u32_e32 v6, s12, v6
	s_or_b32 s13, vcc_lo, s13
	s_wait_alu 0xfffe
	s_and_not1_b32 exec_lo, exec_lo, s13
	s_cbranch_execz .LBB66_29
.LBB66_27:                              ;   Parent Loop BB66_7 Depth=1
                                        ; =>  This Inner Loop Header: Depth=2
	v_dual_mov_b32 v4, 0 :: v_dual_add_nc_u32 v3, s10, v3
	s_mov_b32 s14, exec_lo
	s_delay_alu instid0(VALU_DEP_1)
	v_cmpx_gt_u32_e64 s36, v3
	s_cbranch_execz .LBB66_26
; %bb.28:                               ;   in Loop: Header=BB66_27 Depth=2
	s_delay_alu instid0(VALU_DEP_4) | instskip(NEXT) | instid1(VALU_DEP_1)
	v_lshlrev_b64_e32 v[13:14], 1, v[6:7]
	v_add_co_u32 v13, vcc_lo, s60, v13
	s_wait_alu 0xfffd
	s_delay_alu instid0(VALU_DEP_2)
	v_add_co_ci_u32_e64 v14, null, s61, v14, vcc_lo
	global_load_u16 v4, v[13:14], off
	s_branch .LBB66_26
.LBB66_29:                              ;   in Loop: Header=BB66_7 Depth=1
	s_wait_alu 0xfffe
	s_or_b32 exec_lo, exec_lo, s9
	s_wait_loadcnt_dscnt 0x0
	s_barrier_signal -1
	s_barrier_wait -1
	global_inv scope:SCOPE_SE
	s_and_saveexec_b32 s9, s2
; %bb.30:                               ;   in Loop: Header=BB66_7 Depth=1
	v_mov_b32_e32 v1, s36
	ds_store_b32 v7, v1 offset:4096
; %bb.31:                               ;   in Loop: Header=BB66_7 Depth=1
	s_wait_alu 0xfffe
	s_or_b32 exec_lo, exec_lo, s9
	s_mov_b32 s9, -1
	s_wait_loadcnt_dscnt 0x0
	s_barrier_signal -1
	s_barrier_wait -1
.LBB66_32:                              ;   in Loop: Header=BB66_7 Depth=1
	s_wait_alu 0xfffe
	s_and_b32 vcc_lo, exec_lo, s9
	s_wait_alu 0xfffe
	s_cbranch_vccz .LBB66_34
; %bb.33:                               ;   in Loop: Header=BB66_7 Depth=1
	s_wait_loadcnt 0x0
	global_inv scope:SCOPE_SE
	ds_load_b32 v1, v7 offset:4096
	s_wait_dscnt 0x0
	v_readfirstlane_b32 s58, v1
.LBB66_34:                              ;   in Loop: Header=BB66_7 Depth=1
	s_delay_alu instid0(VALU_DEP_1)
	s_cmp_lt_i32 s58, 1
	s_mov_b32 s9, -1
                                        ; implicit-def: $vgpr1
	s_cbranch_scc1 .LBB66_44
; %bb.35:                               ;   in Loop: Header=BB66_7 Depth=1
	s_wait_alu 0xfffe
	s_and_b32 vcc_lo, exec_lo, s9
	s_wait_alu 0xfffe
	s_cbranch_vccnz .LBB66_57
.LBB66_36:                              ;   in Loop: Header=BB66_7 Depth=1
	v_lshlrev_b32_e32 v6, 7, v30
	s_and_saveexec_b32 s9, s0
.LBB66_37:                              ;   in Loop: Header=BB66_7 Depth=1
	s_delay_alu instid0(VALU_DEP_1)
	v_lshl_add_u32 v13, v6, 2, v21
	ds_store_b128 v13, v[1:4]
.LBB66_38:                              ;   in Loop: Header=BB66_7 Depth=1
	s_wait_alu 0xfffe
	s_or_b32 exec_lo, exec_lo, s9
	s_wait_loadcnt_dscnt 0x0
	s_barrier_signal -1
	s_barrier_wait -1
	global_inv scope:SCOPE_SE
	s_and_saveexec_b32 s9, s74
	s_cbranch_execz .LBB66_73
; %bb.39:                               ;   in Loop: Header=BB66_7 Depth=1
	v_mov_b32_e32 v1, 0
	s_and_not1_b32 vcc_lo, exec_lo, s76
	s_wait_alu 0xfffe
	s_cbranch_vccnz .LBB66_72
; %bb.40:                               ;   in Loop: Header=BB66_7 Depth=1
	s_and_not1_b32 vcc_lo, exec_lo, s78
	s_wait_alu 0xfffe
	s_cbranch_vccnz .LBB66_69
; %bb.41:                               ;   in Loop: Header=BB66_7 Depth=1
	v_lshl_add_u32 v2, v30, 9, v28
	v_mov_b32_e32 v1, 0
	s_mov_b32 s10, 0
.LBB66_42:                              ;   Parent Loop BB66_7 Depth=1
                                        ; =>  This Inner Loop Header: Depth=2
	ds_load_2addr_b32 v[3:4], v2 offset1:4
	ds_load_2addr_b32 v[13:14], v2 offset0:8 offset1:12
	ds_load_2addr_b32 v[34:35], v2 offset0:16 offset1:20
	;; [unrolled: 1-line block ×3, first 2 shown]
	v_add_nc_u32_e32 v2, 0x80, v2
	s_wait_alu 0xfffe
	s_add_co_i32 s10, s10, 8
	s_wait_alu 0xfffe
	s_cmp_eq_u32 s79, s10
	s_wait_dscnt 0x3
	v_add3_u32 v1, v3, v1, v4
	s_wait_dscnt 0x2
	s_delay_alu instid0(VALU_DEP_1) | instskip(SKIP_1) | instid1(VALU_DEP_1)
	v_add3_u32 v1, v13, v1, v14
	s_wait_dscnt 0x1
	v_add3_u32 v1, v34, v1, v35
	s_wait_dscnt 0x0
	s_delay_alu instid0(VALU_DEP_1)
	v_add3_u32 v1, v36, v1, v37
	s_cbranch_scc0 .LBB66_42
; %bb.43:                               ;   in Loop: Header=BB66_7 Depth=1
	s_mov_b32 s10, s79
	s_and_not1_b32 vcc_lo, exec_lo, s80
	s_wait_alu 0xfffe
	s_cbranch_vccz .LBB66_70
	s_branch .LBB66_72
.LBB66_44:                              ;   in Loop: Header=BB66_7 Depth=1
	v_dual_mov_b32 v1, 0 :: v_dual_mov_b32 v2, 0
	v_dual_mov_b32 v3, 0 :: v_dual_mov_b32 v4, 0
	s_and_saveexec_b32 s94, s5
	s_cbranch_execnz .LBB66_47
; %bb.45:                               ;   in Loop: Header=BB66_7 Depth=1
	s_wait_alu 0xfffe
	s_or_b32 exec_lo, exec_lo, s94
	v_mov_b32_e32 v34, 0
	s_and_saveexec_b32 s9, s6
	s_cbranch_execnz .LBB66_50
.LBB66_46:                              ;   in Loop: Header=BB66_7 Depth=1
	s_wait_alu 0xfffe
	s_or_b32 exec_lo, exec_lo, s9
	s_and_saveexec_b32 s13, s7
	s_cbranch_execnz .LBB66_51
	s_branch .LBB66_56
.LBB66_47:                              ;   in Loop: Header=BB66_7 Depth=1
	v_mov_b32_e32 v6, v16
	s_mov_b32 s95, 0
	s_mov_b32 s96, 0
	;; [unrolled: 1-line block ×6, first 2 shown]
.LBB66_48:                              ;   Parent Loop BB66_7 Depth=1
                                        ; =>  This Inner Loop Header: Depth=2
	s_wait_alu 0xfffe
	v_add_nc_u32_e32 v1, s96, v25
	v_add_nc_u32_e32 v3, s96, v12
	;; [unrolled: 1-line block ×4, first 2 shown]
	s_add_co_i32 s96, s96, s83
	v_ashrrev_i32_e32 v2, 31, v1
	v_ashrrev_i32_e32 v4, 31, v3
	;; [unrolled: 1-line block ×4, first 2 shown]
	s_delay_alu instid0(VALU_DEP_4) | instskip(NEXT) | instid1(VALU_DEP_4)
	v_lshlrev_b64_e32 v[1:2], 1, v[1:2]
	v_lshlrev_b64_e32 v[3:4], 1, v[3:4]
	s_delay_alu instid0(VALU_DEP_4) | instskip(NEXT) | instid1(VALU_DEP_4)
	v_lshlrev_b64_e32 v[13:14], 1, v[13:14]
	v_lshlrev_b64_e32 v[34:35], 1, v[34:35]
	s_delay_alu instid0(VALU_DEP_4)
	v_add_co_u32 v1, vcc_lo, s60, v1
	s_wait_alu 0xfffd
	v_add_co_ci_u32_e64 v2, null, s61, v2, vcc_lo
	v_add_co_u32 v3, vcc_lo, s60, v3
	s_wait_alu 0xfffd
	v_add_co_ci_u32_e64 v4, null, s61, v4, vcc_lo
	;; [unrolled: 3-line block ×4, first 2 shown]
	s_clause 0x3
	global_load_u16 v1, v[1:2], off
	global_load_u16 v2, v[3:4], off
	;; [unrolled: 1-line block ×4, first 2 shown]
	s_wait_loadcnt 0x3
	v_cmp_lt_i16_e64 s9, -1, v1
	v_and_b32_e32 v13, 0xffff, v1
	v_lshlrev_b32_e32 v1, 16, v1
	s_wait_loadcnt 0x2
	v_and_b32_e32 v34, 0xffff, v2
	s_wait_loadcnt 0x1
	v_and_b32_e32 v36, 0xffff, v3
	s_wait_alu 0xf1ff
	v_cndmask_b32_e64 v14, 0xffff, v29, s9
	v_cmp_lt_i16_e64 s9, -1, v2
	v_lshlrev_b32_e32 v2, 16, v2
	v_cmp_o_f32_e64 s12, v1, v1
	s_wait_loadcnt 0x0
	v_and_b32_e32 v38, 0xffff, v4
	v_xor_b32_e32 v13, v14, v13
	s_wait_alu 0xf1ff
	v_cndmask_b32_e64 v35, 0xffff, v29, s9
	v_cmp_lt_i16_e64 s9, -1, v3
	v_lshlrev_b32_e32 v3, 16, v3
	v_cndmask_b32_e64 v1, 0xffff, v13, s12
	s_delay_alu instid0(VALU_DEP_4)
	v_xor_b32_e32 v14, v35, v34
	s_wait_alu 0xf1ff
	v_cndmask_b32_e64 v37, 0xffff, v29, s9
	v_cmp_lt_i16_e64 s9, -1, v4
	v_lshlrev_b32_e32 v4, 16, v4
	v_cmp_o_f32_e64 s10, v3, v3
	v_and_b32_e32 v13, v1, v31
	v_bfe_u32 v1, v1, s93, 2
	s_wait_alu 0xf1ff
	v_cndmask_b32_e64 v39, 0xffff, v29, s9
	v_cmp_o_f32_e64 s9, v2, v2
	v_xor_b32_e32 v2, v37, v36
	v_cmp_o_f32_e64 s11, v4, v4
	v_cmp_eq_u32_e64 s13, 0, v1
	v_xor_b32_e32 v3, v39, v38
	s_wait_alu 0xf1ff
	v_cndmask_b32_e64 v4, 0xffff, v14, s9
	v_cndmask_b32_e64 v2, 0xffff, v2, s10
	v_cmp_eq_u32_e64 s9, v13, v22
	v_cmp_eq_u32_e64 s17, 1, v1
	v_cndmask_b32_e64 v3, 0xffff, v3, s11
	v_and_b32_e32 v14, v4, v31
	v_bfe_u32 v4, v4, s93, 2
	v_and_b32_e32 v34, v2, v31
	v_bfe_u32 v2, v2, s93, 2
	;; [unrolled: 2-line block ×3, first 2 shown]
	v_cmp_eq_u32_e64 s10, v14, v22
	v_cmp_eq_u32_e64 s14, 0, v4
	;; [unrolled: 1-line block ×4, first 2 shown]
	s_and_b32 s13, s9, s13
	v_cmp_eq_u32_e64 s12, v35, v22
	v_cmp_eq_u32_e64 s16, 0, v3
	;; [unrolled: 1-line block ×4, first 2 shown]
	s_wait_alu 0xfffe
	v_cndmask_b32_e64 v1, 0, 1, s13
	s_and_b32 s13, s10, s14
	v_cmp_eq_u32_e64 s19, 1, v2
	v_cmp_eq_u32_e64 s23, 2, v2
	;; [unrolled: 1-line block ×3, first 2 shown]
	s_wait_alu 0xfffe
	v_cndmask_b32_e64 v2, 0, 1, s13
	s_and_b32 s13, s11, s15
	v_cmp_eq_u32_e64 s18, 1, v4
	v_cmp_eq_u32_e64 s20, 1, v3
	;; [unrolled: 1-line block ×4, first 2 shown]
	s_wait_alu 0xfffe
	v_cndmask_b32_e64 v3, 0, 1, s13
	s_and_b32 s13, s12, s16
	v_cmp_eq_u32_e64 s22, 2, v4
	v_cmp_eq_u32_e64 s26, 3, v4
	s_wait_alu 0xfffe
	v_cndmask_b32_e64 v4, 0, 1, s13
	s_and_b32 s13, s9, s17
	s_wait_alu 0xfffe
	v_cndmask_b32_e64 v13, 0, 1, s13
	s_and_b32 s13, s10, s18
	;; [unrolled: 3-line block ×4, first 2 shown]
	v_cmp_ne_u32_e64 s14, 0, v14
	s_wait_alu 0xfffe
	v_cndmask_b32_e64 v35, 0, 1, s13
	s_and_b32 s13, s9, s21
	s_and_b32 s9, s9, s25
	s_wait_alu 0xfffe
	v_cndmask_b32_e64 v36, 0, 1, s13
	s_and_b32 s13, s10, s22
	v_cndmask_b32_e64 v40, 0, 1, s9
	s_and_b32 s9, s10, s26
	s_wait_alu 0xfffe
	v_cndmask_b32_e64 v37, 0, 1, s13
	s_and_b32 s13, s11, s23
	v_cndmask_b32_e64 v41, 0, 1, s9
	;; [unrolled: 5-line block ×3, first 2 shown]
	s_and_b32 s9, s12, s28
	s_wait_alu 0xfffe
	v_cndmask_b32_e64 v39, 0, 1, s13
	v_cndmask_b32_e64 v43, 0, 1, s9
	v_cmp_ne_u32_e64 s9, 0, v1
	v_cmp_ne_u32_e64 s13, 0, v13
	;; [unrolled: 1-line block ×8, first 2 shown]
	s_bcnt1_i32_b32 s9, s9
	s_bcnt1_i32_b32 s13, s13
	;; [unrolled: 1-line block ×3, first 2 shown]
	v_cmp_ne_u32_e64 s20, 0, v39
	v_cmp_ne_u32_e64 s22, 0, v41
	s_bcnt1_i32_b32 s10, s10
	s_bcnt1_i32_b32 s14, s14
	;; [unrolled: 1-line block ×3, first 2 shown]
	s_wait_alu 0xfffe
	s_add_co_i32 s9, s9, s100
	s_add_co_i32 s13, s13, s99
	;; [unrolled: 1-line block ×3, first 2 shown]
	v_cmp_ne_u32_e64 s15, 0, v34
	v_cmp_ne_u32_e64 s23, 0, v42
	s_bcnt1_i32_b32 s11, s11
	s_bcnt1_i32_b32 s19, s19
	s_wait_alu 0xfffe
	s_add_co_i32 s9, s9, s10
	s_add_co_i32 s10, s13, s14
	;; [unrolled: 1-line block ×3, first 2 shown]
	s_bcnt1_i32_b32 s21, s21
	v_cmp_ne_u32_e64 s12, 0, v4
	v_cmp_ne_u32_e64 s16, 0, v35
	;; [unrolled: 1-line block ×3, first 2 shown]
	s_bcnt1_i32_b32 s20, s20
	s_wait_alu 0xfffe
	s_add_co_i32 s9, s9, s11
	s_add_co_i32 s11, s13, s19
	s_bcnt1_i32_b32 s22, s22
	s_add_co_i32 s21, s21, s97
	s_wait_alu 0xfffe
	s_add_co_i32 s98, s11, s20
	s_wait_alu 0xfffe
	v_dual_mov_b32 v3, s98 :: v_dual_add_nc_u32 v6, s51, v6
	s_bcnt1_i32_b32 s15, s15
	s_bcnt1_i32_b32 s23, s23
	s_add_co_i32 s14, s21, s22
	s_bcnt1_i32_b32 s12, s12
	s_bcnt1_i32_b32 s16, s16
	;; [unrolled: 1-line block ×3, first 2 shown]
	s_wait_alu 0xfffe
	s_add_co_i32 s10, s10, s15
	s_add_co_i32 s13, s14, s23
	v_cmp_le_i32_e32 vcc_lo, s81, v6
	s_add_co_i32 s100, s9, s12
	s_wait_alu 0xfffe
	s_add_co_i32 s99, s10, s16
	s_add_co_i32 s97, s13, s24
	s_wait_alu 0xfffe
	v_dual_mov_b32 v1, s100 :: v_dual_mov_b32 v2, s99
	v_mov_b32_e32 v4, s97
	s_or_b32 s95, vcc_lo, s95
	s_wait_alu 0xfffe
	s_and_not1_b32 exec_lo, exec_lo, s95
	s_cbranch_execnz .LBB66_48
; %bb.49:                               ;   in Loop: Header=BB66_7 Depth=1
	s_or_b32 exec_lo, exec_lo, s95
	s_delay_alu instid0(SALU_CYCLE_1)
	s_or_b32 exec_lo, exec_lo, s94
	v_mov_b32_e32 v34, 0
	s_and_saveexec_b32 s9, s6
	s_cbranch_execz .LBB66_46
.LBB66_50:                              ;   in Loop: Header=BB66_7 Depth=1
	global_load_u16 v34, v[10:11], off
	s_wait_alu 0xfffe
	s_or_b32 exec_lo, exec_lo, s9
	s_and_saveexec_b32 s13, s7
	s_cbranch_execz .LBB66_56
.LBB66_51:                              ;   in Loop: Header=BB66_7 Depth=1
	v_dual_mov_b32 v13, v26 :: v_dual_mov_b32 v6, v19
	s_mov_b32 s14, 0
	s_branch .LBB66_53
.LBB66_52:                              ;   in Loop: Header=BB66_53 Depth=2
	s_wait_alu 0xfffe
	s_or_b32 exec_lo, exec_lo, s9
	s_wait_loadcnt 0x0
	v_cmp_lt_i16_e32 vcc_lo, -1, v34
	v_and_b32_e32 v35, 0xffff, v34
	v_lshlrev_b32_e32 v34, 16, v34
	v_add_nc_u32_e32 v13, s73, v13
	s_wait_alu 0xfffd
	v_cndmask_b32_e32 v36, 0xffff, v29, vcc_lo
	s_delay_alu instid0(VALU_DEP_3) | instskip(NEXT) | instid1(VALU_DEP_2)
	v_cmp_o_f32_e32 vcc_lo, v34, v34
	v_xor_b32_e32 v35, v36, v35
	s_wait_alu 0xfffd
	s_delay_alu instid0(VALU_DEP_1) | instskip(NEXT) | instid1(VALU_DEP_1)
	v_cndmask_b32_e32 v34, 0xffff, v35, vcc_lo
	v_and_b32_e32 v35, v34, v31
	v_bfe_u32 v34, v34, s93, 2
	s_delay_alu instid0(VALU_DEP_2) | instskip(NEXT) | instid1(VALU_DEP_2)
	v_cmp_eq_u32_e32 vcc_lo, v35, v22
	v_cmp_eq_u32_e64 s9, 0, v34
	v_cmp_eq_u32_e64 s10, 1, v34
	;; [unrolled: 1-line block ×4, first 2 shown]
	s_and_b32 s9, vcc_lo, s9
	s_wait_alu 0xfffe
	v_cndmask_b32_e64 v34, 0, 1, s9
	s_and_b32 s9, vcc_lo, s10
	s_wait_alu 0xfffe
	v_cndmask_b32_e64 v35, 0, 1, s9
	;; [unrolled: 3-line block ×3, first 2 shown]
	s_and_b32 s9, vcc_lo, s12
	v_cmp_ne_u32_e32 vcc_lo, 0, v34
	s_wait_alu 0xfffe
	v_cndmask_b32_e64 v37, 0, 1, s9
	v_cmp_ne_u32_e64 s9, 0, v35
	v_cmp_ne_u32_e64 s10, 0, v36
	v_cmp_le_i32_e64 s12, s36, v6
	s_bcnt1_i32_b32 s15, vcc_lo
	v_cmp_ne_u32_e64 s11, 0, v37
	s_bcnt1_i32_b32 s9, s9
	s_bcnt1_i32_b32 s10, s10
	s_wait_alu 0xfffe
	v_add_nc_u32_e32 v1, s15, v1
	v_add_nc_u32_e32 v2, s9, v2
	s_bcnt1_i32_b32 s11, s11
	v_add_nc_u32_e32 v3, s10, v3
	s_wait_alu 0xfffe
	v_add_nc_u32_e32 v4, s11, v4
	v_mov_b32_e32 v34, v14
	s_or_b32 s14, s12, s14
	s_wait_alu 0xfffe
	s_and_not1_b32 exec_lo, exec_lo, s14
	s_cbranch_execz .LBB66_55
.LBB66_53:                              ;   Parent Loop BB66_7 Depth=1
                                        ; =>  This Inner Loop Header: Depth=2
	s_delay_alu instid0(VALU_DEP_1) | instskip(SKIP_2) | instid1(VALU_DEP_2)
	v_add_nc_u32_e32 v6, s49, v6
	v_mov_b32_e32 v14, 0
	s_mov_b32 s9, exec_lo
	v_cmpx_gt_u32_e64 s36, v6
	s_cbranch_execz .LBB66_52
; %bb.54:                               ;   in Loop: Header=BB66_53 Depth=2
	v_ashrrev_i32_e32 v14, 31, v13
	s_delay_alu instid0(VALU_DEP_1) | instskip(NEXT) | instid1(VALU_DEP_1)
	v_lshlrev_b64_e32 v[35:36], 1, v[13:14]
	v_add_co_u32 v35, vcc_lo, s60, v35
	s_wait_alu 0xfffd
	s_delay_alu instid0(VALU_DEP_2)
	v_add_co_ci_u32_e64 v36, null, s61, v36, vcc_lo
	global_load_u16 v14, v[35:36], off
	s_branch .LBB66_52
.LBB66_55:                              ;   in Loop: Header=BB66_7 Depth=1
	s_or_b32 exec_lo, exec_lo, s14
.LBB66_56:                              ;   in Loop: Header=BB66_7 Depth=1
	s_wait_alu 0xfffe
	s_or_b32 exec_lo, exec_lo, s13
	s_branch .LBB66_36
.LBB66_57:                              ;   in Loop: Header=BB66_7 Depth=1
	s_mul_u64 s[10:11], s[58:59], s[62:63]
	v_dual_mov_b32 v1, 0 :: v_dual_mov_b32 v2, 0
	s_wait_alu 0xfffe
	s_mul_i32 s9, s11, s51
	v_dual_mov_b32 v3, 0 :: v_dual_mov_b32 v4, 0
	s_wait_alu 0xfffe
	s_sub_co_i32 s9, s58, s9
	s_mov_b32 s24, exec_lo
	s_wait_alu 0xfffe
	s_sub_co_i32 s10, s9, s51
	s_cmp_ge_u32 s9, s51
	s_wait_alu 0xfffe
	s_cselect_b32 s9, s10, s9
	s_wait_alu 0xfffe
	s_sub_co_i32 s10, s9, s51
	s_cmp_ge_u32 s9, s51
	s_wait_alu 0xfffe
	s_cselect_b32 s9, s10, s9
	s_wait_alu 0xfffe
	s_sub_co_i32 s23, s58, s9
	s_wait_alu 0xfffe
	v_cmpx_gt_u32_e64 s23, v16
	s_cbranch_execz .LBB66_61
; %bb.58:                               ;   in Loop: Header=BB66_7 Depth=1
	v_dual_mov_b32 v6, v27 :: v_dual_mov_b32 v13, v16
	s_mov_b32 s25, 0
	s_mov_b32 s26, 0
	;; [unrolled: 1-line block ×5, first 2 shown]
.LBB66_59:                              ;   Parent Loop BB66_7 Depth=1
                                        ; =>  This Inner Loop Header: Depth=2
	ds_load_b64 v[1:2], v6
	s_wait_dscnt 0x0
	v_cmp_lt_i16_e64 s9, -1, v1
	v_lshrrev_b32_e32 v4, 16, v2
	v_lshrrev_b32_e32 v3, 16, v1
	v_and_b32_e32 v14, 0xffff, v1
	v_lshlrev_b32_e32 v35, 16, v1
	s_wait_loadcnt 0x0
	s_wait_alu 0xf1ff
	v_cndmask_b32_e64 v34, 0xffff, v29, s9
	v_cmp_lt_i16_e64 s9, -1, v2
	v_and_b32_e32 v36, 0xffff, v2
	v_cmp_lt_i16_e64 s10, -1, v4
	v_lshlrev_b32_e32 v38, 16, v2
	v_xor_b32_e32 v14, v34, v14
	s_wait_alu 0xf1ff
	v_cndmask_b32_e64 v37, 0xffff, v29, s9
	v_cmp_lt_i16_e64 s9, -1, v3
	v_and_b32_e32 v1, 0xffff0000, v1
	v_and_b32_e32 v2, 0xffff0000, v2
	s_delay_alu instid0(VALU_DEP_4)
	v_xor_b32_e32 v36, v37, v36
	v_cndmask_b32_e64 v37, 0xffff, v29, s10
	v_cmp_o_f32_e64 s10, v35, v35
	s_wait_alu 0xf1ff
	v_cndmask_b32_e64 v34, 0xffff, v29, s9
	v_cmp_o_f32_e64 s9, v38, v38
	v_xor_b32_e32 v4, v37, v4
	v_cndmask_b32_e64 v14, 0xffff, v14, s10
	s_delay_alu instid0(VALU_DEP_4)
	v_xor_b32_e32 v3, v34, v3
	s_wait_alu 0xf1ff
	v_cndmask_b32_e64 v34, 0xffff, v36, s9
	v_cmp_o_f32_e64 s9, v2, v2
	v_cmp_o_f32_e64 s10, v1, v1
	v_and_b32_e32 v2, v14, v31
	v_bfe_u32 v14, v14, s93, 2
	s_wait_alu 0xf1ff
	s_delay_alu instid0(VALU_DEP_3)
	v_cndmask_b32_e64 v1, 0xffff, v3, s10
	v_cndmask_b32_e64 v3, 0xffff, v4, s9
	v_and_b32_e32 v4, v34, v31
	v_bfe_u32 v34, v34, s93, 2
	v_cmp_eq_u32_e64 s9, v2, v22
	v_cmp_eq_u32_e64 s11, 0, v14
	v_and_b32_e32 v2, v1, v31
	v_cmp_eq_u32_e64 s10, v4, v22
	v_cmp_eq_u32_e64 s12, 0, v34
	v_and_b32_e32 v4, v3, v31
	v_bfe_u32 v1, v1, s93, 2
	v_bfe_u32 v3, v3, s93, 2
	v_cmp_eq_u32_e64 s13, 1, v14
	v_cmp_eq_u32_e64 s15, 2, v14
	s_and_b32 s11, s9, s11
	v_cmp_eq_u32_e64 s14, 1, v34
	v_cmp_eq_u32_e64 s16, 2, v34
	;; [unrolled: 1-line block ×4, first 2 shown]
	s_wait_alu 0xfffe
	v_cndmask_b32_e64 v2, 0, 1, s11
	s_and_b32 s11, s10, s12
	v_cmp_eq_u32_e64 s18, 3, v34
	v_cmp_eq_u32_e64 s20, v4, v22
	;; [unrolled: 1-line block ×4, first 2 shown]
	s_wait_alu 0xfffe
	v_cndmask_b32_e64 v4, 0, 1, s11
	v_cmp_eq_u32_e64 s11, 1, v1
	s_and_b32 s13, s9, s13
	s_and_b32 s15, s9, s15
	s_wait_alu 0xfffe
	v_cndmask_b32_e64 v14, 0, 1, s13
	s_and_b32 s13, s10, s14
	v_cndmask_b32_e64 v35, 0, 1, s15
	s_and_b32 s15, s10, s16
	s_and_b32 s9, s9, s17
	v_cmp_eq_u32_e64 s12, 1, v3
	s_wait_alu 0xfffe
	v_cndmask_b32_e64 v34, 0, 1, s13
	v_cmp_eq_u32_e64 s13, 2, v1
	v_cmp_eq_u32_e64 s14, 2, v3
	v_cndmask_b32_e64 v36, 0, 1, s15
	v_cmp_eq_u32_e64 s15, 3, v1
	v_cmp_eq_u32_e64 s16, 3, v3
	v_cndmask_b32_e64 v1, 0, 1, s9
	s_and_b32 s9, s10, s18
	s_and_b32 s10, s19, s21
	s_and_b32 s17, s20, s22
	s_and_b32 s11, s19, s11
	s_wait_alu 0xfffe
	v_cndmask_b32_e64 v3, 0, 1, s9
	v_cmp_ne_u32_e64 s9, 0, v2
	v_cndmask_b32_e64 v2, 0, 1, s10
	v_cmp_ne_u32_e64 s10, 0, v4
	v_cndmask_b32_e64 v4, 0, 1, s17
	v_cmp_ne_u32_e64 s17, 0, v14
	v_cndmask_b32_e64 v14, 0, 1, s11
	s_and_b32 s12, s20, s12
	s_and_b32 s13, s19, s13
	;; [unrolled: 1-line block ×5, first 2 shown]
	v_cmp_ne_u32_e64 s11, 0, v34
	s_wait_alu 0xfffe
	v_cndmask_b32_e64 v34, 0, 1, s12
	v_cmp_ne_u32_e64 s12, 0, v35
	v_cndmask_b32_e64 v35, 0, 1, s13
	v_cmp_ne_u32_e64 s13, 0, v36
	;; [unrolled: 2-line block ×5, first 2 shown]
	s_bcnt1_i32_b32 s17, s17
	s_bcnt1_i32_b32 s20, s11
	v_cmp_ne_u32_e64 s11, 0, v34
	s_bcnt1_i32_b32 s18, s9
	v_cmp_ne_u32_e64 s9, 0, v2
	;; [unrolled: 2-line block ×4, first 2 shown]
	s_wait_alu 0xfffe
	s_add_co_i32 s17, s17, s28
	s_bcnt1_i32_b32 s16, s16
	s_bcnt1_i32_b32 s19, s10
	s_wait_alu 0xfffe
	s_add_co_i32 s16, s17, s16
	v_cmp_ne_u32_e64 s10, 0, v4
	s_bcnt1_i32_b32 s22, s13
	v_cmp_ne_u32_e64 s13, 0, v36
	s_bcnt1_i32_b32 s96, s15
	;; [unrolled: 2-line block ×3, first 2 shown]
	s_wait_alu 0xfffe
	s_add_co_i32 s16, s16, s20
	s_add_co_i32 s18, s18, s94
	;; [unrolled: 1-line block ×4, first 2 shown]
	s_bcnt1_i32_b32 s9, s9
	s_bcnt1_i32_b32 s12, s12
	;; [unrolled: 1-line block ×3, first 2 shown]
	s_wait_alu 0xfffe
	s_add_co_i32 s28, s16, s11
	s_wait_alu 0xfffe
	v_dual_mov_b32 v2, s28 :: v_dual_add_nc_u32 v13, s51, v13
	s_add_co_i32 s9, s18, s9
	s_add_co_i32 s12, s21, s12
	;; [unrolled: 1-line block ×3, first 2 shown]
	s_bcnt1_i32_b32 s10, s10
	s_bcnt1_i32_b32 s13, s13
	;; [unrolled: 1-line block ×3, first 2 shown]
	s_wait_alu 0xfffe
	s_add_co_i32 s9, s9, s19
	s_add_co_i32 s12, s12, s22
	;; [unrolled: 1-line block ×3, first 2 shown]
	v_cmp_le_i32_e32 vcc_lo, s23, v13
	s_wait_alu 0xfffe
	s_add_co_i32 s94, s9, s10
	s_add_co_i32 s27, s12, s13
	s_add_co_i32 s26, s14, s15
	s_wait_alu 0xfffe
	v_dual_mov_b32 v1, s94 :: v_dual_add_nc_u32 v6, s84, v6
	v_dual_mov_b32 v3, s27 :: v_dual_mov_b32 v4, s26
	s_or_b32 s25, vcc_lo, s25
	s_wait_alu 0xfffe
	s_and_not1_b32 exec_lo, exec_lo, s25
	s_cbranch_execnz .LBB66_59
; %bb.60:                               ;   in Loop: Header=BB66_7 Depth=1
	s_or_b32 exec_lo, exec_lo, s25
.LBB66_61:                              ;   in Loop: Header=BB66_7 Depth=1
	s_delay_alu instid0(SALU_CYCLE_1) | instskip(SKIP_2) | instid1(VALU_DEP_1)
	s_or_b32 exec_lo, exec_lo, s24
	v_add_nc_u32_e32 v6, s23, v0
	s_mov_b32 s14, exec_lo
	v_cmpx_gt_i32_e64 s58, v6
	s_cbranch_execz .LBB66_65
; %bb.62:                               ;   in Loop: Header=BB66_7 Depth=1
	v_lshlrev_b32_e32 v13, 1, v6
	s_mov_b32 s15, 0
.LBB66_63:                              ;   Parent Loop BB66_7 Depth=1
                                        ; =>  This Inner Loop Header: Depth=2
	ds_load_u16 v14, v13
	v_add_nc_u32_e32 v6, s49, v6
	v_add_nc_u32_e32 v13, s85, v13
	s_delay_alu instid0(VALU_DEP_2)
	v_cmp_le_i32_e32 vcc_lo, s58, v6
	s_wait_dscnt 0x0
	v_cmp_lt_i16_e64 s9, -1, v14
	s_wait_loadcnt 0x0
	v_and_b32_e32 v34, 0xffff, v14
	v_lshlrev_b32_e32 v14, 16, v14
	s_wait_alu 0xf1ff
	v_cndmask_b32_e64 v35, 0xffff, v29, s9
	s_delay_alu instid0(VALU_DEP_2) | instskip(NEXT) | instid1(VALU_DEP_2)
	v_cmp_o_f32_e64 s9, v14, v14
	v_xor_b32_e32 v34, v35, v34
	s_wait_alu 0xf1ff
	s_delay_alu instid0(VALU_DEP_1) | instskip(NEXT) | instid1(VALU_DEP_1)
	v_cndmask_b32_e64 v14, 0xffff, v34, s9
	v_and_b32_e32 v34, v14, v31
	v_bfe_u32 v14, v14, s93, 2
	s_delay_alu instid0(VALU_DEP_2) | instskip(NEXT) | instid1(VALU_DEP_2)
	v_cmp_eq_u32_e64 s9, v34, v22
	v_cmp_eq_u32_e64 s10, 0, v14
	;; [unrolled: 1-line block ×5, first 2 shown]
	s_and_b32 s10, s9, s10
	s_wait_alu 0xfffe
	v_cndmask_b32_e64 v14, 0, 1, s10
	s_and_b32 s10, s9, s11
	s_wait_alu 0xfffe
	v_cndmask_b32_e64 v34, 0, 1, s10
	s_and_b32 s10, s9, s12
	s_and_b32 s9, s9, s13
	s_wait_alu 0xfffe
	v_cndmask_b32_e64 v35, 0, 1, s10
	v_cndmask_b32_e64 v36, 0, 1, s9
	v_cmp_ne_u32_e64 s9, 0, v14
	v_cmp_ne_u32_e64 s10, 0, v34
	s_delay_alu instid0(VALU_DEP_4) | instskip(NEXT) | instid1(VALU_DEP_4)
	v_cmp_ne_u32_e64 s11, 0, v35
	v_cmp_ne_u32_e64 s12, 0, v36
	s_bcnt1_i32_b32 s9, s9
	s_bcnt1_i32_b32 s10, s10
	s_wait_alu 0xfffe
	v_add_nc_u32_e32 v1, s9, v1
	s_bcnt1_i32_b32 s11, s11
	s_bcnt1_i32_b32 s12, s12
	v_add_nc_u32_e32 v2, s10, v2
	s_wait_alu 0xfffe
	v_add_nc_u32_e32 v3, s11, v3
	v_add_nc_u32_e32 v4, s12, v4
	s_or_b32 s15, vcc_lo, s15
	s_wait_alu 0xfffe
	s_and_not1_b32 exec_lo, exec_lo, s15
	s_cbranch_execnz .LBB66_63
; %bb.64:                               ;   in Loop: Header=BB66_7 Depth=1
	s_or_b32 exec_lo, exec_lo, s15
.LBB66_65:                              ;   in Loop: Header=BB66_7 Depth=1
	s_wait_alu 0xfffe
	s_or_b32 exec_lo, exec_lo, s14
	v_lshlrev_b32_e32 v6, 7, v30
	s_and_saveexec_b32 s9, s0
	s_cbranch_execnz .LBB66_37
	s_branch .LBB66_38
.LBB66_66:                              ;   in Loop: Header=BB66_7 Depth=1
	s_or_b32 exec_lo, exec_lo, s12
	s_wait_dscnt 0x0
	s_barrier_signal -1
	s_barrier_wait -1
	global_inv scope:SCOPE_SE
	s_and_saveexec_b32 s9, s2
	s_cbranch_execz .LBB66_68
; %bb.67:                               ;   in Loop: Header=BB66_7 Depth=1
	ds_load_b32 v1, v7 offset:4104
	s_wait_dscnt 0x0
	ds_store_b32 v7, v1 offset:4096
.LBB66_68:                              ;   in Loop: Header=BB66_7 Depth=1
	s_wait_alu 0xfffe
	s_or_b32 exec_lo, exec_lo, s9
	s_wait_loadcnt_dscnt 0x0
	s_barrier_signal -1
	s_mov_b32 s9, -1
	s_barrier_wait -1
	s_and_b32 vcc_lo, exec_lo, s10
	s_wait_alu 0xfffe
	s_cbranch_vccnz .LBB66_22
	s_branch .LBB66_32
.LBB66_69:                              ;   in Loop: Header=BB66_7 Depth=1
	v_mov_b32_e32 v1, 0
	s_mov_b32 s10, 0
	s_and_not1_b32 vcc_lo, exec_lo, s80
	s_wait_alu 0xfffe
	s_cbranch_vccnz .LBB66_72
.LBB66_70:                              ;   in Loop: Header=BB66_7 Depth=1
	v_lshlrev_b32_e32 v2, 9, v30
	s_lshl_b32 s10, s10, 4
	s_wait_alu 0xfffe
	s_delay_alu instid0(VALU_DEP_1)
	v_add3_u32 v2, v2, s10, v28
	s_mov_b32 s10, s77
.LBB66_71:                              ;   Parent Loop BB66_7 Depth=1
                                        ; =>  This Inner Loop Header: Depth=2
	ds_load_b32 v3, v2
	v_add_nc_u32_e32 v2, 16, v2
	s_wait_alu 0xfffe
	s_add_co_i32 s10, s10, -1
	s_wait_alu 0xfffe
	s_cmp_lg_u32 s10, 0
	s_wait_dscnt 0x0
	v_add_nc_u32_e32 v1, v3, v1
	s_cbranch_scc1 .LBB66_71
.LBB66_72:                              ;   in Loop: Header=BB66_7 Depth=1
	v_add_lshl_u32 v2, v6, v15, 2
	ds_store_b32 v2, v1 offset:3072
.LBB66_73:                              ;   in Loop: Header=BB66_7 Depth=1
	s_wait_alu 0xfffe
	s_or_b32 exec_lo, exec_lo, s9
	v_lshlrev_b32_e32 v1, 2, v6
	s_wait_loadcnt_dscnt 0x0
	s_barrier_signal -1
	s_barrier_wait -1
	global_inv scope:SCOPE_SE
	ds_load_b128 v[1:4], v1 offset:3072
	s_lshl_b32 s10, 3, s93
	v_cmp_eq_u32_e32 vcc_lo, 1, v33
	s_wait_alu 0xfffe
	s_not_b32 s17, s10
	s_mov_b32 s13, -1
	s_mov_b32 s15, -1
                                        ; implicit-def: $sgpr20
                                        ; implicit-def: $sgpr18
	s_wait_dscnt 0x0
	v_readfirstlane_b32 s12, v1
	v_readfirstlane_b32 s19, v2
	;; [unrolled: 1-line block ×4, first 2 shown]
	s_cmp_eq_u32 s12, 1
	s_cselect_b32 s11, -1, 0
	s_wait_alu 0xfffe
	s_and_b32 s14, s11, vcc_lo
	s_wait_alu 0xfffe
	s_and_saveexec_b32 s11, s14
	s_cbranch_execz .LBB66_99
; %bb.74:                               ;   in Loop: Header=BB66_7 Depth=1
	ds_load_b32 v1, v7 offset:4096
	s_wait_loadcnt_dscnt 0x0
	s_barrier_signal -1
	s_barrier_wait -1
	global_inv scope:SCOPE_SE
	v_readfirstlane_b32 s15, v1
	s_and_saveexec_b32 s18, s1
; %bb.75:                               ;   in Loop: Header=BB66_7 Depth=1
	ds_store_b16 v18, v7
; %bb.76:                               ;   in Loop: Header=BB66_7 Depth=1
	s_wait_alu 0xfffe
	s_or_b32 exec_lo, exec_lo, s18
	v_and_b32_e32 v22, s17, v22
	v_or_b32_e32 v31, s10, v31
	s_mov_b32 s18, -1
	s_mov_b32 s20, 0
	s_cmp_lt_i32 s15, 1
	s_mov_b32 s21, 0
	s_mov_b32 s22, -1
	s_wait_loadcnt_dscnt 0x0
	s_barrier_signal -1
	s_barrier_wait -1
	global_inv scope:SCOPE_SE
                                        ; implicit-def: $vgpr32
	s_cbranch_scc0 .LBB66_87
; %bb.77:                               ;   in Loop: Header=BB66_7 Depth=1
	s_mov_b32 s22, 0
                                        ; implicit-def: $vgpr32
	s_and_saveexec_b32 s23, s8
	s_cbranch_execz .LBB66_86
; %bb.78:                               ;   in Loop: Header=BB66_7 Depth=1
	v_mov_b32_e32 v1, v5
	v_mov_b32_e32 v3, v0
                                        ; implicit-def: $sgpr24
	s_branch .LBB66_81
.LBB66_79:                              ;   in Loop: Header=BB66_81 Depth=2
	s_wait_alu 0xfffe
	s_or_b32 exec_lo, exec_lo, s25
	s_wait_loadcnt_dscnt 0x0
	s_barrier_signal -1
	s_barrier_wait -1
	global_inv scope:SCOPE_SE
	ds_load_b32 v2, v7 offset:3072
	s_mov_b32 s25, -1
	s_mov_b32 s26, -1
	s_wait_loadcnt_dscnt 0x0
	s_barrier_signal -1
	s_barrier_wait -1
	global_inv scope:SCOPE_SE
	v_and_b32_e32 v4, 0x7fff, v2
	s_delay_alu instid0(VALU_DEP_1)
	v_cmp_ne_u32_e32 vcc_lo, 0, v4
	s_cbranch_vccz .LBB66_84
.LBB66_80:                              ;   in Loop: Header=BB66_81 Depth=2
	s_wait_alu 0xfffe
	s_and_b32 s25, exec_lo, s25
	s_wait_alu 0xfffe
	s_or_b32 s21, s25, s21
	s_and_not1_b32 s24, s24, exec_lo
	s_and_b32 s25, s26, exec_lo
	s_wait_alu 0xfffe
	s_or_b32 s24, s24, s25
	s_and_not1_b32 exec_lo, exec_lo, s21
	s_cbranch_execz .LBB66_85
.LBB66_81:                              ;   Parent Loop BB66_7 Depth=1
                                        ; =>  This Inner Loop Header: Depth=2
	s_mov_b32 s25, exec_lo
	s_delay_alu instid0(VALU_DEP_1)
	v_cmpx_gt_i32_e64 s36, v3
	s_cbranch_execz .LBB66_79
; %bb.82:                               ;   in Loop: Header=BB66_81 Depth=2
	v_ashrrev_i32_e32 v2, 31, v1
	s_delay_alu instid0(VALU_DEP_1) | instskip(NEXT) | instid1(VALU_DEP_1)
	v_lshlrev_b64_e32 v[13:14], 1, v[1:2]
	v_add_co_u32 v13, vcc_lo, s60, v13
	s_wait_alu 0xfffd
	s_delay_alu instid0(VALU_DEP_2)
	v_add_co_ci_u32_e64 v14, null, s61, v14, vcc_lo
	global_load_u16 v2, v[13:14], off
	s_wait_loadcnt 0x0
	v_cmp_lt_i16_e32 vcc_lo, -1, v2
	v_and_b32_e32 v4, 0xffff, v2
	s_wait_alu 0xfffd
	v_dual_cndmask_b32 v6, 0xffff, v29 :: v_dual_lshlrev_b32 v13, 16, v2
	s_delay_alu instid0(VALU_DEP_1) | instskip(NEXT) | instid1(VALU_DEP_2)
	v_cmp_o_f32_e32 vcc_lo, v13, v13
	v_xor_b32_e32 v4, v6, v4
	s_wait_alu 0xfffd
	s_delay_alu instid0(VALU_DEP_1) | instskip(NEXT) | instid1(VALU_DEP_1)
	v_cndmask_b32_e32 v4, 0xffff, v4, vcc_lo
	v_and_b32_e32 v4, v4, v31
	s_delay_alu instid0(VALU_DEP_1)
	v_cmp_eq_u32_e32 vcc_lo, v4, v22
	s_and_b32 exec_lo, exec_lo, vcc_lo
	s_cbranch_execz .LBB66_79
; %bb.83:                               ;   in Loop: Header=BB66_81 Depth=2
	v_perm_b32 v2, v2, s86, 0x5040100
	ds_store_b32 v7, v2 offset:3072
	s_branch .LBB66_79
.LBB66_84:                              ;   in Loop: Header=BB66_81 Depth=2
	v_add_nc_u32_e32 v3, s49, v3
	v_add_nc_u32_e32 v1, s73, v1
	s_mov_b32 s26, 0
	s_delay_alu instid0(VALU_DEP_2)
	v_cmp_le_i32_e32 vcc_lo, s82, v3
	s_or_not1_b32 s25, vcc_lo, exec_lo
	s_branch .LBB66_80
.LBB66_85:                              ;   in Loop: Header=BB66_7 Depth=1
	s_or_b32 exec_lo, exec_lo, s21
	v_lshrrev_b32_e32 v32, 16, v2
	s_wait_alu 0xfffe
	s_and_b32 s21, s24, exec_lo
.LBB66_86:                              ;   in Loop: Header=BB66_7 Depth=1
	s_wait_alu 0xfffe
	s_or_b32 exec_lo, exec_lo, s23
.LBB66_87:                              ;   in Loop: Header=BB66_7 Depth=1
	s_wait_alu 0xfffe
	s_and_b32 vcc_lo, exec_lo, s22
	s_wait_alu 0xfffe
	s_cbranch_vccz .LBB66_98
; %bb.88:                               ;   in Loop: Header=BB66_7 Depth=1
	s_add_co_i32 s20, s15, s56
                                        ; implicit-def: $vgpr32
	s_wait_alu 0xfffe
	s_abs_i32 s58, s20
	s_wait_alu 0xfffe
	s_mul_u64 s[22:23], s[58:59], s[64:65]
	s_ashr_i32 s22, s20, 31
	s_wait_alu 0xfffe
	s_mul_i32 s18, s23, s49
	s_wait_alu 0xfffe
	s_sub_co_i32 s18, s58, s18
	s_wait_alu 0xfffe
	s_sub_co_i32 s23, s18, s49
	s_cmp_ge_u32 s18, s49
	s_wait_alu 0xfffe
	s_cselect_b32 s18, s23, s18
	s_wait_alu 0xfffe
	s_sub_co_i32 s23, s18, s49
	s_cmp_ge_u32 s18, s49
	s_wait_alu 0xfffe
	s_cselect_b32 s18, s23, s18
	s_wait_alu 0xfffe
	s_xor_b32 s18, s18, s22
	s_wait_alu 0xfffe
	s_sub_co_i32 s18, s22, s18
	s_wait_alu 0xfffe
	s_add_co_i32 s20, s20, s18
	s_mov_b32 s18, exec_lo
	s_wait_alu 0xfffe
	v_cmpx_gt_i32_e64 s20, v0
	s_cbranch_execz .LBB66_97
; %bb.89:                               ;   in Loop: Header=BB66_7 Depth=1
	v_dual_mov_b32 v1, v17 :: v_dual_mov_b32 v2, v0
	s_mov_b32 s22, 0
                                        ; implicit-def: $sgpr23
	s_branch .LBB66_92
.LBB66_90:                              ;   in Loop: Header=BB66_92 Depth=2
	s_wait_alu 0xfffe
	s_or_b32 exec_lo, exec_lo, s24
	s_wait_loadcnt_dscnt 0x0
	s_barrier_signal -1
	s_barrier_wait -1
	global_inv scope:SCOPE_SE
	ds_load_b32 v3, v7 offset:3072
	s_mov_b32 s24, -1
	s_mov_b32 s25, -1
	s_wait_loadcnt_dscnt 0x0
	s_barrier_signal -1
	s_barrier_wait -1
	global_inv scope:SCOPE_SE
	v_and_b32_e32 v4, 0x7fff, v3
	s_delay_alu instid0(VALU_DEP_1)
	v_cmp_ne_u32_e32 vcc_lo, 0, v4
	s_cbranch_vccz .LBB66_95
.LBB66_91:                              ;   in Loop: Header=BB66_92 Depth=2
	s_wait_alu 0xfffe
	s_and_b32 s24, exec_lo, s24
	s_wait_alu 0xfffe
	s_or_b32 s22, s24, s22
	s_and_not1_b32 s23, s23, exec_lo
	s_and_b32 s24, s25, exec_lo
	s_wait_alu 0xfffe
	s_or_b32 s23, s23, s24
	s_and_not1_b32 exec_lo, exec_lo, s22
	s_cbranch_execz .LBB66_96
.LBB66_92:                              ;   Parent Loop BB66_7 Depth=1
                                        ; =>  This Inner Loop Header: Depth=2
	s_mov_b32 s24, exec_lo
	s_delay_alu instid0(VALU_DEP_1)
	v_cmpx_gt_i32_e64 s15, v2
	s_cbranch_execz .LBB66_90
; %bb.93:                               ;   in Loop: Header=BB66_92 Depth=2
	ds_load_u16 v3, v1
	s_wait_dscnt 0x0
	v_cmp_lt_i16_e32 vcc_lo, -1, v3
	v_and_b32_e32 v4, 0xffff, v3
	s_wait_alu 0xfffd
	v_dual_cndmask_b32 v6, 0xffff, v29 :: v_dual_lshlrev_b32 v13, 16, v3
	s_delay_alu instid0(VALU_DEP_1) | instskip(NEXT) | instid1(VALU_DEP_2)
	v_cmp_o_f32_e32 vcc_lo, v13, v13
	v_xor_b32_e32 v4, v6, v4
	s_wait_alu 0xfffd
	s_delay_alu instid0(VALU_DEP_1) | instskip(NEXT) | instid1(VALU_DEP_1)
	v_cndmask_b32_e32 v4, 0xffff, v4, vcc_lo
	v_and_b32_e32 v4, v4, v31
	s_delay_alu instid0(VALU_DEP_1)
	v_cmp_eq_u32_e32 vcc_lo, v4, v22
	s_and_b32 exec_lo, exec_lo, vcc_lo
	s_cbranch_execz .LBB66_90
; %bb.94:                               ;   in Loop: Header=BB66_92 Depth=2
	v_perm_b32 v3, v3, s86, 0x5040100
	ds_store_b32 v7, v3 offset:3072
	s_branch .LBB66_90
.LBB66_95:                              ;   in Loop: Header=BB66_92 Depth=2
	v_add_nc_u32_e32 v2, s49, v2
	v_add_nc_u32_e32 v1, s85, v1
	s_mov_b32 s25, 0
	s_delay_alu instid0(VALU_DEP_2)
	v_cmp_le_i32_e32 vcc_lo, s20, v2
	s_or_not1_b32 s24, vcc_lo, exec_lo
	s_branch .LBB66_91
.LBB66_96:                              ;   in Loop: Header=BB66_7 Depth=1
	s_or_b32 exec_lo, exec_lo, s22
	s_delay_alu instid0(SALU_CYCLE_1)
	s_and_not1_b32 s15, s21, exec_lo
	s_wait_alu 0xfffe
	s_and_b32 s20, s23, exec_lo
	v_lshrrev_b32_e32 v32, 16, v3
	s_wait_alu 0xfffe
	s_or_b32 s21, s15, s20
.LBB66_97:                              ;   in Loop: Header=BB66_7 Depth=1
	s_or_b32 exec_lo, exec_lo, s18
	s_mov_b32 s18, 0
	s_mov_b32 s20, -1
.LBB66_98:                              ;   in Loop: Header=BB66_7 Depth=1
	s_wait_alu 0xfffe
	s_or_not1_b32 s15, s21, exec_lo
.LBB66_99:                              ;   in Loop: Header=BB66_7 Depth=1
	s_wait_alu 0xfffe
	s_or_b32 exec_lo, exec_lo, s11
	v_readfirstlane_b32 s21, v0
	s_and_not1_b32 s11, s91, exec_lo
	s_and_b32 s20, s20, exec_lo
	s_and_not1_b32 s22, s89, exec_lo
	s_and_b32 s18, s18, exec_lo
	s_and_not1_b32 s88, s88, exec_lo
	s_wait_alu 0xfffe
	s_or_b32 s91, s11, s20
	s_or_b32 s89, s22, s18
                                        ; implicit-def: $vgpr4
	s_and_saveexec_b32 s11, s15
	s_cbranch_execz .LBB66_6
; %bb.100:                              ;   in Loop: Header=BB66_7 Depth=1
	v_dual_mov_b32 v4, 1 :: v_dual_mov_b32 v3, 1
	s_xor_b32 s14, s14, -1
	s_mov_b32 s20, 0
	s_wait_alu 0xfffe
	s_and_saveexec_b32 s13, s14
	s_cbranch_execz .LBB66_109
; %bb.101:                              ;   in Loop: Header=BB66_7 Depth=1
	s_mov_b32 s14, exec_lo
	v_cmpx_ge_i32_e64 s12, v33
	s_wait_alu 0xfffe
	s_xor_b32 s14, exec_lo, s14
	s_cbranch_execz .LBB66_106
; %bb.102:                              ;   in Loop: Header=BB66_7 Depth=1
	ds_load_b32 v1, v7 offset:4096
	v_and_b32_e32 v22, s17, v22
	v_or_b32_e32 v31, s10, v31
	s_wait_dscnt 0x0
	v_cmp_ne_u32_e32 vcc_lo, 0, v1
	s_cbranch_vccnz .LBB66_106
; %bb.103:                              ;   in Loop: Header=BB66_7 Depth=1
	s_and_saveexec_b32 s15, s2
; %bb.104:                              ;   in Loop: Header=BB66_7 Depth=1
	v_mov_b32_e32 v1, s12
	ds_store_b32 v7, v1 offset:4100
; %bb.105:                              ;   in Loop: Header=BB66_7 Depth=1
	s_wait_alu 0xfffe
	s_or_b32 exec_lo, exec_lo, s15
	s_wait_loadcnt_dscnt 0x0
	s_barrier_signal -1
	s_barrier_wait -1
	global_inv scope:SCOPE_SE
.LBB66_106:                             ;   in Loop: Header=BB66_7 Depth=1
	s_wait_alu 0xfffe
	s_or_saveexec_b32 s14, s14
	v_mov_b32_e32 v3, 8
	s_mov_b32 s15, 0
	s_wait_alu 0xfffe
	s_xor_b32 exec_lo, exec_lo, s14
; %bb.107:                              ;   in Loop: Header=BB66_7 Depth=1
	v_subrev_nc_u32_e32 v33, s12, v33
	v_mov_b32_e32 v3, 0
	s_mov_b32 s15, exec_lo
; %bb.108:                              ;   in Loop: Header=BB66_7 Depth=1
	s_or_b32 exec_lo, exec_lo, s14
	s_delay_alu instid0(VALU_DEP_2)
	v_mov_b32_e32 v4, v33
	s_wait_alu 0xfffe
	s_and_b32 s20, s15, exec_lo
.LBB66_109:                             ;   in Loop: Header=BB66_7 Depth=1
	s_wait_alu 0xfffe
	s_or_b32 exec_lo, exec_lo, s13
	s_mov_b32 s12, -1
	s_mov_b32 s18, -1
                                        ; implicit-def: $sgpr14
                                        ; implicit-def: $sgpr15
	s_and_saveexec_b32 s13, s20
	s_wait_alu 0xfffe
	s_xor_b32 s13, exec_lo, s13
	s_cbranch_execz .LBB66_226
; %bb.110:                              ;   in Loop: Header=BB66_7 Depth=1
	v_cmp_eq_u32_e32 vcc_lo, 1, v4
	s_cmp_eq_u32 s19, 1
	s_mov_b32 s21, -1
	s_cselect_b32 s14, -1, 0
                                        ; implicit-def: $sgpr15
	s_wait_alu 0xfffe
	s_and_b32 s20, s14, vcc_lo
                                        ; implicit-def: $sgpr14
	s_wait_alu 0xfffe
	s_and_saveexec_b32 s18, s20
	s_cbranch_execz .LBB66_136
; %bb.111:                              ;   in Loop: Header=BB66_7 Depth=1
	ds_load_b32 v1, v7 offset:4096
	s_wait_loadcnt_dscnt 0x0
	s_barrier_signal -1
	s_barrier_wait -1
	global_inv scope:SCOPE_SE
	v_readfirstlane_b32 s21, v1
	s_and_saveexec_b32 s14, s1
; %bb.112:                              ;   in Loop: Header=BB66_7 Depth=1
	ds_store_b16 v18, v7
; %bb.113:                              ;   in Loop: Header=BB66_7 Depth=1
	s_wait_alu 0xfffe
	s_or_b32 exec_lo, exec_lo, s14
	s_lshl_b32 s14, 1, s93
	v_or_b32_e32 v31, s10, v31
	s_wait_alu 0xfffe
	v_and_or_b32 v22, v22, s17, s14
	s_mov_b32 s14, -1
	s_mov_b32 s15, 0
	s_cmp_gt_i32 s21, 0
	s_mov_b32 s22, 0
	s_mov_b32 s23, -1
	s_wait_loadcnt_dscnt 0x0
	s_barrier_signal -1
	s_barrier_wait -1
	global_inv scope:SCOPE_SE
                                        ; implicit-def: $vgpr32
	s_cbranch_scc1 .LBB66_124
; %bb.114:                              ;   in Loop: Header=BB66_7 Depth=1
	s_mov_b32 s23, 0
                                        ; implicit-def: $vgpr32
	s_and_saveexec_b32 s24, s8
	s_cbranch_execz .LBB66_123
; %bb.115:                              ;   in Loop: Header=BB66_7 Depth=1
	v_dual_mov_b32 v1, v5 :: v_dual_mov_b32 v6, v0
                                        ; implicit-def: $sgpr25
	s_branch .LBB66_118
.LBB66_116:                             ;   in Loop: Header=BB66_118 Depth=2
	s_wait_alu 0xfffe
	s_or_b32 exec_lo, exec_lo, s26
	s_wait_loadcnt_dscnt 0x0
	s_barrier_signal -1
	s_barrier_wait -1
	global_inv scope:SCOPE_SE
	ds_load_b32 v2, v7 offset:3072
	s_mov_b32 s26, -1
	s_mov_b32 s27, -1
	s_wait_loadcnt_dscnt 0x0
	s_barrier_signal -1
	s_barrier_wait -1
	global_inv scope:SCOPE_SE
	v_and_b32_e32 v13, 0x7fff, v2
	s_delay_alu instid0(VALU_DEP_1)
	v_cmp_ne_u32_e32 vcc_lo, 0, v13
	s_cbranch_vccz .LBB66_121
.LBB66_117:                             ;   in Loop: Header=BB66_118 Depth=2
	s_wait_alu 0xfffe
	s_and_b32 s26, exec_lo, s26
	s_wait_alu 0xfffe
	s_or_b32 s22, s26, s22
	s_and_not1_b32 s25, s25, exec_lo
	s_and_b32 s26, s27, exec_lo
	s_wait_alu 0xfffe
	s_or_b32 s25, s25, s26
	s_and_not1_b32 exec_lo, exec_lo, s22
	s_cbranch_execz .LBB66_122
.LBB66_118:                             ;   Parent Loop BB66_7 Depth=1
                                        ; =>  This Inner Loop Header: Depth=2
	s_mov_b32 s26, exec_lo
	s_delay_alu instid0(VALU_DEP_1)
	v_cmpx_gt_i32_e64 s36, v6
	s_cbranch_execz .LBB66_116
; %bb.119:                              ;   in Loop: Header=BB66_118 Depth=2
	v_ashrrev_i32_e32 v2, 31, v1
	s_delay_alu instid0(VALU_DEP_1) | instskip(NEXT) | instid1(VALU_DEP_1)
	v_lshlrev_b64_e32 v[13:14], 1, v[1:2]
	v_add_co_u32 v13, vcc_lo, s60, v13
	s_wait_alu 0xfffd
	s_delay_alu instid0(VALU_DEP_2)
	v_add_co_ci_u32_e64 v14, null, s61, v14, vcc_lo
	global_load_u16 v2, v[13:14], off
	s_wait_loadcnt 0x0
	v_cmp_lt_i16_e32 vcc_lo, -1, v2
	s_wait_alu 0xfffd
	v_dual_cndmask_b32 v14, 0xffff, v29 :: v_dual_and_b32 v13, 0xffff, v2
	s_delay_alu instid0(VALU_DEP_1) | instskip(SKIP_1) | instid1(VALU_DEP_1)
	v_xor_b32_e32 v13, v14, v13
	v_lshlrev_b32_e32 v32, 16, v2
	v_cmp_o_f32_e32 vcc_lo, v32, v32
	s_wait_alu 0xfffd
	s_delay_alu instid0(VALU_DEP_3) | instskip(NEXT) | instid1(VALU_DEP_1)
	v_cndmask_b32_e32 v13, 0xffff, v13, vcc_lo
	v_and_b32_e32 v13, v13, v31
	s_delay_alu instid0(VALU_DEP_1)
	v_cmp_eq_u32_e32 vcc_lo, v13, v22
	s_and_b32 exec_lo, exec_lo, vcc_lo
	s_cbranch_execz .LBB66_116
; %bb.120:                              ;   in Loop: Header=BB66_118 Depth=2
	v_perm_b32 v2, v2, s86, 0x5040100
	ds_store_b32 v7, v2 offset:3072
	s_branch .LBB66_116
.LBB66_121:                             ;   in Loop: Header=BB66_118 Depth=2
	v_add_nc_u32_e32 v6, s49, v6
	v_add_nc_u32_e32 v1, s73, v1
	s_mov_b32 s27, 0
	s_delay_alu instid0(VALU_DEP_2)
	v_cmp_le_i32_e32 vcc_lo, s82, v6
	s_or_not1_b32 s26, vcc_lo, exec_lo
	s_branch .LBB66_117
.LBB66_122:                             ;   in Loop: Header=BB66_7 Depth=1
	s_or_b32 exec_lo, exec_lo, s22
	v_lshrrev_b32_e32 v32, 16, v2
	s_wait_alu 0xfffe
	s_and_b32 s22, s25, exec_lo
.LBB66_123:                             ;   in Loop: Header=BB66_7 Depth=1
	s_wait_alu 0xfffe
	s_or_b32 exec_lo, exec_lo, s24
.LBB66_124:                             ;   in Loop: Header=BB66_7 Depth=1
	s_wait_alu 0xfffe
	s_and_b32 vcc_lo, exec_lo, s23
	s_wait_alu 0xfffe
	s_cbranch_vccz .LBB66_135
; %bb.125:                              ;   in Loop: Header=BB66_7 Depth=1
	s_add_co_i32 s23, s21, s56
                                        ; implicit-def: $vgpr32
	s_wait_alu 0xfffe
	s_abs_i32 s58, s23
	s_wait_alu 0xfffe
	s_mul_u64 s[14:15], s[58:59], s[64:65]
	s_wait_alu 0xfffe
	s_mul_i32 s14, s15, s49
	s_ashr_i32 s15, s23, 31
	s_wait_alu 0xfffe
	s_sub_co_i32 s14, s58, s14
	s_wait_alu 0xfffe
	s_sub_co_i32 s24, s14, s49
	s_cmp_ge_u32 s14, s49
	s_wait_alu 0xfffe
	s_cselect_b32 s14, s24, s14
	s_wait_alu 0xfffe
	s_sub_co_i32 s24, s14, s49
	s_cmp_ge_u32 s14, s49
	s_wait_alu 0xfffe
	s_cselect_b32 s14, s24, s14
	s_wait_alu 0xfffe
	s_xor_b32 s14, s14, s15
	s_wait_alu 0xfffe
	s_sub_co_i32 s14, s15, s14
	s_wait_alu 0xfffe
	s_add_co_i32 s15, s23, s14
	s_mov_b32 s14, exec_lo
	s_wait_alu 0xfffe
	v_cmpx_gt_i32_e64 s15, v0
	s_cbranch_execz .LBB66_134
; %bb.126:                              ;   in Loop: Header=BB66_7 Depth=1
	v_dual_mov_b32 v1, v17 :: v_dual_mov_b32 v2, v0
	s_mov_b32 s23, 0
                                        ; implicit-def: $sgpr24
	s_branch .LBB66_129
.LBB66_127:                             ;   in Loop: Header=BB66_129 Depth=2
	s_wait_alu 0xfffe
	s_or_b32 exec_lo, exec_lo, s25
	s_wait_loadcnt_dscnt 0x0
	s_barrier_signal -1
	s_barrier_wait -1
	global_inv scope:SCOPE_SE
	ds_load_b32 v6, v7 offset:3072
	s_mov_b32 s25, -1
	s_mov_b32 s26, -1
	s_wait_loadcnt_dscnt 0x0
	s_barrier_signal -1
	s_barrier_wait -1
	global_inv scope:SCOPE_SE
	v_and_b32_e32 v13, 0x7fff, v6
	s_delay_alu instid0(VALU_DEP_1)
	v_cmp_eq_u32_e32 vcc_lo, 0, v13
	s_cbranch_vccnz .LBB66_132
.LBB66_128:                             ;   in Loop: Header=BB66_129 Depth=2
	s_wait_alu 0xfffe
	s_and_b32 s25, exec_lo, s25
	s_wait_alu 0xfffe
	s_or_b32 s23, s25, s23
	s_and_not1_b32 s24, s24, exec_lo
	s_and_b32 s25, s26, exec_lo
	s_wait_alu 0xfffe
	s_or_b32 s24, s24, s25
	s_and_not1_b32 exec_lo, exec_lo, s23
	s_cbranch_execz .LBB66_133
.LBB66_129:                             ;   Parent Loop BB66_7 Depth=1
                                        ; =>  This Inner Loop Header: Depth=2
	s_mov_b32 s25, exec_lo
	s_delay_alu instid0(VALU_DEP_1)
	v_cmpx_gt_i32_e64 s21, v2
	s_cbranch_execz .LBB66_127
; %bb.130:                              ;   in Loop: Header=BB66_129 Depth=2
	ds_load_u16 v6, v1
	s_wait_dscnt 0x0
	v_cmp_lt_i16_e32 vcc_lo, -1, v6
	s_wait_alu 0xfffd
	v_dual_cndmask_b32 v14, 0xffff, v29 :: v_dual_and_b32 v13, 0xffff, v6
	s_delay_alu instid0(VALU_DEP_1) | instskip(SKIP_1) | instid1(VALU_DEP_1)
	v_xor_b32_e32 v13, v14, v13
	v_lshlrev_b32_e32 v32, 16, v6
	v_cmp_o_f32_e32 vcc_lo, v32, v32
	s_wait_alu 0xfffd
	s_delay_alu instid0(VALU_DEP_3) | instskip(NEXT) | instid1(VALU_DEP_1)
	v_cndmask_b32_e32 v13, 0xffff, v13, vcc_lo
	v_and_b32_e32 v13, v13, v31
	s_delay_alu instid0(VALU_DEP_1)
	v_cmp_eq_u32_e32 vcc_lo, v13, v22
	s_and_b32 exec_lo, exec_lo, vcc_lo
	s_cbranch_execz .LBB66_127
; %bb.131:                              ;   in Loop: Header=BB66_129 Depth=2
	v_perm_b32 v6, v6, s86, 0x5040100
	ds_store_b32 v7, v6 offset:3072
	s_branch .LBB66_127
.LBB66_132:                             ;   in Loop: Header=BB66_129 Depth=2
	v_add_nc_u32_e32 v2, s49, v2
	v_add_nc_u32_e32 v1, s85, v1
	s_mov_b32 s26, 0
	s_delay_alu instid0(VALU_DEP_2)
	v_cmp_le_i32_e32 vcc_lo, s15, v2
	s_or_not1_b32 s25, vcc_lo, exec_lo
	s_branch .LBB66_128
.LBB66_133:                             ;   in Loop: Header=BB66_7 Depth=1
	s_or_b32 exec_lo, exec_lo, s23
	v_lshrrev_b32_e32 v32, 16, v6
	s_and_not1_b32 s15, s22, exec_lo
	s_wait_alu 0xfffe
	s_and_b32 s21, s24, exec_lo
	s_wait_alu 0xfffe
	s_or_b32 s22, s15, s21
.LBB66_134:                             ;   in Loop: Header=BB66_7 Depth=1
	s_or_b32 exec_lo, exec_lo, s14
	s_mov_b32 s14, 0
	s_mov_b32 s15, -1
.LBB66_135:                             ;   in Loop: Header=BB66_7 Depth=1
	s_wait_alu 0xfffe
	s_or_not1_b32 s21, s22, exec_lo
.LBB66_136:                             ;   in Loop: Header=BB66_7 Depth=1
	s_wait_alu 0xfffe
	s_or_b32 exec_lo, exec_lo, s18
	s_mov_b32 s22, 0
	s_and_saveexec_b32 s18, s21
	s_cbranch_execz .LBB66_225
; %bb.137:                              ;   in Loop: Header=BB66_7 Depth=1
	v_dual_mov_b32 v6, 1 :: v_dual_mov_b32 v3, 1
	s_xor_b32 s21, s20, -1
	s_mov_b32 s23, 0
	s_wait_alu 0xfffe
	s_and_saveexec_b32 s20, s21
	s_cbranch_execz .LBB66_146
; %bb.138:                              ;   in Loop: Header=BB66_7 Depth=1
	s_mov_b32 s21, exec_lo
	v_cmpx_ge_i32_e64 s19, v4
	s_wait_alu 0xfffe
	s_xor_b32 s21, exec_lo, s21
	s_cbranch_execz .LBB66_143
; %bb.139:                              ;   in Loop: Header=BB66_7 Depth=1
	ds_load_b32 v1, v7 offset:4096
	s_lshl_b32 s22, 1, s93
	v_or_b32_e32 v31, s10, v31
	s_wait_alu 0xfffe
	v_and_or_b32 v22, v22, s17, s22
	s_wait_dscnt 0x0
	v_cmp_ne_u32_e32 vcc_lo, 0, v1
	s_cbranch_vccnz .LBB66_143
; %bb.140:                              ;   in Loop: Header=BB66_7 Depth=1
	s_and_saveexec_b32 s22, s2
; %bb.141:                              ;   in Loop: Header=BB66_7 Depth=1
	v_mov_b32_e32 v1, s19
	ds_store_b32 v7, v1 offset:4100
; %bb.142:                              ;   in Loop: Header=BB66_7 Depth=1
	s_wait_alu 0xfffe
	s_or_b32 exec_lo, exec_lo, s22
	s_wait_loadcnt_dscnt 0x0
	s_barrier_signal -1
	s_barrier_wait -1
	global_inv scope:SCOPE_SE
.LBB66_143:                             ;   in Loop: Header=BB66_7 Depth=1
	s_wait_alu 0xfffe
	s_or_saveexec_b32 s21, s21
	v_mov_b32_e32 v3, 8
	s_mov_b32 s22, 0
	s_wait_alu 0xfffe
	s_xor_b32 exec_lo, exec_lo, s21
; %bb.144:                              ;   in Loop: Header=BB66_7 Depth=1
	v_subrev_nc_u32_e32 v4, s19, v4
	v_mov_b32_e32 v3, 0
	s_mov_b32 s22, exec_lo
; %bb.145:                              ;   in Loop: Header=BB66_7 Depth=1
	s_or_b32 exec_lo, exec_lo, s21
	s_delay_alu instid0(VALU_DEP_2)
	v_mov_b32_e32 v6, v4
	s_wait_alu 0xfffe
	s_and_b32 s23, s22, exec_lo
.LBB66_146:                             ;   in Loop: Header=BB66_7 Depth=1
	s_wait_alu 0xfffe
	s_or_b32 exec_lo, exec_lo, s20
	s_mov_b32 s22, -1
                                        ; implicit-def: $sgpr20
                                        ; implicit-def: $sgpr21
	s_and_saveexec_b32 s19, s23
	s_cbranch_execz .LBB66_224
; %bb.147:                              ;   in Loop: Header=BB66_7 Depth=1
	v_cmp_eq_u32_e32 vcc_lo, 1, v6
	s_cmp_eq_u32 s16, 1
	s_mov_b32 s24, -1
	s_cselect_b32 s20, -1, 0
                                        ; implicit-def: $sgpr21
	s_wait_alu 0xfffe
	s_and_b32 s23, s20, vcc_lo
                                        ; implicit-def: $sgpr20
	s_wait_alu 0xfffe
	s_and_saveexec_b32 s22, s23
	s_cbranch_execz .LBB66_173
; %bb.148:                              ;   in Loop: Header=BB66_7 Depth=1
	ds_load_b32 v1, v7 offset:4096
	s_wait_loadcnt_dscnt 0x0
	s_barrier_signal -1
	s_barrier_wait -1
	global_inv scope:SCOPE_SE
	v_readfirstlane_b32 s24, v1
	s_and_saveexec_b32 s20, s1
; %bb.149:                              ;   in Loop: Header=BB66_7 Depth=1
	ds_store_b16 v18, v7
; %bb.150:                              ;   in Loop: Header=BB66_7 Depth=1
	s_wait_alu 0xfffe
	s_or_b32 exec_lo, exec_lo, s20
	s_lshl_b32 s20, 2, s93
	v_or_b32_e32 v31, s10, v31
	s_wait_alu 0xfffe
	v_and_or_b32 v22, v22, s17, s20
	s_mov_b32 s20, -1
	s_mov_b32 s21, 0
	s_cmp_gt_i32 s24, 0
	s_mov_b32 s25, 0
	s_mov_b32 s26, -1
	s_wait_loadcnt_dscnt 0x0
	s_barrier_signal -1
	s_barrier_wait -1
	global_inv scope:SCOPE_SE
                                        ; implicit-def: $vgpr32
	s_cbranch_scc1 .LBB66_161
; %bb.151:                              ;   in Loop: Header=BB66_7 Depth=1
	s_mov_b32 s26, 0
                                        ; implicit-def: $vgpr32
	s_and_saveexec_b32 s27, s8
	s_cbranch_execz .LBB66_160
; %bb.152:                              ;   in Loop: Header=BB66_7 Depth=1
	v_dual_mov_b32 v1, v5 :: v_dual_mov_b32 v4, v0
                                        ; implicit-def: $sgpr28
	s_branch .LBB66_155
.LBB66_153:                             ;   in Loop: Header=BB66_155 Depth=2
	s_wait_alu 0xfffe
	s_or_b32 exec_lo, exec_lo, s58
	s_wait_loadcnt_dscnt 0x0
	s_barrier_signal -1
	s_barrier_wait -1
	global_inv scope:SCOPE_SE
	ds_load_b32 v2, v7 offset:3072
	s_mov_b32 s58, -1
	s_mov_b32 s94, -1
	s_wait_loadcnt_dscnt 0x0
	s_barrier_signal -1
	s_barrier_wait -1
	global_inv scope:SCOPE_SE
	v_and_b32_e32 v13, 0x7fff, v2
	s_delay_alu instid0(VALU_DEP_1)
	v_cmp_ne_u32_e32 vcc_lo, 0, v13
	s_cbranch_vccz .LBB66_158
.LBB66_154:                             ;   in Loop: Header=BB66_155 Depth=2
	s_wait_alu 0xfffe
	s_and_b32 s58, exec_lo, s58
	s_wait_alu 0xfffe
	s_or_b32 s25, s58, s25
	s_and_not1_b32 s28, s28, exec_lo
	s_and_b32 s58, s94, exec_lo
	s_wait_alu 0xfffe
	s_or_b32 s28, s28, s58
	s_and_not1_b32 exec_lo, exec_lo, s25
	s_cbranch_execz .LBB66_159
.LBB66_155:                             ;   Parent Loop BB66_7 Depth=1
                                        ; =>  This Inner Loop Header: Depth=2
	s_mov_b32 s58, exec_lo
	s_delay_alu instid0(VALU_DEP_1)
	v_cmpx_gt_i32_e64 s36, v4
	s_cbranch_execz .LBB66_153
; %bb.156:                              ;   in Loop: Header=BB66_155 Depth=2
	v_ashrrev_i32_e32 v2, 31, v1
	s_delay_alu instid0(VALU_DEP_1) | instskip(NEXT) | instid1(VALU_DEP_1)
	v_lshlrev_b64_e32 v[13:14], 1, v[1:2]
	v_add_co_u32 v13, vcc_lo, s60, v13
	s_wait_alu 0xfffd
	s_delay_alu instid0(VALU_DEP_2)
	v_add_co_ci_u32_e64 v14, null, s61, v14, vcc_lo
	global_load_u16 v2, v[13:14], off
	s_wait_loadcnt 0x0
	v_cmp_lt_i16_e32 vcc_lo, -1, v2
	s_wait_alu 0xfffd
	v_dual_cndmask_b32 v14, 0xffff, v29 :: v_dual_and_b32 v13, 0xffff, v2
	s_delay_alu instid0(VALU_DEP_1) | instskip(SKIP_1) | instid1(VALU_DEP_1)
	v_xor_b32_e32 v13, v14, v13
	v_lshlrev_b32_e32 v32, 16, v2
	v_cmp_o_f32_e32 vcc_lo, v32, v32
	s_wait_alu 0xfffd
	s_delay_alu instid0(VALU_DEP_3) | instskip(NEXT) | instid1(VALU_DEP_1)
	v_cndmask_b32_e32 v13, 0xffff, v13, vcc_lo
	v_and_b32_e32 v13, v13, v31
	s_delay_alu instid0(VALU_DEP_1)
	v_cmp_eq_u32_e32 vcc_lo, v13, v22
	s_and_b32 exec_lo, exec_lo, vcc_lo
	s_cbranch_execz .LBB66_153
; %bb.157:                              ;   in Loop: Header=BB66_155 Depth=2
	v_perm_b32 v2, v2, s86, 0x5040100
	ds_store_b32 v7, v2 offset:3072
	s_branch .LBB66_153
.LBB66_158:                             ;   in Loop: Header=BB66_155 Depth=2
	v_add_nc_u32_e32 v4, s49, v4
	v_add_nc_u32_e32 v1, s73, v1
	s_mov_b32 s94, 0
	s_delay_alu instid0(VALU_DEP_2)
	v_cmp_le_i32_e32 vcc_lo, s82, v4
	s_or_not1_b32 s58, vcc_lo, exec_lo
	s_branch .LBB66_154
.LBB66_159:                             ;   in Loop: Header=BB66_7 Depth=1
	s_or_b32 exec_lo, exec_lo, s25
	v_lshrrev_b32_e32 v32, 16, v2
	s_wait_alu 0xfffe
	s_and_b32 s25, s28, exec_lo
.LBB66_160:                             ;   in Loop: Header=BB66_7 Depth=1
	s_wait_alu 0xfffe
	s_or_b32 exec_lo, exec_lo, s27
.LBB66_161:                             ;   in Loop: Header=BB66_7 Depth=1
	s_wait_alu 0xfffe
	s_and_b32 vcc_lo, exec_lo, s26
	s_wait_alu 0xfffe
	s_cbranch_vccz .LBB66_172
; %bb.162:                              ;   in Loop: Header=BB66_7 Depth=1
	s_add_co_i32 s26, s24, s56
                                        ; implicit-def: $vgpr32
	s_wait_alu 0xfffe
	s_abs_i32 s58, s26
	s_wait_alu 0xfffe
	s_mul_u64 s[20:21], s[58:59], s[64:65]
	s_wait_alu 0xfffe
	s_mul_i32 s20, s21, s49
	s_ashr_i32 s21, s26, 31
	s_wait_alu 0xfffe
	s_sub_co_i32 s20, s58, s20
	s_wait_alu 0xfffe
	s_sub_co_i32 s27, s20, s49
	s_cmp_ge_u32 s20, s49
	s_wait_alu 0xfffe
	s_cselect_b32 s20, s27, s20
	s_wait_alu 0xfffe
	s_sub_co_i32 s27, s20, s49
	s_cmp_ge_u32 s20, s49
	s_wait_alu 0xfffe
	s_cselect_b32 s20, s27, s20
	s_wait_alu 0xfffe
	s_xor_b32 s20, s20, s21
	s_wait_alu 0xfffe
	s_sub_co_i32 s20, s21, s20
	s_wait_alu 0xfffe
	s_add_co_i32 s21, s26, s20
	s_mov_b32 s20, exec_lo
	s_wait_alu 0xfffe
	v_cmpx_gt_i32_e64 s21, v0
	s_cbranch_execz .LBB66_171
; %bb.163:                              ;   in Loop: Header=BB66_7 Depth=1
	v_dual_mov_b32 v1, v17 :: v_dual_mov_b32 v2, v0
	s_mov_b32 s26, 0
                                        ; implicit-def: $sgpr27
	s_branch .LBB66_166
.LBB66_164:                             ;   in Loop: Header=BB66_166 Depth=2
	s_wait_alu 0xfffe
	s_or_b32 exec_lo, exec_lo, s28
	s_wait_loadcnt_dscnt 0x0
	s_barrier_signal -1
	s_barrier_wait -1
	global_inv scope:SCOPE_SE
	ds_load_b32 v4, v7 offset:3072
	s_mov_b32 s28, -1
	s_mov_b32 s58, -1
	s_wait_loadcnt_dscnt 0x0
	s_barrier_signal -1
	s_barrier_wait -1
	global_inv scope:SCOPE_SE
	v_and_b32_e32 v13, 0x7fff, v4
	s_delay_alu instid0(VALU_DEP_1)
	v_cmp_eq_u32_e32 vcc_lo, 0, v13
	s_cbranch_vccnz .LBB66_169
.LBB66_165:                             ;   in Loop: Header=BB66_166 Depth=2
	s_wait_alu 0xfffe
	s_and_b32 s28, exec_lo, s28
	s_wait_alu 0xfffe
	s_or_b32 s26, s28, s26
	s_and_not1_b32 s27, s27, exec_lo
	s_and_b32 s28, s58, exec_lo
	s_wait_alu 0xfffe
	s_or_b32 s27, s27, s28
	s_and_not1_b32 exec_lo, exec_lo, s26
	s_cbranch_execz .LBB66_170
.LBB66_166:                             ;   Parent Loop BB66_7 Depth=1
                                        ; =>  This Inner Loop Header: Depth=2
	s_mov_b32 s28, exec_lo
	s_delay_alu instid0(VALU_DEP_1)
	v_cmpx_gt_i32_e64 s24, v2
	s_cbranch_execz .LBB66_164
; %bb.167:                              ;   in Loop: Header=BB66_166 Depth=2
	ds_load_u16 v4, v1
	s_wait_dscnt 0x0
	v_cmp_lt_i16_e32 vcc_lo, -1, v4
	s_wait_alu 0xfffd
	v_dual_cndmask_b32 v14, 0xffff, v29 :: v_dual_and_b32 v13, 0xffff, v4
	s_delay_alu instid0(VALU_DEP_1) | instskip(SKIP_1) | instid1(VALU_DEP_1)
	v_xor_b32_e32 v13, v14, v13
	v_lshlrev_b32_e32 v32, 16, v4
	v_cmp_o_f32_e32 vcc_lo, v32, v32
	s_wait_alu 0xfffd
	s_delay_alu instid0(VALU_DEP_3) | instskip(NEXT) | instid1(VALU_DEP_1)
	v_cndmask_b32_e32 v13, 0xffff, v13, vcc_lo
	v_and_b32_e32 v13, v13, v31
	s_delay_alu instid0(VALU_DEP_1)
	v_cmp_eq_u32_e32 vcc_lo, v13, v22
	s_and_b32 exec_lo, exec_lo, vcc_lo
	s_cbranch_execz .LBB66_164
; %bb.168:                              ;   in Loop: Header=BB66_166 Depth=2
	v_perm_b32 v4, v4, s86, 0x5040100
	ds_store_b32 v7, v4 offset:3072
	s_branch .LBB66_164
.LBB66_169:                             ;   in Loop: Header=BB66_166 Depth=2
	v_add_nc_u32_e32 v2, s49, v2
	v_add_nc_u32_e32 v1, s85, v1
	s_mov_b32 s58, 0
	s_delay_alu instid0(VALU_DEP_2)
	v_cmp_le_i32_e32 vcc_lo, s21, v2
	s_or_not1_b32 s28, vcc_lo, exec_lo
	s_branch .LBB66_165
.LBB66_170:                             ;   in Loop: Header=BB66_7 Depth=1
	s_or_b32 exec_lo, exec_lo, s26
	v_lshrrev_b32_e32 v32, 16, v4
	s_and_not1_b32 s21, s25, exec_lo
	s_wait_alu 0xfffe
	s_and_b32 s24, s27, exec_lo
	s_wait_alu 0xfffe
	s_or_b32 s25, s21, s24
.LBB66_171:                             ;   in Loop: Header=BB66_7 Depth=1
	s_or_b32 exec_lo, exec_lo, s20
	s_mov_b32 s20, 0
	s_mov_b32 s21, -1
.LBB66_172:                             ;   in Loop: Header=BB66_7 Depth=1
	s_wait_alu 0xfffe
	s_or_not1_b32 s24, s25, exec_lo
.LBB66_173:                             ;   in Loop: Header=BB66_7 Depth=1
	s_wait_alu 0xfffe
	s_or_b32 exec_lo, exec_lo, s22
	s_mov_b32 s25, 0
	s_and_saveexec_b32 s22, s24
	s_cbranch_execz .LBB66_223
; %bb.174:                              ;   in Loop: Header=BB66_7 Depth=1
	v_dual_mov_b32 v4, 1 :: v_dual_mov_b32 v3, 1
	s_xor_b32 s24, s23, -1
	s_wait_alu 0xfffe
	s_and_saveexec_b32 s23, s24
	s_cbranch_execz .LBB66_183
; %bb.175:                              ;   in Loop: Header=BB66_7 Depth=1
	s_mov_b32 s24, exec_lo
	v_cmpx_ge_i32_e64 s16, v6
	s_wait_alu 0xfffe
	s_xor_b32 s24, exec_lo, s24
	s_cbranch_execz .LBB66_180
; %bb.176:                              ;   in Loop: Header=BB66_7 Depth=1
	ds_load_b32 v1, v7 offset:4096
	s_lshl_b32 s25, 2, s93
	v_or_b32_e32 v31, s10, v31
	s_wait_alu 0xfffe
	v_and_or_b32 v22, v22, s17, s25
	s_wait_dscnt 0x0
	v_cmp_ne_u32_e32 vcc_lo, 0, v1
	s_cbranch_vccnz .LBB66_180
; %bb.177:                              ;   in Loop: Header=BB66_7 Depth=1
	s_and_saveexec_b32 s17, s2
; %bb.178:                              ;   in Loop: Header=BB66_7 Depth=1
	v_mov_b32_e32 v1, s16
	ds_store_b32 v7, v1 offset:4100
; %bb.179:                              ;   in Loop: Header=BB66_7 Depth=1
	s_wait_alu 0xfffe
	s_or_b32 exec_lo, exec_lo, s17
	s_wait_loadcnt_dscnt 0x0
	s_barrier_signal -1
	s_barrier_wait -1
	global_inv scope:SCOPE_SE
.LBB66_180:                             ;   in Loop: Header=BB66_7 Depth=1
	s_wait_alu 0xfffe
	s_or_saveexec_b32 s17, s24
	v_mov_b32_e32 v3, 8
	s_mov_b32 s24, 0
	s_wait_alu 0xfffe
	s_xor_b32 exec_lo, exec_lo, s17
; %bb.181:                              ;   in Loop: Header=BB66_7 Depth=1
	v_subrev_nc_u32_e32 v6, s16, v6
	v_mov_b32_e32 v3, 0
	s_mov_b32 s24, exec_lo
; %bb.182:                              ;   in Loop: Header=BB66_7 Depth=1
	s_or_b32 exec_lo, exec_lo, s17
	s_delay_alu instid0(VALU_DEP_2)
	v_mov_b32_e32 v4, v6
	s_wait_alu 0xfffe
	s_and_b32 s25, s24, exec_lo
.LBB66_183:                             ;   in Loop: Header=BB66_7 Depth=1
	s_wait_alu 0xfffe
	s_or_b32 exec_lo, exec_lo, s23
	s_mov_b32 s17, -1
                                        ; implicit-def: $sgpr24
                                        ; implicit-def: $sgpr23
	s_and_saveexec_b32 s16, s25
	s_cbranch_execz .LBB66_222
; %bb.184:                              ;   in Loop: Header=BB66_7 Depth=1
	v_cmp_eq_u32_e32 vcc_lo, 1, v4
	s_cmp_eq_u32 s9, 1
	s_mov_b32 s26, -1
	s_cselect_b32 s17, -1, 0
                                        ; implicit-def: $sgpr24
                                        ; implicit-def: $sgpr23
	s_wait_alu 0xfffe
	s_and_b32 s17, s17, vcc_lo
	s_wait_alu 0xfffe
	s_and_saveexec_b32 s25, s17
	s_cbranch_execz .LBB66_210
; %bb.185:                              ;   in Loop: Header=BB66_7 Depth=1
	ds_load_b32 v1, v7 offset:4096
	s_wait_loadcnt_dscnt 0x0
	s_barrier_signal -1
	s_barrier_wait -1
	global_inv scope:SCOPE_SE
	v_readfirstlane_b32 s26, v1
	s_and_saveexec_b32 s23, s1
; %bb.186:                              ;   in Loop: Header=BB66_7 Depth=1
	ds_store_b16 v18, v7
; %bb.187:                              ;   in Loop: Header=BB66_7 Depth=1
	s_wait_alu 0xfffe
	s_or_b32 exec_lo, exec_lo, s23
	v_or_b32_e32 v22, s10, v22
	v_or_b32_e32 v31, s10, v31
	s_mov_b32 s23, -1
	s_mov_b32 s24, 0
	s_cmp_gt_i32 s26, 0
	s_mov_b32 s27, 0
	s_mov_b32 s28, -1
	s_wait_loadcnt_dscnt 0x0
	s_barrier_signal -1
	s_barrier_wait -1
	global_inv scope:SCOPE_SE
                                        ; implicit-def: $vgpr32
	s_cbranch_scc1 .LBB66_198
; %bb.188:                              ;   in Loop: Header=BB66_7 Depth=1
	s_mov_b32 s28, 0
                                        ; implicit-def: $vgpr32
	s_and_saveexec_b32 s58, s8
	s_cbranch_execz .LBB66_197
; %bb.189:                              ;   in Loop: Header=BB66_7 Depth=1
	v_dual_mov_b32 v1, v5 :: v_dual_mov_b32 v6, v0
                                        ; implicit-def: $sgpr94
	s_branch .LBB66_192
.LBB66_190:                             ;   in Loop: Header=BB66_192 Depth=2
	s_wait_alu 0xfffe
	s_or_b32 exec_lo, exec_lo, s95
	s_wait_loadcnt_dscnt 0x0
	s_barrier_signal -1
	s_barrier_wait -1
	global_inv scope:SCOPE_SE
	ds_load_b32 v2, v7 offset:3072
	s_mov_b32 s95, -1
	s_mov_b32 s96, -1
	s_wait_loadcnt_dscnt 0x0
	s_barrier_signal -1
	s_barrier_wait -1
	global_inv scope:SCOPE_SE
	v_and_b32_e32 v13, 0x7fff, v2
	s_delay_alu instid0(VALU_DEP_1)
	v_cmp_ne_u32_e32 vcc_lo, 0, v13
	s_cbranch_vccz .LBB66_195
.LBB66_191:                             ;   in Loop: Header=BB66_192 Depth=2
	s_wait_alu 0xfffe
	s_and_b32 s95, exec_lo, s95
	s_wait_alu 0xfffe
	s_or_b32 s27, s95, s27
	s_and_not1_b32 s94, s94, exec_lo
	s_and_b32 s95, s96, exec_lo
	s_wait_alu 0xfffe
	s_or_b32 s94, s94, s95
	s_and_not1_b32 exec_lo, exec_lo, s27
	s_cbranch_execz .LBB66_196
.LBB66_192:                             ;   Parent Loop BB66_7 Depth=1
                                        ; =>  This Inner Loop Header: Depth=2
	s_mov_b32 s95, exec_lo
	s_delay_alu instid0(VALU_DEP_1)
	v_cmpx_gt_i32_e64 s36, v6
	s_cbranch_execz .LBB66_190
; %bb.193:                              ;   in Loop: Header=BB66_192 Depth=2
	v_ashrrev_i32_e32 v2, 31, v1
	s_delay_alu instid0(VALU_DEP_1) | instskip(NEXT) | instid1(VALU_DEP_1)
	v_lshlrev_b64_e32 v[13:14], 1, v[1:2]
	v_add_co_u32 v13, vcc_lo, s60, v13
	s_wait_alu 0xfffd
	s_delay_alu instid0(VALU_DEP_2)
	v_add_co_ci_u32_e64 v14, null, s61, v14, vcc_lo
	global_load_u16 v2, v[13:14], off
	s_wait_loadcnt 0x0
	v_cmp_lt_i16_e32 vcc_lo, -1, v2
	s_wait_alu 0xfffd
	v_dual_cndmask_b32 v14, 0xffff, v29 :: v_dual_and_b32 v13, 0xffff, v2
	s_delay_alu instid0(VALU_DEP_1) | instskip(SKIP_1) | instid1(VALU_DEP_1)
	v_xor_b32_e32 v13, v14, v13
	v_lshlrev_b32_e32 v32, 16, v2
	v_cmp_o_f32_e32 vcc_lo, v32, v32
	s_wait_alu 0xfffd
	s_delay_alu instid0(VALU_DEP_3) | instskip(NEXT) | instid1(VALU_DEP_1)
	v_cndmask_b32_e32 v13, 0xffff, v13, vcc_lo
	v_and_b32_e32 v13, v13, v31
	s_delay_alu instid0(VALU_DEP_1)
	v_cmp_eq_u32_e32 vcc_lo, v13, v22
	s_and_b32 exec_lo, exec_lo, vcc_lo
	s_cbranch_execz .LBB66_190
; %bb.194:                              ;   in Loop: Header=BB66_192 Depth=2
	v_perm_b32 v2, v2, s86, 0x5040100
	ds_store_b32 v7, v2 offset:3072
	s_branch .LBB66_190
.LBB66_195:                             ;   in Loop: Header=BB66_192 Depth=2
	v_add_nc_u32_e32 v6, s49, v6
	v_add_nc_u32_e32 v1, s73, v1
	s_mov_b32 s96, 0
	s_delay_alu instid0(VALU_DEP_2)
	v_cmp_le_i32_e32 vcc_lo, s82, v6
	s_or_not1_b32 s95, vcc_lo, exec_lo
	s_branch .LBB66_191
.LBB66_196:                             ;   in Loop: Header=BB66_7 Depth=1
	s_or_b32 exec_lo, exec_lo, s27
	v_lshrrev_b32_e32 v32, 16, v2
	s_wait_alu 0xfffe
	s_and_b32 s27, s94, exec_lo
.LBB66_197:                             ;   in Loop: Header=BB66_7 Depth=1
	s_wait_alu 0xfffe
	s_or_b32 exec_lo, exec_lo, s58
.LBB66_198:                             ;   in Loop: Header=BB66_7 Depth=1
	s_wait_alu 0xfffe
	s_and_b32 vcc_lo, exec_lo, s28
	s_wait_alu 0xfffe
	s_cbranch_vccz .LBB66_209
; %bb.199:                              ;   in Loop: Header=BB66_7 Depth=1
	s_add_co_i32 s24, s26, s56
                                        ; implicit-def: $vgpr32
	s_wait_alu 0xfffe
	s_abs_i32 s58, s24
	s_ashr_i32 s28, s24, 31
	s_wait_alu 0xfffe
	s_mul_u64 s[94:95], s[58:59], s[64:65]
	s_wait_alu 0xfffe
	s_mul_i32 s23, s95, s49
	s_wait_alu 0xfffe
	s_sub_co_i32 s23, s58, s23
	s_wait_alu 0xfffe
	s_sub_co_i32 s58, s23, s49
	s_cmp_ge_u32 s23, s49
	s_wait_alu 0xfffe
	s_cselect_b32 s23, s58, s23
	s_wait_alu 0xfffe
	s_sub_co_i32 s58, s23, s49
	s_cmp_ge_u32 s23, s49
	s_wait_alu 0xfffe
	s_cselect_b32 s23, s58, s23
	s_wait_alu 0xfffe
	s_xor_b32 s23, s23, s28
	s_wait_alu 0xfffe
	s_sub_co_i32 s23, s28, s23
	s_wait_alu 0xfffe
	s_add_co_i32 s24, s24, s23
	s_mov_b32 s23, exec_lo
	s_wait_alu 0xfffe
	v_cmpx_gt_i32_e64 s24, v0
	s_cbranch_execz .LBB66_208
; %bb.200:                              ;   in Loop: Header=BB66_7 Depth=1
	v_dual_mov_b32 v1, v17 :: v_dual_mov_b32 v2, v0
	s_mov_b32 s28, 0
                                        ; implicit-def: $sgpr58
	s_branch .LBB66_203
.LBB66_201:                             ;   in Loop: Header=BB66_203 Depth=2
	s_wait_alu 0xfffe
	s_or_b32 exec_lo, exec_lo, s94
	s_wait_loadcnt_dscnt 0x0
	s_barrier_signal -1
	s_barrier_wait -1
	global_inv scope:SCOPE_SE
	ds_load_b32 v6, v7 offset:3072
	s_mov_b32 s94, -1
	s_mov_b32 s95, -1
	s_wait_loadcnt_dscnt 0x0
	s_barrier_signal -1
	s_barrier_wait -1
	global_inv scope:SCOPE_SE
	v_and_b32_e32 v13, 0x7fff, v6
	s_delay_alu instid0(VALU_DEP_1)
	v_cmp_eq_u32_e32 vcc_lo, 0, v13
	s_cbranch_vccnz .LBB66_206
.LBB66_202:                             ;   in Loop: Header=BB66_203 Depth=2
	s_wait_alu 0xfffe
	s_and_b32 s94, exec_lo, s94
	s_wait_alu 0xfffe
	s_or_b32 s28, s94, s28
	s_and_not1_b32 s58, s58, exec_lo
	s_and_b32 s94, s95, exec_lo
	s_wait_alu 0xfffe
	s_or_b32 s58, s58, s94
	s_and_not1_b32 exec_lo, exec_lo, s28
	s_cbranch_execz .LBB66_207
.LBB66_203:                             ;   Parent Loop BB66_7 Depth=1
                                        ; =>  This Inner Loop Header: Depth=2
	s_mov_b32 s94, exec_lo
	s_delay_alu instid0(VALU_DEP_1)
	v_cmpx_gt_i32_e64 s26, v2
	s_cbranch_execz .LBB66_201
; %bb.204:                              ;   in Loop: Header=BB66_203 Depth=2
	ds_load_u16 v6, v1
	s_wait_dscnt 0x0
	v_cmp_lt_i16_e32 vcc_lo, -1, v6
	s_wait_alu 0xfffd
	v_dual_cndmask_b32 v14, 0xffff, v29 :: v_dual_and_b32 v13, 0xffff, v6
	s_delay_alu instid0(VALU_DEP_1) | instskip(SKIP_1) | instid1(VALU_DEP_1)
	v_xor_b32_e32 v13, v14, v13
	v_lshlrev_b32_e32 v32, 16, v6
	v_cmp_o_f32_e32 vcc_lo, v32, v32
	s_wait_alu 0xfffd
	s_delay_alu instid0(VALU_DEP_3) | instskip(NEXT) | instid1(VALU_DEP_1)
	v_cndmask_b32_e32 v13, 0xffff, v13, vcc_lo
	v_and_b32_e32 v13, v13, v31
	s_delay_alu instid0(VALU_DEP_1)
	v_cmp_eq_u32_e32 vcc_lo, v13, v22
	s_and_b32 exec_lo, exec_lo, vcc_lo
	s_cbranch_execz .LBB66_201
; %bb.205:                              ;   in Loop: Header=BB66_203 Depth=2
	v_perm_b32 v6, v6, s86, 0x5040100
	ds_store_b32 v7, v6 offset:3072
	s_branch .LBB66_201
.LBB66_206:                             ;   in Loop: Header=BB66_203 Depth=2
	v_add_nc_u32_e32 v2, s49, v2
	v_add_nc_u32_e32 v1, s85, v1
	s_mov_b32 s95, 0
	s_delay_alu instid0(VALU_DEP_2)
	v_cmp_le_i32_e32 vcc_lo, s24, v2
	s_or_not1_b32 s94, vcc_lo, exec_lo
	s_branch .LBB66_202
.LBB66_207:                             ;   in Loop: Header=BB66_7 Depth=1
	s_or_b32 exec_lo, exec_lo, s28
	v_lshrrev_b32_e32 v32, 16, v6
	s_and_not1_b32 s24, s27, exec_lo
	s_wait_alu 0xfffe
	s_and_b32 s26, s58, exec_lo
	s_wait_alu 0xfffe
	s_or_b32 s27, s24, s26
.LBB66_208:                             ;   in Loop: Header=BB66_7 Depth=1
	s_or_b32 exec_lo, exec_lo, s23
	s_mov_b32 s23, 0
	s_mov_b32 s24, -1
.LBB66_209:                             ;   in Loop: Header=BB66_7 Depth=1
	s_wait_alu 0xfffe
	s_or_not1_b32 s26, s27, exec_lo
.LBB66_210:                             ;   in Loop: Header=BB66_7 Depth=1
	s_wait_alu 0xfffe
	s_or_b32 exec_lo, exec_lo, s25
	s_mov_b32 s27, 0
	s_and_saveexec_b32 s25, s26
	s_cbranch_execz .LBB66_221
; %bb.211:                              ;   in Loop: Header=BB66_7 Depth=1
	v_mov_b32_e32 v3, 1
	v_mov_b32_e32 v1, 1
	s_xor_b32 s26, s17, -1
	s_wait_alu 0xfffe
	s_and_saveexec_b32 s17, s26
	s_cbranch_execz .LBB66_220
; %bb.212:                              ;   in Loop: Header=BB66_7 Depth=1
	s_mov_b32 s26, exec_lo
	v_cmpx_ge_i32_e64 s9, v4
	s_wait_alu 0xfffe
	s_xor_b32 s26, exec_lo, s26
	s_cbranch_execz .LBB66_217
; %bb.213:                              ;   in Loop: Header=BB66_7 Depth=1
	ds_load_b32 v1, v7 offset:4096
	v_or_b32_e32 v22, s10, v22
	v_or_b32_e32 v31, s10, v31
	s_wait_dscnt 0x0
	v_cmp_ne_u32_e32 vcc_lo, 0, v1
	s_cbranch_vccnz .LBB66_217
; %bb.214:                              ;   in Loop: Header=BB66_7 Depth=1
	s_and_saveexec_b32 s10, s2
; %bb.215:                              ;   in Loop: Header=BB66_7 Depth=1
	v_mov_b32_e32 v1, s9
	ds_store_b32 v7, v1 offset:4100
; %bb.216:                              ;   in Loop: Header=BB66_7 Depth=1
	s_wait_alu 0xfffe
	s_or_b32 exec_lo, exec_lo, s10
	s_wait_loadcnt_dscnt 0x0
	s_barrier_signal -1
	s_barrier_wait -1
	global_inv scope:SCOPE_SE
.LBB66_217:                             ;   in Loop: Header=BB66_7 Depth=1
	s_wait_alu 0xfffe
	s_and_not1_saveexec_b32 s10, s26
; %bb.218:                              ;   in Loop: Header=BB66_7 Depth=1
	v_subrev_nc_u32_e32 v4, s9, v4
; %bb.219:                              ;   in Loop: Header=BB66_7 Depth=1
	s_wait_alu 0xfffe
	s_or_b32 exec_lo, exec_lo, s10
	v_mov_b32_e32 v3, 8
	s_delay_alu instid0(VALU_DEP_2)
	v_mov_b32_e32 v1, v4
.LBB66_220:                             ;   in Loop: Header=BB66_7 Depth=1
	s_wait_alu 0xfffe
	s_or_b32 exec_lo, exec_lo, s17
	s_delay_alu instid0(VALU_DEP_1)
	v_mov_b32_e32 v4, v1
	s_mov_b32 s27, exec_lo
.LBB66_221:                             ;   in Loop: Header=BB66_7 Depth=1
	s_wait_alu 0xfffe
	s_or_b32 exec_lo, exec_lo, s25
	s_delay_alu instid0(SALU_CYCLE_1)
	s_or_not1_b32 s17, s27, exec_lo
.LBB66_222:                             ;   in Loop: Header=BB66_7 Depth=1
	s_wait_alu 0xfffe
	s_or_b32 exec_lo, exec_lo, s16
	v_mov_b32_e32 v6, v4
	s_and_not1_b32 s9, s21, exec_lo
	s_and_b32 s10, s24, exec_lo
	s_and_not1_b32 s16, s20, exec_lo
	s_and_b32 s20, s23, exec_lo
	s_wait_alu 0xfffe
	s_or_b32 s21, s9, s10
	s_or_b32 s20, s16, s20
	s_and_b32 s25, s17, exec_lo
.LBB66_223:                             ;   in Loop: Header=BB66_7 Depth=1
	s_wait_alu 0xfffe
	s_or_b32 exec_lo, exec_lo, s22
	s_delay_alu instid0(SALU_CYCLE_1)
	s_or_not1_b32 s22, s25, exec_lo
.LBB66_224:                             ;   in Loop: Header=BB66_7 Depth=1
	s_wait_alu 0xfffe
	s_or_b32 exec_lo, exec_lo, s19
	v_mov_b32_e32 v4, v6
	s_and_not1_b32 s9, s15, exec_lo
	s_and_b32 s10, s21, exec_lo
	s_and_not1_b32 s14, s14, exec_lo
	s_and_b32 s16, s20, exec_lo
	s_wait_alu 0xfffe
	s_or_b32 s15, s9, s10
	s_or_b32 s14, s14, s16
	s_and_b32 s22, s22, exec_lo
.LBB66_225:                             ;   in Loop: Header=BB66_7 Depth=1
	s_wait_alu 0xfffe
	s_or_b32 exec_lo, exec_lo, s18
	s_delay_alu instid0(SALU_CYCLE_1)
	s_or_not1_b32 s18, s22, exec_lo
.LBB66_226:                             ;   in Loop: Header=BB66_7 Depth=1
	s_wait_alu 0xfffe
	s_or_b32 exec_lo, exec_lo, s13
	s_mov_b32 s10, 0
                                        ; implicit-def: $sgpr21
	s_and_saveexec_b32 s9, s18
	s_wait_alu 0xfffe
	s_xor_b32 s9, exec_lo, s9
	s_cbranch_execz .LBB66_5
; %bb.227:                              ;   in Loop: Header=BB66_7 Depth=1
	v_and_b32_e32 v1, 7, v3
	s_mov_b32 s12, -1
	s_mov_b32 s10, -1
	s_mov_b32 s13, exec_lo
                                        ; implicit-def: $sgpr21
	s_delay_alu instid0(VALU_DEP_1)
	v_cmpx_eq_u32_e32 0, v1
	s_cbranch_execz .LBB66_4
; %bb.228:                              ;   in Loop: Header=BB66_7 Depth=1
	s_add_co_i32 s21, s93, -2
	s_cmp_eq_u32 s93, 0
	v_xor_b32_e32 v30, 1, v30
	s_cselect_b32 s12, -1, 0
	s_xor_b32 s10, exec_lo, -1
	s_wait_alu 0xfffe
	s_or_not1_b32 s12, s12, exec_lo
	s_branch .LBB66_4
.LBB66_229:
	s_or_b32 exec_lo, exec_lo, s37
	s_wait_alu 0xfffe
	s_xor_b32 s3, s92, -1
	s_xor_b32 s1, s90, -1
	;; [unrolled: 1-line block ×3, first 2 shown]
	s_mov_b32 s0, 0
	s_and_saveexec_b32 s5, s1
	s_wait_alu 0xfffe
	s_xor_b32 s1, exec_lo, s5
	s_cbranch_execnz .LBB66_234
; %bb.230:
	s_and_not1_saveexec_b32 s1, s1
	s_cbranch_execnz .LBB66_254
.LBB66_231:
	s_wait_alu 0xfffe
	s_or_b32 exec_lo, exec_lo, s1
	s_and_saveexec_b32 s1, s0
.LBB66_232:
	; divergent unreachable
.LBB66_233:
	s_endpgm
.LBB66_234:
	s_and_saveexec_b32 s0, s3
	s_delay_alu instid0(SALU_CYCLE_1)
	s_xor_b32 s3, exec_lo, s0
	s_cbranch_execz .LBB66_252
; %bb.235:
	s_and_saveexec_b32 s0, s4
	s_delay_alu instid0(SALU_CYCLE_1)
	s_xor_b32 s0, exec_lo, s0
; %bb.236:
	v_and_b32_e32 v1, 0x8000, v22
	v_mov_b32_e32 v2, 0xffff
	s_delay_alu instid0(VALU_DEP_2) | instskip(SKIP_1) | instid1(VALU_DEP_2)
	v_cmp_eq_u32_e32 vcc_lo, 0, v1
	s_wait_alu 0xfffd
	v_cndmask_b32_e32 v1, 0x8000, v2, vcc_lo
	s_delay_alu instid0(VALU_DEP_1)
	v_xor_b32_e32 v32, v1, v22
; %bb.237:
	s_or_b32 exec_lo, exec_lo, s0
	s_and_saveexec_b32 s0, s2
; %bb.238:
	v_dual_mov_b32 v1, 0 :: v_dual_mov_b32 v2, s36
	ds_store_b32 v1, v2 offset:4108
; %bb.239:
	s_or_b32 exec_lo, exec_lo, s0
	v_mov_b32_e32 v1, 0
	s_wait_loadcnt_dscnt 0x0
	s_barrier_signal -1
	s_barrier_wait -1
	global_inv scope:SCOPE_SE
	ds_load_b32 v1, v1 offset:4108
	s_mov_b32 s4, exec_lo
	s_wait_dscnt 0x0
	v_min_i32_e32 v1, s36, v1
	s_delay_alu instid0(VALU_DEP_1)
	v_cmpx_lt_i32_e64 v0, v1
	s_cbranch_execz .LBB66_249
; %bb.240:
	v_lshlrev_b32_e32 v2, 16, v32
	s_mov_b32 s5, 0
                                        ; implicit-def: $sgpr6
                                        ; implicit-def: $sgpr9
                                        ; implicit-def: $sgpr8
	s_delay_alu instid0(VALU_DEP_1)
	v_cmp_u_f32_e32 vcc_lo, v2, v2
	s_xor_b32 s7, vcc_lo, -1
	s_branch .LBB66_242
.LBB66_241:                             ;   in Loop: Header=BB66_242 Depth=1
	s_or_b32 exec_lo, exec_lo, s0
	s_wait_alu 0xfffe
	s_and_b32 s0, exec_lo, s9
	s_delay_alu instid0(SALU_CYCLE_1) | instskip(SKIP_2) | instid1(SALU_CYCLE_1)
	s_or_b32 s5, s0, s5
	s_and_not1_b32 s0, s6, exec_lo
	s_and_b32 s6, s8, exec_lo
	s_or_b32 s6, s0, s6
	s_wait_alu 0xfffe
	s_and_not1_b32 exec_lo, exec_lo, s5
	s_cbranch_execz .LBB66_244
.LBB66_242:                             ; =>This Inner Loop Header: Depth=1
	v_ashrrev_i32_e32 v6, 31, v5
	s_or_b32 s8, s8, exec_lo
	s_or_b32 s9, s9, exec_lo
	s_delay_alu instid0(VALU_DEP_1) | instskip(NEXT) | instid1(VALU_DEP_1)
	v_lshlrev_b64_e32 v[3:4], 1, v[5:6]
	v_add_co_u32 v3, vcc_lo, s60, v3
	s_wait_alu 0xfffd
	s_delay_alu instid0(VALU_DEP_2) | instskip(SKIP_3) | instid1(VALU_DEP_1)
	v_add_co_ci_u32_e64 v4, null, s61, v4, vcc_lo
	global_load_u16 v3, v[3:4], off
	s_wait_loadcnt 0x0
	v_lshlrev_b32_e32 v3, 16, v3
	v_cmp_o_f32_e32 vcc_lo, v3, v3
	v_cmp_neq_f32_e64 s0, v3, v2
	v_mov_b32_e32 v3, v0
                                        ; implicit-def: $vgpr0
	s_or_b32 s10, s7, vcc_lo
	s_wait_alu 0xfffe
	s_and_b32 s10, s0, s10
	s_wait_alu 0xfffe
	s_and_saveexec_b32 s0, s10
	s_cbranch_execz .LBB66_241
; %bb.243:                              ;   in Loop: Header=BB66_242 Depth=1
	v_add_nc_u32_e32 v0, s49, v3
	v_add_nc_u32_e32 v5, s73, v5
	s_and_not1_b32 s9, s9, exec_lo
	s_and_not1_b32 s8, s8, exec_lo
	s_delay_alu instid0(VALU_DEP_2)
	v_cmp_ge_i32_e32 vcc_lo, v0, v1
	s_and_b32 s10, vcc_lo, exec_lo
	s_wait_alu 0xfffe
	s_or_b32 s9, s9, s10
	s_branch .LBB66_241
.LBB66_244:
	s_or_b32 exec_lo, exec_lo, s5
	s_and_saveexec_b32 s0, s6
	s_delay_alu instid0(SALU_CYCLE_1)
	s_xor_b32 s0, exec_lo, s0
	s_cbranch_execz .LBB66_249
; %bb.245:
	s_mov_b32 s5, exec_lo
	s_brev_b32 s0, -2
.LBB66_246:                             ; =>This Inner Loop Header: Depth=1
	s_wait_alu 0xfffe
	s_ctz_i32_b32 s6, s5
	s_wait_alu 0xfffe
	v_readlane_b32 s7, v3, s6
	s_lshl_b32 s6, 1, s6
	s_wait_alu 0xfffe
	s_and_not1_b32 s5, s5, s6
	s_min_i32 s0, s0, s7
	s_wait_alu 0xfffe
	s_cmp_lg_u32 s5, 0
	s_cbranch_scc1 .LBB66_246
; %bb.247:
	v_mbcnt_lo_u32_b32 v0, exec_lo, 0
	s_mov_b32 s5, exec_lo
	s_delay_alu instid0(VALU_DEP_1)
	v_cmpx_eq_u32_e32 0, v0
	s_wait_alu 0xfffe
	s_xor_b32 s5, exec_lo, s5
; %bb.248:
	v_dual_mov_b32 v0, 0 :: v_dual_mov_b32 v1, s0
	ds_min_i32 v0, v1 offset:4108
.LBB66_249:
	s_wait_alu 0xfffe
	s_or_b32 exec_lo, exec_lo, s4
	s_wait_loadcnt_dscnt 0x0
	s_barrier_signal -1
	s_barrier_wait -1
	global_inv scope:SCOPE_SE
	s_and_saveexec_b32 s0, s2
	s_cbranch_execz .LBB66_251
; %bb.250:
	s_mul_i32 s4, s57, s68
	s_mul_i32 s2, s43, s31
	s_wait_alu 0xfffe
	s_sub_co_i32 s4, s48, s4
	s_sub_co_i32 s2, s33, s2
	s_xor_b32 s5, s71, s72
	s_add_co_i32 s6, s57, 1
	s_wait_alu 0xfffe
	s_sub_co_i32 s7, s4, s68
	s_cmp_ge_u32 s4, s68
	s_wait_kmcnt 0x0
	s_mul_i32 s2, s2, s46
	s_cselect_b32 s6, s6, s57
	s_wait_alu 0xfffe
	s_cselect_b32 s4, s7, s4
	s_add_co_i32 s7, s6, 1
	s_wait_alu 0xfffe
	s_cmp_ge_u32 s4, s68
	v_mov_b32_e32 v2, 0
	s_cselect_b32 s4, s7, s6
	s_mul_i32 s7, s29, s38
	s_wait_alu 0xfffe
	s_xor_b32 s4, s4, s5
	s_mul_i32 s6, s47, s35
	s_wait_alu 0xfffe
	s_sub_co_i32 s4, s4, s5
	s_sub_co_i32 s6, s33, s6
	s_wait_alu 0xfffe
	s_mul_i32 s5, s4, s30
	s_mul_i32 s4, s4, s44
	s_wait_alu 0xfffe
	s_sub_co_i32 s5, s43, s5
	s_xor_b32 s8, s69, s70
	s_wait_alu 0xfffe
	s_mul_i32 s5, s5, s45
	ds_load_b32 v0, v2 offset:4108
	s_wait_alu 0xfffe
	s_add_co_i32 s2, s5, s2
	s_sub_co_i32 s5, s50, s7
	s_wait_alu 0xfffe
	s_add_co_i32 s4, s2, s4
	s_add_co_i32 s2, s29, 1
	s_sub_co_i32 s7, s5, s38
	s_cmp_ge_u32 s5, s38
	s_mul_i32 s6, s6, s42
	s_wait_alu 0xfffe
	s_cselect_b32 s2, s2, s29
	s_cselect_b32 s5, s7, s5
	s_wait_alu 0xfffe
	s_add_co_i32 s7, s2, 1
	s_cmp_ge_u32 s5, s38
	s_wait_alu 0xfffe
	s_cselect_b32 s2, s7, s2
	s_wait_alu 0xfffe
	s_xor_b32 s2, s2, s8
	s_wait_alu 0xfffe
	s_sub_co_i32 s2, s2, s8
	s_wait_alu 0xfffe
	s_mul_i32 s5, s2, s34
	s_mul_i32 s2, s2, s40
	s_wait_alu 0xfffe
	s_sub_co_i32 s5, s47, s5
	s_wait_dscnt 0x0
	v_ashrrev_i32_e32 v1, 31, v0
	s_wait_alu 0xfffe
	s_mul_i32 s5, s5, s41
	s_wait_alu 0xfffe
	s_add_co_i32 s5, s5, s6
	s_wait_alu 0xfffe
	s_add_co_i32 s6, s5, s2
	s_ashr_i32 s5, s4, 31
	s_wait_alu 0xfffe
	s_ashr_i32 s7, s6, 31
	s_lshl_b64 s[4:5], s[4:5], 1
	s_wait_alu 0xfffe
	s_lshl_b64 s[6:7], s[6:7], 3
	s_add_nc_u64 s[4:5], s[54:55], s[4:5]
	s_wait_alu 0xfffe
	s_add_nc_u64 s[6:7], s[52:53], s[6:7]
	s_clause 0x1
	global_store_b64 v2, v[0:1], s[6:7]
	global_store_b16 v2, v32, s[4:5]
.LBB66_251:
	s_wait_alu 0xfffe
	s_or_b32 exec_lo, exec_lo, s0
.LBB66_252:
	s_wait_alu 0xfffe
	s_or_saveexec_b32 s0, s3
	s_mov_b32 s2, 0
	s_wait_alu 0xfffe
	s_xor_b32 exec_lo, exec_lo, s0
	s_cbranch_execnz .LBB66_255
.LBB66_253:
	s_or_b32 exec_lo, exec_lo, s0
	s_wait_alu 0xfffe
	s_and_b32 s0, s2, exec_lo
	s_and_not1_saveexec_b32 s1, s1
	s_cbranch_execz .LBB66_231
.LBB66_254:
	s_wait_alu 0xfffe
	s_or_b32 s0, s0, exec_lo
	s_trap 2
	s_or_b32 exec_lo, exec_lo, s1
	s_wait_alu 0xfffe
	s_and_saveexec_b32 s1, s0
	s_cbranch_execnz .LBB66_232
	s_branch .LBB66_233
.LBB66_255:
	s_mov_b32 s2, exec_lo
	s_trap 2
	s_branch .LBB66_253
	.section	.rodata,"a",@progbits
	.p2align	6, 0x0
	.amdhsa_kernel _ZN2at6native12_GLOBAL__N_114gatherKthValueIN3c108BFloat16EiLi3EEEvNS_4cuda6detail10TensorInfoIKT_T0_EESA_SA_SA_SA_NS7_IS8_SA_EENS7_IlSA_EE
		.amdhsa_group_segment_fixed_size 4112
		.amdhsa_private_segment_fixed_size 0
		.amdhsa_kernarg_size 920
		.amdhsa_user_sgpr_count 2
		.amdhsa_user_sgpr_dispatch_ptr 0
		.amdhsa_user_sgpr_queue_ptr 0
		.amdhsa_user_sgpr_kernarg_segment_ptr 1
		.amdhsa_user_sgpr_dispatch_id 0
		.amdhsa_user_sgpr_private_segment_size 0
		.amdhsa_wavefront_size32 1
		.amdhsa_uses_dynamic_stack 0
		.amdhsa_enable_private_segment 0
		.amdhsa_system_sgpr_workgroup_id_x 1
		.amdhsa_system_sgpr_workgroup_id_y 1
		.amdhsa_system_sgpr_workgroup_id_z 1
		.amdhsa_system_sgpr_workgroup_info 0
		.amdhsa_system_vgpr_workitem_id 0
		.amdhsa_next_free_vgpr 44
		.amdhsa_next_free_sgpr 101
		.amdhsa_reserve_vcc 1
		.amdhsa_float_round_mode_32 0
		.amdhsa_float_round_mode_16_64 0
		.amdhsa_float_denorm_mode_32 3
		.amdhsa_float_denorm_mode_16_64 3
		.amdhsa_fp16_overflow 0
		.amdhsa_workgroup_processor_mode 1
		.amdhsa_memory_ordered 1
		.amdhsa_forward_progress 1
		.amdhsa_inst_pref_size 101
		.amdhsa_round_robin_scheduling 0
		.amdhsa_exception_fp_ieee_invalid_op 0
		.amdhsa_exception_fp_denorm_src 0
		.amdhsa_exception_fp_ieee_div_zero 0
		.amdhsa_exception_fp_ieee_overflow 0
		.amdhsa_exception_fp_ieee_underflow 0
		.amdhsa_exception_fp_ieee_inexact 0
		.amdhsa_exception_int_div_zero 0
	.end_amdhsa_kernel
	.section	.text._ZN2at6native12_GLOBAL__N_114gatherKthValueIN3c108BFloat16EiLi3EEEvNS_4cuda6detail10TensorInfoIKT_T0_EESA_SA_SA_SA_NS7_IS8_SA_EENS7_IlSA_EE,"axG",@progbits,_ZN2at6native12_GLOBAL__N_114gatherKthValueIN3c108BFloat16EiLi3EEEvNS_4cuda6detail10TensorInfoIKT_T0_EESA_SA_SA_SA_NS7_IS8_SA_EENS7_IlSA_EE,comdat
.Lfunc_end66:
	.size	_ZN2at6native12_GLOBAL__N_114gatherKthValueIN3c108BFloat16EiLi3EEEvNS_4cuda6detail10TensorInfoIKT_T0_EESA_SA_SA_SA_NS7_IS8_SA_EENS7_IlSA_EE, .Lfunc_end66-_ZN2at6native12_GLOBAL__N_114gatherKthValueIN3c108BFloat16EiLi3EEEvNS_4cuda6detail10TensorInfoIKT_T0_EESA_SA_SA_SA_NS7_IS8_SA_EENS7_IlSA_EE
                                        ; -- End function
	.set _ZN2at6native12_GLOBAL__N_114gatherKthValueIN3c108BFloat16EiLi3EEEvNS_4cuda6detail10TensorInfoIKT_T0_EESA_SA_SA_SA_NS7_IS8_SA_EENS7_IlSA_EE.num_vgpr, 44
	.set _ZN2at6native12_GLOBAL__N_114gatherKthValueIN3c108BFloat16EiLi3EEEvNS_4cuda6detail10TensorInfoIKT_T0_EESA_SA_SA_SA_NS7_IS8_SA_EENS7_IlSA_EE.num_agpr, 0
	.set _ZN2at6native12_GLOBAL__N_114gatherKthValueIN3c108BFloat16EiLi3EEEvNS_4cuda6detail10TensorInfoIKT_T0_EESA_SA_SA_SA_NS7_IS8_SA_EENS7_IlSA_EE.numbered_sgpr, 101
	.set _ZN2at6native12_GLOBAL__N_114gatherKthValueIN3c108BFloat16EiLi3EEEvNS_4cuda6detail10TensorInfoIKT_T0_EESA_SA_SA_SA_NS7_IS8_SA_EENS7_IlSA_EE.num_named_barrier, 0
	.set _ZN2at6native12_GLOBAL__N_114gatherKthValueIN3c108BFloat16EiLi3EEEvNS_4cuda6detail10TensorInfoIKT_T0_EESA_SA_SA_SA_NS7_IS8_SA_EENS7_IlSA_EE.private_seg_size, 0
	.set _ZN2at6native12_GLOBAL__N_114gatherKthValueIN3c108BFloat16EiLi3EEEvNS_4cuda6detail10TensorInfoIKT_T0_EESA_SA_SA_SA_NS7_IS8_SA_EENS7_IlSA_EE.uses_vcc, 1
	.set _ZN2at6native12_GLOBAL__N_114gatherKthValueIN3c108BFloat16EiLi3EEEvNS_4cuda6detail10TensorInfoIKT_T0_EESA_SA_SA_SA_NS7_IS8_SA_EENS7_IlSA_EE.uses_flat_scratch, 0
	.set _ZN2at6native12_GLOBAL__N_114gatherKthValueIN3c108BFloat16EiLi3EEEvNS_4cuda6detail10TensorInfoIKT_T0_EESA_SA_SA_SA_NS7_IS8_SA_EENS7_IlSA_EE.has_dyn_sized_stack, 0
	.set _ZN2at6native12_GLOBAL__N_114gatherKthValueIN3c108BFloat16EiLi3EEEvNS_4cuda6detail10TensorInfoIKT_T0_EESA_SA_SA_SA_NS7_IS8_SA_EENS7_IlSA_EE.has_recursion, 0
	.set _ZN2at6native12_GLOBAL__N_114gatherKthValueIN3c108BFloat16EiLi3EEEvNS_4cuda6detail10TensorInfoIKT_T0_EESA_SA_SA_SA_NS7_IS8_SA_EENS7_IlSA_EE.has_indirect_call, 0
	.section	.AMDGPU.csdata,"",@progbits
; Kernel info:
; codeLenInByte = 12920
; TotalNumSgprs: 103
; NumVgprs: 44
; ScratchSize: 0
; MemoryBound: 0
; FloatMode: 240
; IeeeMode: 1
; LDSByteSize: 4112 bytes/workgroup (compile time only)
; SGPRBlocks: 0
; VGPRBlocks: 5
; NumSGPRsForWavesPerEU: 103
; NumVGPRsForWavesPerEU: 44
; Occupancy: 16
; WaveLimiterHint : 1
; COMPUTE_PGM_RSRC2:SCRATCH_EN: 0
; COMPUTE_PGM_RSRC2:USER_SGPR: 2
; COMPUTE_PGM_RSRC2:TRAP_HANDLER: 0
; COMPUTE_PGM_RSRC2:TGID_X_EN: 1
; COMPUTE_PGM_RSRC2:TGID_Y_EN: 1
; COMPUTE_PGM_RSRC2:TGID_Z_EN: 1
; COMPUTE_PGM_RSRC2:TIDIG_COMP_CNT: 0
	.section	.text._ZN2at6native12_GLOBAL__N_114gatherKthValueIN3c108BFloat16EiLin1EEEvNS_4cuda6detail10TensorInfoIKT_T0_EESA_SA_SA_SA_NS7_IS8_SA_EENS7_IlSA_EE,"axG",@progbits,_ZN2at6native12_GLOBAL__N_114gatherKthValueIN3c108BFloat16EiLin1EEEvNS_4cuda6detail10TensorInfoIKT_T0_EESA_SA_SA_SA_NS7_IS8_SA_EENS7_IlSA_EE,comdat
	.globl	_ZN2at6native12_GLOBAL__N_114gatherKthValueIN3c108BFloat16EiLin1EEEvNS_4cuda6detail10TensorInfoIKT_T0_EESA_SA_SA_SA_NS7_IS8_SA_EENS7_IlSA_EE ; -- Begin function _ZN2at6native12_GLOBAL__N_114gatherKthValueIN3c108BFloat16EiLin1EEEvNS_4cuda6detail10TensorInfoIKT_T0_EESA_SA_SA_SA_NS7_IS8_SA_EENS7_IlSA_EE
	.p2align	8
	.type	_ZN2at6native12_GLOBAL__N_114gatherKthValueIN3c108BFloat16EiLin1EEEvNS_4cuda6detail10TensorInfoIKT_T0_EESA_SA_SA_SA_NS7_IS8_SA_EENS7_IlSA_EE,@function
_ZN2at6native12_GLOBAL__N_114gatherKthValueIN3c108BFloat16EiLin1EEEvNS_4cuda6detail10TensorInfoIKT_T0_EESA_SA_SA_SA_NS7_IS8_SA_EENS7_IlSA_EE: ; @_ZN2at6native12_GLOBAL__N_114gatherKthValueIN3c108BFloat16EiLin1EEEvNS_4cuda6detail10TensorInfoIKT_T0_EESA_SA_SA_SA_NS7_IS8_SA_EENS7_IlSA_EE
; %bb.0:
	s_clause 0x1
	s_load_b64 s[4:5], s[0:1], 0x298
	s_load_b128 s[36:39], s[0:1], 0xd8
	s_lshr_b32 s2, ttmp7, 16
	s_and_b32 s3, ttmp7, 0xffff
	s_wait_kmcnt 0x0
	s_mul_i32 s2, s5, s2
	s_delay_alu instid0(SALU_CYCLE_1) | instskip(NEXT) | instid1(SALU_CYCLE_1)
	s_add_co_i32 s2, s2, s3
	s_mul_i32 s2, s2, s4
	s_delay_alu instid0(SALU_CYCLE_1) | instskip(NEXT) | instid1(SALU_CYCLE_1)
	s_add_co_i32 s33, s2, ttmp9
	s_cmp_ge_i32 s33, s38
	s_cbranch_scc1 .LBB67_242
; %bb.1:
	s_load_b32 s6, s[0:1], 0xd0
	s_mov_b32 s3, 0
	s_mov_b32 s5, s33
	s_wait_kmcnt 0x0
	s_cmp_lt_i32 s6, 2
	s_cbranch_scc1 .LBB67_4
; %bb.2:
	s_add_co_i32 s2, s6, -1
	s_mov_b32 s5, s33
	s_lshl_b64 s[8:9], s[2:3], 2
	s_add_co_i32 s2, s6, 1
	s_add_nc_u64 s[8:9], s[0:1], s[8:9]
	s_delay_alu instid0(SALU_CYCLE_1)
	s_add_nc_u64 s[6:7], s[8:9], 8
.LBB67_3:                               ; =>This Inner Loop Header: Depth=1
	s_clause 0x1
	s_load_b32 s8, s[6:7], 0x0
	s_load_b32 s9, s[6:7], 0x64
	s_mov_b32 s13, s5
	s_add_nc_u64 s[6:7], s[6:7], -4
	s_wait_kmcnt 0x0
	s_abs_i32 s10, s8
	s_wait_alu 0xfffe
	s_cvt_f32_u32 s11, s10
	s_sub_co_i32 s12, 0, s10
	s_wait_alu 0xfffe
	s_delay_alu instid0(SALU_CYCLE_1) | instskip(NEXT) | instid1(TRANS32_DEP_1)
	v_rcp_iflag_f32_e32 v1, s11
	v_readfirstlane_b32 s11, v1
	s_mul_f32 s11, s11, 0x4f7ffffe
	s_wait_alu 0xfffe
	s_delay_alu instid0(SALU_CYCLE_2) | instskip(SKIP_1) | instid1(SALU_CYCLE_2)
	s_cvt_u32_f32 s11, s11
	s_wait_alu 0xfffe
	s_mul_i32 s12, s12, s11
	s_delay_alu instid0(SALU_CYCLE_1)
	s_mul_hi_u32 s5, s11, s12
	s_abs_i32 s12, s13
	s_add_co_i32 s11, s11, s5
	s_wait_alu 0xfffe
	s_mul_hi_u32 s5, s12, s11
	s_xor_b32 s11, s13, s8
	s_mul_i32 s14, s5, s10
	s_wait_alu 0xfffe
	s_ashr_i32 s11, s11, 31
	s_sub_co_i32 s12, s12, s14
	s_add_co_i32 s14, s5, 1
	s_sub_co_i32 s15, s12, s10
	s_cmp_ge_u32 s12, s10
	s_cselect_b32 s5, s14, s5
	s_cselect_b32 s12, s15, s12
	s_add_co_i32 s14, s5, 1
	s_cmp_ge_u32 s12, s10
	s_cselect_b32 s5, s14, s5
	s_add_co_i32 s2, s2, -1
	s_wait_alu 0xfffe
	s_xor_b32 s5, s5, s11
	s_delay_alu instid0(SALU_CYCLE_1) | instskip(NEXT) | instid1(SALU_CYCLE_1)
	s_sub_co_i32 s5, s5, s11
	s_mul_i32 s8, s5, s8
	s_delay_alu instid0(SALU_CYCLE_1) | instskip(NEXT) | instid1(SALU_CYCLE_1)
	s_sub_co_i32 s8, s13, s8
	s_mul_i32 s8, s9, s8
	s_delay_alu instid0(SALU_CYCLE_1)
	s_add_co_i32 s3, s8, s3
	s_cmp_gt_u32 s2, 2
	s_cbranch_scc1 .LBB67_3
.LBB67_4:
	s_load_b32 s2, s[0:1], 0x1b8
	s_add_nc_u64 s[10:11], s[0:1], 0x298
	s_add_nc_u64 s[6:7], s[0:1], 0xe8
	s_mov_b32 s29, 0
	s_mov_b32 s38, s33
	s_wait_kmcnt 0x0
	s_cmp_lt_i32 s2, 2
	s_cbranch_scc1 .LBB67_7
; %bb.5:
	s_add_co_i32 s28, s2, -1
	s_add_co_i32 s2, s2, 1
	s_lshl_b64 s[8:9], s[28:29], 2
	s_mov_b32 s38, s33
	s_add_nc_u64 s[8:9], s[6:7], s[8:9]
	s_delay_alu instid0(SALU_CYCLE_1)
	s_add_nc_u64 s[8:9], s[8:9], 8
.LBB67_6:                               ; =>This Inner Loop Header: Depth=1
	s_clause 0x1
	s_load_b32 s12, s[8:9], 0x0
	s_load_b32 s13, s[8:9], 0x64
	s_abs_i32 s18, s38
	s_mov_b32 s17, s38
	s_add_nc_u64 s[8:9], s[8:9], -4
	s_wait_kmcnt 0x0
	s_abs_i32 s14, s12
	s_wait_alu 0xfffe
	s_cvt_f32_u32 s15, s14
	s_sub_co_i32 s16, 0, s14
	s_wait_alu 0xfffe
	s_delay_alu instid0(SALU_CYCLE_1) | instskip(NEXT) | instid1(TRANS32_DEP_1)
	v_rcp_iflag_f32_e32 v1, s15
	v_readfirstlane_b32 s15, v1
	s_mul_f32 s15, s15, 0x4f7ffffe
	s_wait_alu 0xfffe
	s_delay_alu instid0(SALU_CYCLE_2) | instskip(SKIP_1) | instid1(SALU_CYCLE_2)
	s_cvt_u32_f32 s15, s15
	s_wait_alu 0xfffe
	s_mul_i32 s16, s16, s15
	s_delay_alu instid0(SALU_CYCLE_1) | instskip(NEXT) | instid1(SALU_CYCLE_1)
	s_mul_hi_u32 s16, s15, s16
	s_add_co_i32 s15, s15, s16
	s_xor_b32 s16, s38, s12
	s_wait_alu 0xfffe
	s_mul_hi_u32 s15, s18, s15
	s_ashr_i32 s16, s16, 31
	s_wait_alu 0xfffe
	s_mul_i32 s19, s15, s14
	s_delay_alu instid0(SALU_CYCLE_1)
	s_sub_co_i32 s18, s18, s19
	s_add_co_i32 s19, s15, 1
	s_sub_co_i32 s20, s18, s14
	s_cmp_ge_u32 s18, s14
	s_cselect_b32 s15, s19, s15
	s_cselect_b32 s18, s20, s18
	s_wait_alu 0xfffe
	s_add_co_i32 s19, s15, 1
	s_cmp_ge_u32 s18, s14
	s_cselect_b32 s14, s19, s15
	s_add_co_i32 s2, s2, -1
	s_wait_alu 0xfffe
	s_xor_b32 s14, s14, s16
	s_wait_alu 0xfffe
	s_sub_co_i32 s38, s14, s16
	s_delay_alu instid0(SALU_CYCLE_1) | instskip(NEXT) | instid1(SALU_CYCLE_1)
	s_mul_i32 s12, s38, s12
	s_sub_co_i32 s12, s17, s12
	s_delay_alu instid0(SALU_CYCLE_1) | instskip(NEXT) | instid1(SALU_CYCLE_1)
	s_mul_i32 s12, s13, s12
	s_add_co_i32 s29, s12, s29
	s_cmp_gt_u32 s2, 2
	s_cbranch_scc1 .LBB67_6
.LBB67_7:
	s_clause 0x1
	s_load_b32 s12, s[0:1], 0x6c
	s_load_b32 s2, s[0:1], 0x290
	s_mov_b32 s31, 0
	s_wait_kmcnt 0x0
	s_cmp_lt_i32 s2, 2
	s_cbranch_scc1 .LBB67_10
; %bb.8:
	s_add_co_i32 s30, s2, -1
	s_add_nc_u64 s[8:9], s[0:1], 0x1c0
	s_lshl_b64 s[14:15], s[30:31], 2
	s_add_co_i32 s2, s2, 1
	s_wait_alu 0xfffe
	s_add_nc_u64 s[8:9], s[8:9], s[14:15]
	s_delay_alu instid0(SALU_CYCLE_1)
	s_add_nc_u64 s[8:9], s[8:9], 8
.LBB67_9:                               ; =>This Inner Loop Header: Depth=1
	s_clause 0x1
	s_load_b32 s13, s[8:9], 0x0
	s_load_b32 s14, s[8:9], 0x64
	s_abs_i32 s19, s33
	s_mov_b32 s18, s33
	s_add_nc_u64 s[8:9], s[8:9], -4
	s_wait_kmcnt 0x0
	s_abs_i32 s15, s13
	s_wait_alu 0xfffe
	s_cvt_f32_u32 s16, s15
	s_sub_co_i32 s17, 0, s15
	s_wait_alu 0xfffe
	s_delay_alu instid0(SALU_CYCLE_1) | instskip(NEXT) | instid1(TRANS32_DEP_1)
	v_rcp_iflag_f32_e32 v1, s16
	v_readfirstlane_b32 s16, v1
	s_mul_f32 s16, s16, 0x4f7ffffe
	s_wait_alu 0xfffe
	s_delay_alu instid0(SALU_CYCLE_2) | instskip(SKIP_1) | instid1(SALU_CYCLE_2)
	s_cvt_u32_f32 s16, s16
	s_wait_alu 0xfffe
	s_mul_i32 s17, s17, s16
	s_wait_alu 0xfffe
	s_mul_hi_u32 s17, s16, s17
	s_wait_alu 0xfffe
	s_add_co_i32 s16, s16, s17
	s_xor_b32 s17, s33, s13
	s_wait_alu 0xfffe
	s_mul_hi_u32 s16, s19, s16
	s_ashr_i32 s17, s17, 31
	s_wait_alu 0xfffe
	s_mul_i32 s20, s16, s15
	s_delay_alu instid0(SALU_CYCLE_1)
	s_sub_co_i32 s19, s19, s20
	s_add_co_i32 s20, s16, 1
	s_sub_co_i32 s21, s19, s15
	s_cmp_ge_u32 s19, s15
	s_cselect_b32 s16, s20, s16
	s_cselect_b32 s19, s21, s19
	s_wait_alu 0xfffe
	s_add_co_i32 s20, s16, 1
	s_cmp_ge_u32 s19, s15
	s_cselect_b32 s15, s20, s16
	s_add_co_i32 s2, s2, -1
	s_wait_alu 0xfffe
	s_xor_b32 s15, s15, s17
	s_wait_alu 0xfffe
	s_sub_co_i32 s33, s15, s17
	s_delay_alu instid0(SALU_CYCLE_1) | instskip(NEXT) | instid1(SALU_CYCLE_1)
	s_mul_i32 s13, s33, s13
	s_sub_co_i32 s13, s18, s13
	s_delay_alu instid0(SALU_CYCLE_1) | instskip(NEXT) | instid1(SALU_CYCLE_1)
	s_mul_i32 s13, s14, s13
	s_add_co_i32 s31, s13, s31
	s_cmp_gt_u32 s2, 2
	s_cbranch_scc1 .LBB67_9
.LBB67_10:
	s_clause 0x1
	s_load_b32 s30, s[6:7], 0x6c
	s_load_b64 s[6:7], s[0:1], 0x0
	v_cmp_eq_u32_e64 s2, 0, v0
	s_mov_b32 s43, 0
	s_and_saveexec_b32 s8, s2
; %bb.11:
	v_dual_mov_b32 v1, 0 :: v_dual_mov_b32 v2, s36
	s_delay_alu instid0(VALU_DEP_1)
	v_mov_b32_e32 v3, v1
	ds_store_b96 v1, v[1:3] offset:4096
; %bb.12:
	s_or_b32 exec_lo, exec_lo, s8
	s_wait_dscnt 0x0
	s_barrier_signal -1
	s_barrier_wait -1
	global_inv scope:SCOPE_SE
	s_load_b32 s13, s[10:11], 0xc
	s_clause 0x2
	s_load_b32 s52, s[0:1], 0x22c
	s_load_b64 s[34:35], s[0:1], 0xe8
	s_load_b64 s[40:41], s[0:1], 0x1c0
	v_mbcnt_lo_u32_b32 v15, -1, 0
	v_cmp_gt_u32_e32 vcc_lo, 32, v0
	s_mul_i32 s0, s12, s5
	v_dual_mov_b32 v7, 0 :: v_dual_lshlrev_b32 v16, 2, v0
	s_delay_alu instid0(VALU_DEP_3)
	v_cmp_gt_i32_e64 s1, 4, v15
	s_add_co_i32 s8, s0, s3
	v_mul_lo_u32 v5, s39, v0
	s_ashr_i32 s9, s8, 31
	v_dual_mov_b32 v6, v7 :: v_dual_lshlrev_b32 v17, 1, v0
	s_and_b32 s54, vcc_lo, s1
	s_lshl_b64 s[8:9], s[8:9], 1
	v_cmp_gt_u32_e64 s0, 2, v0
	s_wait_kmcnt 0x0
	s_add_nc_u64 s[44:45], s[6:7], s[8:9]
	v_dual_mov_b32 v33, s37 :: v_dual_add_nc_u32 v18, 0xc00, v17
	s_and_b32 s53, s13, 0xffff
	s_bfe_u32 s3, s13, 0xb0005
	s_lshl_b32 s55, s53, 2
	s_add_co_i32 s56, s53, -1
	s_cvt_f32_u32 s1, s55
	s_add_co_i32 s65, s56, s36
	s_cmp_gt_i32 s36, 0x600
	s_cvt_f32_u32 s12, s53
	v_rcp_iflag_f32_e32 v1, s1
	s_cselect_b32 s58, -1, 0
	s_cmp_gt_u32 s53, 31
	v_rcp_iflag_f32_e32 v4, s12
	s_cselect_b32 s59, -1, 0
	s_cmp_lt_u32 ttmp9, s4
	v_cmp_gt_u32_e64 s1, s36, v0
	s_cselect_b32 s42, 12, 18
	s_add_co_i32 s4, s3, -1
	s_bfe_u32 s60, s53, 0x30005
	v_readfirstlane_b32 s5, v1
	s_and_b32 s4, s4, 0xffff
	v_lshlrev_b64_e64 v[1:2], v15, -1
	s_cmp_gt_u32 s4, 6
	v_lshlrev_b64_e32 v[2:3], 1, v[5:6]
	s_mul_f32 s4, s5, 0x4f7ffffe
	s_cselect_b32 s61, -1, 0
	s_and_b32 s62, s3, 0x7f8
	s_cmp_lg_u32 s60, 0
	s_cvt_u32_f32 s5, s4
	s_cselect_b32 s63, -1, 0
	s_sub_co_i32 s4, 0, s55
	v_not_b32_e32 v20, v1
	s_mul_i32 s4, s4, s5
	v_add_co_u32 v8, vcc_lo, s44, v2
	s_mul_hi_u32 s13, s5, s4
	v_lshrrev_b32_e32 v2, 1, v0
	s_wait_alu 0xfffe
	s_add_co_i32 s46, s5, s13
	v_add_co_ci_u32_e64 v9, null, s45, v3, vcc_lo
	s_mul_hi_u32 s5, s36, s46
	v_or_b32_e32 v3, 3, v16
	s_mul_i32 s5, s5, s55
	v_cmp_gt_i32_e64 s3, s36, v0
	s_sub_co_i32 s5, s36, s5
	v_cmp_eq_u32_e64 s4, 0, v15
	s_sub_co_i32 s12, s5, s55
	s_cmp_ge_u32 s5, s55
	v_mul_lo_u32 v24, s39, v3
	s_wait_alu 0xfffe
	s_cselect_b32 s5, s12, s5
	v_readfirstlane_b32 s12, v4
	s_sub_co_i32 s13, s5, s55
	s_cmp_ge_u32 s5, s55
	v_mov_b32_e32 v32, 0
	s_wait_alu 0xfffe
	s_cselect_b32 s9, s13, s5
	s_mul_f32 s5, s12, 0x4f7ffffe
	s_sub_co_i32 s64, s36, s9
	s_sub_co_i32 s6, 0, s53
	v_add_nc_u32_e32 v19, s64, v0
	s_cvt_u32_f32 s5, s5
	s_abs_i32 s7, s65
	s_mov_b32 s12, s39
	v_dual_mov_b32 v30, 0 :: v_dual_lshlrev_b32 v25, 2, v5
	v_mul_lo_u32 v1, v19, s39
	s_mul_i32 s6, s6, s5
	s_wait_alu 0xfffe
	v_mad_co_u64_u32 v[12:13], null, s39, v16, s[12:13]
	s_mul_hi_u32 s6, s5, s6
	v_dual_mov_b32 v22, 0 :: v_dual_lshlrev_b32 v27, 3, v0
	s_add_co_i32 s48, s5, s6
	s_movk_i32 s5, 0x1f0
	s_mul_hi_u32 s6, s7, s48
	v_and_or_b32 v21, v2, s5, 0xc00
	v_ashrrev_i32_e32 v2, 31, v1
	s_mul_i32 s6, s6, s53
	v_lshl_or_b32 v28, v15, 2, 0xc00
	s_sub_co_i32 s5, s7, s6
	s_ashr_i32 s7, s65, 31
	v_lshlrev_b64_e32 v[1:2], 1, v[1:2]
	s_wait_alu 0xfffe
	s_sub_co_i32 s6, s5, s53
	s_cmp_ge_u32 s5, s53
	v_mov_b32_e32 v29, 0x8000
	s_cselect_b32 s6, s6, s5
	v_cmp_gt_i32_e64 s5, s64, v16
	v_add_co_u32 v10, vcc_lo, s44, v1
	v_add3_u32 v1, s53, s36, v0
	s_sub_co_i32 s8, s6, s53
	s_cmp_ge_u32 s6, s53
	s_wait_alu 0xfffd
	v_add_co_ci_u32_e64 v11, null, s45, v2, vcc_lo
	s_cselect_b32 s8, s8, s6
	v_or_b32_e32 v2, 2, v16
	v_subrev_nc_u32_e32 v1, s9, v1
	s_xor_b32 s8, s8, s7
	v_cmp_gt_u32_e64 s6, s36, v19
	s_wait_alu 0xfffe
	s_sub_co_i32 s8, s7, s8
	v_mul_lo_u32 v23, s39, v2
	v_mul_lo_u32 v26, s39, v1
	s_wait_alu 0xfffe
	s_add_co_i32 s65, s65, s8
	v_cmp_gt_i32_e64 s7, s36, v19
	s_wait_alu 0xfffe
	v_cmp_gt_i32_e64 s8, s65, v0
	v_mov_b32_e32 v31, 0
	s_mul_i32 s57, s39, s53
	s_mov_b32 s47, s43
	s_mov_b32 s49, s43
	s_lshl_b32 s66, s57, 2
	s_lshl_b32 s67, s53, 3
	;; [unrolled: 1-line block ×3, first 2 shown]
	s_mov_b32 s76, 14
	s_add_nc_u64 s[50:51], s[10:11], s[42:43]
	s_movk_i32 s69, 0x3f80
	s_mov_b32 s37, 0
                                        ; implicit-def: $sgpr73
                                        ; implicit-def: $sgpr75
                                        ; implicit-def: $sgpr70
                                        ; implicit-def: $sgpr72
                                        ; implicit-def: $sgpr74
                                        ; implicit-def: $sgpr71
	s_branch .LBB67_16
.LBB67_13:                              ;   in Loop: Header=BB67_16 Depth=1
	s_wait_alu 0xfffe
	s_or_b32 exec_lo, exec_lo, s13
	s_delay_alu instid0(SALU_CYCLE_1)
	s_and_b32 s10, s10, exec_lo
	s_and_not1_b32 s15, s15, exec_lo
	s_and_not1_b32 s14, s14, exec_lo
	s_or_not1_b32 s12, s12, exec_lo
.LBB67_14:                              ;   in Loop: Header=BB67_16 Depth=1
	s_wait_alu 0xfffe
	s_or_b32 exec_lo, exec_lo, s9
	s_delay_alu instid0(SALU_CYCLE_1)
	s_and_not1_b32 s9, s71, exec_lo
	s_and_b32 s10, s10, exec_lo
	s_and_not1_b32 s13, s72, exec_lo
	s_wait_alu 0xfffe
	s_or_b32 s71, s9, s10
	s_and_not1_b32 s9, s74, exec_lo
	s_and_b32 s10, s15, exec_lo
	s_and_b32 s14, s14, exec_lo
	s_wait_alu 0xfffe
	s_or_b32 s74, s9, s10
	s_or_b32 s72, s13, s14
	s_or_not1_b32 s13, s12, exec_lo
.LBB67_15:                              ;   in Loop: Header=BB67_16 Depth=1
	s_wait_alu 0xfffe
	s_or_b32 exec_lo, exec_lo, s11
	s_delay_alu instid0(SALU_CYCLE_1)
	s_and_b32 s9, exec_lo, s13
	v_mov_b32_e32 v33, v4
	s_wait_alu 0xfffe
	s_or_b32 s37, s9, s37
	s_and_not1_b32 s9, s70, exec_lo
	s_and_b32 s10, s71, exec_lo
	s_and_not1_b32 s11, s75, exec_lo
	s_wait_alu 0xfffe
	s_or_b32 s70, s9, s10
	s_and_b32 s9, s74, exec_lo
	s_and_not1_b32 s10, s73, exec_lo
	s_and_b32 s12, s72, exec_lo
	s_wait_alu 0xfffe
	s_or_b32 s75, s11, s9
	s_or_b32 s73, s10, s12
	s_mov_b32 s76, s21
	s_and_not1_b32 exec_lo, exec_lo, s37
	s_cbranch_execz .LBB67_238
.LBB67_16:                              ; =>This Loop Header: Depth=1
                                        ;     Child Loop BB67_21 Depth 2
                                        ;     Child Loop BB67_36 Depth 2
	;; [unrolled: 1-line block ×16, first 2 shown]
	ds_load_b64 v[1:2], v7 offset:4096
	s_wait_dscnt 0x0
	v_readfirstlane_b32 s42, v1
	s_cmp_gt_i32 s42, 0
	s_cbranch_scc1 .LBB67_43
; %bb.17:                               ;   in Loop: Header=BB67_16 Depth=1
	s_and_b32 vcc_lo, exec_lo, s58
	s_wait_alu 0xfffe
	s_cbranch_vccz .LBB67_29
; %bb.18:                               ;   in Loop: Header=BB67_16 Depth=1
	v_cmp_gt_i32_e32 vcc_lo, 0x601, v2
	s_mov_b32 s10, 0
	s_mov_b32 s9, 0
	s_cbranch_vccz .LBB67_30
; %bb.19:                               ;   in Loop: Header=BB67_16 Depth=1
	global_load_u16 v2, v[8:9], off
	s_load_u16 s11, s[50:51], 0x0
	s_mov_b32 s12, 0
	s_wait_kmcnt 0x0
	v_add_nc_u32_e32 v1, s11, v0
	s_mul_i32 s13, s39, s11
	s_delay_alu instid0(VALU_DEP_1)
	v_mul_lo_u32 v6, s39, v1
	v_mov_b32_e32 v1, v0
	s_branch .LBB67_21
.LBB67_20:                              ;   in Loop: Header=BB67_21 Depth=2
	s_wait_alu 0xfffe
	s_or_b32 exec_lo, exec_lo, s9
	v_cmp_le_i32_e32 vcc_lo, s36, v1
	v_add_nc_u32_e32 v6, s13, v6
	v_mov_b32_e32 v2, v3
	s_or_b32 s12, vcc_lo, s12
	s_wait_alu 0xfffe
	s_and_not1_b32 exec_lo, exec_lo, s12
	s_cbranch_execz .LBB67_75
.LBB67_21:                              ;   Parent Loop BB67_16 Depth=1
                                        ; =>  This Inner Loop Header: Depth=2
	s_wait_dscnt 0x0
	s_delay_alu instid0(VALU_DEP_1) | instskip(SKIP_2) | instid1(VALU_DEP_2)
	v_dual_mov_b32 v4, 0 :: v_dual_add_nc_u32 v1, s11, v1
	v_mov_b32_e32 v3, 0
	s_mov_b32 s9, exec_lo
	v_cmpx_gt_u32_e64 s36, v1
	s_cbranch_execz .LBB67_23
; %bb.22:                               ;   in Loop: Header=BB67_21 Depth=2
	v_lshlrev_b64_e32 v[13:14], 1, v[6:7]
	s_delay_alu instid0(VALU_DEP_1) | instskip(SKIP_1) | instid1(VALU_DEP_2)
	v_add_co_u32 v13, vcc_lo, s44, v13
	s_wait_alu 0xfffd
	v_add_co_ci_u32_e64 v14, null, s45, v14, vcc_lo
	global_load_u16 v3, v[13:14], off
.LBB67_23:                              ;   in Loop: Header=BB67_21 Depth=2
	s_wait_alu 0xfffe
	s_or_b32 exec_lo, exec_lo, s9
	s_wait_loadcnt 0x0
	v_cmp_lt_i16_e32 vcc_lo, -1, v2
	s_wait_alu 0xfffd
	v_dual_cndmask_b32 v14, 0xffff, v29 :: v_dual_and_b32 v13, 0xffff, v2
	s_delay_alu instid0(VALU_DEP_1) | instskip(SKIP_1) | instid1(VALU_DEP_1)
	v_xor_b32_e32 v13, v14, v13
	v_lshlrev_b32_e32 v34, 16, v2
	v_cmp_o_f32_e32 vcc_lo, v34, v34
	s_wait_alu 0xfffd
	s_delay_alu instid0(VALU_DEP_3) | instskip(NEXT) | instid1(VALU_DEP_1)
	v_cndmask_b32_e32 v13, 0xffff, v13, vcc_lo
	v_and_b32_e32 v13, v13, v31
	s_delay_alu instid0(VALU_DEP_1)
	v_cmp_eq_u32_e32 vcc_lo, v13, v22
	s_cmp_lg_u32 vcc_lo, 0
	s_cselect_b32 s9, -1, 0
	s_wait_alu 0xfffe
	s_and_b32 s9, s4, s9
	s_wait_alu 0xfffe
	s_and_saveexec_b32 s14, s9
	s_cbranch_execz .LBB67_27
; %bb.24:                               ;   in Loop: Header=BB67_21 Depth=2
	s_mov_b32 s17, exec_lo
	s_bcnt1_i32_b32 s15, vcc_lo
	s_wait_alu 0xfffe
	v_mbcnt_lo_u32_b32 v4, s17, 0
	s_mov_b32 s16, exec_lo
                                        ; implicit-def: $vgpr13
	s_delay_alu instid0(VALU_DEP_1)
	v_cmpx_eq_u32_e32 0, v4
; %bb.25:                               ;   in Loop: Header=BB67_21 Depth=2
	s_bcnt1_i32_b32 s9, s17
	s_wait_alu 0xfffe
	s_mul_i32 s9, s15, s9
	s_wait_alu 0xfffe
	v_mov_b32_e32 v13, s9
	ds_add_rtn_u32 v13, v7, v13 offset:4104
; %bb.26:                               ;   in Loop: Header=BB67_21 Depth=2
	s_or_b32 exec_lo, exec_lo, s16
	s_wait_dscnt 0x0
	v_readfirstlane_b32 s9, v13
	s_wait_alu 0xf1ff
	s_delay_alu instid0(VALU_DEP_1)
	v_mad_u32_u24 v4, s15, v4, s9
.LBB67_27:                              ;   in Loop: Header=BB67_21 Depth=2
	s_wait_alu 0xfffe
	s_or_b32 exec_lo, exec_lo, s14
	ds_bpermute_b32 v4, v7, v4
	s_and_saveexec_b32 s9, vcc_lo
	s_cbranch_execz .LBB67_20
; %bb.28:                               ;   in Loop: Header=BB67_21 Depth=2
	v_and_b32_e32 v13, vcc_lo, v20
	s_delay_alu instid0(VALU_DEP_1) | instskip(NEXT) | instid1(VALU_DEP_1)
	v_bcnt_u32_b32 v13, v13, 0
	v_lshlrev_b32_e32 v13, 1, v13
	s_wait_dscnt 0x0
	s_delay_alu instid0(VALU_DEP_1)
	v_lshl_add_u32 v4, v4, 1, v13
	ds_store_b16 v4, v2
	s_branch .LBB67_20
.LBB67_29:                              ;   in Loop: Header=BB67_16 Depth=1
	s_mov_b32 s10, -1
	s_mov_b32 s9, 0
.LBB67_30:                              ;   in Loop: Header=BB67_16 Depth=1
	s_wait_alu 0xfffe
	s_and_b32 vcc_lo, exec_lo, s10
	s_wait_alu 0xfffe
	s_cbranch_vccz .LBB67_41
.LBB67_31:                              ;   in Loop: Header=BB67_16 Depth=1
	v_mov_b32_e32 v1, 0
	s_and_saveexec_b32 s9, s1
	s_cbranch_execz .LBB67_33
; %bb.32:                               ;   in Loop: Header=BB67_16 Depth=1
	global_load_u16 v1, v[8:9], off
.LBB67_33:                              ;   in Loop: Header=BB67_16 Depth=1
	s_wait_alu 0xfffe
	s_or_b32 exec_lo, exec_lo, s9
	s_and_saveexec_b32 s9, s3
	s_cbranch_execz .LBB67_38
; %bb.34:                               ;   in Loop: Header=BB67_16 Depth=1
	s_load_u16 s10, s[50:51], 0x0
	s_mov_b32 s13, 0
	s_wait_kmcnt 0x0
	v_dual_mov_b32 v3, v0 :: v_dual_add_nc_u32 v2, s10, v0
	s_lshl_b32 s11, s10, 1
	s_mul_i32 s12, s39, s10
	s_delay_alu instid0(VALU_DEP_1)
	v_mul_lo_u32 v6, s39, v2
	v_mov_b32_e32 v2, v17
	s_branch .LBB67_36
.LBB67_35:                              ;   in Loop: Header=BB67_36 Depth=2
	s_wait_alu 0xfffe
	s_or_b32 exec_lo, exec_lo, s14
	v_cmp_le_i32_e32 vcc_lo, s36, v3
	s_wait_loadcnt 0x0
	ds_store_b16 v2, v1
	v_dual_mov_b32 v1, v4 :: v_dual_add_nc_u32 v2, s11, v2
	v_add_nc_u32_e32 v6, s12, v6
	s_or_b32 s13, vcc_lo, s13
	s_wait_alu 0xfffe
	s_and_not1_b32 exec_lo, exec_lo, s13
	s_cbranch_execz .LBB67_38
.LBB67_36:                              ;   Parent Loop BB67_16 Depth=1
                                        ; =>  This Inner Loop Header: Depth=2
	v_dual_mov_b32 v4, 0 :: v_dual_add_nc_u32 v3, s10, v3
	s_mov_b32 s14, exec_lo
	s_delay_alu instid0(VALU_DEP_1)
	v_cmpx_gt_u32_e64 s36, v3
	s_cbranch_execz .LBB67_35
; %bb.37:                               ;   in Loop: Header=BB67_36 Depth=2
	s_delay_alu instid0(VALU_DEP_4) | instskip(NEXT) | instid1(VALU_DEP_1)
	v_lshlrev_b64_e32 v[13:14], 1, v[6:7]
	v_add_co_u32 v13, vcc_lo, s44, v13
	s_wait_alu 0xfffd
	s_delay_alu instid0(VALU_DEP_2)
	v_add_co_ci_u32_e64 v14, null, s45, v14, vcc_lo
	global_load_u16 v4, v[13:14], off
	s_branch .LBB67_35
.LBB67_38:                              ;   in Loop: Header=BB67_16 Depth=1
	s_wait_alu 0xfffe
	s_or_b32 exec_lo, exec_lo, s9
	s_wait_loadcnt_dscnt 0x0
	s_barrier_signal -1
	s_barrier_wait -1
	global_inv scope:SCOPE_SE
	s_and_saveexec_b32 s9, s2
; %bb.39:                               ;   in Loop: Header=BB67_16 Depth=1
	v_mov_b32_e32 v1, s36
	ds_store_b32 v7, v1 offset:4096
; %bb.40:                               ;   in Loop: Header=BB67_16 Depth=1
	s_wait_alu 0xfffe
	s_or_b32 exec_lo, exec_lo, s9
	s_mov_b32 s9, -1
	s_wait_loadcnt_dscnt 0x0
	s_barrier_signal -1
	s_barrier_wait -1
.LBB67_41:                              ;   in Loop: Header=BB67_16 Depth=1
	s_wait_alu 0xfffe
	s_and_b32 vcc_lo, exec_lo, s9
	s_wait_alu 0xfffe
	s_cbranch_vccz .LBB67_43
; %bb.42:                               ;   in Loop: Header=BB67_16 Depth=1
	s_wait_loadcnt 0x0
	global_inv scope:SCOPE_SE
	ds_load_b32 v1, v7 offset:4096
	s_wait_dscnt 0x0
	v_readfirstlane_b32 s42, v1
.LBB67_43:                              ;   in Loop: Header=BB67_16 Depth=1
	s_delay_alu instid0(VALU_DEP_1)
	s_cmp_lt_i32 s42, 1
	s_mov_b32 s9, -1
                                        ; implicit-def: $vgpr1
	s_cbranch_scc1 .LBB67_53
; %bb.44:                               ;   in Loop: Header=BB67_16 Depth=1
	s_wait_alu 0xfffe
	s_and_b32 vcc_lo, exec_lo, s9
	s_wait_alu 0xfffe
	s_cbranch_vccnz .LBB67_66
.LBB67_45:                              ;   in Loop: Header=BB67_16 Depth=1
	v_lshlrev_b32_e32 v6, 7, v30
	s_and_saveexec_b32 s9, s4
.LBB67_46:                              ;   in Loop: Header=BB67_16 Depth=1
	s_delay_alu instid0(VALU_DEP_1)
	v_lshl_add_u32 v13, v6, 2, v21
	ds_store_b128 v13, v[1:4]
.LBB67_47:                              ;   in Loop: Header=BB67_16 Depth=1
	s_wait_alu 0xfffe
	s_or_b32 exec_lo, exec_lo, s9
	s_wait_loadcnt_dscnt 0x0
	s_barrier_signal -1
	s_barrier_wait -1
	global_inv scope:SCOPE_SE
	s_and_saveexec_b32 s9, s54
	s_cbranch_execz .LBB67_82
; %bb.48:                               ;   in Loop: Header=BB67_16 Depth=1
	v_mov_b32_e32 v1, 0
	s_and_not1_b32 vcc_lo, exec_lo, s59
	s_wait_alu 0xfffe
	s_cbranch_vccnz .LBB67_81
; %bb.49:                               ;   in Loop: Header=BB67_16 Depth=1
	s_and_not1_b32 vcc_lo, exec_lo, s61
	s_wait_alu 0xfffe
	s_cbranch_vccnz .LBB67_78
; %bb.50:                               ;   in Loop: Header=BB67_16 Depth=1
	v_lshl_add_u32 v2, v30, 9, v28
	v_mov_b32_e32 v1, 0
	s_mov_b32 s10, 0
.LBB67_51:                              ;   Parent Loop BB67_16 Depth=1
                                        ; =>  This Inner Loop Header: Depth=2
	ds_load_2addr_b32 v[3:4], v2 offset1:4
	ds_load_2addr_b32 v[13:14], v2 offset0:8 offset1:12
	ds_load_2addr_b32 v[34:35], v2 offset0:16 offset1:20
	;; [unrolled: 1-line block ×3, first 2 shown]
	v_add_nc_u32_e32 v2, 0x80, v2
	s_wait_alu 0xfffe
	s_add_co_i32 s10, s10, 8
	s_wait_alu 0xfffe
	s_cmp_eq_u32 s62, s10
	s_wait_dscnt 0x3
	v_add3_u32 v1, v3, v1, v4
	s_wait_dscnt 0x2
	s_delay_alu instid0(VALU_DEP_1) | instskip(SKIP_1) | instid1(VALU_DEP_1)
	v_add3_u32 v1, v13, v1, v14
	s_wait_dscnt 0x1
	v_add3_u32 v1, v34, v1, v35
	s_wait_dscnt 0x0
	s_delay_alu instid0(VALU_DEP_1)
	v_add3_u32 v1, v36, v1, v37
	s_cbranch_scc0 .LBB67_51
; %bb.52:                               ;   in Loop: Header=BB67_16 Depth=1
	s_mov_b32 s10, s62
	s_and_not1_b32 vcc_lo, exec_lo, s63
	s_wait_alu 0xfffe
	s_cbranch_vccz .LBB67_79
	s_branch .LBB67_81
.LBB67_53:                              ;   in Loop: Header=BB67_16 Depth=1
	v_dual_mov_b32 v1, 0 :: v_dual_mov_b32 v2, 0
	v_dual_mov_b32 v3, 0 :: v_dual_mov_b32 v4, 0
	s_and_saveexec_b32 s77, s5
	s_cbranch_execnz .LBB67_56
; %bb.54:                               ;   in Loop: Header=BB67_16 Depth=1
	s_wait_alu 0xfffe
	s_or_b32 exec_lo, exec_lo, s77
	v_mov_b32_e32 v34, 0
	s_and_saveexec_b32 s9, s6
	s_cbranch_execnz .LBB67_59
.LBB67_55:                              ;   in Loop: Header=BB67_16 Depth=1
	s_wait_alu 0xfffe
	s_or_b32 exec_lo, exec_lo, s9
	s_and_saveexec_b32 s13, s7
	s_cbranch_execnz .LBB67_60
	s_branch .LBB67_65
.LBB67_56:                              ;   in Loop: Header=BB67_16 Depth=1
	v_mov_b32_e32 v6, v16
	s_mov_b32 s78, 0
	s_mov_b32 s79, 0
	s_mov_b32 s80, 0
	s_mov_b32 s81, 0
	s_mov_b32 s82, 0
	s_mov_b32 s83, 0
.LBB67_57:                              ;   Parent Loop BB67_16 Depth=1
                                        ; =>  This Inner Loop Header: Depth=2
	s_wait_alu 0xfffe
	v_add_nc_u32_e32 v1, s79, v25
	v_add_nc_u32_e32 v3, s79, v12
	;; [unrolled: 1-line block ×4, first 2 shown]
	s_add_co_i32 s79, s79, s66
	v_ashrrev_i32_e32 v2, 31, v1
	v_ashrrev_i32_e32 v4, 31, v3
	;; [unrolled: 1-line block ×4, first 2 shown]
	s_delay_alu instid0(VALU_DEP_4) | instskip(NEXT) | instid1(VALU_DEP_4)
	v_lshlrev_b64_e32 v[1:2], 1, v[1:2]
	v_lshlrev_b64_e32 v[3:4], 1, v[3:4]
	s_delay_alu instid0(VALU_DEP_4) | instskip(NEXT) | instid1(VALU_DEP_4)
	v_lshlrev_b64_e32 v[13:14], 1, v[13:14]
	v_lshlrev_b64_e32 v[34:35], 1, v[34:35]
	s_delay_alu instid0(VALU_DEP_4)
	v_add_co_u32 v1, vcc_lo, s44, v1
	s_wait_alu 0xfffd
	v_add_co_ci_u32_e64 v2, null, s45, v2, vcc_lo
	v_add_co_u32 v3, vcc_lo, s44, v3
	s_wait_alu 0xfffd
	v_add_co_ci_u32_e64 v4, null, s45, v4, vcc_lo
	;; [unrolled: 3-line block ×4, first 2 shown]
	s_clause 0x3
	global_load_u16 v1, v[1:2], off
	global_load_u16 v2, v[3:4], off
	;; [unrolled: 1-line block ×4, first 2 shown]
	s_wait_loadcnt 0x3
	v_cmp_lt_i16_e64 s9, -1, v1
	v_and_b32_e32 v13, 0xffff, v1
	v_lshlrev_b32_e32 v1, 16, v1
	s_wait_loadcnt 0x2
	v_and_b32_e32 v34, 0xffff, v2
	s_wait_loadcnt 0x1
	v_and_b32_e32 v36, 0xffff, v3
	s_wait_alu 0xf1ff
	v_cndmask_b32_e64 v14, 0xffff, v29, s9
	v_cmp_lt_i16_e64 s9, -1, v2
	v_lshlrev_b32_e32 v2, 16, v2
	v_cmp_o_f32_e64 s12, v1, v1
	s_wait_loadcnt 0x0
	v_and_b32_e32 v38, 0xffff, v4
	v_xor_b32_e32 v13, v14, v13
	s_wait_alu 0xf1ff
	v_cndmask_b32_e64 v35, 0xffff, v29, s9
	v_cmp_lt_i16_e64 s9, -1, v3
	v_lshlrev_b32_e32 v3, 16, v3
	v_cndmask_b32_e64 v1, 0xffff, v13, s12
	s_delay_alu instid0(VALU_DEP_4)
	v_xor_b32_e32 v14, v35, v34
	s_wait_alu 0xf1ff
	v_cndmask_b32_e64 v37, 0xffff, v29, s9
	v_cmp_lt_i16_e64 s9, -1, v4
	v_lshlrev_b32_e32 v4, 16, v4
	v_cmp_o_f32_e64 s10, v3, v3
	v_and_b32_e32 v13, v1, v31
	v_bfe_u32 v1, v1, s76, 2
	s_wait_alu 0xf1ff
	v_cndmask_b32_e64 v39, 0xffff, v29, s9
	v_cmp_o_f32_e64 s9, v2, v2
	v_xor_b32_e32 v2, v37, v36
	v_cmp_o_f32_e64 s11, v4, v4
	v_cmp_eq_u32_e64 s13, 0, v1
	v_xor_b32_e32 v3, v39, v38
	s_wait_alu 0xf1ff
	v_cndmask_b32_e64 v4, 0xffff, v14, s9
	v_cndmask_b32_e64 v2, 0xffff, v2, s10
	v_cmp_eq_u32_e64 s9, v13, v22
	v_cmp_eq_u32_e64 s17, 1, v1
	v_cndmask_b32_e64 v3, 0xffff, v3, s11
	v_and_b32_e32 v14, v4, v31
	v_bfe_u32 v4, v4, s76, 2
	v_and_b32_e32 v34, v2, v31
	v_bfe_u32 v2, v2, s76, 2
	;; [unrolled: 2-line block ×3, first 2 shown]
	v_cmp_eq_u32_e64 s10, v14, v22
	v_cmp_eq_u32_e64 s14, 0, v4
	;; [unrolled: 1-line block ×4, first 2 shown]
	s_and_b32 s13, s9, s13
	v_cmp_eq_u32_e64 s12, v35, v22
	v_cmp_eq_u32_e64 s16, 0, v3
	;; [unrolled: 1-line block ×4, first 2 shown]
	s_wait_alu 0xfffe
	v_cndmask_b32_e64 v1, 0, 1, s13
	s_and_b32 s13, s10, s14
	v_cmp_eq_u32_e64 s19, 1, v2
	v_cmp_eq_u32_e64 s23, 2, v2
	;; [unrolled: 1-line block ×3, first 2 shown]
	s_wait_alu 0xfffe
	v_cndmask_b32_e64 v2, 0, 1, s13
	s_and_b32 s13, s11, s15
	v_cmp_eq_u32_e64 s18, 1, v4
	v_cmp_eq_u32_e64 s20, 1, v3
	;; [unrolled: 1-line block ×4, first 2 shown]
	s_wait_alu 0xfffe
	v_cndmask_b32_e64 v3, 0, 1, s13
	s_and_b32 s13, s12, s16
	v_cmp_eq_u32_e64 s22, 2, v4
	v_cmp_eq_u32_e64 s26, 3, v4
	s_wait_alu 0xfffe
	v_cndmask_b32_e64 v4, 0, 1, s13
	s_and_b32 s13, s9, s17
	s_wait_alu 0xfffe
	v_cndmask_b32_e64 v13, 0, 1, s13
	s_and_b32 s13, s10, s18
	s_wait_alu 0xfffe
	v_cndmask_b32_e64 v14, 0, 1, s13
	s_and_b32 s13, s11, s19
	s_wait_alu 0xfffe
	v_cndmask_b32_e64 v34, 0, 1, s13
	s_and_b32 s13, s12, s20
	v_cmp_ne_u32_e64 s14, 0, v14
	s_wait_alu 0xfffe
	v_cndmask_b32_e64 v35, 0, 1, s13
	s_and_b32 s13, s9, s21
	s_and_b32 s9, s9, s25
	s_wait_alu 0xfffe
	v_cndmask_b32_e64 v36, 0, 1, s13
	s_and_b32 s13, s10, s22
	v_cndmask_b32_e64 v40, 0, 1, s9
	s_and_b32 s9, s10, s26
	s_wait_alu 0xfffe
	v_cndmask_b32_e64 v37, 0, 1, s13
	s_and_b32 s13, s11, s23
	v_cndmask_b32_e64 v41, 0, 1, s9
	s_and_b32 s9, s11, s27
	s_wait_alu 0xfffe
	v_cndmask_b32_e64 v38, 0, 1, s13
	s_and_b32 s13, s12, s24
	v_cndmask_b32_e64 v42, 0, 1, s9
	s_and_b32 s9, s12, s28
	s_wait_alu 0xfffe
	v_cndmask_b32_e64 v39, 0, 1, s13
	v_cndmask_b32_e64 v43, 0, 1, s9
	v_cmp_ne_u32_e64 s9, 0, v1
	v_cmp_ne_u32_e64 s13, 0, v13
	;; [unrolled: 1-line block ×8, first 2 shown]
	s_bcnt1_i32_b32 s9, s9
	s_bcnt1_i32_b32 s13, s13
	;; [unrolled: 1-line block ×3, first 2 shown]
	v_cmp_ne_u32_e64 s20, 0, v39
	v_cmp_ne_u32_e64 s22, 0, v41
	s_bcnt1_i32_b32 s10, s10
	s_bcnt1_i32_b32 s14, s14
	;; [unrolled: 1-line block ×3, first 2 shown]
	s_wait_alu 0xfffe
	s_add_co_i32 s9, s9, s83
	s_add_co_i32 s13, s13, s82
	;; [unrolled: 1-line block ×3, first 2 shown]
	v_cmp_ne_u32_e64 s15, 0, v34
	v_cmp_ne_u32_e64 s23, 0, v42
	s_bcnt1_i32_b32 s11, s11
	s_bcnt1_i32_b32 s19, s19
	s_wait_alu 0xfffe
	s_add_co_i32 s9, s9, s10
	s_add_co_i32 s10, s13, s14
	;; [unrolled: 1-line block ×3, first 2 shown]
	s_bcnt1_i32_b32 s21, s21
	v_cmp_ne_u32_e64 s12, 0, v4
	v_cmp_ne_u32_e64 s16, 0, v35
	;; [unrolled: 1-line block ×3, first 2 shown]
	s_bcnt1_i32_b32 s20, s20
	s_wait_alu 0xfffe
	s_add_co_i32 s9, s9, s11
	s_add_co_i32 s11, s13, s19
	s_bcnt1_i32_b32 s22, s22
	s_add_co_i32 s21, s21, s80
	s_wait_alu 0xfffe
	s_add_co_i32 s81, s11, s20
	s_wait_alu 0xfffe
	v_dual_mov_b32 v3, s81 :: v_dual_add_nc_u32 v6, s55, v6
	s_bcnt1_i32_b32 s15, s15
	s_bcnt1_i32_b32 s23, s23
	s_add_co_i32 s14, s21, s22
	s_bcnt1_i32_b32 s12, s12
	s_bcnt1_i32_b32 s16, s16
	;; [unrolled: 1-line block ×3, first 2 shown]
	s_wait_alu 0xfffe
	s_add_co_i32 s10, s10, s15
	s_add_co_i32 s13, s14, s23
	v_cmp_le_i32_e32 vcc_lo, s64, v6
	s_add_co_i32 s83, s9, s12
	s_wait_alu 0xfffe
	s_add_co_i32 s82, s10, s16
	s_add_co_i32 s80, s13, s24
	s_wait_alu 0xfffe
	v_dual_mov_b32 v1, s83 :: v_dual_mov_b32 v2, s82
	v_mov_b32_e32 v4, s80
	s_or_b32 s78, vcc_lo, s78
	s_wait_alu 0xfffe
	s_and_not1_b32 exec_lo, exec_lo, s78
	s_cbranch_execnz .LBB67_57
; %bb.58:                               ;   in Loop: Header=BB67_16 Depth=1
	s_or_b32 exec_lo, exec_lo, s78
	s_delay_alu instid0(SALU_CYCLE_1)
	s_or_b32 exec_lo, exec_lo, s77
	v_mov_b32_e32 v34, 0
	s_and_saveexec_b32 s9, s6
	s_cbranch_execz .LBB67_55
.LBB67_59:                              ;   in Loop: Header=BB67_16 Depth=1
	global_load_u16 v34, v[10:11], off
	s_wait_alu 0xfffe
	s_or_b32 exec_lo, exec_lo, s9
	s_and_saveexec_b32 s13, s7
	s_cbranch_execz .LBB67_65
.LBB67_60:                              ;   in Loop: Header=BB67_16 Depth=1
	v_dual_mov_b32 v13, v26 :: v_dual_mov_b32 v6, v19
	s_mov_b32 s14, 0
	s_branch .LBB67_62
.LBB67_61:                              ;   in Loop: Header=BB67_62 Depth=2
	s_wait_alu 0xfffe
	s_or_b32 exec_lo, exec_lo, s9
	s_wait_loadcnt 0x0
	v_cmp_lt_i16_e32 vcc_lo, -1, v34
	v_and_b32_e32 v35, 0xffff, v34
	v_lshlrev_b32_e32 v34, 16, v34
	v_add_nc_u32_e32 v13, s57, v13
	s_wait_alu 0xfffd
	v_cndmask_b32_e32 v36, 0xffff, v29, vcc_lo
	s_delay_alu instid0(VALU_DEP_3) | instskip(NEXT) | instid1(VALU_DEP_2)
	v_cmp_o_f32_e32 vcc_lo, v34, v34
	v_xor_b32_e32 v35, v36, v35
	s_wait_alu 0xfffd
	s_delay_alu instid0(VALU_DEP_1) | instskip(NEXT) | instid1(VALU_DEP_1)
	v_cndmask_b32_e32 v34, 0xffff, v35, vcc_lo
	v_and_b32_e32 v35, v34, v31
	v_bfe_u32 v34, v34, s76, 2
	s_delay_alu instid0(VALU_DEP_2) | instskip(NEXT) | instid1(VALU_DEP_2)
	v_cmp_eq_u32_e32 vcc_lo, v35, v22
	v_cmp_eq_u32_e64 s9, 0, v34
	v_cmp_eq_u32_e64 s10, 1, v34
	;; [unrolled: 1-line block ×4, first 2 shown]
	s_and_b32 s9, vcc_lo, s9
	s_wait_alu 0xfffe
	v_cndmask_b32_e64 v34, 0, 1, s9
	s_and_b32 s9, vcc_lo, s10
	s_wait_alu 0xfffe
	v_cndmask_b32_e64 v35, 0, 1, s9
	;; [unrolled: 3-line block ×3, first 2 shown]
	s_and_b32 s9, vcc_lo, s12
	v_cmp_ne_u32_e32 vcc_lo, 0, v34
	s_wait_alu 0xfffe
	v_cndmask_b32_e64 v37, 0, 1, s9
	v_cmp_ne_u32_e64 s9, 0, v35
	v_cmp_ne_u32_e64 s10, 0, v36
	v_cmp_le_i32_e64 s12, s36, v6
	s_bcnt1_i32_b32 s15, vcc_lo
	v_cmp_ne_u32_e64 s11, 0, v37
	s_bcnt1_i32_b32 s9, s9
	s_bcnt1_i32_b32 s10, s10
	s_wait_alu 0xfffe
	v_add_nc_u32_e32 v1, s15, v1
	v_add_nc_u32_e32 v2, s9, v2
	s_bcnt1_i32_b32 s11, s11
	v_add_nc_u32_e32 v3, s10, v3
	s_wait_alu 0xfffe
	v_add_nc_u32_e32 v4, s11, v4
	v_mov_b32_e32 v34, v14
	s_or_b32 s14, s12, s14
	s_wait_alu 0xfffe
	s_and_not1_b32 exec_lo, exec_lo, s14
	s_cbranch_execz .LBB67_64
.LBB67_62:                              ;   Parent Loop BB67_16 Depth=1
                                        ; =>  This Inner Loop Header: Depth=2
	s_delay_alu instid0(VALU_DEP_1) | instskip(SKIP_2) | instid1(VALU_DEP_2)
	v_add_nc_u32_e32 v6, s53, v6
	v_mov_b32_e32 v14, 0
	s_mov_b32 s9, exec_lo
	v_cmpx_gt_u32_e64 s36, v6
	s_cbranch_execz .LBB67_61
; %bb.63:                               ;   in Loop: Header=BB67_62 Depth=2
	v_ashrrev_i32_e32 v14, 31, v13
	s_delay_alu instid0(VALU_DEP_1) | instskip(NEXT) | instid1(VALU_DEP_1)
	v_lshlrev_b64_e32 v[35:36], 1, v[13:14]
	v_add_co_u32 v35, vcc_lo, s44, v35
	s_wait_alu 0xfffd
	s_delay_alu instid0(VALU_DEP_2)
	v_add_co_ci_u32_e64 v36, null, s45, v36, vcc_lo
	global_load_u16 v14, v[35:36], off
	s_branch .LBB67_61
.LBB67_64:                              ;   in Loop: Header=BB67_16 Depth=1
	s_or_b32 exec_lo, exec_lo, s14
.LBB67_65:                              ;   in Loop: Header=BB67_16 Depth=1
	s_wait_alu 0xfffe
	s_or_b32 exec_lo, exec_lo, s13
	s_branch .LBB67_45
.LBB67_66:                              ;   in Loop: Header=BB67_16 Depth=1
	s_mul_u64 s[10:11], s[42:43], s[46:47]
	v_dual_mov_b32 v1, 0 :: v_dual_mov_b32 v2, 0
	s_wait_alu 0xfffe
	s_mul_i32 s9, s11, s55
	v_dual_mov_b32 v3, 0 :: v_dual_mov_b32 v4, 0
	s_wait_alu 0xfffe
	s_sub_co_i32 s9, s42, s9
	s_mov_b32 s24, exec_lo
	s_wait_alu 0xfffe
	s_sub_co_i32 s10, s9, s55
	s_cmp_ge_u32 s9, s55
	s_wait_alu 0xfffe
	s_cselect_b32 s9, s10, s9
	s_wait_alu 0xfffe
	s_sub_co_i32 s10, s9, s55
	s_cmp_ge_u32 s9, s55
	s_wait_alu 0xfffe
	s_cselect_b32 s9, s10, s9
	s_wait_alu 0xfffe
	s_sub_co_i32 s23, s42, s9
	s_wait_alu 0xfffe
	v_cmpx_gt_u32_e64 s23, v16
	s_cbranch_execz .LBB67_70
; %bb.67:                               ;   in Loop: Header=BB67_16 Depth=1
	v_dual_mov_b32 v6, v27 :: v_dual_mov_b32 v13, v16
	s_mov_b32 s25, 0
	s_mov_b32 s26, 0
	;; [unrolled: 1-line block ×5, first 2 shown]
.LBB67_68:                              ;   Parent Loop BB67_16 Depth=1
                                        ; =>  This Inner Loop Header: Depth=2
	ds_load_b64 v[1:2], v6
	s_wait_dscnt 0x0
	v_cmp_lt_i16_e64 s9, -1, v1
	v_lshrrev_b32_e32 v4, 16, v2
	v_lshrrev_b32_e32 v3, 16, v1
	v_and_b32_e32 v14, 0xffff, v1
	v_lshlrev_b32_e32 v35, 16, v1
	s_wait_loadcnt 0x0
	s_wait_alu 0xf1ff
	v_cndmask_b32_e64 v34, 0xffff, v29, s9
	v_cmp_lt_i16_e64 s9, -1, v2
	v_and_b32_e32 v36, 0xffff, v2
	v_cmp_lt_i16_e64 s10, -1, v4
	v_lshlrev_b32_e32 v38, 16, v2
	v_xor_b32_e32 v14, v34, v14
	s_wait_alu 0xf1ff
	v_cndmask_b32_e64 v37, 0xffff, v29, s9
	v_cmp_lt_i16_e64 s9, -1, v3
	v_and_b32_e32 v1, 0xffff0000, v1
	v_and_b32_e32 v2, 0xffff0000, v2
	s_delay_alu instid0(VALU_DEP_4)
	v_xor_b32_e32 v36, v37, v36
	v_cndmask_b32_e64 v37, 0xffff, v29, s10
	v_cmp_o_f32_e64 s10, v35, v35
	s_wait_alu 0xf1ff
	v_cndmask_b32_e64 v34, 0xffff, v29, s9
	v_cmp_o_f32_e64 s9, v38, v38
	v_xor_b32_e32 v4, v37, v4
	v_cndmask_b32_e64 v14, 0xffff, v14, s10
	s_delay_alu instid0(VALU_DEP_4)
	v_xor_b32_e32 v3, v34, v3
	s_wait_alu 0xf1ff
	v_cndmask_b32_e64 v34, 0xffff, v36, s9
	v_cmp_o_f32_e64 s9, v2, v2
	v_cmp_o_f32_e64 s10, v1, v1
	v_and_b32_e32 v2, v14, v31
	v_bfe_u32 v14, v14, s76, 2
	s_wait_alu 0xf1ff
	s_delay_alu instid0(VALU_DEP_3)
	v_cndmask_b32_e64 v1, 0xffff, v3, s10
	v_cndmask_b32_e64 v3, 0xffff, v4, s9
	v_and_b32_e32 v4, v34, v31
	v_bfe_u32 v34, v34, s76, 2
	v_cmp_eq_u32_e64 s9, v2, v22
	v_cmp_eq_u32_e64 s11, 0, v14
	v_and_b32_e32 v2, v1, v31
	v_cmp_eq_u32_e64 s10, v4, v22
	v_cmp_eq_u32_e64 s12, 0, v34
	v_and_b32_e32 v4, v3, v31
	v_bfe_u32 v1, v1, s76, 2
	v_bfe_u32 v3, v3, s76, 2
	v_cmp_eq_u32_e64 s13, 1, v14
	v_cmp_eq_u32_e64 s15, 2, v14
	s_and_b32 s11, s9, s11
	v_cmp_eq_u32_e64 s14, 1, v34
	v_cmp_eq_u32_e64 s16, 2, v34
	v_cmp_eq_u32_e64 s17, 3, v14
	v_cmp_eq_u32_e64 s19, v2, v22
	s_wait_alu 0xfffe
	v_cndmask_b32_e64 v2, 0, 1, s11
	s_and_b32 s11, s10, s12
	v_cmp_eq_u32_e64 s18, 3, v34
	v_cmp_eq_u32_e64 s20, v4, v22
	;; [unrolled: 1-line block ×4, first 2 shown]
	s_wait_alu 0xfffe
	v_cndmask_b32_e64 v4, 0, 1, s11
	v_cmp_eq_u32_e64 s11, 1, v1
	s_and_b32 s13, s9, s13
	s_and_b32 s15, s9, s15
	s_wait_alu 0xfffe
	v_cndmask_b32_e64 v14, 0, 1, s13
	s_and_b32 s13, s10, s14
	v_cndmask_b32_e64 v35, 0, 1, s15
	s_and_b32 s15, s10, s16
	s_and_b32 s9, s9, s17
	v_cmp_eq_u32_e64 s12, 1, v3
	s_wait_alu 0xfffe
	v_cndmask_b32_e64 v34, 0, 1, s13
	v_cmp_eq_u32_e64 s13, 2, v1
	v_cmp_eq_u32_e64 s14, 2, v3
	v_cndmask_b32_e64 v36, 0, 1, s15
	v_cmp_eq_u32_e64 s15, 3, v1
	v_cmp_eq_u32_e64 s16, 3, v3
	v_cndmask_b32_e64 v1, 0, 1, s9
	s_and_b32 s9, s10, s18
	s_and_b32 s10, s19, s21
	;; [unrolled: 1-line block ×4, first 2 shown]
	s_wait_alu 0xfffe
	v_cndmask_b32_e64 v3, 0, 1, s9
	v_cmp_ne_u32_e64 s9, 0, v2
	v_cndmask_b32_e64 v2, 0, 1, s10
	v_cmp_ne_u32_e64 s10, 0, v4
	;; [unrolled: 2-line block ×3, first 2 shown]
	v_cndmask_b32_e64 v14, 0, 1, s11
	s_and_b32 s12, s20, s12
	s_and_b32 s13, s19, s13
	;; [unrolled: 1-line block ×5, first 2 shown]
	v_cmp_ne_u32_e64 s11, 0, v34
	s_wait_alu 0xfffe
	v_cndmask_b32_e64 v34, 0, 1, s12
	v_cmp_ne_u32_e64 s12, 0, v35
	v_cndmask_b32_e64 v35, 0, 1, s13
	v_cmp_ne_u32_e64 s13, 0, v36
	;; [unrolled: 2-line block ×5, first 2 shown]
	s_bcnt1_i32_b32 s17, s17
	s_bcnt1_i32_b32 s20, s11
	v_cmp_ne_u32_e64 s11, 0, v34
	s_bcnt1_i32_b32 s18, s9
	v_cmp_ne_u32_e64 s9, 0, v2
	;; [unrolled: 2-line block ×4, first 2 shown]
	s_wait_alu 0xfffe
	s_add_co_i32 s17, s17, s28
	s_bcnt1_i32_b32 s16, s16
	s_bcnt1_i32_b32 s19, s10
	s_wait_alu 0xfffe
	s_add_co_i32 s16, s17, s16
	v_cmp_ne_u32_e64 s10, 0, v4
	s_bcnt1_i32_b32 s22, s13
	v_cmp_ne_u32_e64 s13, 0, v36
	s_bcnt1_i32_b32 s79, s15
	;; [unrolled: 2-line block ×3, first 2 shown]
	s_wait_alu 0xfffe
	s_add_co_i32 s16, s16, s20
	s_add_co_i32 s18, s18, s77
	;; [unrolled: 1-line block ×4, first 2 shown]
	s_bcnt1_i32_b32 s9, s9
	s_bcnt1_i32_b32 s12, s12
	;; [unrolled: 1-line block ×3, first 2 shown]
	s_wait_alu 0xfffe
	s_add_co_i32 s28, s16, s11
	s_wait_alu 0xfffe
	v_dual_mov_b32 v2, s28 :: v_dual_add_nc_u32 v13, s55, v13
	s_add_co_i32 s9, s18, s9
	s_add_co_i32 s12, s21, s12
	;; [unrolled: 1-line block ×3, first 2 shown]
	s_bcnt1_i32_b32 s10, s10
	s_bcnt1_i32_b32 s13, s13
	s_bcnt1_i32_b32 s15, s15
	s_wait_alu 0xfffe
	s_add_co_i32 s9, s9, s19
	s_add_co_i32 s12, s12, s22
	;; [unrolled: 1-line block ×3, first 2 shown]
	v_cmp_le_i32_e32 vcc_lo, s23, v13
	s_wait_alu 0xfffe
	s_add_co_i32 s77, s9, s10
	s_add_co_i32 s27, s12, s13
	;; [unrolled: 1-line block ×3, first 2 shown]
	s_wait_alu 0xfffe
	v_dual_mov_b32 v1, s77 :: v_dual_add_nc_u32 v6, s67, v6
	v_dual_mov_b32 v3, s27 :: v_dual_mov_b32 v4, s26
	s_or_b32 s25, vcc_lo, s25
	s_wait_alu 0xfffe
	s_and_not1_b32 exec_lo, exec_lo, s25
	s_cbranch_execnz .LBB67_68
; %bb.69:                               ;   in Loop: Header=BB67_16 Depth=1
	s_or_b32 exec_lo, exec_lo, s25
.LBB67_70:                              ;   in Loop: Header=BB67_16 Depth=1
	s_delay_alu instid0(SALU_CYCLE_1) | instskip(SKIP_2) | instid1(VALU_DEP_1)
	s_or_b32 exec_lo, exec_lo, s24
	v_add_nc_u32_e32 v6, s23, v0
	s_mov_b32 s14, exec_lo
	v_cmpx_gt_i32_e64 s42, v6
	s_cbranch_execz .LBB67_74
; %bb.71:                               ;   in Loop: Header=BB67_16 Depth=1
	v_lshlrev_b32_e32 v13, 1, v6
	s_mov_b32 s15, 0
.LBB67_72:                              ;   Parent Loop BB67_16 Depth=1
                                        ; =>  This Inner Loop Header: Depth=2
	ds_load_u16 v14, v13
	v_add_nc_u32_e32 v6, s53, v6
	v_add_nc_u32_e32 v13, s68, v13
	s_delay_alu instid0(VALU_DEP_2)
	v_cmp_le_i32_e32 vcc_lo, s42, v6
	s_wait_dscnt 0x0
	v_cmp_lt_i16_e64 s9, -1, v14
	s_wait_loadcnt 0x0
	v_and_b32_e32 v34, 0xffff, v14
	v_lshlrev_b32_e32 v14, 16, v14
	s_wait_alu 0xf1ff
	v_cndmask_b32_e64 v35, 0xffff, v29, s9
	s_delay_alu instid0(VALU_DEP_2) | instskip(NEXT) | instid1(VALU_DEP_2)
	v_cmp_o_f32_e64 s9, v14, v14
	v_xor_b32_e32 v34, v35, v34
	s_wait_alu 0xf1ff
	s_delay_alu instid0(VALU_DEP_1) | instskip(NEXT) | instid1(VALU_DEP_1)
	v_cndmask_b32_e64 v14, 0xffff, v34, s9
	v_and_b32_e32 v34, v14, v31
	v_bfe_u32 v14, v14, s76, 2
	s_delay_alu instid0(VALU_DEP_2) | instskip(NEXT) | instid1(VALU_DEP_2)
	v_cmp_eq_u32_e64 s9, v34, v22
	v_cmp_eq_u32_e64 s10, 0, v14
	;; [unrolled: 1-line block ×5, first 2 shown]
	s_and_b32 s10, s9, s10
	s_wait_alu 0xfffe
	v_cndmask_b32_e64 v14, 0, 1, s10
	s_and_b32 s10, s9, s11
	s_wait_alu 0xfffe
	v_cndmask_b32_e64 v34, 0, 1, s10
	s_and_b32 s10, s9, s12
	s_and_b32 s9, s9, s13
	s_wait_alu 0xfffe
	v_cndmask_b32_e64 v35, 0, 1, s10
	v_cndmask_b32_e64 v36, 0, 1, s9
	v_cmp_ne_u32_e64 s9, 0, v14
	v_cmp_ne_u32_e64 s10, 0, v34
	s_delay_alu instid0(VALU_DEP_4) | instskip(NEXT) | instid1(VALU_DEP_4)
	v_cmp_ne_u32_e64 s11, 0, v35
	v_cmp_ne_u32_e64 s12, 0, v36
	s_bcnt1_i32_b32 s9, s9
	s_bcnt1_i32_b32 s10, s10
	s_wait_alu 0xfffe
	v_add_nc_u32_e32 v1, s9, v1
	s_bcnt1_i32_b32 s11, s11
	s_bcnt1_i32_b32 s12, s12
	v_add_nc_u32_e32 v2, s10, v2
	s_wait_alu 0xfffe
	v_add_nc_u32_e32 v3, s11, v3
	v_add_nc_u32_e32 v4, s12, v4
	s_or_b32 s15, vcc_lo, s15
	s_wait_alu 0xfffe
	s_and_not1_b32 exec_lo, exec_lo, s15
	s_cbranch_execnz .LBB67_72
; %bb.73:                               ;   in Loop: Header=BB67_16 Depth=1
	s_or_b32 exec_lo, exec_lo, s15
.LBB67_74:                              ;   in Loop: Header=BB67_16 Depth=1
	s_wait_alu 0xfffe
	s_or_b32 exec_lo, exec_lo, s14
	v_lshlrev_b32_e32 v6, 7, v30
	s_and_saveexec_b32 s9, s4
	s_cbranch_execnz .LBB67_46
	s_branch .LBB67_47
.LBB67_75:                              ;   in Loop: Header=BB67_16 Depth=1
	s_or_b32 exec_lo, exec_lo, s12
	s_wait_dscnt 0x0
	s_barrier_signal -1
	s_barrier_wait -1
	global_inv scope:SCOPE_SE
	s_and_saveexec_b32 s9, s2
	s_cbranch_execz .LBB67_77
; %bb.76:                               ;   in Loop: Header=BB67_16 Depth=1
	ds_load_b32 v1, v7 offset:4104
	s_wait_dscnt 0x0
	ds_store_b32 v7, v1 offset:4096
.LBB67_77:                              ;   in Loop: Header=BB67_16 Depth=1
	s_wait_alu 0xfffe
	s_or_b32 exec_lo, exec_lo, s9
	s_wait_loadcnt_dscnt 0x0
	s_barrier_signal -1
	s_mov_b32 s9, -1
	s_barrier_wait -1
	s_and_b32 vcc_lo, exec_lo, s10
	s_wait_alu 0xfffe
	s_cbranch_vccnz .LBB67_31
	s_branch .LBB67_41
.LBB67_78:                              ;   in Loop: Header=BB67_16 Depth=1
	v_mov_b32_e32 v1, 0
	s_mov_b32 s10, 0
	s_and_not1_b32 vcc_lo, exec_lo, s63
	s_wait_alu 0xfffe
	s_cbranch_vccnz .LBB67_81
.LBB67_79:                              ;   in Loop: Header=BB67_16 Depth=1
	v_lshlrev_b32_e32 v2, 9, v30
	s_lshl_b32 s10, s10, 4
	s_wait_alu 0xfffe
	s_delay_alu instid0(VALU_DEP_1)
	v_add3_u32 v2, v2, s10, v28
	s_mov_b32 s10, s60
.LBB67_80:                              ;   Parent Loop BB67_16 Depth=1
                                        ; =>  This Inner Loop Header: Depth=2
	ds_load_b32 v3, v2
	v_add_nc_u32_e32 v2, 16, v2
	s_wait_alu 0xfffe
	s_add_co_i32 s10, s10, -1
	s_wait_alu 0xfffe
	s_cmp_lg_u32 s10, 0
	s_wait_dscnt 0x0
	v_add_nc_u32_e32 v1, v3, v1
	s_cbranch_scc1 .LBB67_80
.LBB67_81:                              ;   in Loop: Header=BB67_16 Depth=1
	v_add_lshl_u32 v2, v6, v15, 2
	ds_store_b32 v2, v1 offset:3072
.LBB67_82:                              ;   in Loop: Header=BB67_16 Depth=1
	s_wait_alu 0xfffe
	s_or_b32 exec_lo, exec_lo, s9
	v_lshlrev_b32_e32 v1, 2, v6
	s_wait_loadcnt_dscnt 0x0
	s_barrier_signal -1
	s_barrier_wait -1
	global_inv scope:SCOPE_SE
	ds_load_b128 v[1:4], v1 offset:3072
	s_lshl_b32 s10, 3, s76
	v_cmp_eq_u32_e32 vcc_lo, 1, v33
	s_wait_alu 0xfffe
	s_not_b32 s17, s10
	s_mov_b32 s13, -1
	s_mov_b32 s15, -1
                                        ; implicit-def: $sgpr20
                                        ; implicit-def: $sgpr18
	s_wait_dscnt 0x0
	v_readfirstlane_b32 s12, v1
	v_readfirstlane_b32 s19, v2
	;; [unrolled: 1-line block ×4, first 2 shown]
	s_cmp_eq_u32 s12, 1
	s_cselect_b32 s11, -1, 0
	s_wait_alu 0xfffe
	s_and_b32 s14, s11, vcc_lo
	s_wait_alu 0xfffe
	s_and_saveexec_b32 s11, s14
	s_cbranch_execz .LBB67_108
; %bb.83:                               ;   in Loop: Header=BB67_16 Depth=1
	ds_load_b32 v1, v7 offset:4096
	s_wait_loadcnt_dscnt 0x0
	s_barrier_signal -1
	s_barrier_wait -1
	global_inv scope:SCOPE_SE
	v_readfirstlane_b32 s15, v1
	s_and_saveexec_b32 s18, s0
; %bb.84:                               ;   in Loop: Header=BB67_16 Depth=1
	ds_store_b16 v18, v7
; %bb.85:                               ;   in Loop: Header=BB67_16 Depth=1
	s_wait_alu 0xfffe
	s_or_b32 exec_lo, exec_lo, s18
	v_and_b32_e32 v22, s17, v22
	v_or_b32_e32 v31, s10, v31
	s_mov_b32 s18, -1
	s_mov_b32 s20, 0
	s_cmp_lt_i32 s15, 1
	s_mov_b32 s21, 0
	s_mov_b32 s22, -1
	s_wait_loadcnt_dscnt 0x0
	s_barrier_signal -1
	s_barrier_wait -1
	global_inv scope:SCOPE_SE
                                        ; implicit-def: $vgpr32
	s_cbranch_scc0 .LBB67_96
; %bb.86:                               ;   in Loop: Header=BB67_16 Depth=1
	s_mov_b32 s22, 0
                                        ; implicit-def: $vgpr32
	s_and_saveexec_b32 s23, s8
	s_cbranch_execz .LBB67_95
; %bb.87:                               ;   in Loop: Header=BB67_16 Depth=1
	v_mov_b32_e32 v1, v5
	v_mov_b32_e32 v3, v0
                                        ; implicit-def: $sgpr24
	s_branch .LBB67_90
.LBB67_88:                              ;   in Loop: Header=BB67_90 Depth=2
	s_wait_alu 0xfffe
	s_or_b32 exec_lo, exec_lo, s25
	s_wait_loadcnt_dscnt 0x0
	s_barrier_signal -1
	s_barrier_wait -1
	global_inv scope:SCOPE_SE
	ds_load_b32 v2, v7 offset:3072
	s_mov_b32 s25, -1
	s_mov_b32 s26, -1
	s_wait_loadcnt_dscnt 0x0
	s_barrier_signal -1
	s_barrier_wait -1
	global_inv scope:SCOPE_SE
	v_and_b32_e32 v4, 0x7fff, v2
	s_delay_alu instid0(VALU_DEP_1)
	v_cmp_ne_u32_e32 vcc_lo, 0, v4
	s_cbranch_vccz .LBB67_93
.LBB67_89:                              ;   in Loop: Header=BB67_90 Depth=2
	s_wait_alu 0xfffe
	s_and_b32 s25, exec_lo, s25
	s_wait_alu 0xfffe
	s_or_b32 s21, s25, s21
	s_and_not1_b32 s24, s24, exec_lo
	s_and_b32 s25, s26, exec_lo
	s_wait_alu 0xfffe
	s_or_b32 s24, s24, s25
	s_and_not1_b32 exec_lo, exec_lo, s21
	s_cbranch_execz .LBB67_94
.LBB67_90:                              ;   Parent Loop BB67_16 Depth=1
                                        ; =>  This Inner Loop Header: Depth=2
	s_mov_b32 s25, exec_lo
	s_delay_alu instid0(VALU_DEP_1)
	v_cmpx_gt_i32_e64 s36, v3
	s_cbranch_execz .LBB67_88
; %bb.91:                               ;   in Loop: Header=BB67_90 Depth=2
	v_ashrrev_i32_e32 v2, 31, v1
	s_delay_alu instid0(VALU_DEP_1) | instskip(NEXT) | instid1(VALU_DEP_1)
	v_lshlrev_b64_e32 v[13:14], 1, v[1:2]
	v_add_co_u32 v13, vcc_lo, s44, v13
	s_wait_alu 0xfffd
	s_delay_alu instid0(VALU_DEP_2)
	v_add_co_ci_u32_e64 v14, null, s45, v14, vcc_lo
	global_load_u16 v2, v[13:14], off
	s_wait_loadcnt 0x0
	v_cmp_lt_i16_e32 vcc_lo, -1, v2
	v_and_b32_e32 v4, 0xffff, v2
	s_wait_alu 0xfffd
	v_dual_cndmask_b32 v6, 0xffff, v29 :: v_dual_lshlrev_b32 v13, 16, v2
	s_delay_alu instid0(VALU_DEP_1) | instskip(NEXT) | instid1(VALU_DEP_2)
	v_cmp_o_f32_e32 vcc_lo, v13, v13
	v_xor_b32_e32 v4, v6, v4
	s_wait_alu 0xfffd
	s_delay_alu instid0(VALU_DEP_1) | instskip(NEXT) | instid1(VALU_DEP_1)
	v_cndmask_b32_e32 v4, 0xffff, v4, vcc_lo
	v_and_b32_e32 v4, v4, v31
	s_delay_alu instid0(VALU_DEP_1)
	v_cmp_eq_u32_e32 vcc_lo, v4, v22
	s_and_b32 exec_lo, exec_lo, vcc_lo
	s_cbranch_execz .LBB67_88
; %bb.92:                               ;   in Loop: Header=BB67_90 Depth=2
	v_perm_b32 v2, v2, s69, 0x5040100
	ds_store_b32 v7, v2 offset:3072
	s_branch .LBB67_88
.LBB67_93:                              ;   in Loop: Header=BB67_90 Depth=2
	v_add_nc_u32_e32 v3, s53, v3
	v_add_nc_u32_e32 v1, s57, v1
	s_mov_b32 s26, 0
	s_delay_alu instid0(VALU_DEP_2)
	v_cmp_le_i32_e32 vcc_lo, s65, v3
	s_or_not1_b32 s25, vcc_lo, exec_lo
	s_branch .LBB67_89
.LBB67_94:                              ;   in Loop: Header=BB67_16 Depth=1
	s_or_b32 exec_lo, exec_lo, s21
	v_lshrrev_b32_e32 v32, 16, v2
	s_wait_alu 0xfffe
	s_and_b32 s21, s24, exec_lo
.LBB67_95:                              ;   in Loop: Header=BB67_16 Depth=1
	s_wait_alu 0xfffe
	s_or_b32 exec_lo, exec_lo, s23
.LBB67_96:                              ;   in Loop: Header=BB67_16 Depth=1
	s_wait_alu 0xfffe
	s_and_b32 vcc_lo, exec_lo, s22
	s_wait_alu 0xfffe
	s_cbranch_vccz .LBB67_107
; %bb.97:                               ;   in Loop: Header=BB67_16 Depth=1
	s_add_co_i32 s20, s15, s56
                                        ; implicit-def: $vgpr32
	s_wait_alu 0xfffe
	s_abs_i32 s42, s20
	s_wait_alu 0xfffe
	s_mul_u64 s[22:23], s[42:43], s[48:49]
	s_ashr_i32 s22, s20, 31
	s_wait_alu 0xfffe
	s_mul_i32 s18, s23, s53
	s_wait_alu 0xfffe
	s_sub_co_i32 s18, s42, s18
	s_wait_alu 0xfffe
	s_sub_co_i32 s23, s18, s53
	s_cmp_ge_u32 s18, s53
	s_wait_alu 0xfffe
	s_cselect_b32 s18, s23, s18
	s_wait_alu 0xfffe
	s_sub_co_i32 s23, s18, s53
	s_cmp_ge_u32 s18, s53
	s_wait_alu 0xfffe
	s_cselect_b32 s18, s23, s18
	s_wait_alu 0xfffe
	s_xor_b32 s18, s18, s22
	s_wait_alu 0xfffe
	s_sub_co_i32 s18, s22, s18
	s_wait_alu 0xfffe
	s_add_co_i32 s20, s20, s18
	s_mov_b32 s18, exec_lo
	s_wait_alu 0xfffe
	v_cmpx_gt_i32_e64 s20, v0
	s_cbranch_execz .LBB67_106
; %bb.98:                               ;   in Loop: Header=BB67_16 Depth=1
	v_dual_mov_b32 v1, v17 :: v_dual_mov_b32 v2, v0
	s_mov_b32 s22, 0
                                        ; implicit-def: $sgpr23
	s_branch .LBB67_101
.LBB67_99:                              ;   in Loop: Header=BB67_101 Depth=2
	s_wait_alu 0xfffe
	s_or_b32 exec_lo, exec_lo, s24
	s_wait_loadcnt_dscnt 0x0
	s_barrier_signal -1
	s_barrier_wait -1
	global_inv scope:SCOPE_SE
	ds_load_b32 v3, v7 offset:3072
	s_mov_b32 s24, -1
	s_mov_b32 s25, -1
	s_wait_loadcnt_dscnt 0x0
	s_barrier_signal -1
	s_barrier_wait -1
	global_inv scope:SCOPE_SE
	v_and_b32_e32 v4, 0x7fff, v3
	s_delay_alu instid0(VALU_DEP_1)
	v_cmp_ne_u32_e32 vcc_lo, 0, v4
	s_cbranch_vccz .LBB67_104
.LBB67_100:                             ;   in Loop: Header=BB67_101 Depth=2
	s_wait_alu 0xfffe
	s_and_b32 s24, exec_lo, s24
	s_wait_alu 0xfffe
	s_or_b32 s22, s24, s22
	s_and_not1_b32 s23, s23, exec_lo
	s_and_b32 s24, s25, exec_lo
	s_wait_alu 0xfffe
	s_or_b32 s23, s23, s24
	s_and_not1_b32 exec_lo, exec_lo, s22
	s_cbranch_execz .LBB67_105
.LBB67_101:                             ;   Parent Loop BB67_16 Depth=1
                                        ; =>  This Inner Loop Header: Depth=2
	s_mov_b32 s24, exec_lo
	s_delay_alu instid0(VALU_DEP_1)
	v_cmpx_gt_i32_e64 s15, v2
	s_cbranch_execz .LBB67_99
; %bb.102:                              ;   in Loop: Header=BB67_101 Depth=2
	ds_load_u16 v3, v1
	s_wait_dscnt 0x0
	v_cmp_lt_i16_e32 vcc_lo, -1, v3
	v_and_b32_e32 v4, 0xffff, v3
	s_wait_alu 0xfffd
	v_dual_cndmask_b32 v6, 0xffff, v29 :: v_dual_lshlrev_b32 v13, 16, v3
	s_delay_alu instid0(VALU_DEP_1) | instskip(NEXT) | instid1(VALU_DEP_2)
	v_cmp_o_f32_e32 vcc_lo, v13, v13
	v_xor_b32_e32 v4, v6, v4
	s_wait_alu 0xfffd
	s_delay_alu instid0(VALU_DEP_1) | instskip(NEXT) | instid1(VALU_DEP_1)
	v_cndmask_b32_e32 v4, 0xffff, v4, vcc_lo
	v_and_b32_e32 v4, v4, v31
	s_delay_alu instid0(VALU_DEP_1)
	v_cmp_eq_u32_e32 vcc_lo, v4, v22
	s_and_b32 exec_lo, exec_lo, vcc_lo
	s_cbranch_execz .LBB67_99
; %bb.103:                              ;   in Loop: Header=BB67_101 Depth=2
	v_perm_b32 v3, v3, s69, 0x5040100
	ds_store_b32 v7, v3 offset:3072
	s_branch .LBB67_99
.LBB67_104:                             ;   in Loop: Header=BB67_101 Depth=2
	v_add_nc_u32_e32 v2, s53, v2
	v_add_nc_u32_e32 v1, s68, v1
	s_mov_b32 s25, 0
	s_delay_alu instid0(VALU_DEP_2)
	v_cmp_le_i32_e32 vcc_lo, s20, v2
	s_or_not1_b32 s24, vcc_lo, exec_lo
	s_branch .LBB67_100
.LBB67_105:                             ;   in Loop: Header=BB67_16 Depth=1
	s_or_b32 exec_lo, exec_lo, s22
	s_delay_alu instid0(SALU_CYCLE_1)
	s_and_not1_b32 s15, s21, exec_lo
	s_wait_alu 0xfffe
	s_and_b32 s20, s23, exec_lo
	v_lshrrev_b32_e32 v32, 16, v3
	s_wait_alu 0xfffe
	s_or_b32 s21, s15, s20
.LBB67_106:                             ;   in Loop: Header=BB67_16 Depth=1
	s_or_b32 exec_lo, exec_lo, s18
	s_mov_b32 s18, 0
	s_mov_b32 s20, -1
.LBB67_107:                             ;   in Loop: Header=BB67_16 Depth=1
	s_wait_alu 0xfffe
	s_or_not1_b32 s15, s21, exec_lo
.LBB67_108:                             ;   in Loop: Header=BB67_16 Depth=1
	s_wait_alu 0xfffe
	s_or_b32 exec_lo, exec_lo, s11
	v_readfirstlane_b32 s21, v0
	s_and_not1_b32 s11, s74, exec_lo
	s_and_b32 s20, s20, exec_lo
	s_and_not1_b32 s22, s72, exec_lo
	s_and_b32 s18, s18, exec_lo
	s_and_not1_b32 s71, s71, exec_lo
	s_wait_alu 0xfffe
	s_or_b32 s74, s11, s20
	s_or_b32 s72, s22, s18
                                        ; implicit-def: $vgpr4
	s_and_saveexec_b32 s11, s15
	s_cbranch_execz .LBB67_15
; %bb.109:                              ;   in Loop: Header=BB67_16 Depth=1
	v_dual_mov_b32 v4, 1 :: v_dual_mov_b32 v3, 1
	s_xor_b32 s14, s14, -1
	s_mov_b32 s20, 0
	s_wait_alu 0xfffe
	s_and_saveexec_b32 s13, s14
	s_cbranch_execz .LBB67_118
; %bb.110:                              ;   in Loop: Header=BB67_16 Depth=1
	s_mov_b32 s14, exec_lo
	v_cmpx_ge_i32_e64 s12, v33
	s_wait_alu 0xfffe
	s_xor_b32 s14, exec_lo, s14
	s_cbranch_execz .LBB67_115
; %bb.111:                              ;   in Loop: Header=BB67_16 Depth=1
	ds_load_b32 v1, v7 offset:4096
	v_and_b32_e32 v22, s17, v22
	v_or_b32_e32 v31, s10, v31
	s_wait_dscnt 0x0
	v_cmp_ne_u32_e32 vcc_lo, 0, v1
	s_cbranch_vccnz .LBB67_115
; %bb.112:                              ;   in Loop: Header=BB67_16 Depth=1
	s_and_saveexec_b32 s15, s2
; %bb.113:                              ;   in Loop: Header=BB67_16 Depth=1
	v_mov_b32_e32 v1, s12
	ds_store_b32 v7, v1 offset:4100
; %bb.114:                              ;   in Loop: Header=BB67_16 Depth=1
	s_wait_alu 0xfffe
	s_or_b32 exec_lo, exec_lo, s15
	s_wait_loadcnt_dscnt 0x0
	s_barrier_signal -1
	s_barrier_wait -1
	global_inv scope:SCOPE_SE
.LBB67_115:                             ;   in Loop: Header=BB67_16 Depth=1
	s_wait_alu 0xfffe
	s_or_saveexec_b32 s14, s14
	v_mov_b32_e32 v3, 8
	s_mov_b32 s15, 0
	s_wait_alu 0xfffe
	s_xor_b32 exec_lo, exec_lo, s14
; %bb.116:                              ;   in Loop: Header=BB67_16 Depth=1
	v_subrev_nc_u32_e32 v33, s12, v33
	v_mov_b32_e32 v3, 0
	s_mov_b32 s15, exec_lo
; %bb.117:                              ;   in Loop: Header=BB67_16 Depth=1
	s_or_b32 exec_lo, exec_lo, s14
	s_delay_alu instid0(VALU_DEP_2)
	v_mov_b32_e32 v4, v33
	s_wait_alu 0xfffe
	s_and_b32 s20, s15, exec_lo
.LBB67_118:                             ;   in Loop: Header=BB67_16 Depth=1
	s_wait_alu 0xfffe
	s_or_b32 exec_lo, exec_lo, s13
	s_mov_b32 s12, -1
	s_mov_b32 s18, -1
                                        ; implicit-def: $sgpr14
                                        ; implicit-def: $sgpr15
	s_and_saveexec_b32 s13, s20
	s_wait_alu 0xfffe
	s_xor_b32 s13, exec_lo, s13
	s_cbranch_execz .LBB67_235
; %bb.119:                              ;   in Loop: Header=BB67_16 Depth=1
	v_cmp_eq_u32_e32 vcc_lo, 1, v4
	s_cmp_eq_u32 s19, 1
	s_mov_b32 s21, -1
	s_cselect_b32 s14, -1, 0
                                        ; implicit-def: $sgpr15
	s_wait_alu 0xfffe
	s_and_b32 s20, s14, vcc_lo
                                        ; implicit-def: $sgpr14
	s_wait_alu 0xfffe
	s_and_saveexec_b32 s18, s20
	s_cbranch_execz .LBB67_145
; %bb.120:                              ;   in Loop: Header=BB67_16 Depth=1
	ds_load_b32 v1, v7 offset:4096
	s_wait_loadcnt_dscnt 0x0
	s_barrier_signal -1
	s_barrier_wait -1
	global_inv scope:SCOPE_SE
	v_readfirstlane_b32 s21, v1
	s_and_saveexec_b32 s14, s0
; %bb.121:                              ;   in Loop: Header=BB67_16 Depth=1
	ds_store_b16 v18, v7
; %bb.122:                              ;   in Loop: Header=BB67_16 Depth=1
	s_wait_alu 0xfffe
	s_or_b32 exec_lo, exec_lo, s14
	s_lshl_b32 s14, 1, s76
	v_or_b32_e32 v31, s10, v31
	s_wait_alu 0xfffe
	v_and_or_b32 v22, v22, s17, s14
	s_mov_b32 s14, -1
	s_mov_b32 s15, 0
	s_cmp_gt_i32 s21, 0
	s_mov_b32 s22, 0
	s_mov_b32 s23, -1
	s_wait_loadcnt_dscnt 0x0
	s_barrier_signal -1
	s_barrier_wait -1
	global_inv scope:SCOPE_SE
                                        ; implicit-def: $vgpr32
	s_cbranch_scc1 .LBB67_133
; %bb.123:                              ;   in Loop: Header=BB67_16 Depth=1
	s_mov_b32 s23, 0
                                        ; implicit-def: $vgpr32
	s_and_saveexec_b32 s24, s8
	s_cbranch_execz .LBB67_132
; %bb.124:                              ;   in Loop: Header=BB67_16 Depth=1
	v_dual_mov_b32 v1, v5 :: v_dual_mov_b32 v6, v0
                                        ; implicit-def: $sgpr25
	s_branch .LBB67_127
.LBB67_125:                             ;   in Loop: Header=BB67_127 Depth=2
	s_wait_alu 0xfffe
	s_or_b32 exec_lo, exec_lo, s26
	s_wait_loadcnt_dscnt 0x0
	s_barrier_signal -1
	s_barrier_wait -1
	global_inv scope:SCOPE_SE
	ds_load_b32 v2, v7 offset:3072
	s_mov_b32 s26, -1
	s_mov_b32 s27, -1
	s_wait_loadcnt_dscnt 0x0
	s_barrier_signal -1
	s_barrier_wait -1
	global_inv scope:SCOPE_SE
	v_and_b32_e32 v13, 0x7fff, v2
	s_delay_alu instid0(VALU_DEP_1)
	v_cmp_ne_u32_e32 vcc_lo, 0, v13
	s_cbranch_vccz .LBB67_130
.LBB67_126:                             ;   in Loop: Header=BB67_127 Depth=2
	s_wait_alu 0xfffe
	s_and_b32 s26, exec_lo, s26
	s_wait_alu 0xfffe
	s_or_b32 s22, s26, s22
	s_and_not1_b32 s25, s25, exec_lo
	s_and_b32 s26, s27, exec_lo
	s_wait_alu 0xfffe
	s_or_b32 s25, s25, s26
	s_and_not1_b32 exec_lo, exec_lo, s22
	s_cbranch_execz .LBB67_131
.LBB67_127:                             ;   Parent Loop BB67_16 Depth=1
                                        ; =>  This Inner Loop Header: Depth=2
	s_mov_b32 s26, exec_lo
	s_delay_alu instid0(VALU_DEP_1)
	v_cmpx_gt_i32_e64 s36, v6
	s_cbranch_execz .LBB67_125
; %bb.128:                              ;   in Loop: Header=BB67_127 Depth=2
	v_ashrrev_i32_e32 v2, 31, v1
	s_delay_alu instid0(VALU_DEP_1) | instskip(NEXT) | instid1(VALU_DEP_1)
	v_lshlrev_b64_e32 v[13:14], 1, v[1:2]
	v_add_co_u32 v13, vcc_lo, s44, v13
	s_wait_alu 0xfffd
	s_delay_alu instid0(VALU_DEP_2)
	v_add_co_ci_u32_e64 v14, null, s45, v14, vcc_lo
	global_load_u16 v2, v[13:14], off
	s_wait_loadcnt 0x0
	v_cmp_lt_i16_e32 vcc_lo, -1, v2
	s_wait_alu 0xfffd
	v_dual_cndmask_b32 v14, 0xffff, v29 :: v_dual_and_b32 v13, 0xffff, v2
	s_delay_alu instid0(VALU_DEP_1) | instskip(SKIP_1) | instid1(VALU_DEP_1)
	v_xor_b32_e32 v13, v14, v13
	v_lshlrev_b32_e32 v32, 16, v2
	v_cmp_o_f32_e32 vcc_lo, v32, v32
	s_wait_alu 0xfffd
	s_delay_alu instid0(VALU_DEP_3) | instskip(NEXT) | instid1(VALU_DEP_1)
	v_cndmask_b32_e32 v13, 0xffff, v13, vcc_lo
	v_and_b32_e32 v13, v13, v31
	s_delay_alu instid0(VALU_DEP_1)
	v_cmp_eq_u32_e32 vcc_lo, v13, v22
	s_and_b32 exec_lo, exec_lo, vcc_lo
	s_cbranch_execz .LBB67_125
; %bb.129:                              ;   in Loop: Header=BB67_127 Depth=2
	v_perm_b32 v2, v2, s69, 0x5040100
	ds_store_b32 v7, v2 offset:3072
	s_branch .LBB67_125
.LBB67_130:                             ;   in Loop: Header=BB67_127 Depth=2
	v_add_nc_u32_e32 v6, s53, v6
	v_add_nc_u32_e32 v1, s57, v1
	s_mov_b32 s27, 0
	s_delay_alu instid0(VALU_DEP_2)
	v_cmp_le_i32_e32 vcc_lo, s65, v6
	s_or_not1_b32 s26, vcc_lo, exec_lo
	s_branch .LBB67_126
.LBB67_131:                             ;   in Loop: Header=BB67_16 Depth=1
	s_or_b32 exec_lo, exec_lo, s22
	v_lshrrev_b32_e32 v32, 16, v2
	s_wait_alu 0xfffe
	s_and_b32 s22, s25, exec_lo
.LBB67_132:                             ;   in Loop: Header=BB67_16 Depth=1
	s_wait_alu 0xfffe
	s_or_b32 exec_lo, exec_lo, s24
.LBB67_133:                             ;   in Loop: Header=BB67_16 Depth=1
	s_wait_alu 0xfffe
	s_and_b32 vcc_lo, exec_lo, s23
	s_wait_alu 0xfffe
	s_cbranch_vccz .LBB67_144
; %bb.134:                              ;   in Loop: Header=BB67_16 Depth=1
	s_add_co_i32 s23, s21, s56
                                        ; implicit-def: $vgpr32
	s_wait_alu 0xfffe
	s_abs_i32 s42, s23
	s_wait_alu 0xfffe
	s_mul_u64 s[14:15], s[42:43], s[48:49]
	s_wait_alu 0xfffe
	s_mul_i32 s14, s15, s53
	s_ashr_i32 s15, s23, 31
	s_wait_alu 0xfffe
	s_sub_co_i32 s14, s42, s14
	s_wait_alu 0xfffe
	s_sub_co_i32 s24, s14, s53
	s_cmp_ge_u32 s14, s53
	s_wait_alu 0xfffe
	s_cselect_b32 s14, s24, s14
	s_wait_alu 0xfffe
	s_sub_co_i32 s24, s14, s53
	s_cmp_ge_u32 s14, s53
	s_wait_alu 0xfffe
	s_cselect_b32 s14, s24, s14
	s_wait_alu 0xfffe
	s_xor_b32 s14, s14, s15
	s_wait_alu 0xfffe
	s_sub_co_i32 s14, s15, s14
	s_wait_alu 0xfffe
	s_add_co_i32 s15, s23, s14
	s_mov_b32 s14, exec_lo
	s_wait_alu 0xfffe
	v_cmpx_gt_i32_e64 s15, v0
	s_cbranch_execz .LBB67_143
; %bb.135:                              ;   in Loop: Header=BB67_16 Depth=1
	v_dual_mov_b32 v1, v17 :: v_dual_mov_b32 v2, v0
	s_mov_b32 s23, 0
                                        ; implicit-def: $sgpr24
	s_branch .LBB67_138
.LBB67_136:                             ;   in Loop: Header=BB67_138 Depth=2
	s_wait_alu 0xfffe
	s_or_b32 exec_lo, exec_lo, s25
	s_wait_loadcnt_dscnt 0x0
	s_barrier_signal -1
	s_barrier_wait -1
	global_inv scope:SCOPE_SE
	ds_load_b32 v6, v7 offset:3072
	s_mov_b32 s25, -1
	s_mov_b32 s26, -1
	s_wait_loadcnt_dscnt 0x0
	s_barrier_signal -1
	s_barrier_wait -1
	global_inv scope:SCOPE_SE
	v_and_b32_e32 v13, 0x7fff, v6
	s_delay_alu instid0(VALU_DEP_1)
	v_cmp_eq_u32_e32 vcc_lo, 0, v13
	s_cbranch_vccnz .LBB67_141
.LBB67_137:                             ;   in Loop: Header=BB67_138 Depth=2
	s_wait_alu 0xfffe
	s_and_b32 s25, exec_lo, s25
	s_wait_alu 0xfffe
	s_or_b32 s23, s25, s23
	s_and_not1_b32 s24, s24, exec_lo
	s_and_b32 s25, s26, exec_lo
	s_wait_alu 0xfffe
	s_or_b32 s24, s24, s25
	s_and_not1_b32 exec_lo, exec_lo, s23
	s_cbranch_execz .LBB67_142
.LBB67_138:                             ;   Parent Loop BB67_16 Depth=1
                                        ; =>  This Inner Loop Header: Depth=2
	s_mov_b32 s25, exec_lo
	s_delay_alu instid0(VALU_DEP_1)
	v_cmpx_gt_i32_e64 s21, v2
	s_cbranch_execz .LBB67_136
; %bb.139:                              ;   in Loop: Header=BB67_138 Depth=2
	ds_load_u16 v6, v1
	s_wait_dscnt 0x0
	v_cmp_lt_i16_e32 vcc_lo, -1, v6
	s_wait_alu 0xfffd
	v_dual_cndmask_b32 v14, 0xffff, v29 :: v_dual_and_b32 v13, 0xffff, v6
	s_delay_alu instid0(VALU_DEP_1) | instskip(SKIP_1) | instid1(VALU_DEP_1)
	v_xor_b32_e32 v13, v14, v13
	v_lshlrev_b32_e32 v32, 16, v6
	v_cmp_o_f32_e32 vcc_lo, v32, v32
	s_wait_alu 0xfffd
	s_delay_alu instid0(VALU_DEP_3) | instskip(NEXT) | instid1(VALU_DEP_1)
	v_cndmask_b32_e32 v13, 0xffff, v13, vcc_lo
	v_and_b32_e32 v13, v13, v31
	s_delay_alu instid0(VALU_DEP_1)
	v_cmp_eq_u32_e32 vcc_lo, v13, v22
	s_and_b32 exec_lo, exec_lo, vcc_lo
	s_cbranch_execz .LBB67_136
; %bb.140:                              ;   in Loop: Header=BB67_138 Depth=2
	v_perm_b32 v6, v6, s69, 0x5040100
	ds_store_b32 v7, v6 offset:3072
	s_branch .LBB67_136
.LBB67_141:                             ;   in Loop: Header=BB67_138 Depth=2
	v_add_nc_u32_e32 v2, s53, v2
	v_add_nc_u32_e32 v1, s68, v1
	s_mov_b32 s26, 0
	s_delay_alu instid0(VALU_DEP_2)
	v_cmp_le_i32_e32 vcc_lo, s15, v2
	s_or_not1_b32 s25, vcc_lo, exec_lo
	s_branch .LBB67_137
.LBB67_142:                             ;   in Loop: Header=BB67_16 Depth=1
	s_or_b32 exec_lo, exec_lo, s23
	v_lshrrev_b32_e32 v32, 16, v6
	s_and_not1_b32 s15, s22, exec_lo
	s_wait_alu 0xfffe
	s_and_b32 s21, s24, exec_lo
	s_wait_alu 0xfffe
	s_or_b32 s22, s15, s21
.LBB67_143:                             ;   in Loop: Header=BB67_16 Depth=1
	s_or_b32 exec_lo, exec_lo, s14
	s_mov_b32 s14, 0
	s_mov_b32 s15, -1
.LBB67_144:                             ;   in Loop: Header=BB67_16 Depth=1
	s_wait_alu 0xfffe
	s_or_not1_b32 s21, s22, exec_lo
.LBB67_145:                             ;   in Loop: Header=BB67_16 Depth=1
	s_wait_alu 0xfffe
	s_or_b32 exec_lo, exec_lo, s18
	s_mov_b32 s22, 0
	s_and_saveexec_b32 s18, s21
	s_cbranch_execz .LBB67_234
; %bb.146:                              ;   in Loop: Header=BB67_16 Depth=1
	v_dual_mov_b32 v6, 1 :: v_dual_mov_b32 v3, 1
	s_xor_b32 s21, s20, -1
	s_mov_b32 s23, 0
	s_wait_alu 0xfffe
	s_and_saveexec_b32 s20, s21
	s_cbranch_execz .LBB67_155
; %bb.147:                              ;   in Loop: Header=BB67_16 Depth=1
	s_mov_b32 s21, exec_lo
	v_cmpx_ge_i32_e64 s19, v4
	s_wait_alu 0xfffe
	s_xor_b32 s21, exec_lo, s21
	s_cbranch_execz .LBB67_152
; %bb.148:                              ;   in Loop: Header=BB67_16 Depth=1
	ds_load_b32 v1, v7 offset:4096
	s_lshl_b32 s22, 1, s76
	v_or_b32_e32 v31, s10, v31
	s_wait_alu 0xfffe
	v_and_or_b32 v22, v22, s17, s22
	s_wait_dscnt 0x0
	v_cmp_ne_u32_e32 vcc_lo, 0, v1
	s_cbranch_vccnz .LBB67_152
; %bb.149:                              ;   in Loop: Header=BB67_16 Depth=1
	s_and_saveexec_b32 s22, s2
; %bb.150:                              ;   in Loop: Header=BB67_16 Depth=1
	v_mov_b32_e32 v1, s19
	ds_store_b32 v7, v1 offset:4100
; %bb.151:                              ;   in Loop: Header=BB67_16 Depth=1
	s_wait_alu 0xfffe
	s_or_b32 exec_lo, exec_lo, s22
	s_wait_loadcnt_dscnt 0x0
	s_barrier_signal -1
	s_barrier_wait -1
	global_inv scope:SCOPE_SE
.LBB67_152:                             ;   in Loop: Header=BB67_16 Depth=1
	s_wait_alu 0xfffe
	s_or_saveexec_b32 s21, s21
	v_mov_b32_e32 v3, 8
	s_mov_b32 s22, 0
	s_wait_alu 0xfffe
	s_xor_b32 exec_lo, exec_lo, s21
; %bb.153:                              ;   in Loop: Header=BB67_16 Depth=1
	v_subrev_nc_u32_e32 v4, s19, v4
	v_mov_b32_e32 v3, 0
	s_mov_b32 s22, exec_lo
; %bb.154:                              ;   in Loop: Header=BB67_16 Depth=1
	s_or_b32 exec_lo, exec_lo, s21
	s_delay_alu instid0(VALU_DEP_2)
	v_mov_b32_e32 v6, v4
	s_wait_alu 0xfffe
	s_and_b32 s23, s22, exec_lo
.LBB67_155:                             ;   in Loop: Header=BB67_16 Depth=1
	s_wait_alu 0xfffe
	s_or_b32 exec_lo, exec_lo, s20
	s_mov_b32 s22, -1
                                        ; implicit-def: $sgpr20
                                        ; implicit-def: $sgpr21
	s_and_saveexec_b32 s19, s23
	s_cbranch_execz .LBB67_233
; %bb.156:                              ;   in Loop: Header=BB67_16 Depth=1
	v_cmp_eq_u32_e32 vcc_lo, 1, v6
	s_cmp_eq_u32 s16, 1
	s_mov_b32 s24, -1
	s_cselect_b32 s20, -1, 0
                                        ; implicit-def: $sgpr21
	s_wait_alu 0xfffe
	s_and_b32 s23, s20, vcc_lo
                                        ; implicit-def: $sgpr20
	s_wait_alu 0xfffe
	s_and_saveexec_b32 s22, s23
	s_cbranch_execz .LBB67_182
; %bb.157:                              ;   in Loop: Header=BB67_16 Depth=1
	ds_load_b32 v1, v7 offset:4096
	s_wait_loadcnt_dscnt 0x0
	s_barrier_signal -1
	s_barrier_wait -1
	global_inv scope:SCOPE_SE
	v_readfirstlane_b32 s24, v1
	s_and_saveexec_b32 s20, s0
; %bb.158:                              ;   in Loop: Header=BB67_16 Depth=1
	ds_store_b16 v18, v7
; %bb.159:                              ;   in Loop: Header=BB67_16 Depth=1
	s_wait_alu 0xfffe
	s_or_b32 exec_lo, exec_lo, s20
	s_lshl_b32 s20, 2, s76
	v_or_b32_e32 v31, s10, v31
	s_wait_alu 0xfffe
	v_and_or_b32 v22, v22, s17, s20
	s_mov_b32 s20, -1
	s_mov_b32 s21, 0
	s_cmp_gt_i32 s24, 0
	s_mov_b32 s25, 0
	s_mov_b32 s26, -1
	s_wait_loadcnt_dscnt 0x0
	s_barrier_signal -1
	s_barrier_wait -1
	global_inv scope:SCOPE_SE
                                        ; implicit-def: $vgpr32
	s_cbranch_scc1 .LBB67_170
; %bb.160:                              ;   in Loop: Header=BB67_16 Depth=1
	s_mov_b32 s26, 0
                                        ; implicit-def: $vgpr32
	s_and_saveexec_b32 s27, s8
	s_cbranch_execz .LBB67_169
; %bb.161:                              ;   in Loop: Header=BB67_16 Depth=1
	v_dual_mov_b32 v1, v5 :: v_dual_mov_b32 v4, v0
                                        ; implicit-def: $sgpr28
	s_branch .LBB67_164
.LBB67_162:                             ;   in Loop: Header=BB67_164 Depth=2
	s_wait_alu 0xfffe
	s_or_b32 exec_lo, exec_lo, s42
	s_wait_loadcnt_dscnt 0x0
	s_barrier_signal -1
	s_barrier_wait -1
	global_inv scope:SCOPE_SE
	ds_load_b32 v2, v7 offset:3072
	s_mov_b32 s42, -1
	s_mov_b32 s77, -1
	s_wait_loadcnt_dscnt 0x0
	s_barrier_signal -1
	s_barrier_wait -1
	global_inv scope:SCOPE_SE
	v_and_b32_e32 v13, 0x7fff, v2
	s_delay_alu instid0(VALU_DEP_1)
	v_cmp_ne_u32_e32 vcc_lo, 0, v13
	s_cbranch_vccz .LBB67_167
.LBB67_163:                             ;   in Loop: Header=BB67_164 Depth=2
	s_wait_alu 0xfffe
	s_and_b32 s42, exec_lo, s42
	s_wait_alu 0xfffe
	s_or_b32 s25, s42, s25
	s_and_not1_b32 s28, s28, exec_lo
	s_and_b32 s42, s77, exec_lo
	s_wait_alu 0xfffe
	s_or_b32 s28, s28, s42
	s_and_not1_b32 exec_lo, exec_lo, s25
	s_cbranch_execz .LBB67_168
.LBB67_164:                             ;   Parent Loop BB67_16 Depth=1
                                        ; =>  This Inner Loop Header: Depth=2
	s_mov_b32 s42, exec_lo
	s_delay_alu instid0(VALU_DEP_1)
	v_cmpx_gt_i32_e64 s36, v4
	s_cbranch_execz .LBB67_162
; %bb.165:                              ;   in Loop: Header=BB67_164 Depth=2
	v_ashrrev_i32_e32 v2, 31, v1
	s_delay_alu instid0(VALU_DEP_1) | instskip(NEXT) | instid1(VALU_DEP_1)
	v_lshlrev_b64_e32 v[13:14], 1, v[1:2]
	v_add_co_u32 v13, vcc_lo, s44, v13
	s_wait_alu 0xfffd
	s_delay_alu instid0(VALU_DEP_2)
	v_add_co_ci_u32_e64 v14, null, s45, v14, vcc_lo
	global_load_u16 v2, v[13:14], off
	s_wait_loadcnt 0x0
	v_cmp_lt_i16_e32 vcc_lo, -1, v2
	s_wait_alu 0xfffd
	v_dual_cndmask_b32 v14, 0xffff, v29 :: v_dual_and_b32 v13, 0xffff, v2
	s_delay_alu instid0(VALU_DEP_1) | instskip(SKIP_1) | instid1(VALU_DEP_1)
	v_xor_b32_e32 v13, v14, v13
	v_lshlrev_b32_e32 v32, 16, v2
	v_cmp_o_f32_e32 vcc_lo, v32, v32
	s_wait_alu 0xfffd
	s_delay_alu instid0(VALU_DEP_3) | instskip(NEXT) | instid1(VALU_DEP_1)
	v_cndmask_b32_e32 v13, 0xffff, v13, vcc_lo
	v_and_b32_e32 v13, v13, v31
	s_delay_alu instid0(VALU_DEP_1)
	v_cmp_eq_u32_e32 vcc_lo, v13, v22
	s_and_b32 exec_lo, exec_lo, vcc_lo
	s_cbranch_execz .LBB67_162
; %bb.166:                              ;   in Loop: Header=BB67_164 Depth=2
	v_perm_b32 v2, v2, s69, 0x5040100
	ds_store_b32 v7, v2 offset:3072
	s_branch .LBB67_162
.LBB67_167:                             ;   in Loop: Header=BB67_164 Depth=2
	v_add_nc_u32_e32 v4, s53, v4
	v_add_nc_u32_e32 v1, s57, v1
	s_mov_b32 s77, 0
	s_delay_alu instid0(VALU_DEP_2)
	v_cmp_le_i32_e32 vcc_lo, s65, v4
	s_or_not1_b32 s42, vcc_lo, exec_lo
	s_branch .LBB67_163
.LBB67_168:                             ;   in Loop: Header=BB67_16 Depth=1
	s_or_b32 exec_lo, exec_lo, s25
	v_lshrrev_b32_e32 v32, 16, v2
	s_wait_alu 0xfffe
	s_and_b32 s25, s28, exec_lo
.LBB67_169:                             ;   in Loop: Header=BB67_16 Depth=1
	s_wait_alu 0xfffe
	s_or_b32 exec_lo, exec_lo, s27
.LBB67_170:                             ;   in Loop: Header=BB67_16 Depth=1
	s_wait_alu 0xfffe
	s_and_b32 vcc_lo, exec_lo, s26
	s_wait_alu 0xfffe
	s_cbranch_vccz .LBB67_181
; %bb.171:                              ;   in Loop: Header=BB67_16 Depth=1
	s_add_co_i32 s26, s24, s56
                                        ; implicit-def: $vgpr32
	s_wait_alu 0xfffe
	s_abs_i32 s42, s26
	s_wait_alu 0xfffe
	s_mul_u64 s[20:21], s[42:43], s[48:49]
	s_wait_alu 0xfffe
	s_mul_i32 s20, s21, s53
	s_ashr_i32 s21, s26, 31
	s_wait_alu 0xfffe
	s_sub_co_i32 s20, s42, s20
	s_wait_alu 0xfffe
	s_sub_co_i32 s27, s20, s53
	s_cmp_ge_u32 s20, s53
	s_wait_alu 0xfffe
	s_cselect_b32 s20, s27, s20
	s_wait_alu 0xfffe
	s_sub_co_i32 s27, s20, s53
	s_cmp_ge_u32 s20, s53
	s_wait_alu 0xfffe
	s_cselect_b32 s20, s27, s20
	s_wait_alu 0xfffe
	s_xor_b32 s20, s20, s21
	s_wait_alu 0xfffe
	s_sub_co_i32 s20, s21, s20
	s_wait_alu 0xfffe
	s_add_co_i32 s21, s26, s20
	s_mov_b32 s20, exec_lo
	s_wait_alu 0xfffe
	v_cmpx_gt_i32_e64 s21, v0
	s_cbranch_execz .LBB67_180
; %bb.172:                              ;   in Loop: Header=BB67_16 Depth=1
	v_dual_mov_b32 v1, v17 :: v_dual_mov_b32 v2, v0
	s_mov_b32 s26, 0
                                        ; implicit-def: $sgpr27
	s_branch .LBB67_175
.LBB67_173:                             ;   in Loop: Header=BB67_175 Depth=2
	s_wait_alu 0xfffe
	s_or_b32 exec_lo, exec_lo, s28
	s_wait_loadcnt_dscnt 0x0
	s_barrier_signal -1
	s_barrier_wait -1
	global_inv scope:SCOPE_SE
	ds_load_b32 v4, v7 offset:3072
	s_mov_b32 s28, -1
	s_mov_b32 s42, -1
	s_wait_loadcnt_dscnt 0x0
	s_barrier_signal -1
	s_barrier_wait -1
	global_inv scope:SCOPE_SE
	v_and_b32_e32 v13, 0x7fff, v4
	s_delay_alu instid0(VALU_DEP_1)
	v_cmp_eq_u32_e32 vcc_lo, 0, v13
	s_cbranch_vccnz .LBB67_178
.LBB67_174:                             ;   in Loop: Header=BB67_175 Depth=2
	s_wait_alu 0xfffe
	s_and_b32 s28, exec_lo, s28
	s_wait_alu 0xfffe
	s_or_b32 s26, s28, s26
	s_and_not1_b32 s27, s27, exec_lo
	s_and_b32 s28, s42, exec_lo
	s_wait_alu 0xfffe
	s_or_b32 s27, s27, s28
	s_and_not1_b32 exec_lo, exec_lo, s26
	s_cbranch_execz .LBB67_179
.LBB67_175:                             ;   Parent Loop BB67_16 Depth=1
                                        ; =>  This Inner Loop Header: Depth=2
	s_mov_b32 s28, exec_lo
	s_delay_alu instid0(VALU_DEP_1)
	v_cmpx_gt_i32_e64 s24, v2
	s_cbranch_execz .LBB67_173
; %bb.176:                              ;   in Loop: Header=BB67_175 Depth=2
	ds_load_u16 v4, v1
	s_wait_dscnt 0x0
	v_cmp_lt_i16_e32 vcc_lo, -1, v4
	s_wait_alu 0xfffd
	v_dual_cndmask_b32 v14, 0xffff, v29 :: v_dual_and_b32 v13, 0xffff, v4
	s_delay_alu instid0(VALU_DEP_1) | instskip(SKIP_1) | instid1(VALU_DEP_1)
	v_xor_b32_e32 v13, v14, v13
	v_lshlrev_b32_e32 v32, 16, v4
	v_cmp_o_f32_e32 vcc_lo, v32, v32
	s_wait_alu 0xfffd
	s_delay_alu instid0(VALU_DEP_3) | instskip(NEXT) | instid1(VALU_DEP_1)
	v_cndmask_b32_e32 v13, 0xffff, v13, vcc_lo
	v_and_b32_e32 v13, v13, v31
	s_delay_alu instid0(VALU_DEP_1)
	v_cmp_eq_u32_e32 vcc_lo, v13, v22
	s_and_b32 exec_lo, exec_lo, vcc_lo
	s_cbranch_execz .LBB67_173
; %bb.177:                              ;   in Loop: Header=BB67_175 Depth=2
	v_perm_b32 v4, v4, s69, 0x5040100
	ds_store_b32 v7, v4 offset:3072
	s_branch .LBB67_173
.LBB67_178:                             ;   in Loop: Header=BB67_175 Depth=2
	v_add_nc_u32_e32 v2, s53, v2
	v_add_nc_u32_e32 v1, s68, v1
	s_mov_b32 s42, 0
	s_delay_alu instid0(VALU_DEP_2)
	v_cmp_le_i32_e32 vcc_lo, s21, v2
	s_or_not1_b32 s28, vcc_lo, exec_lo
	s_branch .LBB67_174
.LBB67_179:                             ;   in Loop: Header=BB67_16 Depth=1
	s_or_b32 exec_lo, exec_lo, s26
	v_lshrrev_b32_e32 v32, 16, v4
	s_and_not1_b32 s21, s25, exec_lo
	s_wait_alu 0xfffe
	s_and_b32 s24, s27, exec_lo
	s_wait_alu 0xfffe
	s_or_b32 s25, s21, s24
.LBB67_180:                             ;   in Loop: Header=BB67_16 Depth=1
	s_or_b32 exec_lo, exec_lo, s20
	s_mov_b32 s20, 0
	s_mov_b32 s21, -1
.LBB67_181:                             ;   in Loop: Header=BB67_16 Depth=1
	s_wait_alu 0xfffe
	s_or_not1_b32 s24, s25, exec_lo
.LBB67_182:                             ;   in Loop: Header=BB67_16 Depth=1
	s_wait_alu 0xfffe
	s_or_b32 exec_lo, exec_lo, s22
	s_mov_b32 s25, 0
	s_and_saveexec_b32 s22, s24
	s_cbranch_execz .LBB67_232
; %bb.183:                              ;   in Loop: Header=BB67_16 Depth=1
	v_dual_mov_b32 v4, 1 :: v_dual_mov_b32 v3, 1
	s_xor_b32 s24, s23, -1
	s_wait_alu 0xfffe
	s_and_saveexec_b32 s23, s24
	s_cbranch_execz .LBB67_192
; %bb.184:                              ;   in Loop: Header=BB67_16 Depth=1
	s_mov_b32 s24, exec_lo
	v_cmpx_ge_i32_e64 s16, v6
	s_wait_alu 0xfffe
	s_xor_b32 s24, exec_lo, s24
	s_cbranch_execz .LBB67_189
; %bb.185:                              ;   in Loop: Header=BB67_16 Depth=1
	ds_load_b32 v1, v7 offset:4096
	s_lshl_b32 s25, 2, s76
	v_or_b32_e32 v31, s10, v31
	s_wait_alu 0xfffe
	v_and_or_b32 v22, v22, s17, s25
	s_wait_dscnt 0x0
	v_cmp_ne_u32_e32 vcc_lo, 0, v1
	s_cbranch_vccnz .LBB67_189
; %bb.186:                              ;   in Loop: Header=BB67_16 Depth=1
	s_and_saveexec_b32 s17, s2
; %bb.187:                              ;   in Loop: Header=BB67_16 Depth=1
	v_mov_b32_e32 v1, s16
	ds_store_b32 v7, v1 offset:4100
; %bb.188:                              ;   in Loop: Header=BB67_16 Depth=1
	s_wait_alu 0xfffe
	s_or_b32 exec_lo, exec_lo, s17
	s_wait_loadcnt_dscnt 0x0
	s_barrier_signal -1
	s_barrier_wait -1
	global_inv scope:SCOPE_SE
.LBB67_189:                             ;   in Loop: Header=BB67_16 Depth=1
	s_wait_alu 0xfffe
	s_or_saveexec_b32 s17, s24
	v_mov_b32_e32 v3, 8
	s_mov_b32 s24, 0
	s_wait_alu 0xfffe
	s_xor_b32 exec_lo, exec_lo, s17
; %bb.190:                              ;   in Loop: Header=BB67_16 Depth=1
	v_subrev_nc_u32_e32 v6, s16, v6
	v_mov_b32_e32 v3, 0
	s_mov_b32 s24, exec_lo
; %bb.191:                              ;   in Loop: Header=BB67_16 Depth=1
	s_or_b32 exec_lo, exec_lo, s17
	s_delay_alu instid0(VALU_DEP_2)
	v_mov_b32_e32 v4, v6
	s_wait_alu 0xfffe
	s_and_b32 s25, s24, exec_lo
.LBB67_192:                             ;   in Loop: Header=BB67_16 Depth=1
	s_wait_alu 0xfffe
	s_or_b32 exec_lo, exec_lo, s23
	s_mov_b32 s17, -1
                                        ; implicit-def: $sgpr24
                                        ; implicit-def: $sgpr23
	s_and_saveexec_b32 s16, s25
	s_cbranch_execz .LBB67_231
; %bb.193:                              ;   in Loop: Header=BB67_16 Depth=1
	v_cmp_eq_u32_e32 vcc_lo, 1, v4
	s_cmp_eq_u32 s9, 1
	s_mov_b32 s26, -1
	s_cselect_b32 s17, -1, 0
                                        ; implicit-def: $sgpr24
                                        ; implicit-def: $sgpr23
	s_wait_alu 0xfffe
	s_and_b32 s17, s17, vcc_lo
	s_wait_alu 0xfffe
	s_and_saveexec_b32 s25, s17
	s_cbranch_execz .LBB67_219
; %bb.194:                              ;   in Loop: Header=BB67_16 Depth=1
	ds_load_b32 v1, v7 offset:4096
	s_wait_loadcnt_dscnt 0x0
	s_barrier_signal -1
	s_barrier_wait -1
	global_inv scope:SCOPE_SE
	v_readfirstlane_b32 s26, v1
	s_and_saveexec_b32 s23, s0
; %bb.195:                              ;   in Loop: Header=BB67_16 Depth=1
	ds_store_b16 v18, v7
; %bb.196:                              ;   in Loop: Header=BB67_16 Depth=1
	s_wait_alu 0xfffe
	s_or_b32 exec_lo, exec_lo, s23
	v_or_b32_e32 v22, s10, v22
	v_or_b32_e32 v31, s10, v31
	s_mov_b32 s23, -1
	s_mov_b32 s24, 0
	s_cmp_gt_i32 s26, 0
	s_mov_b32 s27, 0
	s_mov_b32 s28, -1
	s_wait_loadcnt_dscnt 0x0
	s_barrier_signal -1
	s_barrier_wait -1
	global_inv scope:SCOPE_SE
                                        ; implicit-def: $vgpr32
	s_cbranch_scc1 .LBB67_207
; %bb.197:                              ;   in Loop: Header=BB67_16 Depth=1
	s_mov_b32 s28, 0
                                        ; implicit-def: $vgpr32
	s_and_saveexec_b32 s42, s8
	s_cbranch_execz .LBB67_206
; %bb.198:                              ;   in Loop: Header=BB67_16 Depth=1
	v_dual_mov_b32 v1, v5 :: v_dual_mov_b32 v6, v0
                                        ; implicit-def: $sgpr77
	s_branch .LBB67_201
.LBB67_199:                             ;   in Loop: Header=BB67_201 Depth=2
	s_wait_alu 0xfffe
	s_or_b32 exec_lo, exec_lo, s78
	s_wait_loadcnt_dscnt 0x0
	s_barrier_signal -1
	s_barrier_wait -1
	global_inv scope:SCOPE_SE
	ds_load_b32 v2, v7 offset:3072
	s_mov_b32 s78, -1
	s_mov_b32 s79, -1
	s_wait_loadcnt_dscnt 0x0
	s_barrier_signal -1
	s_barrier_wait -1
	global_inv scope:SCOPE_SE
	v_and_b32_e32 v13, 0x7fff, v2
	s_delay_alu instid0(VALU_DEP_1)
	v_cmp_ne_u32_e32 vcc_lo, 0, v13
	s_cbranch_vccz .LBB67_204
.LBB67_200:                             ;   in Loop: Header=BB67_201 Depth=2
	s_wait_alu 0xfffe
	s_and_b32 s78, exec_lo, s78
	s_wait_alu 0xfffe
	s_or_b32 s27, s78, s27
	s_and_not1_b32 s77, s77, exec_lo
	s_and_b32 s78, s79, exec_lo
	s_wait_alu 0xfffe
	s_or_b32 s77, s77, s78
	s_and_not1_b32 exec_lo, exec_lo, s27
	s_cbranch_execz .LBB67_205
.LBB67_201:                             ;   Parent Loop BB67_16 Depth=1
                                        ; =>  This Inner Loop Header: Depth=2
	s_mov_b32 s78, exec_lo
	s_delay_alu instid0(VALU_DEP_1)
	v_cmpx_gt_i32_e64 s36, v6
	s_cbranch_execz .LBB67_199
; %bb.202:                              ;   in Loop: Header=BB67_201 Depth=2
	v_ashrrev_i32_e32 v2, 31, v1
	s_delay_alu instid0(VALU_DEP_1) | instskip(NEXT) | instid1(VALU_DEP_1)
	v_lshlrev_b64_e32 v[13:14], 1, v[1:2]
	v_add_co_u32 v13, vcc_lo, s44, v13
	s_wait_alu 0xfffd
	s_delay_alu instid0(VALU_DEP_2)
	v_add_co_ci_u32_e64 v14, null, s45, v14, vcc_lo
	global_load_u16 v2, v[13:14], off
	s_wait_loadcnt 0x0
	v_cmp_lt_i16_e32 vcc_lo, -1, v2
	s_wait_alu 0xfffd
	v_dual_cndmask_b32 v14, 0xffff, v29 :: v_dual_and_b32 v13, 0xffff, v2
	s_delay_alu instid0(VALU_DEP_1) | instskip(SKIP_1) | instid1(VALU_DEP_1)
	v_xor_b32_e32 v13, v14, v13
	v_lshlrev_b32_e32 v32, 16, v2
	v_cmp_o_f32_e32 vcc_lo, v32, v32
	s_wait_alu 0xfffd
	s_delay_alu instid0(VALU_DEP_3) | instskip(NEXT) | instid1(VALU_DEP_1)
	v_cndmask_b32_e32 v13, 0xffff, v13, vcc_lo
	v_and_b32_e32 v13, v13, v31
	s_delay_alu instid0(VALU_DEP_1)
	v_cmp_eq_u32_e32 vcc_lo, v13, v22
	s_and_b32 exec_lo, exec_lo, vcc_lo
	s_cbranch_execz .LBB67_199
; %bb.203:                              ;   in Loop: Header=BB67_201 Depth=2
	v_perm_b32 v2, v2, s69, 0x5040100
	ds_store_b32 v7, v2 offset:3072
	s_branch .LBB67_199
.LBB67_204:                             ;   in Loop: Header=BB67_201 Depth=2
	v_add_nc_u32_e32 v6, s53, v6
	v_add_nc_u32_e32 v1, s57, v1
	s_mov_b32 s79, 0
	s_delay_alu instid0(VALU_DEP_2)
	v_cmp_le_i32_e32 vcc_lo, s65, v6
	s_or_not1_b32 s78, vcc_lo, exec_lo
	s_branch .LBB67_200
.LBB67_205:                             ;   in Loop: Header=BB67_16 Depth=1
	s_or_b32 exec_lo, exec_lo, s27
	v_lshrrev_b32_e32 v32, 16, v2
	s_wait_alu 0xfffe
	s_and_b32 s27, s77, exec_lo
.LBB67_206:                             ;   in Loop: Header=BB67_16 Depth=1
	s_wait_alu 0xfffe
	s_or_b32 exec_lo, exec_lo, s42
.LBB67_207:                             ;   in Loop: Header=BB67_16 Depth=1
	s_wait_alu 0xfffe
	s_and_b32 vcc_lo, exec_lo, s28
	s_wait_alu 0xfffe
	s_cbranch_vccz .LBB67_218
; %bb.208:                              ;   in Loop: Header=BB67_16 Depth=1
	s_add_co_i32 s24, s26, s56
                                        ; implicit-def: $vgpr32
	s_wait_alu 0xfffe
	s_abs_i32 s42, s24
	s_ashr_i32 s28, s24, 31
	s_wait_alu 0xfffe
	s_mul_u64 s[78:79], s[42:43], s[48:49]
	s_wait_alu 0xfffe
	s_mul_i32 s23, s79, s53
	s_wait_alu 0xfffe
	s_sub_co_i32 s23, s42, s23
	s_wait_alu 0xfffe
	s_sub_co_i32 s42, s23, s53
	s_cmp_ge_u32 s23, s53
	s_wait_alu 0xfffe
	s_cselect_b32 s23, s42, s23
	s_wait_alu 0xfffe
	s_sub_co_i32 s42, s23, s53
	s_cmp_ge_u32 s23, s53
	s_wait_alu 0xfffe
	s_cselect_b32 s23, s42, s23
	s_wait_alu 0xfffe
	s_xor_b32 s23, s23, s28
	s_wait_alu 0xfffe
	s_sub_co_i32 s23, s28, s23
	s_wait_alu 0xfffe
	s_add_co_i32 s24, s24, s23
	s_mov_b32 s23, exec_lo
	s_wait_alu 0xfffe
	v_cmpx_gt_i32_e64 s24, v0
	s_cbranch_execz .LBB67_217
; %bb.209:                              ;   in Loop: Header=BB67_16 Depth=1
	v_dual_mov_b32 v1, v17 :: v_dual_mov_b32 v2, v0
	s_mov_b32 s28, 0
                                        ; implicit-def: $sgpr42
	s_branch .LBB67_212
.LBB67_210:                             ;   in Loop: Header=BB67_212 Depth=2
	s_wait_alu 0xfffe
	s_or_b32 exec_lo, exec_lo, s77
	s_wait_loadcnt_dscnt 0x0
	s_barrier_signal -1
	s_barrier_wait -1
	global_inv scope:SCOPE_SE
	ds_load_b32 v6, v7 offset:3072
	s_mov_b32 s77, -1
	s_mov_b32 s78, -1
	s_wait_loadcnt_dscnt 0x0
	s_barrier_signal -1
	s_barrier_wait -1
	global_inv scope:SCOPE_SE
	v_and_b32_e32 v13, 0x7fff, v6
	s_delay_alu instid0(VALU_DEP_1)
	v_cmp_eq_u32_e32 vcc_lo, 0, v13
	s_cbranch_vccnz .LBB67_215
.LBB67_211:                             ;   in Loop: Header=BB67_212 Depth=2
	s_wait_alu 0xfffe
	s_and_b32 s77, exec_lo, s77
	s_wait_alu 0xfffe
	s_or_b32 s28, s77, s28
	s_and_not1_b32 s42, s42, exec_lo
	s_and_b32 s77, s78, exec_lo
	s_wait_alu 0xfffe
	s_or_b32 s42, s42, s77
	s_and_not1_b32 exec_lo, exec_lo, s28
	s_cbranch_execz .LBB67_216
.LBB67_212:                             ;   Parent Loop BB67_16 Depth=1
                                        ; =>  This Inner Loop Header: Depth=2
	s_mov_b32 s77, exec_lo
	s_delay_alu instid0(VALU_DEP_1)
	v_cmpx_gt_i32_e64 s26, v2
	s_cbranch_execz .LBB67_210
; %bb.213:                              ;   in Loop: Header=BB67_212 Depth=2
	ds_load_u16 v6, v1
	s_wait_dscnt 0x0
	v_cmp_lt_i16_e32 vcc_lo, -1, v6
	s_wait_alu 0xfffd
	v_dual_cndmask_b32 v14, 0xffff, v29 :: v_dual_and_b32 v13, 0xffff, v6
	s_delay_alu instid0(VALU_DEP_1) | instskip(SKIP_1) | instid1(VALU_DEP_1)
	v_xor_b32_e32 v13, v14, v13
	v_lshlrev_b32_e32 v32, 16, v6
	v_cmp_o_f32_e32 vcc_lo, v32, v32
	s_wait_alu 0xfffd
	s_delay_alu instid0(VALU_DEP_3) | instskip(NEXT) | instid1(VALU_DEP_1)
	v_cndmask_b32_e32 v13, 0xffff, v13, vcc_lo
	v_and_b32_e32 v13, v13, v31
	s_delay_alu instid0(VALU_DEP_1)
	v_cmp_eq_u32_e32 vcc_lo, v13, v22
	s_and_b32 exec_lo, exec_lo, vcc_lo
	s_cbranch_execz .LBB67_210
; %bb.214:                              ;   in Loop: Header=BB67_212 Depth=2
	v_perm_b32 v6, v6, s69, 0x5040100
	ds_store_b32 v7, v6 offset:3072
	s_branch .LBB67_210
.LBB67_215:                             ;   in Loop: Header=BB67_212 Depth=2
	v_add_nc_u32_e32 v2, s53, v2
	v_add_nc_u32_e32 v1, s68, v1
	s_mov_b32 s78, 0
	s_delay_alu instid0(VALU_DEP_2)
	v_cmp_le_i32_e32 vcc_lo, s24, v2
	s_or_not1_b32 s77, vcc_lo, exec_lo
	s_branch .LBB67_211
.LBB67_216:                             ;   in Loop: Header=BB67_16 Depth=1
	s_or_b32 exec_lo, exec_lo, s28
	v_lshrrev_b32_e32 v32, 16, v6
	s_and_not1_b32 s24, s27, exec_lo
	s_wait_alu 0xfffe
	s_and_b32 s26, s42, exec_lo
	s_wait_alu 0xfffe
	s_or_b32 s27, s24, s26
.LBB67_217:                             ;   in Loop: Header=BB67_16 Depth=1
	s_or_b32 exec_lo, exec_lo, s23
	s_mov_b32 s23, 0
	s_mov_b32 s24, -1
.LBB67_218:                             ;   in Loop: Header=BB67_16 Depth=1
	s_wait_alu 0xfffe
	s_or_not1_b32 s26, s27, exec_lo
.LBB67_219:                             ;   in Loop: Header=BB67_16 Depth=1
	s_wait_alu 0xfffe
	s_or_b32 exec_lo, exec_lo, s25
	s_mov_b32 s27, 0
	s_and_saveexec_b32 s25, s26
	s_cbranch_execz .LBB67_230
; %bb.220:                              ;   in Loop: Header=BB67_16 Depth=1
	v_mov_b32_e32 v3, 1
	v_mov_b32_e32 v1, 1
	s_xor_b32 s26, s17, -1
	s_wait_alu 0xfffe
	s_and_saveexec_b32 s17, s26
	s_cbranch_execz .LBB67_229
; %bb.221:                              ;   in Loop: Header=BB67_16 Depth=1
	s_mov_b32 s26, exec_lo
	v_cmpx_ge_i32_e64 s9, v4
	s_wait_alu 0xfffe
	s_xor_b32 s26, exec_lo, s26
	s_cbranch_execz .LBB67_226
; %bb.222:                              ;   in Loop: Header=BB67_16 Depth=1
	ds_load_b32 v1, v7 offset:4096
	v_or_b32_e32 v22, s10, v22
	v_or_b32_e32 v31, s10, v31
	s_wait_dscnt 0x0
	v_cmp_ne_u32_e32 vcc_lo, 0, v1
	s_cbranch_vccnz .LBB67_226
; %bb.223:                              ;   in Loop: Header=BB67_16 Depth=1
	s_and_saveexec_b32 s10, s2
; %bb.224:                              ;   in Loop: Header=BB67_16 Depth=1
	v_mov_b32_e32 v1, s9
	ds_store_b32 v7, v1 offset:4100
; %bb.225:                              ;   in Loop: Header=BB67_16 Depth=1
	s_wait_alu 0xfffe
	s_or_b32 exec_lo, exec_lo, s10
	s_wait_loadcnt_dscnt 0x0
	s_barrier_signal -1
	s_barrier_wait -1
	global_inv scope:SCOPE_SE
.LBB67_226:                             ;   in Loop: Header=BB67_16 Depth=1
	s_wait_alu 0xfffe
	s_and_not1_saveexec_b32 s10, s26
; %bb.227:                              ;   in Loop: Header=BB67_16 Depth=1
	v_subrev_nc_u32_e32 v4, s9, v4
; %bb.228:                              ;   in Loop: Header=BB67_16 Depth=1
	s_wait_alu 0xfffe
	s_or_b32 exec_lo, exec_lo, s10
	v_mov_b32_e32 v3, 8
	s_delay_alu instid0(VALU_DEP_2)
	v_mov_b32_e32 v1, v4
.LBB67_229:                             ;   in Loop: Header=BB67_16 Depth=1
	s_wait_alu 0xfffe
	s_or_b32 exec_lo, exec_lo, s17
	s_delay_alu instid0(VALU_DEP_1)
	v_mov_b32_e32 v4, v1
	s_mov_b32 s27, exec_lo
.LBB67_230:                             ;   in Loop: Header=BB67_16 Depth=1
	s_wait_alu 0xfffe
	s_or_b32 exec_lo, exec_lo, s25
	s_delay_alu instid0(SALU_CYCLE_1)
	s_or_not1_b32 s17, s27, exec_lo
.LBB67_231:                             ;   in Loop: Header=BB67_16 Depth=1
	s_wait_alu 0xfffe
	s_or_b32 exec_lo, exec_lo, s16
	v_mov_b32_e32 v6, v4
	s_and_not1_b32 s9, s21, exec_lo
	s_and_b32 s10, s24, exec_lo
	s_and_not1_b32 s16, s20, exec_lo
	s_and_b32 s20, s23, exec_lo
	s_wait_alu 0xfffe
	s_or_b32 s21, s9, s10
	s_or_b32 s20, s16, s20
	s_and_b32 s25, s17, exec_lo
.LBB67_232:                             ;   in Loop: Header=BB67_16 Depth=1
	s_wait_alu 0xfffe
	s_or_b32 exec_lo, exec_lo, s22
	s_delay_alu instid0(SALU_CYCLE_1)
	s_or_not1_b32 s22, s25, exec_lo
.LBB67_233:                             ;   in Loop: Header=BB67_16 Depth=1
	s_wait_alu 0xfffe
	s_or_b32 exec_lo, exec_lo, s19
	v_mov_b32_e32 v4, v6
	s_and_not1_b32 s9, s15, exec_lo
	s_and_b32 s10, s21, exec_lo
	s_and_not1_b32 s14, s14, exec_lo
	s_and_b32 s16, s20, exec_lo
	s_wait_alu 0xfffe
	s_or_b32 s15, s9, s10
	s_or_b32 s14, s14, s16
	s_and_b32 s22, s22, exec_lo
.LBB67_234:                             ;   in Loop: Header=BB67_16 Depth=1
	s_wait_alu 0xfffe
	s_or_b32 exec_lo, exec_lo, s18
	s_delay_alu instid0(SALU_CYCLE_1)
	s_or_not1_b32 s18, s22, exec_lo
.LBB67_235:                             ;   in Loop: Header=BB67_16 Depth=1
	s_wait_alu 0xfffe
	s_or_b32 exec_lo, exec_lo, s13
	s_mov_b32 s10, 0
                                        ; implicit-def: $sgpr21
	s_and_saveexec_b32 s9, s18
	s_wait_alu 0xfffe
	s_xor_b32 s9, exec_lo, s9
	s_cbranch_execz .LBB67_14
; %bb.236:                              ;   in Loop: Header=BB67_16 Depth=1
	v_and_b32_e32 v1, 7, v3
	s_mov_b32 s12, -1
	s_mov_b32 s10, -1
	s_mov_b32 s13, exec_lo
                                        ; implicit-def: $sgpr21
	s_delay_alu instid0(VALU_DEP_1)
	v_cmpx_eq_u32_e32 0, v1
	s_cbranch_execz .LBB67_13
; %bb.237:                              ;   in Loop: Header=BB67_16 Depth=1
	s_add_co_i32 s21, s76, -2
	s_cmp_eq_u32 s76, 0
	v_xor_b32_e32 v30, 1, v30
	s_cselect_b32 s12, -1, 0
	s_xor_b32 s10, exec_lo, -1
	s_wait_alu 0xfffe
	s_or_not1_b32 s12, s12, exec_lo
	s_branch .LBB67_13
.LBB67_238:
	s_or_b32 exec_lo, exec_lo, s37
	s_xor_b32 s3, s75, -1
	s_xor_b32 s1, s73, -1
	;; [unrolled: 1-line block ×3, first 2 shown]
	s_mov_b32 s0, 0
	s_wait_alu 0xfffe
	s_and_saveexec_b32 s5, s1
	s_wait_alu 0xfffe
	s_xor_b32 s1, exec_lo, s5
	s_cbranch_execnz .LBB67_243
; %bb.239:
	s_wait_alu 0xfffe
	s_and_not1_saveexec_b32 s1, s1
	s_cbranch_execnz .LBB67_263
.LBB67_240:
	s_wait_alu 0xfffe
	s_or_b32 exec_lo, exec_lo, s1
	s_and_saveexec_b32 s1, s0
.LBB67_241:
	; divergent unreachable
.LBB67_242:
	s_endpgm
.LBB67_243:
	s_and_saveexec_b32 s0, s3
	s_wait_alu 0xfffe
	s_xor_b32 s3, exec_lo, s0
	s_cbranch_execz .LBB67_261
; %bb.244:
	s_and_saveexec_b32 s0, s4
	s_wait_alu 0xfffe
	s_xor_b32 s0, exec_lo, s0
; %bb.245:
	v_and_b32_e32 v1, 0x8000, v22
	v_mov_b32_e32 v2, 0xffff
	s_delay_alu instid0(VALU_DEP_2) | instskip(SKIP_1) | instid1(VALU_DEP_2)
	v_cmp_eq_u32_e32 vcc_lo, 0, v1
	s_wait_alu 0xfffd
	v_cndmask_b32_e32 v1, 0x8000, v2, vcc_lo
	s_delay_alu instid0(VALU_DEP_1)
	v_xor_b32_e32 v32, v1, v22
; %bb.246:
	s_wait_alu 0xfffe
	s_or_b32 exec_lo, exec_lo, s0
	s_and_saveexec_b32 s0, s2
; %bb.247:
	v_dual_mov_b32 v1, 0 :: v_dual_mov_b32 v2, s36
	ds_store_b32 v1, v2 offset:4108
; %bb.248:
	s_wait_alu 0xfffe
	s_or_b32 exec_lo, exec_lo, s0
	v_mov_b32_e32 v1, 0
	s_wait_loadcnt_dscnt 0x0
	s_barrier_signal -1
	s_barrier_wait -1
	global_inv scope:SCOPE_SE
	ds_load_b32 v1, v1 offset:4108
	s_mov_b32 s4, exec_lo
	s_wait_dscnt 0x0
	v_min_i32_e32 v1, s36, v1
	s_delay_alu instid0(VALU_DEP_1)
	v_cmpx_lt_i32_e64 v0, v1
	s_cbranch_execz .LBB67_258
; %bb.249:
	v_lshlrev_b32_e32 v2, 16, v32
	s_mov_b32 s5, 0
                                        ; implicit-def: $sgpr6
                                        ; implicit-def: $sgpr9
                                        ; implicit-def: $sgpr8
	s_delay_alu instid0(VALU_DEP_1)
	v_cmp_u_f32_e32 vcc_lo, v2, v2
	s_xor_b32 s7, vcc_lo, -1
	s_branch .LBB67_251
.LBB67_250:                             ;   in Loop: Header=BB67_251 Depth=1
	s_wait_alu 0xfffe
	s_or_b32 exec_lo, exec_lo, s0
	s_delay_alu instid0(SALU_CYCLE_1)
	s_and_b32 s0, exec_lo, s9
	s_wait_alu 0xfffe
	s_or_b32 s5, s0, s5
	s_and_not1_b32 s0, s6, exec_lo
	s_and_b32 s6, s8, exec_lo
	s_wait_alu 0xfffe
	s_or_b32 s6, s0, s6
	s_and_not1_b32 exec_lo, exec_lo, s5
	s_cbranch_execz .LBB67_253
.LBB67_251:                             ; =>This Inner Loop Header: Depth=1
	v_ashrrev_i32_e32 v6, 31, v5
	s_or_b32 s8, s8, exec_lo
	s_or_b32 s9, s9, exec_lo
	s_delay_alu instid0(VALU_DEP_1) | instskip(NEXT) | instid1(VALU_DEP_1)
	v_lshlrev_b64_e32 v[3:4], 1, v[5:6]
	v_add_co_u32 v3, vcc_lo, s44, v3
	s_wait_alu 0xfffd
	s_delay_alu instid0(VALU_DEP_2) | instskip(SKIP_3) | instid1(VALU_DEP_1)
	v_add_co_ci_u32_e64 v4, null, s45, v4, vcc_lo
	global_load_u16 v3, v[3:4], off
	s_wait_loadcnt 0x0
	v_lshlrev_b32_e32 v3, 16, v3
	v_cmp_o_f32_e32 vcc_lo, v3, v3
	v_cmp_neq_f32_e64 s0, v3, v2
	v_mov_b32_e32 v3, v0
                                        ; implicit-def: $vgpr0
	s_or_b32 s10, s7, vcc_lo
	s_wait_alu 0xfffe
	s_and_b32 s10, s0, s10
	s_wait_alu 0xfffe
	s_and_saveexec_b32 s0, s10
	s_cbranch_execz .LBB67_250
; %bb.252:                              ;   in Loop: Header=BB67_251 Depth=1
	v_add_nc_u32_e32 v0, s53, v3
	v_add_nc_u32_e32 v5, s57, v5
	s_and_not1_b32 s9, s9, exec_lo
	s_and_not1_b32 s8, s8, exec_lo
	s_delay_alu instid0(VALU_DEP_2)
	v_cmp_ge_i32_e32 vcc_lo, v0, v1
	s_and_b32 s10, vcc_lo, exec_lo
	s_wait_alu 0xfffe
	s_or_b32 s9, s9, s10
	s_branch .LBB67_250
.LBB67_253:
	s_or_b32 exec_lo, exec_lo, s5
	s_and_saveexec_b32 s0, s6
	s_wait_alu 0xfffe
	s_xor_b32 s0, exec_lo, s0
	s_cbranch_execz .LBB67_258
; %bb.254:
	s_mov_b32 s5, exec_lo
	s_brev_b32 s0, -2
.LBB67_255:                             ; =>This Inner Loop Header: Depth=1
	s_wait_alu 0xfffe
	s_ctz_i32_b32 s6, s5
	s_wait_alu 0xfffe
	v_readlane_b32 s7, v3, s6
	s_lshl_b32 s6, 1, s6
	s_wait_alu 0xfffe
	s_and_not1_b32 s5, s5, s6
	s_min_i32 s0, s0, s7
	s_wait_alu 0xfffe
	s_cmp_lg_u32 s5, 0
	s_cbranch_scc1 .LBB67_255
; %bb.256:
	v_mbcnt_lo_u32_b32 v0, exec_lo, 0
	s_mov_b32 s5, exec_lo
	s_delay_alu instid0(VALU_DEP_1)
	v_cmpx_eq_u32_e32 0, v0
	s_wait_alu 0xfffe
	s_xor_b32 s5, exec_lo, s5
; %bb.257:
	v_dual_mov_b32 v0, 0 :: v_dual_mov_b32 v1, s0
	ds_min_i32 v0, v1 offset:4108
.LBB67_258:
	s_wait_alu 0xfffe
	s_or_b32 exec_lo, exec_lo, s4
	s_wait_loadcnt_dscnt 0x0
	s_barrier_signal -1
	s_barrier_wait -1
	global_inv scope:SCOPE_SE
	s_and_saveexec_b32 s0, s2
	s_cbranch_execz .LBB67_260
; %bb.259:
	v_mov_b32_e32 v2, 0
	s_mul_i32 s5, s52, s33
	s_mul_i32 s2, s30, s38
	s_wait_alu 0xfffe
	s_add_co_i32 s6, s5, s31
	s_add_co_i32 s4, s2, s29
	ds_load_b32 v0, v2 offset:4108
	s_wait_alu 0xfffe
	s_ashr_i32 s7, s6, 31
	s_ashr_i32 s5, s4, 31
	s_wait_alu 0xfffe
	s_lshl_b64 s[6:7], s[6:7], 3
	s_lshl_b64 s[4:5], s[4:5], 1
	s_wait_alu 0xfffe
	s_add_nc_u64 s[6:7], s[40:41], s[6:7]
	s_add_nc_u64 s[4:5], s[34:35], s[4:5]
	s_wait_dscnt 0x0
	v_ashrrev_i32_e32 v1, 31, v0
	s_clause 0x1
	global_store_b64 v2, v[0:1], s[6:7]
	global_store_b16 v2, v32, s[4:5]
.LBB67_260:
	s_wait_alu 0xfffe
	s_or_b32 exec_lo, exec_lo, s0
.LBB67_261:
	s_or_saveexec_b32 s0, s3
	s_mov_b32 s2, 0
	s_wait_alu 0xfffe
	s_xor_b32 exec_lo, exec_lo, s0
	s_cbranch_execnz .LBB67_264
.LBB67_262:
	s_or_b32 exec_lo, exec_lo, s0
	s_delay_alu instid0(SALU_CYCLE_1)
	s_and_b32 s0, s2, exec_lo
	s_and_not1_saveexec_b32 s1, s1
	s_cbranch_execz .LBB67_240
.LBB67_263:
	s_wait_alu 0xfffe
	s_or_b32 s0, s0, exec_lo
	s_trap 2
	s_or_b32 exec_lo, exec_lo, s1
	s_wait_alu 0xfffe
	s_and_saveexec_b32 s1, s0
	s_cbranch_execnz .LBB67_241
	s_branch .LBB67_242
.LBB67_264:
	s_mov_b32 s2, exec_lo
	s_trap 2
	s_branch .LBB67_262
	.section	.rodata,"a",@progbits
	.p2align	6, 0x0
	.amdhsa_kernel _ZN2at6native12_GLOBAL__N_114gatherKthValueIN3c108BFloat16EiLin1EEEvNS_4cuda6detail10TensorInfoIKT_T0_EESA_SA_SA_SA_NS7_IS8_SA_EENS7_IlSA_EE
		.amdhsa_group_segment_fixed_size 4112
		.amdhsa_private_segment_fixed_size 0
		.amdhsa_kernarg_size 920
		.amdhsa_user_sgpr_count 2
		.amdhsa_user_sgpr_dispatch_ptr 0
		.amdhsa_user_sgpr_queue_ptr 0
		.amdhsa_user_sgpr_kernarg_segment_ptr 1
		.amdhsa_user_sgpr_dispatch_id 0
		.amdhsa_user_sgpr_private_segment_size 0
		.amdhsa_wavefront_size32 1
		.amdhsa_uses_dynamic_stack 0
		.amdhsa_enable_private_segment 0
		.amdhsa_system_sgpr_workgroup_id_x 1
		.amdhsa_system_sgpr_workgroup_id_y 1
		.amdhsa_system_sgpr_workgroup_id_z 1
		.amdhsa_system_sgpr_workgroup_info 0
		.amdhsa_system_vgpr_workitem_id 0
		.amdhsa_next_free_vgpr 44
		.amdhsa_next_free_sgpr 84
		.amdhsa_reserve_vcc 1
		.amdhsa_float_round_mode_32 0
		.amdhsa_float_round_mode_16_64 0
		.amdhsa_float_denorm_mode_32 3
		.amdhsa_float_denorm_mode_16_64 3
		.amdhsa_fp16_overflow 0
		.amdhsa_workgroup_processor_mode 1
		.amdhsa_memory_ordered 1
		.amdhsa_forward_progress 1
		.amdhsa_inst_pref_size 100
		.amdhsa_round_robin_scheduling 0
		.amdhsa_exception_fp_ieee_invalid_op 0
		.amdhsa_exception_fp_denorm_src 0
		.amdhsa_exception_fp_ieee_div_zero 0
		.amdhsa_exception_fp_ieee_overflow 0
		.amdhsa_exception_fp_ieee_underflow 0
		.amdhsa_exception_fp_ieee_inexact 0
		.amdhsa_exception_int_div_zero 0
	.end_amdhsa_kernel
	.section	.text._ZN2at6native12_GLOBAL__N_114gatherKthValueIN3c108BFloat16EiLin1EEEvNS_4cuda6detail10TensorInfoIKT_T0_EESA_SA_SA_SA_NS7_IS8_SA_EENS7_IlSA_EE,"axG",@progbits,_ZN2at6native12_GLOBAL__N_114gatherKthValueIN3c108BFloat16EiLin1EEEvNS_4cuda6detail10TensorInfoIKT_T0_EESA_SA_SA_SA_NS7_IS8_SA_EENS7_IlSA_EE,comdat
.Lfunc_end67:
	.size	_ZN2at6native12_GLOBAL__N_114gatherKthValueIN3c108BFloat16EiLin1EEEvNS_4cuda6detail10TensorInfoIKT_T0_EESA_SA_SA_SA_NS7_IS8_SA_EENS7_IlSA_EE, .Lfunc_end67-_ZN2at6native12_GLOBAL__N_114gatherKthValueIN3c108BFloat16EiLin1EEEvNS_4cuda6detail10TensorInfoIKT_T0_EESA_SA_SA_SA_NS7_IS8_SA_EENS7_IlSA_EE
                                        ; -- End function
	.set _ZN2at6native12_GLOBAL__N_114gatherKthValueIN3c108BFloat16EiLin1EEEvNS_4cuda6detail10TensorInfoIKT_T0_EESA_SA_SA_SA_NS7_IS8_SA_EENS7_IlSA_EE.num_vgpr, 44
	.set _ZN2at6native12_GLOBAL__N_114gatherKthValueIN3c108BFloat16EiLin1EEEvNS_4cuda6detail10TensorInfoIKT_T0_EESA_SA_SA_SA_NS7_IS8_SA_EENS7_IlSA_EE.num_agpr, 0
	.set _ZN2at6native12_GLOBAL__N_114gatherKthValueIN3c108BFloat16EiLin1EEEvNS_4cuda6detail10TensorInfoIKT_T0_EESA_SA_SA_SA_NS7_IS8_SA_EENS7_IlSA_EE.numbered_sgpr, 84
	.set _ZN2at6native12_GLOBAL__N_114gatherKthValueIN3c108BFloat16EiLin1EEEvNS_4cuda6detail10TensorInfoIKT_T0_EESA_SA_SA_SA_NS7_IS8_SA_EENS7_IlSA_EE.num_named_barrier, 0
	.set _ZN2at6native12_GLOBAL__N_114gatherKthValueIN3c108BFloat16EiLin1EEEvNS_4cuda6detail10TensorInfoIKT_T0_EESA_SA_SA_SA_NS7_IS8_SA_EENS7_IlSA_EE.private_seg_size, 0
	.set _ZN2at6native12_GLOBAL__N_114gatherKthValueIN3c108BFloat16EiLin1EEEvNS_4cuda6detail10TensorInfoIKT_T0_EESA_SA_SA_SA_NS7_IS8_SA_EENS7_IlSA_EE.uses_vcc, 1
	.set _ZN2at6native12_GLOBAL__N_114gatherKthValueIN3c108BFloat16EiLin1EEEvNS_4cuda6detail10TensorInfoIKT_T0_EESA_SA_SA_SA_NS7_IS8_SA_EENS7_IlSA_EE.uses_flat_scratch, 0
	.set _ZN2at6native12_GLOBAL__N_114gatherKthValueIN3c108BFloat16EiLin1EEEvNS_4cuda6detail10TensorInfoIKT_T0_EESA_SA_SA_SA_NS7_IS8_SA_EENS7_IlSA_EE.has_dyn_sized_stack, 0
	.set _ZN2at6native12_GLOBAL__N_114gatherKthValueIN3c108BFloat16EiLin1EEEvNS_4cuda6detail10TensorInfoIKT_T0_EESA_SA_SA_SA_NS7_IS8_SA_EENS7_IlSA_EE.has_recursion, 0
	.set _ZN2at6native12_GLOBAL__N_114gatherKthValueIN3c108BFloat16EiLin1EEEvNS_4cuda6detail10TensorInfoIKT_T0_EESA_SA_SA_SA_NS7_IS8_SA_EENS7_IlSA_EE.has_indirect_call, 0
	.section	.AMDGPU.csdata,"",@progbits
; Kernel info:
; codeLenInByte = 12740
; TotalNumSgprs: 86
; NumVgprs: 44
; ScratchSize: 0
; MemoryBound: 0
; FloatMode: 240
; IeeeMode: 1
; LDSByteSize: 4112 bytes/workgroup (compile time only)
; SGPRBlocks: 0
; VGPRBlocks: 5
; NumSGPRsForWavesPerEU: 86
; NumVGPRsForWavesPerEU: 44
; Occupancy: 16
; WaveLimiterHint : 1
; COMPUTE_PGM_RSRC2:SCRATCH_EN: 0
; COMPUTE_PGM_RSRC2:USER_SGPR: 2
; COMPUTE_PGM_RSRC2:TRAP_HANDLER: 0
; COMPUTE_PGM_RSRC2:TGID_X_EN: 1
; COMPUTE_PGM_RSRC2:TGID_Y_EN: 1
; COMPUTE_PGM_RSRC2:TGID_Z_EN: 1
; COMPUTE_PGM_RSRC2:TIDIG_COMP_CNT: 0
	.section	.text._ZN2at6native12_GLOBAL__N_114gatherKthValueIN3c108BFloat16ElLi1EEEvNS_4cuda6detail10TensorInfoIKT_T0_EESA_SA_SA_SA_NS7_IS8_SA_EENS7_IlSA_EE,"axG",@progbits,_ZN2at6native12_GLOBAL__N_114gatherKthValueIN3c108BFloat16ElLi1EEEvNS_4cuda6detail10TensorInfoIKT_T0_EESA_SA_SA_SA_NS7_IS8_SA_EENS7_IlSA_EE,comdat
	.globl	_ZN2at6native12_GLOBAL__N_114gatherKthValueIN3c108BFloat16ElLi1EEEvNS_4cuda6detail10TensorInfoIKT_T0_EESA_SA_SA_SA_NS7_IS8_SA_EENS7_IlSA_EE ; -- Begin function _ZN2at6native12_GLOBAL__N_114gatherKthValueIN3c108BFloat16ElLi1EEEvNS_4cuda6detail10TensorInfoIKT_T0_EESA_SA_SA_SA_NS7_IS8_SA_EENS7_IlSA_EE
	.p2align	8
	.type	_ZN2at6native12_GLOBAL__N_114gatherKthValueIN3c108BFloat16ElLi1EEEvNS_4cuda6detail10TensorInfoIKT_T0_EESA_SA_SA_SA_NS7_IS8_SA_EENS7_IlSA_EE,@function
_ZN2at6native12_GLOBAL__N_114gatherKthValueIN3c108BFloat16ElLi1EEEvNS_4cuda6detail10TensorInfoIKT_T0_EESA_SA_SA_SA_NS7_IS8_SA_EENS7_IlSA_EE: ; @_ZN2at6native12_GLOBAL__N_114gatherKthValueIN3c108BFloat16ElLi1EEEvNS_4cuda6detail10TensorInfoIKT_T0_EESA_SA_SA_SA_NS7_IS8_SA_EENS7_IlSA_EE
; %bb.0:
	s_clause 0x1
	s_load_b64 s[4:5], s[0:1], 0x500
	s_load_b256 s[36:43], s[0:1], 0x1a0
	s_lshr_b32 s2, ttmp7, 16
	s_and_b32 s3, ttmp7, 0xffff
	s_mov_b32 s27, 0
	s_wait_kmcnt 0x0
	s_mul_i32 s2, s5, s2
	s_delay_alu instid0(SALU_CYCLE_1) | instskip(NEXT) | instid1(SALU_CYCLE_1)
	s_add_co_i32 s2, s2, s3
	s_mul_i32 s2, s2, s4
	s_delay_alu instid0(SALU_CYCLE_1) | instskip(NEXT) | instid1(SALU_CYCLE_1)
	s_add_co_i32 s26, s2, ttmp9
	v_cmp_le_i64_e64 s2, s[40:41], s[26:27]
	s_and_b32 vcc_lo, exec_lo, s2
	s_cbranch_vccnz .LBB68_273
; %bb.1:
	s_clause 0x1
	s_load_b64 s[10:11], s[0:1], 0xd0
	s_load_b64 s[8:9], s[0:1], 0x0
	v_cmp_eq_u32_e64 s2, 0, v0
	s_add_nc_u64 s[6:7], s[0:1], 0x500
	s_and_saveexec_b32 s3, s2
	s_cbranch_execz .LBB68_3
; %bb.2:
	v_dual_mov_b32 v1, 0 :: v_dual_mov_b32 v4, s37
	s_delay_alu instid0(VALU_DEP_1)
	v_dual_mov_b32 v3, s36 :: v_dual_mov_b32 v2, v1
	ds_store_b32 v1, v1 offset:5136
	ds_store_b128 v1, v[1:4] offset:5120
.LBB68_3:
	s_or_b32 exec_lo, exec_lo, s3
	v_lshlrev_b32_e32 v37, 3, v0
	v_mbcnt_lo_u32_b32 v32, -1, 0
	v_dual_mov_b32 v3, 0 :: v_dual_lshlrev_b32 v14, 2, v0
	v_mad_co_u64_u32 v[4:5], null, s42, v0, 0
	s_delay_alu instid0(VALU_DEP_4)
	v_or_b32_e32 v25, 4, v37
	v_or_b32_e32 v26, 2, v37
	v_lshlrev_b64_e64 v[8:9], v32, -1
	s_wait_kmcnt 0x0
	s_mul_u64 s[10:11], s[10:11], s[26:27]
	s_clause 0x3
	s_load_b64 s[34:35], s[0:1], 0x430
	s_load_b64 s[28:29], s[0:1], 0x360
	s_load_b64 s[40:41], s[0:1], 0x290
	s_load_b64 s[30:31], s[0:1], 0x1c0
	v_mad_co_u64_u32 v[21:22], null, s42, v25, 0
	v_mad_co_u64_u32 v[23:24], null, s42, v26, 0
	v_mov_b32_e32 v15, v3
	v_not_b32_e32 v35, v8
	v_cmp_gt_u32_e32 vcc_lo, 32, v0
	v_cmp_gt_i32_e64 s0, 4, v32
	v_mov_b32_e32 v8, v22
	s_lshl_b64 s[10:11], s[10:11], 1
	v_mov_b32_e32 v9, v24
	s_add_nc_u64 s[48:49], s[8:9], s[10:11]
	s_and_b32 s33, vcc_lo, s0
	s_wait_dscnt 0x0
	s_barrier_signal -1
	v_mad_co_u64_u32 v[24:25], null, s43, v25, v[8:9]
	s_barrier_wait -1
	global_inv scope:SCOPE_SE
	s_load_b32 s5, s[6:7], 0xc
	s_movk_i32 s8, 0x3e0
	s_mov_b32 s51, 0
	v_and_or_b32 v36, v0, s8, 0xc00
	v_mov_b32_e32 v38, v24
	v_or_b32_e32 v10, 6, v37
	v_cmp_lt_i64_e64 s82, 0x600, s[36:37]
	s_mov_b32 s45, s51
	v_cmp_eq_u32_e64 s1, 0, v32
	v_cmp_gt_u32_e64 s3, 2, v0
	v_mad_co_u64_u32 v[19:20], null, s42, v10, 0
	v_lshlrev_b32_e32 v33, 1, v0
	v_mov_b32_e32 v1, v5
	v_lshl_or_b32 v42, v32, 3, 0xc00
	s_mov_b32 s84, s42
	s_mov_b32 s86, s43
	v_add_nc_u32_e32 v34, 0xc00, v33
	v_mad_co_u64_u32 v[1:2], null, s43, v0, v[1:2]
	v_add_nc_u32_e32 v2, 2, v0
	s_wait_kmcnt 0x0
	s_and_b32 s44, s5, 0xffff
	s_bfe_u32 s5, s5, 0xb0005
	s_cmp_gt_u32 s44, 31
	s_add_nc_u64 s[52:53], s[44:45], -1
	s_cselect_b32 s83, -1, 0
	v_mov_b32_e32 v5, v1
	s_cmp_lt_u32 ttmp9, s4
	s_add_nc_u64 s[54:55], s[52:53], s[36:37]
	s_cselect_b32 s50, 12, 18
	s_add_co_i32 s8, s5, -1
	v_lshlrev_b64_e32 v[6:7], 1, v[4:5]
	s_wait_alu 0xfffe
	s_and_b32 s8, s8, 0xffff
	s_bfe_u32 s85, s44, 0x30005
	s_wait_alu 0xfffe
	s_cmp_gt_u32 s8, 6
	v_add_co_u32 v40, s8, s36, v0
	v_add_co_u32 v12, vcc_lo, s48, v6
	s_delay_alu instid0(VALU_DEP_1)
	v_add_co_ci_u32_e64 v13, null, s49, v7, vcc_lo
	v_cmp_gt_i64_e32 vcc_lo, s[36:37], v[2:3]
	v_not_b32_e32 v6, v0
	s_cselect_b32 s87, -1, 0
	s_and_b32 s88, s5, 0x7f8
	s_cmp_lg_u32 s85, 0
	v_lshlrev_b64_e32 v[24:25], 3, v[4:5]
	s_wait_alu 0xfffd
	v_cndmask_b32_e64 v2, v2, s36, vcc_lo
	v_cndmask_b32_e64 v7, 0, s37, vcc_lo
	s_cselect_b32 s89, -1, 0
	s_lshl_b64 s[56:57], s[42:43], 1
	v_add_co_ci_u32_e64 v41, null, s37, 0, s8
	v_add_co_u32 v6, vcc_lo, v2, v6
	v_mov_b32_e32 v1, v3
	s_wait_alu 0xfffd
	v_add_co_ci_u32_e64 v7, null, -1, v7, vcc_lo
	s_delay_alu instid0(VALU_DEP_3) | instskip(SKIP_2) | instid1(VALU_DEP_4)
	v_and_b32_e32 v16, -2, v6
	v_mul_lo_u32 v43, 0, s56
	v_cmp_gt_i64_e64 s0, s[36:37], v[0:1]
	v_cmp_lt_u64_e64 s4, 1, v[6:7]
	v_mov_b32_e32 v45, 0
	v_add_co_u32 v18, vcc_lo, v16, v0
	s_wait_alu 0xfffd
	v_add_co_ci_u32_e64 v2, null, 0, v7, vcc_lo
	v_mov_b32_e32 v2, v20
	v_mov_b32_e32 v20, 0
	s_mul_u64 s[8:9], s[42:43], s[44:45]
	v_mov_b32_e32 v46, 0
	s_lshl_b64 s[58:59], s[42:43], 3
	v_mad_co_u64_u32 v[10:11], null, s43, v10, v[2:3]
	v_mov_b32_e32 v17, v7
	s_wait_alu 0xfffe
	s_lshl_b64 s[46:47], s[8:9], 1
	s_lshl_b32 s90, s44, 1
	v_mov_b32_e32 v44, 0x8000
	s_mov_b32 s92, 14
	s_movk_i32 s91, 0x3f80
	v_mad_co_u64_u32 v[8:9], null, s43, v26, v[9:10]
	v_mov_b32_e32 v22, v10
	v_cmp_ne_u64_e64 s5, v[6:7], v[16:17]
	v_dual_mov_b32 v26, s38 :: v_dual_mov_b32 v27, s39
	s_add_nc_u64 s[38:39], s[6:7], s[50:51]
	s_mov_b32 s93, 0
	v_mov_b32_e32 v39, v8
	s_mov_b32 s94, 0
                                        ; implicit-def: $sgpr98
                                        ; implicit-def: $sgpr100
                                        ; implicit-def: $sgpr95
                                        ; implicit-def: $sgpr97
                                        ; implicit-def: $sgpr99
                                        ; implicit-def: $sgpr96
	s_branch .LBB68_7
.LBB68_4:                               ;   in Loop: Header=BB68_7 Depth=1
	s_wait_alu 0xfffe
	s_or_b32 exec_lo, exec_lo, s9
	s_delay_alu instid0(SALU_CYCLE_1)
	s_and_b32 s7, s7, exec_lo
	s_and_not1_b32 s22, s22, exec_lo
	s_and_not1_b32 s21, s21, exec_lo
	s_or_not1_b32 s18, s8, exec_lo
.LBB68_5:                               ;   in Loop: Header=BB68_7 Depth=1
	s_wait_alu 0xfffe
	s_or_b32 exec_lo, exec_lo, s6
	s_delay_alu instid0(SALU_CYCLE_1)
	s_and_not1_b32 s6, s96, exec_lo
	s_and_b32 s7, s7, exec_lo
	s_and_not1_b32 s8, s97, exec_lo
	s_wait_alu 0xfffe
	s_or_b32 s96, s6, s7
	s_and_not1_b32 s6, s99, exec_lo
	s_and_b32 s7, s22, exec_lo
	s_and_b32 s9, s21, exec_lo
	s_wait_alu 0xfffe
	s_or_b32 s99, s6, s7
	s_or_b32 s97, s8, s9
	s_or_not1_b32 s18, s18, exec_lo
.LBB68_6:                               ;   in Loop: Header=BB68_7 Depth=1
	s_wait_alu 0xfffe
	s_or_b32 exec_lo, exec_lo, s17
	s_delay_alu instid0(SALU_CYCLE_1)
	s_and_b32 s6, exec_lo, s18
	v_dual_mov_b32 v27, v9 :: v_dual_mov_b32 v26, v8
	s_wait_alu 0xfffe
	s_or_b32 s93, s6, s93
	s_and_not1_b32 s6, s95, exec_lo
	s_and_b32 s7, s96, exec_lo
	s_and_not1_b32 s8, s100, exec_lo
	s_wait_alu 0xfffe
	s_or_b32 s95, s6, s7
	s_and_b32 s6, s99, exec_lo
	s_and_not1_b32 s7, s98, exec_lo
	s_and_b32 s9, s97, exec_lo
	s_wait_alu 0xfffe
	s_or_b32 s100, s8, s6
	s_or_b32 s98, s7, s9
	s_and_not1_b32 exec_lo, exec_lo, s93
	s_cbranch_execz .LBB68_269
.LBB68_7:                               ; =>This Loop Header: Depth=1
                                        ;     Child Loop BB68_12 Depth 2
                                        ;     Child Loop BB68_26 Depth 2
	;; [unrolled: 1-line block ×17, first 2 shown]
	ds_load_b128 v[4:7], v3 offset:5120
	s_wait_dscnt 0x0
	v_readfirstlane_b32 s61, v5
	v_readfirstlane_b32 s60, v4
	s_wait_alu 0xf1ff
	s_delay_alu instid0(VALU_DEP_1)
	v_cmp_gt_i64_e64 s6, s[60:61], 0
	s_and_b32 vcc_lo, exec_lo, s6
	s_wait_alu 0xfffe
	s_cbranch_vccnz .LBB68_39
; %bb.8:                                ;   in Loop: Header=BB68_7 Depth=1
	s_and_b32 vcc_lo, exec_lo, s82
	s_wait_alu 0xfffe
	s_cbranch_vccz .LBB68_20
; %bb.9:                                ;   in Loop: Header=BB68_7 Depth=1
	v_cmp_gt_i64_e32 vcc_lo, 0x601, v[6:7]
	s_mov_b32 s8, 0
	s_mov_b32 s6, 0
	s_cbranch_vccz .LBB68_21
; %bb.10:                               ;   in Loop: Header=BB68_7 Depth=1
	global_load_u16 v2, v3, s[38:39]
	global_load_u16 v8, v[12:13], off
	s_mov_b32 s9, 0
	s_wait_loadcnt 0x1
	v_and_b32_e32 v2, 0xffff, v2
	s_delay_alu instid0(VALU_DEP_1) | instskip(SKIP_3) | instid1(VALU_DEP_3)
	v_add_co_u32 v4, s6, v0, v2
	s_wait_alu 0xf1fe
	v_add_co_ci_u32_e64 v5, null, 0, 0, s6
	v_mul_lo_u32 v6, v2, s57
	v_mul_lo_u32 v10, s57, v4
	v_mul_hi_u32 v11, v2, s56
	s_delay_alu instid0(VALU_DEP_4) | instskip(SKIP_2) | instid1(VALU_DEP_2)
	v_mul_lo_u32 v7, s56, v5
	v_mad_co_u64_u32 v[4:5], null, s56, v4, s[48:49]
	v_add_nc_u32_e32 v6, v6, v43
	v_add3_u32 v5, v10, v5, v7
	s_delay_alu instid0(VALU_DEP_2)
	v_dual_mov_b32 v7, v1 :: v_dual_add_nc_u32 v10, v6, v11
	v_mul_lo_u32 v9, v2, s56
	v_mov_b32_e32 v6, v0
	s_branch .LBB68_12
.LBB68_11:                              ;   in Loop: Header=BB68_12 Depth=2
	s_wait_alu 0xfffe
	s_or_b32 exec_lo, exec_lo, s7
	v_add_co_u32 v4, vcc_lo, v4, v9
	s_wait_alu 0xfffd
	v_add_co_ci_u32_e64 v5, null, v5, v10, vcc_lo
	v_mov_b32_e32 v8, v11
	s_and_not1_b32 exec_lo, exec_lo, s9
	s_cbranch_execz .LBB68_73
.LBB68_12:                              ;   Parent Loop BB68_7 Depth=1
                                        ; =>  This Inner Loop Header: Depth=2
	s_delay_alu instid0(VALU_DEP_1)
	v_add_co_u32 v6, vcc_lo, v6, v2
	s_wait_alu 0xfffd
	v_add_co_ci_u32_e64 v7, null, 0, v7, vcc_lo
	s_wait_dscnt 0x0
	v_dual_mov_b32 v28, 0 :: v_dual_mov_b32 v11, 0
	s_mov_b32 s7, exec_lo
	s_delay_alu instid0(VALU_DEP_2)
	v_cmp_le_i64_e32 vcc_lo, s[36:37], v[6:7]
	v_cmpx_gt_i64_e64 s[36:37], v[6:7]
	s_cbranch_execz .LBB68_14
; %bb.13:                               ;   in Loop: Header=BB68_12 Depth=2
	global_load_u16 v11, v[4:5], off
.LBB68_14:                              ;   in Loop: Header=BB68_12 Depth=2
	s_wait_alu 0xfffe
	s_or_b32 exec_lo, exec_lo, s7
	s_wait_loadcnt 0x0
	v_cmp_lt_i16_e64 s6, -1, v8
	v_and_b32_e32 v29, 0xffff, v8
	v_lshlrev_b32_e32 v31, 16, v8
	s_wait_alu 0xf1ff
	s_delay_alu instid0(VALU_DEP_3) | instskip(NEXT) | instid1(VALU_DEP_2)
	v_cndmask_b32_e64 v30, 0xffff, v44, s6
	v_cmp_o_f32_e64 s6, v31, v31
	s_delay_alu instid0(VALU_DEP_2) | instskip(SKIP_1) | instid1(VALU_DEP_1)
	v_xor_b32_e32 v29, v30, v29
	s_wait_alu 0xf1ff
	v_cndmask_b32_e64 v29, 0xffff, v29, s6
	s_delay_alu instid0(VALU_DEP_1) | instskip(NEXT) | instid1(VALU_DEP_1)
	v_and_b32_e32 v29, v29, v45
	v_cmp_eq_u32_e64 s6, v29, v20
	s_cmp_lg_u32 s6, 0
	s_cselect_b32 s7, -1, 0
	s_wait_alu 0xfffe
	s_and_b32 s7, s1, s7
	s_wait_alu 0xfffe
	s_and_saveexec_b32 s10, s7
	s_cbranch_execz .LBB68_18
; %bb.15:                               ;   in Loop: Header=BB68_12 Depth=2
	s_mov_b32 s13, exec_lo
	s_bcnt1_i32_b32 s11, s6
	s_wait_alu 0xfffe
	v_mbcnt_lo_u32_b32 v28, s13, 0
	s_mov_b32 s12, exec_lo
                                        ; implicit-def: $vgpr29
	s_delay_alu instid0(VALU_DEP_1)
	v_cmpx_eq_u32_e32 0, v28
; %bb.16:                               ;   in Loop: Header=BB68_12 Depth=2
	s_bcnt1_i32_b32 s7, s13
	s_wait_alu 0xfffe
	s_mul_i32 s7, s11, s7
	s_wait_alu 0xfffe
	v_mov_b32_e32 v29, s7
	ds_add_rtn_u32 v29, v3, v29 offset:5136
; %bb.17:                               ;   in Loop: Header=BB68_12 Depth=2
	s_or_b32 exec_lo, exec_lo, s12
	s_wait_dscnt 0x0
	v_readfirstlane_b32 s7, v29
	s_wait_alu 0xf1ff
	s_delay_alu instid0(VALU_DEP_1)
	v_mad_u32_u24 v28, s11, v28, s7
.LBB68_18:                              ;   in Loop: Header=BB68_12 Depth=2
	s_wait_alu 0xfffe
	s_or_b32 exec_lo, exec_lo, s10
	ds_bpermute_b32 v28, v3, v28
	s_and_b32 s7, exec_lo, vcc_lo
	s_wait_alu 0xfffe
	s_or_b32 s9, s7, s9
	s_and_saveexec_b32 s7, s6
	s_cbranch_execz .LBB68_11
; %bb.19:                               ;   in Loop: Header=BB68_12 Depth=2
	v_and_b32_e32 v29, s6, v35
	s_delay_alu instid0(VALU_DEP_1) | instskip(NEXT) | instid1(VALU_DEP_1)
	v_bcnt_u32_b32 v29, v29, 0
	v_lshlrev_b32_e32 v29, 1, v29
	s_wait_dscnt 0x0
	s_delay_alu instid0(VALU_DEP_1)
	v_lshl_add_u32 v28, v28, 1, v29
	ds_store_b16 v28, v8
	s_branch .LBB68_11
.LBB68_20:                              ;   in Loop: Header=BB68_7 Depth=1
	s_mov_b32 s8, -1
	s_mov_b32 s6, 0
.LBB68_21:                              ;   in Loop: Header=BB68_7 Depth=1
	s_wait_alu 0xfffe
	s_and_b32 vcc_lo, exec_lo, s8
	s_wait_alu 0xfffe
	s_cbranch_vccz .LBB68_37
.LBB68_22:                              ;   in Loop: Header=BB68_7 Depth=1
	s_and_saveexec_b32 s7, s0
	s_cbranch_execz .LBB68_34
; %bb.23:                               ;   in Loop: Header=BB68_7 Depth=1
	global_load_u16 v4, v3, s[38:39]
	global_load_u16 v28, v[12:13], off
	v_mov_b32_e32 v6, v0
	s_mov_b32 s12, exec_lo
	s_wait_loadcnt 0x1
	v_and_b32_e32 v2, 0xffff, v4
	v_readfirstlane_b32 s6, v4
	s_delay_alu instid0(VALU_DEP_2) | instskip(NEXT) | instid1(VALU_DEP_1)
	v_add_nc_u32_e32 v2, v2, v0
	v_cmpx_gt_i64_e64 s[36:37], v[2:3]
	s_cbranch_execz .LBB68_33
; %bb.24:                               ;   in Loop: Header=BB68_7 Depth=1
	s_and_b32 s50, s6, 0xffff
	v_dual_mov_b32 v9, v1 :: v_dual_mov_b32 v8, v0
	s_wait_alu 0xfffe
	s_cmp_eq_u32 s50, 1
	v_dual_mov_b32 v5, v3 :: v_dual_mov_b32 v4, v2
	s_cselect_b32 s6, -1, 0
                                        ; implicit-def: $vgpr6_vgpr7
	s_wait_alu 0xfffe
	s_and_b32 s9, s4, s6
	s_mov_b32 s6, -1
	s_wait_alu 0xfffe
	s_and_saveexec_b32 s8, s9
	s_cbranch_execz .LBB68_28
; %bb.25:                               ;   in Loop: Header=BB68_7 Depth=1
	v_add_co_u32 v4, s6, v2, 1
	s_wait_alu 0xf1ff
	v_add_co_ci_u32_e64 v5, null, 0, 0, s6
	s_wait_loadcnt 0x0
	v_dual_mov_b32 v8, v16 :: v_dual_lshlrev_b32 v11, 16, v28
	v_dual_mov_b32 v9, v17 :: v_dual_mov_b32 v10, v33
	s_delay_alu instid0(VALU_DEP_3)
	v_mov_b32_e32 v7, v5
	v_dual_mov_b32 v6, v4 :: v_dual_mov_b32 v5, v3
	v_mov_b32_e32 v4, v2
	s_mov_b32 s9, 0
.LBB68_26:                              ;   Parent Loop BB68_7 Depth=1
                                        ; =>  This Inner Loop Header: Depth=2
	s_delay_alu instid0(VALU_DEP_2) | instskip(NEXT) | instid1(VALU_DEP_2)
	v_mul_lo_u32 v47, v5, s84
	v_mul_lo_u32 v48, v4, s86
	v_mad_co_u64_u32 v[28:29], null, v4, s84, 0
	v_mul_lo_u32 v49, v7, s42
	v_mul_lo_u32 v50, v6, s43
	v_mad_co_u64_u32 v[30:31], null, v6, s42, 0
	s_delay_alu instid0(VALU_DEP_4) | instskip(NEXT) | instid1(VALU_DEP_2)
	v_add3_u32 v29, v29, v48, v47
	v_add3_u32 v31, v31, v50, v49
	s_delay_alu instid0(VALU_DEP_2) | instskip(NEXT) | instid1(VALU_DEP_2)
	v_lshlrev_b64_e32 v[28:29], 1, v[28:29]
	v_lshlrev_b64_e32 v[30:31], 1, v[30:31]
	s_delay_alu instid0(VALU_DEP_2) | instskip(SKIP_1) | instid1(VALU_DEP_3)
	v_add_co_u32 v28, vcc_lo, s48, v28
	s_wait_alu 0xfffd
	v_add_co_ci_u32_e64 v29, null, s49, v29, vcc_lo
	s_delay_alu instid0(VALU_DEP_3)
	v_add_co_u32 v30, vcc_lo, s48, v30
	s_wait_alu 0xfffd
	v_add_co_ci_u32_e64 v31, null, s49, v31, vcc_lo
	s_clause 0x1
	global_load_u16 v29, v[28:29], off
	global_load_u16 v28, v[30:31], off
	v_add_co_u32 v8, vcc_lo, v8, -2
	s_wait_alu 0xfffd
	v_add_co_ci_u32_e64 v9, null, -1, v9, vcc_lo
	v_add_co_u32 v6, vcc_lo, v6, 2
	s_wait_alu 0xfffd
	v_add_co_ci_u32_e64 v7, null, 0, v7, vcc_lo
	s_delay_alu instid0(VALU_DEP_3) | instskip(SKIP_4) | instid1(VALU_DEP_3)
	v_cmp_eq_u64_e64 s6, 0, v[8:9]
	v_add_co_u32 v4, vcc_lo, v4, 2
	s_wait_alu 0xfffd
	v_add_co_ci_u32_e64 v5, null, 0, v5, vcc_lo
	s_wait_alu 0xfffe
	s_or_b32 s9, s6, s9
	s_wait_loadcnt 0x1
	v_alignbit_b32 v11, v29, v11, 16
	s_wait_loadcnt 0x0
	v_perm_b32 v29, v28, v29, 0x5040100
	ds_store_b32 v10, v11
	v_dual_mov_b32 v11, v29 :: v_dual_add_nc_u32 v10, 4, v10
	s_wait_alu 0xfffe
	s_and_not1_b32 exec_lo, exec_lo, s9
	s_cbranch_execnz .LBB68_26
; %bb.27:                               ;   in Loop: Header=BB68_7 Depth=1
	s_or_b32 exec_lo, exec_lo, s9
	v_add_co_u32 v4, vcc_lo, v2, v16
	s_wait_alu 0xfffd
	v_add_co_ci_u32_e64 v5, null, 0, v17, vcc_lo
	v_dual_mov_b32 v8, v18 :: v_dual_mov_b32 v9, v19
	s_delay_alu instid0(VALU_DEP_3)
	v_add_co_u32 v6, vcc_lo, v4, -1
	s_or_not1_b32 s6, s5, exec_lo
	s_wait_alu 0xfffd
	v_add_co_ci_u32_e64 v2, null, -1, v5, vcc_lo
.LBB68_28:                              ;   in Loop: Header=BB68_7 Depth=1
	s_wait_alu 0xfffe
	s_or_b32 exec_lo, exec_lo, s8
	s_and_saveexec_b32 s13, s6
	s_cbranch_execz .LBB68_32
; %bb.29:                               ;   in Loop: Header=BB68_7 Depth=1
	v_mad_co_u64_u32 v[10:11], null, s56, v4, s[48:49]
	v_mul_lo_u32 v2, s56, v5
	v_mul_lo_u32 v6, s57, v4
	s_sub_nc_u64 s[8:9], 0, s[50:51]
	s_mul_u64 s[10:11], s[56:57], s[50:51]
	s_mov_b32 s14, 0
	s_delay_alu instid0(VALU_DEP_1)
	v_add3_u32 v11, v6, v11, v2
.LBB68_30:                              ;   Parent Loop BB68_7 Depth=1
                                        ; =>  This Inner Loop Header: Depth=2
	s_wait_loadcnt 0x0
	v_mov_b32_e32 v2, v28
	global_load_u16 v28, v[10:11], off
	v_dual_mov_b32 v30, v5 :: v_dual_lshlrev_b32 v7, 1, v8
	v_mov_b32_e32 v29, v4
	ds_store_b16 v7, v2
	v_add_co_u32 v4, vcc_lo, v29, s50
	s_wait_alu 0xfffd
	v_add_co_ci_u32_e64 v5, null, 0, v30, vcc_lo
	s_wait_alu 0xfffe
	v_add_co_u32 v10, vcc_lo, v10, s10
	s_wait_alu 0xfffd
	v_add_co_ci_u32_e64 v11, null, s11, v11, vcc_lo
	v_cmp_le_i64_e32 vcc_lo, s[36:37], v[4:5]
	v_add_co_u32 v6, s6, s8, v4
	s_wait_alu 0xf1ff
	v_add_co_ci_u32_e64 v8, null, s9, v5, s6
	v_dual_mov_b32 v8, v29 :: v_dual_mov_b32 v9, v30
	s_or_b32 s14, vcc_lo, s14
	s_wait_alu 0xfffe
	s_and_not1_b32 exec_lo, exec_lo, s14
	s_cbranch_execnz .LBB68_30
; %bb.31:                               ;   in Loop: Header=BB68_7 Depth=1
	s_or_b32 exec_lo, exec_lo, s14
.LBB68_32:                              ;   in Loop: Header=BB68_7 Depth=1
	s_wait_alu 0xfffe
	s_or_b32 exec_lo, exec_lo, s13
.LBB68_33:                              ;   in Loop: Header=BB68_7 Depth=1
	s_wait_alu 0xfffe
	s_or_b32 exec_lo, exec_lo, s12
	v_lshlrev_b32_e32 v2, 1, v6
	s_wait_loadcnt 0x0
	ds_store_b16 v2, v28
.LBB68_34:                              ;   in Loop: Header=BB68_7 Depth=1
	s_wait_alu 0xfffe
	s_or_b32 exec_lo, exec_lo, s7
	s_wait_loadcnt_dscnt 0x0
	s_barrier_signal -1
	s_barrier_wait -1
	global_inv scope:SCOPE_SE
	s_and_saveexec_b32 s6, s2
; %bb.35:                               ;   in Loop: Header=BB68_7 Depth=1
	v_dual_mov_b32 v4, s36 :: v_dual_mov_b32 v5, s37
	ds_store_b64 v3, v[4:5] offset:5120
; %bb.36:                               ;   in Loop: Header=BB68_7 Depth=1
	s_wait_alu 0xfffe
	s_or_b32 exec_lo, exec_lo, s6
	s_mov_b32 s6, -1
	s_wait_loadcnt_dscnt 0x0
	s_barrier_signal -1
	s_barrier_wait -1
.LBB68_37:                              ;   in Loop: Header=BB68_7 Depth=1
	s_wait_alu 0xfffe
	s_and_b32 vcc_lo, exec_lo, s6
	s_wait_alu 0xfffe
	s_cbranch_vccz .LBB68_39
; %bb.38:                               ;   in Loop: Header=BB68_7 Depth=1
	s_wait_loadcnt 0x0
	global_inv scope:SCOPE_SE
	ds_load_b64 v[4:5], v3 offset:5120
	s_wait_dscnt 0x0
	v_readfirstlane_b32 s60, v4
.LBB68_39:                              ;   in Loop: Header=BB68_7 Depth=1
	s_delay_alu instid0(VALU_DEP_1)
	s_cmp_lt_i32 s60, 1
	s_mov_b32 s6, -1
                                        ; implicit-def: $vgpr4_vgpr5
                                        ; implicit-def: $vgpr8_vgpr9
	s_cbranch_scc1 .LBB68_49
; %bb.40:                               ;   in Loop: Header=BB68_7 Depth=1
	s_wait_alu 0xfffe
	s_and_b32 vcc_lo, exec_lo, s6
	s_wait_alu 0xfffe
	s_cbranch_vccnz .LBB68_63
.LBB68_41:                              ;   in Loop: Header=BB68_7 Depth=1
	s_lshl_b32 s6, s94, 7
	s_and_saveexec_b32 s7, s1
	s_cbranch_execz .LBB68_43
.LBB68_42:                              ;   in Loop: Header=BB68_7 Depth=1
	s_wait_alu 0xfffe
	v_lshl_add_u32 v2, s6, 3, v36
	ds_store_b128 v2, v[4:7]
	ds_store_b128 v2, v[8:11] offset:16
.LBB68_43:                              ;   in Loop: Header=BB68_7 Depth=1
	s_wait_alu 0xfffe
	s_or_b32 exec_lo, exec_lo, s7
	s_wait_loadcnt_dscnt 0x0
	s_barrier_signal -1
	s_barrier_wait -1
	global_inv scope:SCOPE_SE
	s_and_saveexec_b32 s7, s33
	s_cbranch_execz .LBB68_80
; %bb.44:                               ;   in Loop: Header=BB68_7 Depth=1
	v_mov_b32_e32 v4, 0
	v_mov_b32_e32 v5, 0
	s_and_not1_b32 vcc_lo, exec_lo, s83
	s_wait_alu 0xfffe
	s_cbranch_vccnz .LBB68_79
; %bb.45:                               ;   in Loop: Header=BB68_7 Depth=1
	v_mov_b32_e32 v4, 0
	v_mov_b32_e32 v5, 0
	s_and_not1_b32 vcc_lo, exec_lo, s87
	s_wait_alu 0xfffe
	s_cbranch_vccnz .LBB68_76
; %bb.46:                               ;   in Loop: Header=BB68_7 Depth=1
	v_lshl_add_u32 v2, s94, 10, v42
	s_mov_b32 s8, 0
.LBB68_47:                              ;   Parent Loop BB68_7 Depth=1
                                        ; =>  This Inner Loop Header: Depth=2
	ds_load_2addr_b64 v[6:9], v2 offset1:4
	ds_load_2addr_b64 v[28:31], v2 offset0:8 offset1:12
	ds_load_2addr_b64 v[47:50], v2 offset0:16 offset1:20
	s_wait_alu 0xfffe
	s_add_co_i32 s8, s8, 8
	s_wait_alu 0xfffe
	s_cmp_eq_u32 s88, s8
	s_wait_dscnt 0x2
	v_add_co_u32 v4, vcc_lo, v6, v4
	s_wait_alu 0xfffd
	v_add_co_ci_u32_e64 v5, null, v7, v5, vcc_lo
	s_delay_alu instid0(VALU_DEP_2) | instskip(SKIP_1) | instid1(VALU_DEP_2)
	v_add_co_u32 v8, vcc_lo, v8, v4
	s_wait_alu 0xfffd
	v_add_co_ci_u32_e64 v9, null, v9, v5, vcc_lo
	ds_load_2addr_b64 v[4:7], v2 offset0:24 offset1:28
	s_wait_dscnt 0x2
	v_add_co_u32 v8, vcc_lo, v28, v8
	s_wait_alu 0xfffd
	v_add_co_ci_u32_e64 v9, null, v29, v9, vcc_lo
	v_add_nc_u32_e32 v2, 0x100, v2
	s_delay_alu instid0(VALU_DEP_3) | instskip(SKIP_1) | instid1(VALU_DEP_3)
	v_add_co_u32 v8, vcc_lo, v30, v8
	s_wait_alu 0xfffd
	v_add_co_ci_u32_e64 v9, null, v31, v9, vcc_lo
	s_wait_dscnt 0x1
	s_delay_alu instid0(VALU_DEP_2) | instskip(SKIP_1) | instid1(VALU_DEP_2)
	v_add_co_u32 v8, vcc_lo, v47, v8
	s_wait_alu 0xfffd
	v_add_co_ci_u32_e64 v9, null, v48, v9, vcc_lo
	s_delay_alu instid0(VALU_DEP_2) | instskip(SKIP_1) | instid1(VALU_DEP_2)
	v_add_co_u32 v8, vcc_lo, v49, v8
	s_wait_alu 0xfffd
	v_add_co_ci_u32_e64 v9, null, v50, v9, vcc_lo
	s_wait_dscnt 0x0
	s_delay_alu instid0(VALU_DEP_2) | instskip(SKIP_1) | instid1(VALU_DEP_2)
	v_add_co_u32 v4, vcc_lo, v4, v8
	s_wait_alu 0xfffd
	v_add_co_ci_u32_e64 v5, null, v5, v9, vcc_lo
	s_delay_alu instid0(VALU_DEP_2) | instskip(SKIP_1) | instid1(VALU_DEP_2)
	v_add_co_u32 v4, vcc_lo, v6, v4
	s_wait_alu 0xfffd
	v_add_co_ci_u32_e64 v5, null, v7, v5, vcc_lo
	s_cbranch_scc0 .LBB68_47
; %bb.48:                               ;   in Loop: Header=BB68_7 Depth=1
	s_mov_b32 s8, s88
	s_and_not1_b32 vcc_lo, exec_lo, s89
	s_wait_alu 0xfffe
	s_cbranch_vccz .LBB68_77
	s_branch .LBB68_79
.LBB68_49:                              ;   in Loop: Header=BB68_7 Depth=1
	global_load_u16 v2, v3, s[38:39]
	s_mov_b32 s7, s37
	s_wait_loadcnt 0x0
	v_readfirstlane_b32 s6, v2
	s_wait_alu 0xfffe
	s_and_b32 s62, s6, 0xffff
	s_mov_b32 s6, s51
	s_wait_alu 0xfffe
	s_lshl_b32 s64, s62, 2
	s_cmp_lg_u64 s[6:7], 0
	s_cbranch_scc0 .LBB68_72
; %bb.50:                               ;   in Loop: Header=BB68_7 Depth=1
	s_mov_b32 s65, s51
	s_wait_alu 0xfffe
	s_add_nc_u64 s[6:7], s[64:65], 0
	s_wait_alu 0xfffe
	s_xor_b64 s[6:7], s[6:7], 0
	s_wait_alu 0xfffe
	s_cvt_f32_u32 s8, s6
	s_cvt_f32_u32 s9, s7
	s_sub_nc_u64 s[10:11], 0, s[6:7]
	s_wait_alu 0xfffe
	s_delay_alu instid0(SALU_CYCLE_1) | instskip(SKIP_1) | instid1(SALU_CYCLE_2)
	s_fmamk_f32 s8, s9, 0x4f800000, s8
	s_wait_alu 0xfffe
	v_s_rcp_f32 s8, s8
	s_delay_alu instid0(TRANS32_DEP_1) | instskip(SKIP_1) | instid1(SALU_CYCLE_2)
	s_mul_f32 s8, s8, 0x5f7ffffc
	s_wait_alu 0xfffe
	s_mul_f32 s9, s8, 0x2f800000
	s_wait_alu 0xfffe
	s_delay_alu instid0(SALU_CYCLE_2) | instskip(SKIP_1) | instid1(SALU_CYCLE_2)
	s_trunc_f32 s9, s9
	s_wait_alu 0xfffe
	s_fmamk_f32 s8, s9, 0xcf800000, s8
	s_cvt_u32_f32 s9, s9
	s_wait_alu 0xfffe
	s_delay_alu instid0(SALU_CYCLE_1) | instskip(SKIP_1) | instid1(SALU_CYCLE_2)
	s_cvt_u32_f32 s8, s8
	s_wait_alu 0xfffe
	s_mul_u64 s[12:13], s[10:11], s[8:9]
	s_wait_alu 0xfffe
	s_mul_hi_u32 s15, s8, s13
	s_mul_i32 s14, s8, s13
	s_mul_hi_u32 s50, s8, s12
	s_mul_i32 s17, s9, s12
	s_wait_alu 0xfffe
	s_add_nc_u64 s[14:15], s[50:51], s[14:15]
	s_mul_hi_u32 s16, s9, s12
	s_mul_hi_u32 s18, s9, s13
	s_mul_i32 s12, s9, s13
	s_wait_alu 0xfffe
	s_add_co_u32 s13, s14, s17
	s_add_co_ci_u32 s50, s15, s16
	s_add_co_ci_u32 s13, s18, 0
	s_wait_alu 0xfffe
	s_add_nc_u64 s[12:13], s[50:51], s[12:13]
	s_wait_alu 0xfffe
	s_add_co_u32 s8, s8, s12
	s_cselect_b32 s12, -1, 0
	s_wait_alu 0xfffe
	s_cmp_lg_u32 s12, 0
	s_add_co_ci_u32 s9, s9, s13
	s_wait_alu 0xfffe
	s_mul_u64 s[10:11], s[10:11], s[8:9]
	s_wait_alu 0xfffe
	s_mul_hi_u32 s13, s8, s11
	s_mul_i32 s12, s8, s11
	s_mul_hi_u32 s50, s8, s10
	s_mul_i32 s15, s9, s10
	s_wait_alu 0xfffe
	s_add_nc_u64 s[12:13], s[50:51], s[12:13]
	s_mul_hi_u32 s14, s9, s10
	s_mul_hi_u32 s16, s9, s11
	s_mul_i32 s10, s9, s11
	s_wait_alu 0xfffe
	s_add_co_u32 s11, s12, s15
	s_add_co_ci_u32 s50, s13, s14
	s_add_co_ci_u32 s11, s16, 0
	s_wait_alu 0xfffe
	s_add_nc_u64 s[10:11], s[50:51], s[10:11]
	s_wait_alu 0xfffe
	s_add_co_u32 s14, s8, s10
	s_cselect_b32 s8, -1, 0
	s_wait_alu 0xfffe
	s_cmp_lg_u32 s8, 0
	s_add_co_ci_u32 s15, s9, s11
	s_ashr_i32 s8, s37, 31
	s_wait_alu 0xfffe
	s_mov_b32 s9, s8
	s_wait_alu 0xfffe
	s_add_nc_u64 s[10:11], s[36:37], s[8:9]
	s_wait_alu 0xfffe
	s_xor_b64 s[10:11], s[10:11], s[8:9]
	s_wait_alu 0xfffe
	s_mul_hi_u32 s13, s10, s15
	s_mul_i32 s12, s10, s15
	s_mul_hi_u32 s50, s10, s14
	s_mul_i32 s18, s11, s14
	s_wait_alu 0xfffe
	s_add_nc_u64 s[12:13], s[50:51], s[12:13]
	s_mul_hi_u32 s17, s11, s14
	s_mul_hi_u32 s16, s11, s15
	s_wait_alu 0xfffe
	s_add_co_u32 s12, s12, s18
	s_add_co_ci_u32 s50, s13, s17
	s_mul_i32 s14, s11, s15
	s_add_co_ci_u32 s15, s16, 0
	s_wait_alu 0xfffe
	s_add_nc_u64 s[12:13], s[50:51], s[14:15]
	s_wait_alu 0xfffe
	s_mul_u64 s[12:13], s[6:7], s[12:13]
	s_wait_alu 0xfffe
	s_sub_co_u32 s10, s10, s12
	s_cselect_b32 s12, -1, 0
	s_sub_co_i32 s14, s11, s13
	s_wait_alu 0xfffe
	s_cmp_lg_u32 s12, 0
	s_sub_co_ci_u32 s14, s14, s7
	s_sub_co_u32 s15, s10, s6
	s_cselect_b32 s16, -1, 0
	s_wait_alu 0xfffe
	s_cmp_lg_u32 s16, 0
	s_sub_co_ci_u32 s17, s14, 0
	s_wait_alu 0xfffe
	s_cmp_ge_u32 s17, s7
	s_cselect_b32 s18, -1, 0
	s_cmp_ge_u32 s15, s6
	s_cselect_b32 s19, -1, 0
	s_cmp_eq_u32 s17, s7
	s_cselect_b32 s18, s19, s18
	s_cmp_lg_u32 s16, 0
	s_sub_co_ci_u32 s14, s14, s7
	s_sub_co_u32 s16, s15, s6
	s_cselect_b32 s19, -1, 0
	s_delay_alu instid0(SALU_CYCLE_1)
	s_cmp_lg_u32 s19, 0
	s_wait_alu 0xfffe
	s_sub_co_ci_u32 s14, s14, 0
	s_cmp_lg_u32 s18, 0
	s_cselect_b32 s15, s16, s15
	s_wait_alu 0xfffe
	s_cselect_b32 s14, s14, s17
	s_cmp_lg_u32 s12, 0
	s_sub_co_ci_u32 s11, s11, s13
	s_wait_alu 0xfffe
	s_cmp_ge_u32 s11, s7
	s_cselect_b32 s12, -1, 0
	s_cmp_ge_u32 s10, s6
	s_cselect_b32 s6, -1, 0
	s_cmp_eq_u32 s11, s7
	s_wait_alu 0xfffe
	s_cselect_b32 s6, s6, s12
	s_wait_alu 0xfffe
	s_cmp_lg_u32 s6, 0
	s_cselect_b32 s7, s14, s11
	s_cselect_b32 s6, s15, s10
	s_wait_alu 0xfffe
	s_xor_b64 s[6:7], s[6:7], s[8:9]
	s_wait_alu 0xfffe
	s_sub_nc_u64 s[66:67], s[6:7], s[8:9]
	s_cbranch_execnz .LBB68_52
.LBB68_51:                              ;   in Loop: Header=BB68_7 Depth=1
	s_wait_alu 0xfffe
	v_cvt_f32_u32_e32 v2, s64
	s_sub_co_i32 s7, 0, s64
	s_delay_alu instid0(VALU_DEP_1) | instskip(NEXT) | instid1(TRANS32_DEP_1)
	v_rcp_iflag_f32_e32 v2, v2
	v_mul_f32_e32 v2, 0x4f7ffffe, v2
	s_delay_alu instid0(VALU_DEP_1) | instskip(NEXT) | instid1(VALU_DEP_1)
	v_cvt_u32_f32_e32 v2, v2
	v_readfirstlane_b32 s6, v2
	s_wait_alu 0xfffe
	s_mul_i32 s7, s7, s6
	s_wait_alu 0xfffe
	s_mul_hi_u32 s7, s6, s7
	s_wait_alu 0xfffe
	s_add_co_i32 s6, s6, s7
	s_wait_alu 0xfffe
	s_mul_hi_u32 s6, s36, s6
	s_wait_alu 0xfffe
	s_mul_i32 s6, s6, s64
	s_wait_alu 0xfffe
	s_sub_co_i32 s6, s36, s6
	s_wait_alu 0xfffe
	s_sub_co_i32 s7, s6, s64
	s_cmp_ge_u32 s6, s64
	s_wait_alu 0xfffe
	s_cselect_b32 s6, s7, s6
	s_wait_alu 0xfffe
	s_sub_co_i32 s7, s6, s64
	s_cmp_ge_u32 s6, s64
	s_wait_alu 0xfffe
	s_cselect_b32 s50, s7, s6
	s_wait_alu 0xfffe
	s_mov_b64 s[66:67], s[50:51]
.LBB68_52:                              ;   in Loop: Header=BB68_7 Depth=1
	v_mov_b32_e32 v4, 0
	v_dual_mov_b32 v8, 0 :: v_dual_mov_b32 v5, 0
	v_dual_mov_b32 v6, 0 :: v_dual_mov_b32 v9, 0
	;; [unrolled: 1-line block ×3, first 2 shown]
	v_mov_b32_e32 v11, 0
	s_wait_alu 0xfffe
	s_sub_nc_u64 s[68:69], s[36:37], s[66:67]
	s_mov_b32 s63, s51
	s_mov_b32 s61, exec_lo
	s_wait_alu 0xfffe
	v_cmpx_gt_i64_e64 s[68:69], v[14:15]
	s_cbranch_execz .LBB68_56
; %bb.53:                               ;   in Loop: Header=BB68_7 Depth=1
	v_dual_mov_b32 v29, v15 :: v_dual_mov_b32 v28, v14
	s_mul_u64 s[70:71], s[58:59], s[62:63]
	s_mov_b64 s[72:73], 0
	s_mov_b32 s65, 0
	s_mov_b64 s[74:75], s[48:49]
	s_mov_b64 s[76:77], 0
	;; [unrolled: 1-line block ×4, first 2 shown]
.LBB68_54:                              ;   Parent Loop BB68_7 Depth=1
                                        ; =>  This Inner Loop Header: Depth=2
	s_wait_alu 0xfffe
	v_add_co_u32 v4, vcc_lo, s74, v24
	s_wait_alu 0xfffd
	v_add_co_ci_u32_e64 v5, null, s75, v25, vcc_lo
	v_add_co_u32 v6, vcc_lo, s74, v23
	s_wait_alu 0xfffd
	v_add_co_ci_u32_e64 v7, null, s75, v39, vcc_lo
	v_add_co_u32 v8, vcc_lo, s74, v21
	s_wait_alu 0xfffd
	v_add_co_ci_u32_e64 v9, null, s75, v38, vcc_lo
	v_add_co_u32 v10, vcc_lo, s74, v19
	s_wait_alu 0xfffd
	v_add_co_ci_u32_e64 v11, null, s75, v22, vcc_lo
	s_clause 0x3
	global_load_u16 v2, v[4:5], off
	global_load_u16 v4, v[6:7], off
	;; [unrolled: 1-line block ×4, first 2 shown]
	v_add_co_u32 v28, vcc_lo, v28, s64
	s_wait_alu 0xfffd
	v_add_co_ci_u32_e64 v29, null, 0, v29, vcc_lo
	s_add_nc_u64 s[74:75], s[74:75], s[70:71]
	v_cmp_le_i64_e32 vcc_lo, s[68:69], v[28:29]
	s_wait_loadcnt 0x3
	v_cmp_lt_i16_e64 s6, -1, v2
	v_and_b32_e32 v7, 0xffff, v2
	v_lshlrev_b32_e32 v2, 16, v2
	s_wait_loadcnt 0x2
	v_and_b32_e32 v9, 0xffff, v4
	s_wait_loadcnt 0x1
	v_and_b32_e32 v11, 0xffff, v5
	s_wait_alu 0xf1ff
	v_cndmask_b32_e64 v8, 0xffff, v44, s6
	v_cmp_lt_i16_e64 s6, -1, v4
	v_lshlrev_b32_e32 v4, 16, v4
	v_cmp_o_f32_e64 s9, v2, v2
	s_wait_loadcnt 0x0
	v_and_b32_e32 v31, 0xffff, v6
	v_xor_b32_e32 v7, v8, v7
	s_wait_alu 0xf1ff
	v_cndmask_b32_e64 v10, 0xffff, v44, s6
	v_cmp_lt_i16_e64 s6, -1, v5
	v_lshlrev_b32_e32 v5, 16, v5
	v_cndmask_b32_e64 v2, 0xffff, v7, s9
	s_delay_alu instid0(VALU_DEP_4)
	v_xor_b32_e32 v8, v10, v9
	s_wait_alu 0xf1ff
	v_cndmask_b32_e64 v30, 0xffff, v44, s6
	v_cmp_lt_i16_e64 s6, -1, v6
	v_lshlrev_b32_e32 v6, 16, v6
	v_cmp_o_f32_e64 s7, v5, v5
	v_and_b32_e32 v7, v2, v45
	v_bfe_u32 v2, v2, s92, 2
	s_wait_alu 0xf1ff
	v_cndmask_b32_e64 v47, 0xffff, v44, s6
	v_cmp_o_f32_e64 s6, v4, v4
	v_xor_b32_e32 v4, v30, v11
	v_cmp_o_f32_e64 s8, v6, v6
	v_cmp_eq_u32_e64 s10, 0, v2
	v_xor_b32_e32 v5, v47, v31
	s_wait_alu 0xf1ff
	v_cndmask_b32_e64 v6, 0xffff, v8, s6
	v_cndmask_b32_e64 v4, 0xffff, v4, s7
	v_cmp_eq_u32_e64 s6, v7, v20
	v_cmp_eq_u32_e64 s14, 1, v2
	v_cndmask_b32_e64 v5, 0xffff, v5, s8
	v_and_b32_e32 v8, v6, v45
	v_bfe_u32 v6, v6, s92, 2
	v_and_b32_e32 v9, v4, v45
	v_bfe_u32 v4, v4, s92, 2
	;; [unrolled: 2-line block ×3, first 2 shown]
	v_cmp_eq_u32_e64 s7, v8, v20
	v_cmp_eq_u32_e64 s11, 0, v6
	;; [unrolled: 1-line block ×4, first 2 shown]
	s_and_b32 s10, s6, s10
	v_cmp_eq_u32_e64 s9, v10, v20
	v_cmp_eq_u32_e64 s13, 0, v5
	;; [unrolled: 1-line block ×4, first 2 shown]
	s_wait_alu 0xfffe
	v_cndmask_b32_e64 v2, 0, 1, s10
	s_and_b32 s10, s7, s11
	v_cmp_eq_u32_e64 s16, 1, v4
	v_cmp_eq_u32_e64 s20, 2, v4
	;; [unrolled: 1-line block ×3, first 2 shown]
	s_wait_alu 0xfffe
	v_cndmask_b32_e64 v4, 0, 1, s10
	s_and_b32 s10, s8, s12
	v_cmp_eq_u32_e64 s15, 1, v6
	v_cmp_eq_u32_e64 s17, 1, v5
	;; [unrolled: 1-line block ×4, first 2 shown]
	s_wait_alu 0xfffe
	v_cndmask_b32_e64 v5, 0, 1, s10
	s_and_b32 s10, s9, s13
	v_cmp_eq_u32_e64 s19, 2, v6
	v_cmp_eq_u32_e64 s23, 3, v6
	s_wait_alu 0xfffe
	v_cndmask_b32_e64 v6, 0, 1, s10
	s_and_b32 s10, s6, s14
	s_wait_alu 0xfffe
	v_cndmask_b32_e64 v7, 0, 1, s10
	s_and_b32 s10, s7, s15
	;; [unrolled: 3-line block ×4, first 2 shown]
	v_cmp_ne_u32_e64 s11, 0, v8
	s_wait_alu 0xfffe
	v_cndmask_b32_e64 v10, 0, 1, s10
	s_and_b32 s10, s6, s18
	s_and_b32 s6, s6, s22
	s_wait_alu 0xfffe
	v_cndmask_b32_e64 v11, 0, 1, s10
	v_cndmask_b32_e64 v48, 0, 1, s6
	s_and_b32 s6, s7, s23
	s_and_b32 s10, s7, s19
	s_wait_alu 0xfffe
	v_cndmask_b32_e64 v49, 0, 1, s6
	s_and_b32 s6, s8, s24
	v_cndmask_b32_e64 v30, 0, 1, s10
	s_and_b32 s10, s8, s20
	s_wait_alu 0xfffe
	v_cndmask_b32_e64 v50, 0, 1, s6
	s_and_b32 s6, s9, s25
	v_cndmask_b32_e64 v31, 0, 1, s10
	s_and_b32 s10, s9, s21
	s_wait_alu 0xfffe
	v_cndmask_b32_e64 v51, 0, 1, s6
	v_cmp_ne_u32_e64 s6, 0, v2
	v_cmp_ne_u32_e64 s7, 0, v4
	v_cndmask_b32_e64 v47, 0, 1, s10
	v_cmp_ne_u32_e64 s8, 0, v5
	v_cmp_ne_u32_e64 s10, 0, v7
	;; [unrolled: 1-line block ×6, first 2 shown]
	s_bcnt1_i32_b32 s6, s6
	s_bcnt1_i32_b32 s7, s7
	v_cmp_ne_u32_e64 s13, 0, v10
	v_cmp_ne_u32_e64 s16, 0, v31
	;; [unrolled: 1-line block ×4, first 2 shown]
	s_bcnt1_i32_b32 s8, s8
	s_bcnt1_i32_b32 s10, s10
	;; [unrolled: 1-line block ×3, first 2 shown]
	s_wait_alu 0xfffe
	s_add_co_i32 s6, s7, s6
	v_cmp_ne_u32_e64 s17, 0, v47
	v_cmp_ne_u32_e64 s20, 0, v50
	s_bcnt1_i32_b32 s9, s9
	s_bcnt1_i32_b32 s12, s12
	;; [unrolled: 1-line block ×4, first 2 shown]
	s_add_co_i32 s7, s11, s10
	s_wait_alu 0xfffe
	s_add_co_i32 s6, s6, s8
	v_cmp_ne_u32_e64 s21, 0, v51
	s_bcnt1_i32_b32 s13, s13
	s_bcnt1_i32_b32 s16, s16
	s_bcnt1_i32_b32 s18, s18
	s_bcnt1_i32_b32 s19, s19
	s_add_co_i32 s10, s15, s14
	s_add_co_i32 s7, s7, s12
	s_wait_alu 0xfffe
	s_add_co_i32 s50, s6, s9
	s_bcnt1_i32_b32 s17, s17
	s_bcnt1_i32_b32 s20, s20
	s_add_co_i32 s11, s19, s18
	s_add_co_i32 s8, s10, s16
	s_wait_alu 0xfffe
	s_add_nc_u64 s[80:81], s[80:81], s[50:51]
	s_add_co_i32 s50, s7, s13
	s_bcnt1_i32_b32 s21, s21
	s_add_co_i32 s10, s11, s20
	s_wait_alu 0xfffe
	s_add_nc_u64 s[78:79], s[78:79], s[50:51]
	s_add_co_i32 s50, s8, s17
	v_mov_b32_e32 v4, s80
	s_wait_alu 0xfffe
	s_add_nc_u64 s[76:77], s[76:77], s[50:51]
	s_add_co_i32 s50, s10, s21
	v_mov_b32_e32 v6, s78
	s_wait_alu 0xfffe
	s_add_nc_u64 s[72:73], s[72:73], s[50:51]
	v_mov_b32_e32 v8, s76
	s_wait_alu 0xfffe
	v_dual_mov_b32 v10, s72 :: v_dual_mov_b32 v5, s81
	v_mov_b32_e32 v7, s79
	v_mov_b32_e32 v9, s77
	;; [unrolled: 1-line block ×3, first 2 shown]
	s_or_b32 s65, vcc_lo, s65
	s_wait_alu 0xfffe
	s_and_not1_b32 exec_lo, exec_lo, s65
	s_cbranch_execnz .LBB68_54
; %bb.55:                               ;   in Loop: Header=BB68_7 Depth=1
	s_or_b32 exec_lo, exec_lo, s65
.LBB68_56:                              ;   in Loop: Header=BB68_7 Depth=1
	s_wait_alu 0xfffe
	s_or_b32 exec_lo, exec_lo, s61
	v_add_co_u32 v28, s6, s68, v0
	s_wait_alu 0xf1ff
	v_add_co_ci_u32_e64 v29, null, s69, 0, s6
	s_mov_b32 s12, exec_lo
	v_cmpx_gt_i64_e64 s[36:37], v[28:29]
	s_cbranch_execz .LBB68_62
; %bb.57:                               ;   in Loop: Header=BB68_7 Depth=1
	v_mul_lo_u32 v2, v29, s42
	v_mul_lo_u32 v47, v28, s43
	v_mad_co_u64_u32 v[30:31], null, v28, s42, 0
	s_mul_u64 s[10:11], s[56:57], s[62:63]
	s_mov_b32 s13, 0
	v_add3_u32 v31, v31, v47, v2
	s_delay_alu instid0(VALU_DEP_1) | instskip(NEXT) | instid1(VALU_DEP_1)
	v_lshlrev_b64_e32 v[30:31], 1, v[30:31]
	v_add_co_u32 v30, vcc_lo, s48, v30
	s_wait_alu 0xfffd
	s_delay_alu instid0(VALU_DEP_2)
	v_add_co_ci_u32_e64 v31, null, s49, v31, vcc_lo
	v_add_co_u32 v2, vcc_lo, v40, s62
	global_load_u16 v47, v[30:31], off
	s_wait_alu 0xfffd
	v_add_co_ci_u32_e64 v30, null, 0, v41, vcc_lo
	v_sub_co_u32 v2, vcc_lo, v2, s66
	s_wait_alu 0xfffd
	s_delay_alu instid0(VALU_DEP_2) | instskip(NEXT) | instid1(VALU_DEP_2)
	v_subrev_co_ci_u32_e64 v30, null, s67, v30, vcc_lo
	v_mul_lo_u32 v49, s57, v2
	s_delay_alu instid0(VALU_DEP_2) | instskip(SKIP_1) | instid1(VALU_DEP_1)
	v_mul_lo_u32 v48, s56, v30
	v_mad_co_u64_u32 v[30:31], null, s56, v2, s[48:49]
	v_add3_u32 v31, v49, v31, v48
	s_branch .LBB68_59
.LBB68_58:                              ;   in Loop: Header=BB68_59 Depth=2
	s_wait_alu 0xfffe
	s_or_b32 exec_lo, exec_lo, s7
	s_wait_loadcnt 0x0
	v_cmp_lt_i16_e64 s6, -1, v47
	v_and_b32_e32 v48, 0xffff, v47
	v_lshlrev_b32_e32 v47, 16, v47
	s_and_b32 s8, exec_lo, vcc_lo
	s_wait_alu 0xfffe
	s_or_b32 s13, s8, s13
	v_cndmask_b32_e64 v49, 0xffff, v44, s6
	v_cmp_o_f32_e64 s6, v47, v47
	s_delay_alu instid0(VALU_DEP_2) | instskip(SKIP_1) | instid1(VALU_DEP_1)
	v_xor_b32_e32 v48, v49, v48
	s_wait_alu 0xf1ff
	v_cndmask_b32_e64 v47, 0xffff, v48, s6
	s_delay_alu instid0(VALU_DEP_1) | instskip(SKIP_1) | instid1(VALU_DEP_2)
	v_and_b32_e32 v48, v47, v45
	v_bfe_u32 v47, v47, s92, 2
	v_cmp_eq_u32_e64 s6, v48, v20
	s_delay_alu instid0(VALU_DEP_2)
	v_cmp_eq_u32_e64 s7, 0, v47
	v_cmp_eq_u32_e32 vcc_lo, 1, v47
	v_cmp_eq_u32_e64 s8, 2, v47
	s_and_b32 s7, s6, s7
	s_wait_alu 0xfffe
	v_cndmask_b32_e64 v48, 0, 1, s7
	s_and_b32 s7, s6, vcc_lo
	v_cmp_eq_u32_e32 vcc_lo, 3, v47
	s_wait_alu 0xfffe
	v_cndmask_b32_e64 v49, 0, 1, s7
	s_and_b32 s7, s6, s8
	s_wait_alu 0xfffe
	v_cndmask_b32_e64 v50, 0, 1, s7
	v_cmp_ne_u32_e64 s7, 0, v48
	v_cmp_ne_u32_e64 s8, 0, v49
	s_and_b32 s6, s6, vcc_lo
	s_wait_alu 0xfffe
	v_cndmask_b32_e64 v47, 0, 1, s6
	s_bcnt1_i32_b32 s6, s7
	v_cmp_ne_u32_e64 s9, 0, v50
	s_bcnt1_i32_b32 s7, s8
	s_wait_alu 0xfffe
	v_add_co_u32 v4, vcc_lo, v4, s6
	s_wait_alu 0xfffd
	v_add_co_ci_u32_e64 v5, null, 0, v5, vcc_lo
	v_add_co_u32 v6, vcc_lo, v6, s7
	s_wait_alu 0xfffd
	v_add_co_ci_u32_e64 v7, null, 0, v7, vcc_lo
	v_cmp_ne_u32_e32 vcc_lo, 0, v47
	s_bcnt1_i32_b32 s8, s9
	v_mov_b32_e32 v47, v2
	s_wait_alu 0xfffe
	v_add_co_u32 v8, s6, v8, s8
	s_wait_alu 0xf1ff
	v_add_co_ci_u32_e64 v9, null, 0, v9, s6
	s_bcnt1_i32_b32 s6, vcc_lo
	s_wait_alu 0xfffe
	v_add_co_u32 v10, vcc_lo, v10, s6
	s_wait_alu 0xfffd
	v_add_co_ci_u32_e64 v11, null, 0, v11, vcc_lo
	v_add_co_u32 v30, vcc_lo, v30, s10
	s_wait_alu 0xfffd
	v_add_co_ci_u32_e64 v31, null, s11, v31, vcc_lo
	s_and_not1_b32 exec_lo, exec_lo, s13
	s_cbranch_execz .LBB68_61
.LBB68_59:                              ;   Parent Loop BB68_7 Depth=1
                                        ; =>  This Inner Loop Header: Depth=2
	v_add_co_u32 v28, vcc_lo, v28, s62
	s_wait_alu 0xfffd
	v_add_co_ci_u32_e64 v29, null, 0, v29, vcc_lo
	v_mov_b32_e32 v2, 0
	s_mov_b32 s7, exec_lo
	s_delay_alu instid0(VALU_DEP_2)
	v_cmp_le_i64_e32 vcc_lo, s[36:37], v[28:29]
	v_cmpx_gt_i64_e64 s[36:37], v[28:29]
	s_cbranch_execz .LBB68_58
; %bb.60:                               ;   in Loop: Header=BB68_59 Depth=2
	global_load_u16 v2, v[30:31], off
	s_branch .LBB68_58
.LBB68_61:                              ;   in Loop: Header=BB68_7 Depth=1
	s_or_b32 exec_lo, exec_lo, s13
.LBB68_62:                              ;   in Loop: Header=BB68_7 Depth=1
	s_wait_alu 0xfffe
	s_or_b32 exec_lo, exec_lo, s12
	s_branch .LBB68_41
.LBB68_63:                              ;   in Loop: Header=BB68_7 Depth=1
	global_load_u16 v2, v3, s[38:39]
	v_mov_b32_e32 v6, 0
	v_mov_b32_e32 v8, 0
	v_dual_mov_b32 v10, 0 :: v_dual_mov_b32 v9, 0
	v_mov_b32_e32 v11, 0
	s_mov_b32 s66, exec_lo
	v_mov_b32_e32 v7, 0
	s_wait_loadcnt 0x0
	v_readfirstlane_b32 s6, v2
	v_and_b32_e32 v2, 0xffff, v2
	s_and_b32 s61, 0xffff, s6
	s_wait_alu 0xfffe
	s_lshl_b32 s65, s61, 2
	s_wait_alu 0xfffe
	s_cvt_f32_u32 s6, s65
	s_sub_co_i32 s7, 0, s65
	s_wait_alu 0xfffe
	s_delay_alu instid0(SALU_CYCLE_1) | instskip(NEXT) | instid1(TRANS32_DEP_1)
	v_rcp_iflag_f32_e32 v4, s6
	v_readfirstlane_b32 s6, v4
	s_mul_f32 s6, s6, 0x4f7ffffe
	s_wait_alu 0xfffe
	s_delay_alu instid0(SALU_CYCLE_2) | instskip(SKIP_1) | instid1(SALU_CYCLE_2)
	s_cvt_u32_f32 s6, s6
	s_wait_alu 0xfffe
	s_mul_i32 s7, s7, s6
	s_wait_alu 0xfffe
	s_mul_hi_u32 s7, s6, s7
	s_wait_alu 0xfffe
	s_add_co_i32 s6, s6, s7
	s_wait_alu 0xfffe
	s_mul_hi_u32 s6, s60, s6
	s_wait_alu 0xfffe
	s_mul_i32 s7, s6, s65
	s_add_co_i32 s8, s6, 1
	s_wait_alu 0xfffe
	s_sub_co_i32 s7, s60, s7
	s_wait_alu 0xfffe
	s_sub_co_i32 s9, s7, s65
	s_cmp_ge_u32 s7, s65
	s_cselect_b32 s6, s8, s6
	s_wait_alu 0xfffe
	s_cselect_b32 s7, s9, s7
	s_add_co_i32 s8, s6, 1
	s_wait_alu 0xfffe
	s_cmp_ge_u32 s7, s65
	s_cselect_b32 s64, s8, s6
	s_wait_alu 0xfffe
	v_mul_hi_u32 v5, s64, v2
	v_mul_lo_u32 v4, s64, v2
	s_delay_alu instid0(VALU_DEP_1) | instskip(SKIP_2) | instid1(VALU_DEP_3)
	v_lshlrev_b64_e32 v[28:29], 2, v[4:5]
	v_mov_b32_e32 v4, 0
	v_mov_b32_e32 v5, 0
	v_cmpx_gt_u64_e64 v[28:29], v[14:15]
	s_cbranch_execz .LBB68_67
; %bb.64:                               ;   in Loop: Header=BB68_7 Depth=1
	v_mov_b32_e32 v31, v15
	v_dual_mov_b32 v47, v37 :: v_dual_mov_b32 v30, v14
	s_lshl_b32 s67, s61, 3
	s_mov_b64 s[20:21], 0
	s_mov_b32 s68, 0
	s_mov_b64 s[22:23], 0
	s_mov_b64 s[24:25], 0
	;; [unrolled: 1-line block ×3, first 2 shown]
.LBB68_65:                              ;   Parent Loop BB68_7 Depth=1
                                        ; =>  This Inner Loop Header: Depth=2
	ds_load_b64 v[4:5], v47
	v_add_co_u32 v30, vcc_lo, v30, s65
	s_wait_alu 0xfffd
	v_add_co_ci_u32_e64 v31, null, 0, v31, vcc_lo
	s_delay_alu instid0(VALU_DEP_1)
	v_cmp_ge_u64_e32 vcc_lo, v[30:31], v[28:29]
	s_wait_dscnt 0x0
	v_cmp_lt_i16_e64 s6, -1, v4
	v_lshrrev_b32_e32 v7, 16, v5
	v_lshrrev_b32_e32 v6, 16, v4
	v_and_b32_e32 v8, 0xffff, v4
	v_lshlrev_b32_e32 v10, 16, v4
	s_wait_alu 0xf1ff
	v_cndmask_b32_e64 v9, 0xffff, v44, s6
	v_cmp_lt_i16_e64 s6, -1, v5
	v_and_b32_e32 v11, 0xffff, v5
	v_cmp_lt_i16_e64 s7, -1, v7
	v_lshlrev_b32_e32 v49, 16, v5
	v_xor_b32_e32 v8, v9, v8
	s_wait_alu 0xf1ff
	v_cndmask_b32_e64 v48, 0xffff, v44, s6
	v_cmp_lt_i16_e64 s6, -1, v6
	v_and_b32_e32 v4, 0xffff0000, v4
	v_and_b32_e32 v5, 0xffff0000, v5
	s_delay_alu instid0(VALU_DEP_4)
	v_xor_b32_e32 v11, v48, v11
	v_cndmask_b32_e64 v48, 0xffff, v44, s7
	v_cmp_o_f32_e64 s7, v10, v10
	s_wait_alu 0xf1ff
	v_cndmask_b32_e64 v9, 0xffff, v44, s6
	v_cmp_o_f32_e64 s6, v49, v49
	v_xor_b32_e32 v7, v48, v7
	v_cndmask_b32_e64 v8, 0xffff, v8, s7
	s_delay_alu instid0(VALU_DEP_4)
	v_xor_b32_e32 v6, v9, v6
	s_wait_alu 0xf1ff
	v_cndmask_b32_e64 v9, 0xffff, v11, s6
	v_cmp_o_f32_e64 s6, v5, v5
	v_cmp_o_f32_e64 s7, v4, v4
	v_and_b32_e32 v5, v8, v45
	v_bfe_u32 v8, v8, s92, 2
	s_wait_alu 0xf1ff
	s_delay_alu instid0(VALU_DEP_3)
	v_cndmask_b32_e64 v4, 0xffff, v6, s7
	v_cndmask_b32_e64 v6, 0xffff, v7, s6
	v_and_b32_e32 v7, v9, v45
	v_bfe_u32 v9, v9, s92, 2
	v_cmp_eq_u32_e64 s6, v5, v20
	v_cmp_eq_u32_e64 s8, 0, v8
	v_and_b32_e32 v5, v4, v45
	v_cmp_eq_u32_e64 s7, v7, v20
	v_bfe_u32 v4, v4, s92, 2
	v_cmp_eq_u32_e64 s9, 0, v9
	v_cmp_eq_u32_e64 s10, 1, v8
	;; [unrolled: 1-line block ×3, first 2 shown]
	v_and_b32_e32 v7, v6, v45
	v_bfe_u32 v6, v6, s92, 2
	v_cmp_eq_u32_e64 s11, 1, v9
	v_cmp_eq_u32_e64 s13, 2, v9
	;; [unrolled: 1-line block ×3, first 2 shown]
	s_and_b32 s8, s6, s8
	v_cmp_eq_u32_e64 s15, 3, v9
	v_cmp_eq_u32_e64 s16, v5, v20
	;; [unrolled: 1-line block ×3, first 2 shown]
	s_wait_alu 0xfffe
	v_cndmask_b32_e64 v5, 0, 1, s8
	s_and_b32 s8, s7, s9
	s_and_b32 s10, s6, s10
	;; [unrolled: 1-line block ×3, first 2 shown]
	v_cmp_eq_u32_e64 s17, v7, v20
	v_cmp_eq_u32_e64 s19, 0, v6
	s_wait_alu 0xfffe
	v_cndmask_b32_e64 v7, 0, 1, s8
	v_cmp_eq_u32_e64 s8, 1, v4
	v_cndmask_b32_e64 v8, 0, 1, s10
	s_and_b32 s10, s7, s11
	v_cndmask_b32_e64 v10, 0, 1, s12
	s_and_b32 s12, s7, s13
	s_and_b32 s6, s6, s14
	v_cmp_eq_u32_e64 s9, 1, v6
	s_wait_alu 0xfffe
	v_cndmask_b32_e64 v9, 0, 1, s10
	v_cmp_eq_u32_e64 s10, 2, v4
	v_cmp_eq_u32_e64 s11, 2, v6
	v_cndmask_b32_e64 v11, 0, 1, s12
	v_cmp_eq_u32_e64 s12, 3, v4
	v_cndmask_b32_e64 v4, 0, 1, s6
	s_and_b32 s6, s7, s15
	s_and_b32 s7, s16, s18
	v_cmp_eq_u32_e64 s13, 3, v6
	s_wait_alu 0xfffe
	v_cndmask_b32_e64 v6, 0, 1, s6
	v_cmp_ne_u32_e64 s6, 0, v5
	v_cndmask_b32_e64 v5, 0, 1, s7
	s_and_b32 s14, s17, s19
	s_and_b32 s8, s16, s8
	v_cmp_ne_u32_e64 s7, 0, v7
	s_wait_alu 0xfffe
	v_cndmask_b32_e64 v7, 0, 1, s14
	v_cmp_ne_u32_e64 s14, 0, v8
	v_cndmask_b32_e64 v8, 0, 1, s8
	s_and_b32 s9, s17, s9
	s_and_b32 s10, s16, s10
	;; [unrolled: 1-line block ×4, first 2 shown]
	v_cmp_ne_u32_e64 s8, 0, v9
	s_wait_alu 0xfffe
	v_cndmask_b32_e64 v9, 0, 1, s9
	v_cmp_ne_u32_e64 s9, 0, v10
	v_cndmask_b32_e64 v10, 0, 1, s10
	v_cmp_ne_u32_e64 s10, 0, v11
	;; [unrolled: 2-line block ×3, first 2 shown]
	v_cndmask_b32_e64 v4, 0, 1, s12
	s_and_b32 s13, s17, s13
	s_bcnt1_i32_b32 s15, s6
	v_cmp_ne_u32_e64 s6, 0, v5
	v_cmp_ne_u32_e64 s12, 0, v6
	s_wait_alu 0xfffe
	v_cndmask_b32_e64 v6, 0, 1, s13
	v_cmp_ne_u32_e64 s13, 0, v8
	s_bcnt1_i32_b32 s16, s7
	v_cmp_ne_u32_e64 s7, 0, v7
	s_bcnt1_i32_b32 s18, s9
	v_cmp_ne_u32_e64 s9, 0, v10
	s_bcnt1_i32_b32 s50, s11
	v_cmp_ne_u32_e64 s11, 0, v4
	s_bcnt1_i32_b32 s6, s6
	s_bcnt1_i32_b32 s17, s8
	v_cmp_ne_u32_e64 s8, 0, v9
	s_bcnt1_i32_b32 s14, s14
	s_bcnt1_i32_b32 s13, s13
	s_wait_alu 0xfffe
	s_add_co_i32 s6, s6, s15
	s_bcnt1_i32_b32 s19, s10
	v_cmp_ne_u32_e64 s10, 0, v11
	s_bcnt1_i32_b32 s7, s7
	s_bcnt1_i32_b32 s9, s9
	;; [unrolled: 1-line block ×3, first 2 shown]
	s_add_co_i32 s13, s13, s14
	s_wait_alu 0xfffe
	s_add_co_i32 s6, s6, s16
	s_bcnt1_i32_b32 s69, s12
	v_cmp_ne_u32_e64 s12, 0, v6
	s_bcnt1_i32_b32 s8, s8
	s_add_co_i32 s9, s9, s18
	s_add_co_i32 s11, s11, s50
	;; [unrolled: 1-line block ×3, first 2 shown]
	s_wait_alu 0xfffe
	s_add_co_i32 s50, s6, s7
	s_bcnt1_i32_b32 s10, s10
	s_add_co_i32 s9, s9, s19
	s_wait_alu 0xfffe
	s_add_nc_u64 s[62:63], s[62:63], s[50:51]
	s_add_co_i32 s50, s13, s8
	s_bcnt1_i32_b32 s12, s12
	s_add_co_i32 s11, s11, s69
	s_wait_alu 0xfffe
	s_add_nc_u64 s[24:25], s[24:25], s[50:51]
	s_add_co_i32 s50, s9, s10
	v_dual_mov_b32 v4, s62 :: v_dual_add_nc_u32 v47, s67, v47
	s_wait_alu 0xfffe
	s_add_nc_u64 s[22:23], s[22:23], s[50:51]
	s_add_co_i32 s50, s11, s12
	v_mov_b32_e32 v6, s24
	s_wait_alu 0xfffe
	s_add_nc_u64 s[20:21], s[20:21], s[50:51]
	v_mov_b32_e32 v8, s22
	s_wait_alu 0xfffe
	v_dual_mov_b32 v10, s20 :: v_dual_mov_b32 v5, s63
	v_mov_b32_e32 v7, s25
	v_mov_b32_e32 v9, s23
	;; [unrolled: 1-line block ×3, first 2 shown]
	s_or_b32 s68, vcc_lo, s68
	s_wait_alu 0xfffe
	s_and_not1_b32 exec_lo, exec_lo, s68
	s_cbranch_execnz .LBB68_65
; %bb.66:                               ;   in Loop: Header=BB68_7 Depth=1
	s_or_b32 exec_lo, exec_lo, s68
.LBB68_67:                              ;   in Loop: Header=BB68_7 Depth=1
	s_delay_alu instid0(SALU_CYCLE_1)
	s_or_b32 exec_lo, exec_lo, s66
	v_add_co_u32 v28, vcc_lo, v28, v0
	s_wait_alu 0xfffd
	v_add_co_ci_u32_e64 v29, null, 0, v29, vcc_lo
	s_and_b32 s50, s60, 0x7fffffff
	s_mov_b32 s11, exec_lo
	s_wait_alu 0xfffe
	v_cmpx_gt_u64_e64 s[50:51], v[28:29]
	s_cbranch_execz .LBB68_71
; %bb.68:                               ;   in Loop: Header=BB68_7 Depth=1
	s_mul_i32 s64, s64, s61
	s_lshl_b32 s13, s61, 1
	s_wait_alu 0xfffe
	v_lshl_add_u32 v30, s64, 3, v33
	s_mov_b32 s12, 0
.LBB68_69:                              ;   Parent Loop BB68_7 Depth=1
                                        ; =>  This Inner Loop Header: Depth=2
	ds_load_u16 v31, v30
	v_add_co_u32 v28, vcc_lo, v28, v2
	s_wait_alu 0xfffd
	v_add_co_ci_u32_e64 v29, null, 0, v29, vcc_lo
	v_add_nc_u32_e32 v30, s13, v30
	s_delay_alu instid0(VALU_DEP_2)
	v_cmp_le_u64_e32 vcc_lo, s[50:51], v[28:29]
	s_wait_dscnt 0x0
	v_cmp_lt_i16_e64 s6, -1, v31
	v_and_b32_e32 v47, 0xffff, v31
	v_lshlrev_b32_e32 v31, 16, v31
	s_wait_alu 0xf1ff
	s_delay_alu instid0(VALU_DEP_3) | instskip(NEXT) | instid1(VALU_DEP_2)
	v_cndmask_b32_e64 v48, 0xffff, v44, s6
	v_cmp_o_f32_e64 s6, v31, v31
	s_delay_alu instid0(VALU_DEP_2) | instskip(SKIP_1) | instid1(VALU_DEP_1)
	v_xor_b32_e32 v47, v48, v47
	s_wait_alu 0xf1ff
	v_cndmask_b32_e64 v31, 0xffff, v47, s6
	s_delay_alu instid0(VALU_DEP_1) | instskip(SKIP_1) | instid1(VALU_DEP_2)
	v_and_b32_e32 v47, v31, v45
	v_bfe_u32 v31, v31, s92, 2
	v_cmp_eq_u32_e64 s6, v47, v20
	s_delay_alu instid0(VALU_DEP_2)
	v_cmp_eq_u32_e64 s7, 0, v31
	v_cmp_eq_u32_e64 s8, 1, v31
	;; [unrolled: 1-line block ×4, first 2 shown]
	s_and_b32 s7, s6, s7
	s_wait_alu 0xfffe
	v_cndmask_b32_e64 v31, 0, 1, s7
	s_and_b32 s7, s6, s8
	s_wait_alu 0xfffe
	v_cndmask_b32_e64 v47, 0, 1, s7
	s_and_b32 s7, s6, s9
	s_and_b32 s6, s6, s10
	s_wait_alu 0xfffe
	v_cndmask_b32_e64 v48, 0, 1, s7
	v_cndmask_b32_e64 v49, 0, 1, s6
	v_cmp_ne_u32_e64 s6, 0, v31
	v_cmp_ne_u32_e64 s7, 0, v47
	s_delay_alu instid0(VALU_DEP_4) | instskip(NEXT) | instid1(VALU_DEP_4)
	v_cmp_ne_u32_e64 s8, 0, v48
	v_cmp_ne_u32_e64 s9, 0, v49
	s_bcnt1_i32_b32 s6, s6
	s_bcnt1_i32_b32 s7, s7
	s_wait_alu 0xfffe
	v_add_co_u32 v4, s6, v4, s6
	s_bcnt1_i32_b32 s8, s8
	v_add_co_ci_u32_e64 v5, null, 0, v5, s6
	v_add_co_u32 v6, s6, v6, s7
	s_bcnt1_i32_b32 s9, s9
	v_add_co_ci_u32_e64 v7, null, 0, v7, s6
	s_wait_alu 0xfffe
	v_add_co_u32 v8, s6, v8, s8
	s_wait_alu 0xf1ff
	v_add_co_ci_u32_e64 v9, null, 0, v9, s6
	v_add_co_u32 v10, s6, v10, s9
	s_wait_alu 0xf1ff
	v_add_co_ci_u32_e64 v11, null, 0, v11, s6
	s_or_b32 s12, vcc_lo, s12
	s_wait_alu 0xfffe
	s_and_not1_b32 exec_lo, exec_lo, s12
	s_cbranch_execnz .LBB68_69
; %bb.70:                               ;   in Loop: Header=BB68_7 Depth=1
	s_or_b32 exec_lo, exec_lo, s12
.LBB68_71:                              ;   in Loop: Header=BB68_7 Depth=1
	s_delay_alu instid0(SALU_CYCLE_1)
	s_or_b32 exec_lo, exec_lo, s11
	s_lshl_b32 s6, s94, 7
	s_and_saveexec_b32 s7, s1
	s_cbranch_execnz .LBB68_42
	s_branch .LBB68_43
.LBB68_72:                              ;   in Loop: Header=BB68_7 Depth=1
                                        ; implicit-def: $sgpr66_sgpr67
	s_branch .LBB68_51
.LBB68_73:                              ;   in Loop: Header=BB68_7 Depth=1
	s_or_b32 exec_lo, exec_lo, s9
	s_wait_dscnt 0x0
	s_barrier_signal -1
	s_barrier_wait -1
	global_inv scope:SCOPE_SE
	s_and_saveexec_b32 s6, s2
	s_cbranch_execz .LBB68_75
; %bb.74:                               ;   in Loop: Header=BB68_7 Depth=1
	ds_load_b32 v4, v3 offset:5136
	s_wait_dscnt 0x0
	v_ashrrev_i32_e32 v5, 31, v4
	ds_store_b64 v3, v[4:5] offset:5120
.LBB68_75:                              ;   in Loop: Header=BB68_7 Depth=1
	s_wait_alu 0xfffe
	s_or_b32 exec_lo, exec_lo, s6
	s_wait_loadcnt_dscnt 0x0
	s_barrier_signal -1
	s_mov_b32 s6, -1
	s_barrier_wait -1
	s_and_b32 vcc_lo, exec_lo, s8
	s_wait_alu 0xfffe
	s_cbranch_vccnz .LBB68_22
	s_branch .LBB68_37
.LBB68_76:                              ;   in Loop: Header=BB68_7 Depth=1
	s_mov_b32 s8, 0
	s_and_not1_b32 vcc_lo, exec_lo, s89
	s_wait_alu 0xfffe
	s_cbranch_vccnz .LBB68_79
.LBB68_77:                              ;   in Loop: Header=BB68_7 Depth=1
	s_lshl_b32 s9, s94, 10
	s_lshl_b32 s8, s8, 5
	s_wait_alu 0xfffe
	v_add3_u32 v2, s9, s8, v42
	s_mov_b32 s8, s85
.LBB68_78:                              ;   Parent Loop BB68_7 Depth=1
                                        ; =>  This Inner Loop Header: Depth=2
	ds_load_b64 v[6:7], v2
	v_add_nc_u32_e32 v2, 32, v2
	s_wait_alu 0xfffe
	s_add_co_i32 s8, s8, -1
	s_wait_alu 0xfffe
	s_cmp_lg_u32 s8, 0
	s_wait_dscnt 0x0
	v_add_co_u32 v4, vcc_lo, v6, v4
	s_wait_alu 0xfffd
	v_add_co_ci_u32_e64 v5, null, v7, v5, vcc_lo
	s_cbranch_scc1 .LBB68_78
.LBB68_79:                              ;   in Loop: Header=BB68_7 Depth=1
	v_add_lshl_u32 v2, s6, v32, 3
	ds_store_b64 v2, v[4:5] offset:3072
.LBB68_80:                              ;   in Loop: Header=BB68_7 Depth=1
	s_wait_alu 0xfffe
	s_or_b32 exec_lo, exec_lo, s7
	s_lshl_b32 s6, s6, 3
	s_wait_loadcnt_dscnt 0x0
	s_wait_alu 0xfffe
	v_mov_b32_e32 v2, s6
	s_barrier_signal -1
	s_barrier_wait -1
	global_inv scope:SCOPE_SE
	v_cmp_eq_u64_e32 vcc_lo, 1, v[26:27]
	ds_load_b128 v[4:7], v2 offset:3072
	ds_load_b128 v[8:11], v2 offset:3088
	s_lshl_b32 s16, 3, s92
	s_mov_b32 s18, -1
	s_wait_alu 0xfffe
	s_not_b32 s20, s16
                                        ; implicit-def: $sgpr22
                                        ; implicit-def: $sgpr21
	s_wait_dscnt 0x1
	v_cmp_eq_u64_e64 s6, 1, v[4:5]
	s_wait_dscnt 0x0
	v_readfirstlane_b32 s10, v8
	v_readfirstlane_b32 s11, v9
	;; [unrolled: 1-line block ×4, first 2 shown]
	s_and_b32 s19, s6, vcc_lo
	s_mov_b32 s6, -1
	s_and_saveexec_b32 s17, s19
	s_cbranch_execz .LBB68_112
; %bb.81:                               ;   in Loop: Header=BB68_7 Depth=1
	ds_load_b64 v[8:9], v3 offset:5120
	s_wait_loadcnt_dscnt 0x0
	s_barrier_signal -1
	s_barrier_wait -1
	global_inv scope:SCOPE_SE
	v_readfirstlane_b32 s12, v8
	v_readfirstlane_b32 s13, v9
	s_and_saveexec_b32 s6, s3
; %bb.82:                               ;   in Loop: Header=BB68_7 Depth=1
	ds_store_b16 v34, v3
; %bb.83:                               ;   in Loop: Header=BB68_7 Depth=1
	s_wait_alu 0xfffe
	s_or_b32 exec_lo, exec_lo, s6
	v_cmp_lt_i64_e64 s6, s[12:13], 1
	v_and_b32_e32 v20, s20, v20
	v_or_b32_e32 v45, s16, v45
	s_mov_b32 s21, -1
	s_mov_b32 s22, 0
	s_mov_b32 s23, 0
	s_and_b32 vcc_lo, exec_lo, s6
	s_mov_b32 s7, -1
	s_wait_loadcnt_dscnt 0x0
	s_barrier_signal -1
	s_barrier_wait -1
	global_inv scope:SCOPE_SE
                                        ; implicit-def: $vgpr46
	s_wait_alu 0xfffe
	s_cbranch_vccz .LBB68_97
; %bb.84:                               ;   in Loop: Header=BB68_7 Depth=1
	s_mov_b32 s6, s51
	s_mov_b32 s7, s55
	s_wait_alu 0xfffe
	s_cmp_lg_u64 s[6:7], 0
	s_cbranch_scc0 .LBB68_138
; %bb.85:                               ;   in Loop: Header=BB68_7 Depth=1
	s_add_nc_u64 s[6:7], s[44:45], 0
	s_wait_alu 0xfffe
	s_xor_b64 s[6:7], s[6:7], 0
	s_wait_alu 0xfffe
	s_cvt_f32_u32 s14, s6
	s_cvt_f32_u32 s15, s7
	s_sub_nc_u64 s[24:25], 0, s[6:7]
	s_wait_alu 0xfffe
	s_delay_alu instid0(SALU_CYCLE_1) | instskip(SKIP_1) | instid1(SALU_CYCLE_2)
	s_fmamk_f32 s14, s15, 0x4f800000, s14
	s_wait_alu 0xfffe
	v_s_rcp_f32 s14, s14
	s_delay_alu instid0(TRANS32_DEP_1) | instskip(SKIP_1) | instid1(SALU_CYCLE_2)
	s_mul_f32 s14, s14, 0x5f7ffffc
	s_wait_alu 0xfffe
	s_mul_f32 s15, s14, 0x2f800000
	s_wait_alu 0xfffe
	s_delay_alu instid0(SALU_CYCLE_2) | instskip(SKIP_1) | instid1(SALU_CYCLE_2)
	s_trunc_f32 s15, s15
	s_wait_alu 0xfffe
	s_fmamk_f32 s14, s15, 0xcf800000, s14
	s_cvt_u32_f32 s15, s15
	s_wait_alu 0xfffe
	s_delay_alu instid0(SALU_CYCLE_1) | instskip(SKIP_1) | instid1(SALU_CYCLE_2)
	s_cvt_u32_f32 s14, s14
	s_wait_alu 0xfffe
	s_mul_u64 s[60:61], s[24:25], s[14:15]
	s_wait_alu 0xfffe
	s_mul_hi_u32 s63, s14, s61
	s_mul_i32 s62, s14, s61
	s_mul_hi_u32 s50, s14, s60
	s_mul_i32 s64, s15, s60
	s_wait_alu 0xfffe
	s_add_nc_u64 s[62:63], s[50:51], s[62:63]
	s_mul_hi_u32 s23, s15, s60
	s_mul_hi_u32 s65, s15, s61
	s_wait_alu 0xfffe
	s_add_co_u32 s50, s62, s64
	s_add_co_ci_u32 s50, s63, s23
	s_mul_i32 s60, s15, s61
	s_add_co_ci_u32 s61, s65, 0
	s_wait_alu 0xfffe
	s_add_nc_u64 s[60:61], s[50:51], s[60:61]
	s_wait_alu 0xfffe
	s_add_co_u32 s14, s14, s60
	s_cselect_b32 s23, -1, 0
	s_wait_alu 0xfffe
	s_cmp_lg_u32 s23, 0
	s_add_co_ci_u32 s15, s15, s61
	s_wait_alu 0xfffe
	s_mul_u64 s[24:25], s[24:25], s[14:15]
	s_wait_alu 0xfffe
	s_mul_hi_u32 s61, s14, s25
	s_mul_i32 s60, s14, s25
	s_mul_hi_u32 s50, s14, s24
	s_mul_i32 s62, s15, s24
	s_wait_alu 0xfffe
	s_add_nc_u64 s[60:61], s[50:51], s[60:61]
	s_mul_hi_u32 s23, s15, s24
	s_mul_hi_u32 s63, s15, s25
	s_mul_i32 s24, s15, s25
	s_wait_alu 0xfffe
	s_add_co_u32 s25, s60, s62
	s_add_co_ci_u32 s50, s61, s23
	s_add_co_ci_u32 s25, s63, 0
	s_wait_alu 0xfffe
	s_add_nc_u64 s[24:25], s[50:51], s[24:25]
	s_wait_alu 0xfffe
	s_add_co_u32 s23, s14, s24
	s_cselect_b32 s14, -1, 0
	s_wait_alu 0xfffe
	s_cmp_lg_u32 s14, 0
	s_add_co_ci_u32 s62, s15, s25
	s_ashr_i32 s14, s55, 31
	s_wait_alu 0xfffe
	s_mov_b32 s15, s14
	s_wait_alu 0xfffe
	s_add_nc_u64 s[24:25], s[54:55], s[14:15]
	s_wait_alu 0xfffe
	s_xor_b64 s[24:25], s[24:25], s[14:15]
	s_wait_alu 0xfffe
	s_mul_hi_u32 s61, s24, s62
	s_mul_i32 s60, s24, s62
	s_mul_hi_u32 s50, s24, s23
	s_mul_hi_u32 s64, s25, s23
	s_mul_i32 s23, s25, s23
	s_wait_alu 0xfffe
	s_add_nc_u64 s[60:61], s[50:51], s[60:61]
	s_mul_hi_u32 s63, s25, s62
	s_wait_alu 0xfffe
	s_add_co_u32 s23, s60, s23
	s_add_co_ci_u32 s50, s61, s64
	s_mul_i32 s62, s25, s62
	s_add_co_ci_u32 s63, s63, 0
	s_wait_alu 0xfffe
	s_add_nc_u64 s[60:61], s[50:51], s[62:63]
	s_wait_alu 0xfffe
	s_mul_u64 s[60:61], s[6:7], s[60:61]
	s_wait_alu 0xfffe
	s_sub_co_u32 s23, s24, s60
	s_cselect_b32 s24, -1, 0
	s_sub_co_i32 s50, s25, s61
	s_wait_alu 0xfffe
	s_cmp_lg_u32 s24, 0
	s_sub_co_ci_u32 s50, s50, s7
	s_sub_co_u32 s60, s23, s6
	s_cselect_b32 s62, -1, 0
	s_wait_alu 0xfffe
	s_cmp_lg_u32 s62, 0
	s_sub_co_ci_u32 s63, s50, 0
	s_wait_alu 0xfffe
	s_cmp_ge_u32 s63, s7
	s_cselect_b32 s64, -1, 0
	s_cmp_ge_u32 s60, s6
	s_cselect_b32 s65, -1, 0
	s_cmp_eq_u32 s63, s7
	s_wait_alu 0xfffe
	s_cselect_b32 s64, s65, s64
	s_cmp_lg_u32 s62, 0
	s_sub_co_ci_u32 s50, s50, s7
	s_sub_co_u32 s62, s60, s6
	s_cselect_b32 s65, -1, 0
	s_wait_alu 0xfffe
	s_cmp_lg_u32 s65, 0
	s_sub_co_ci_u32 s50, s50, 0
	s_cmp_lg_u32 s64, 0
	s_cselect_b32 s60, s62, s60
	s_wait_alu 0xfffe
	s_cselect_b32 s50, s50, s63
	s_cmp_lg_u32 s24, 0
	s_sub_co_ci_u32 s24, s25, s61
	s_wait_alu 0xfffe
	s_cmp_ge_u32 s24, s7
	s_cselect_b32 s25, -1, 0
	s_cmp_ge_u32 s23, s6
	s_cselect_b32 s6, -1, 0
	s_cmp_eq_u32 s24, s7
	s_wait_alu 0xfffe
	s_cselect_b32 s6, s6, s25
	s_wait_alu 0xfffe
	s_cmp_lg_u32 s6, 0
	s_cselect_b32 s7, s50, s24
	s_cselect_b32 s6, s60, s23
	s_wait_alu 0xfffe
	s_xor_b64 s[6:7], s[6:7], s[14:15]
	s_wait_alu 0xfffe
	s_sub_nc_u64 s[6:7], s[6:7], s[14:15]
	s_cbranch_execnz .LBB68_87
.LBB68_86:                              ;   in Loop: Header=BB68_7 Depth=1
	v_cvt_f32_u32_e32 v2, s44
	s_sub_co_i32 s7, 0, s44
	s_delay_alu instid0(VALU_DEP_1) | instskip(NEXT) | instid1(TRANS32_DEP_1)
	v_rcp_iflag_f32_e32 v2, v2
	v_mul_f32_e32 v2, 0x4f7ffffe, v2
	s_delay_alu instid0(VALU_DEP_1) | instskip(NEXT) | instid1(VALU_DEP_1)
	v_cvt_u32_f32_e32 v2, v2
	v_readfirstlane_b32 s6, v2
	s_wait_alu 0xfffe
	s_mul_i32 s7, s7, s6
	s_wait_alu 0xfffe
	s_mul_hi_u32 s7, s6, s7
	s_wait_alu 0xfffe
	s_add_co_i32 s6, s6, s7
	s_wait_alu 0xfffe
	s_mul_hi_u32 s6, s54, s6
	s_wait_alu 0xfffe
	s_mul_i32 s6, s6, s44
	s_wait_alu 0xfffe
	s_sub_co_i32 s6, s54, s6
	s_wait_alu 0xfffe
	s_sub_co_i32 s7, s6, s44
	s_cmp_ge_u32 s6, s44
	s_wait_alu 0xfffe
	s_cselect_b32 s6, s7, s6
	s_wait_alu 0xfffe
	s_sub_co_i32 s7, s6, s44
	s_cmp_ge_u32 s6, s44
	s_wait_alu 0xfffe
	s_cselect_b32 s50, s7, s6
	s_wait_alu 0xfffe
	s_mov_b64 s[6:7], s[50:51]
.LBB68_87:                              ;   in Loop: Header=BB68_7 Depth=1
	s_wait_alu 0xfffe
	s_sub_nc_u64 s[14:15], s[54:55], s[6:7]
	s_mov_b32 s7, 0
	s_mov_b32 s23, 0
	s_mov_b32 s24, exec_lo
                                        ; implicit-def: $vgpr46
	s_wait_alu 0xfffe
	v_cmpx_gt_i64_e64 s[14:15], v[0:1]
	s_cbranch_execz .LBB68_96
; %bb.88:                               ;   in Loop: Header=BB68_7 Depth=1
	v_dual_mov_b32 v8, v12 :: v_dual_mov_b32 v9, v13
	v_dual_mov_b32 v11, v1 :: v_dual_mov_b32 v10, v0
                                        ; implicit-def: $sgpr25
	s_branch .LBB68_91
.LBB68_89:                              ;   in Loop: Header=BB68_91 Depth=2
	s_wait_alu 0xfffe
	s_or_b32 exec_lo, exec_lo, s6
	s_wait_loadcnt_dscnt 0x0
	s_barrier_signal -1
	s_barrier_wait -1
	global_inv scope:SCOPE_SE
	ds_load_b32 v2, v3 offset:3072
	s_mov_b32 s6, -1
	s_mov_b32 s50, -1
	s_wait_loadcnt_dscnt 0x0
	s_barrier_signal -1
	s_barrier_wait -1
	global_inv scope:SCOPE_SE
	v_and_b32_e32 v28, 0x7fff, v2
	s_delay_alu instid0(VALU_DEP_1)
	v_cmp_ne_u32_e32 vcc_lo, 0, v28
	s_cbranch_vccz .LBB68_94
.LBB68_90:                              ;   in Loop: Header=BB68_91 Depth=2
	s_wait_alu 0xfffe
	s_and_b32 s6, exec_lo, s6
	s_wait_alu 0xfffe
	s_or_b32 s23, s6, s23
	s_and_not1_b32 s6, s25, exec_lo
	s_and_b32 s25, s50, exec_lo
	s_wait_alu 0xfffe
	s_or_b32 s25, s6, s25
	s_and_not1_b32 exec_lo, exec_lo, s23
	s_cbranch_execz .LBB68_95
.LBB68_91:                              ;   Parent Loop BB68_7 Depth=1
                                        ; =>  This Inner Loop Header: Depth=2
	s_mov_b32 s6, exec_lo
	s_delay_alu instid0(VALU_DEP_1)
	v_cmpx_gt_i64_e64 s[36:37], v[10:11]
	s_cbranch_execz .LBB68_89
; %bb.92:                               ;   in Loop: Header=BB68_91 Depth=2
	global_load_u16 v2, v[8:9], off
	s_wait_loadcnt 0x0
	v_cmp_lt_i16_e32 vcc_lo, -1, v2
	v_and_b32_e32 v28, 0xffff, v2
	s_wait_alu 0xfffd
	v_dual_cndmask_b32 v29, 0xffff, v44 :: v_dual_lshlrev_b32 v30, 16, v2
	s_delay_alu instid0(VALU_DEP_1) | instskip(NEXT) | instid1(VALU_DEP_2)
	v_cmp_o_f32_e32 vcc_lo, v30, v30
	v_xor_b32_e32 v28, v29, v28
	s_wait_alu 0xfffd
	s_delay_alu instid0(VALU_DEP_1) | instskip(NEXT) | instid1(VALU_DEP_1)
	v_cndmask_b32_e32 v28, 0xffff, v28, vcc_lo
	v_and_b32_e32 v28, v28, v45
	s_delay_alu instid0(VALU_DEP_1)
	v_cmp_eq_u32_e32 vcc_lo, v28, v20
	s_and_b32 exec_lo, exec_lo, vcc_lo
	s_cbranch_execz .LBB68_89
; %bb.93:                               ;   in Loop: Header=BB68_91 Depth=2
	v_perm_b32 v2, v2, s91, 0x5040100
	ds_store_b32 v3, v2 offset:3072
	s_branch .LBB68_89
.LBB68_94:                              ;   in Loop: Header=BB68_91 Depth=2
	v_add_co_u32 v10, vcc_lo, v10, s44
	s_wait_alu 0xfffd
	v_add_co_ci_u32_e64 v11, null, 0, v11, vcc_lo
	v_add_co_u32 v8, s6, v8, s46
	s_wait_alu 0xf1fe
	v_add_co_ci_u32_e64 v9, null, s47, v9, s6
	s_delay_alu instid0(VALU_DEP_3)
	v_cmp_le_i64_e32 vcc_lo, s[14:15], v[10:11]
	s_mov_b32 s50, 0
	s_or_not1_b32 s6, vcc_lo, exec_lo
	s_branch .LBB68_90
.LBB68_95:                              ;   in Loop: Header=BB68_7 Depth=1
	s_or_b32 exec_lo, exec_lo, s23
	v_lshrrev_b32_e32 v46, 16, v2
	s_wait_alu 0xfffe
	s_and_b32 s23, s25, exec_lo
.LBB68_96:                              ;   in Loop: Header=BB68_7 Depth=1
	s_or_b32 exec_lo, exec_lo, s24
.LBB68_97:                              ;   in Loop: Header=BB68_7 Depth=1
	s_delay_alu instid0(SALU_CYCLE_1)
	s_and_b32 vcc_lo, exec_lo, s7
	s_wait_alu 0xfffe
	s_cbranch_vccz .LBB68_111
; %bb.98:                               ;   in Loop: Header=BB68_7 Depth=1
	s_add_nc_u64 s[6:7], s[12:13], s[52:53]
	s_mov_b32 s14, s51
	s_wait_alu 0xfffe
	s_mov_b32 s15, s7
	s_wait_alu 0xfffe
	s_cmp_lg_u64 s[14:15], 0
	s_cbranch_scc0 .LBB68_139
; %bb.99:                               ;   in Loop: Header=BB68_7 Depth=1
	s_add_nc_u64 s[14:15], s[44:45], 0
	s_wait_alu 0xfffe
	s_xor_b64 s[14:15], s[14:15], 0
	s_wait_alu 0xfffe
	s_cvt_f32_u32 s21, s14
	s_cvt_f32_u32 s22, s15
	s_sub_nc_u64 s[60:61], 0, s[14:15]
	s_wait_alu 0xfffe
	s_delay_alu instid0(SALU_CYCLE_1) | instskip(SKIP_1) | instid1(SALU_CYCLE_2)
	s_fmamk_f32 s21, s22, 0x4f800000, s21
	s_wait_alu 0xfffe
	v_s_rcp_f32 s21, s21
	s_delay_alu instid0(TRANS32_DEP_1) | instskip(SKIP_1) | instid1(SALU_CYCLE_2)
	s_mul_f32 s21, s21, 0x5f7ffffc
	s_wait_alu 0xfffe
	s_mul_f32 s22, s21, 0x2f800000
	s_wait_alu 0xfffe
	s_delay_alu instid0(SALU_CYCLE_2) | instskip(SKIP_1) | instid1(SALU_CYCLE_2)
	s_trunc_f32 s22, s22
	s_wait_alu 0xfffe
	s_fmamk_f32 s21, s22, 0xcf800000, s21
	s_cvt_u32_f32 s25, s22
	s_wait_alu 0xfffe
	s_delay_alu instid0(SALU_CYCLE_1) | instskip(SKIP_1) | instid1(SALU_CYCLE_2)
	s_cvt_u32_f32 s24, s21
	s_wait_alu 0xfffe
	s_mul_u64 s[62:63], s[60:61], s[24:25]
	s_wait_alu 0xfffe
	s_mul_hi_u32 s65, s24, s63
	s_mul_i32 s64, s24, s63
	s_mul_hi_u32 s50, s24, s62
	s_mul_i32 s22, s25, s62
	s_wait_alu 0xfffe
	s_add_nc_u64 s[64:65], s[50:51], s[64:65]
	s_mul_hi_u32 s21, s25, s62
	s_mul_hi_u32 s66, s25, s63
	s_wait_alu 0xfffe
	s_add_co_u32 s22, s64, s22
	s_add_co_ci_u32 s50, s65, s21
	s_mul_i32 s62, s25, s63
	s_add_co_ci_u32 s63, s66, 0
	s_wait_alu 0xfffe
	s_add_nc_u64 s[62:63], s[50:51], s[62:63]
	s_wait_alu 0xfffe
	s_add_co_u32 s24, s24, s62
	s_cselect_b32 s21, -1, 0
	s_wait_alu 0xfffe
	s_cmp_lg_u32 s21, 0
	s_add_co_ci_u32 s25, s25, s63
	s_wait_alu 0xfffe
	s_mul_u64 s[60:61], s[60:61], s[24:25]
	s_wait_alu 0xfffe
	s_mul_hi_u32 s63, s24, s61
	s_mul_i32 s62, s24, s61
	s_mul_hi_u32 s50, s24, s60
	s_mul_i32 s22, s25, s60
	s_wait_alu 0xfffe
	s_add_nc_u64 s[62:63], s[50:51], s[62:63]
	s_mul_hi_u32 s21, s25, s60
	s_mul_hi_u32 s64, s25, s61
	s_wait_alu 0xfffe
	s_add_co_u32 s22, s62, s22
	s_add_co_ci_u32 s50, s63, s21
	s_mul_i32 s60, s25, s61
	s_add_co_ci_u32 s61, s64, 0
	s_wait_alu 0xfffe
	s_add_nc_u64 s[60:61], s[50:51], s[60:61]
	s_wait_alu 0xfffe
	s_add_co_u32 s21, s24, s60
	s_cselect_b32 s22, -1, 0
	s_wait_alu 0xfffe
	s_cmp_lg_u32 s22, 0
	s_add_co_ci_u32 s22, s25, s61
	s_ashr_i32 s24, s7, 31
	s_wait_alu 0xfffe
	s_mov_b32 s25, s24
	s_wait_alu 0xfffe
	s_add_nc_u64 s[60:61], s[6:7], s[24:25]
	s_wait_alu 0xfffe
	s_xor_b64 s[60:61], s[60:61], s[24:25]
	s_wait_alu 0xfffe
	s_mul_hi_u32 s63, s60, s22
	s_mul_i32 s62, s60, s22
	s_mul_hi_u32 s50, s60, s21
	s_mul_hi_u32 s66, s61, s21
	s_mul_i32 s21, s61, s21
	s_wait_alu 0xfffe
	s_add_nc_u64 s[62:63], s[50:51], s[62:63]
	s_mul_hi_u32 s65, s61, s22
	s_wait_alu 0xfffe
	s_add_co_u32 s21, s62, s21
	s_add_co_ci_u32 s50, s63, s66
	s_mul_i32 s64, s61, s22
	s_add_co_ci_u32 s65, s65, 0
	s_wait_alu 0xfffe
	s_add_nc_u64 s[62:63], s[50:51], s[64:65]
	s_wait_alu 0xfffe
	s_mul_u64 s[62:63], s[14:15], s[62:63]
	s_wait_alu 0xfffe
	s_sub_co_u32 s21, s60, s62
	s_cselect_b32 s22, -1, 0
	s_sub_co_i32 s50, s61, s63
	s_wait_alu 0xfffe
	s_cmp_lg_u32 s22, 0
	s_sub_co_ci_u32 s50, s50, s15
	s_sub_co_u32 s60, s21, s14
	s_cselect_b32 s62, -1, 0
	s_wait_alu 0xfffe
	s_cmp_lg_u32 s62, 0
	s_sub_co_ci_u32 s64, s50, 0
	s_wait_alu 0xfffe
	s_cmp_ge_u32 s64, s15
	s_cselect_b32 s65, -1, 0
	s_cmp_ge_u32 s60, s14
	s_cselect_b32 s66, -1, 0
	s_cmp_eq_u32 s64, s15
	s_wait_alu 0xfffe
	s_cselect_b32 s65, s66, s65
	s_cmp_lg_u32 s62, 0
	s_sub_co_ci_u32 s50, s50, s15
	s_sub_co_u32 s62, s60, s14
	s_cselect_b32 s66, -1, 0
	s_wait_alu 0xfffe
	s_cmp_lg_u32 s66, 0
	s_sub_co_ci_u32 s50, s50, 0
	s_cmp_lg_u32 s65, 0
	s_cselect_b32 s60, s62, s60
	s_wait_alu 0xfffe
	s_cselect_b32 s50, s50, s64
	s_cmp_lg_u32 s22, 0
	s_sub_co_ci_u32 s22, s61, s63
	s_wait_alu 0xfffe
	s_cmp_ge_u32 s22, s15
	s_cselect_b32 s61, -1, 0
	s_cmp_ge_u32 s21, s14
	s_cselect_b32 s14, -1, 0
	s_cmp_eq_u32 s22, s15
	s_wait_alu 0xfffe
	s_cselect_b32 s14, s14, s61
	s_wait_alu 0xfffe
	s_cmp_lg_u32 s14, 0
	s_cselect_b32 s15, s50, s22
	s_cselect_b32 s14, s60, s21
	s_wait_alu 0xfffe
	s_xor_b64 s[14:15], s[14:15], s[24:25]
	s_wait_alu 0xfffe
	s_sub_nc_u64 s[14:15], s[14:15], s[24:25]
	s_cbranch_execnz .LBB68_101
.LBB68_100:                             ;   in Loop: Header=BB68_7 Depth=1
	v_cvt_f32_u32_e32 v2, s44
	s_sub_co_i32 s15, 0, s44
	s_delay_alu instid0(VALU_DEP_1) | instskip(NEXT) | instid1(TRANS32_DEP_1)
	v_rcp_iflag_f32_e32 v2, v2
	v_mul_f32_e32 v2, 0x4f7ffffe, v2
	s_delay_alu instid0(VALU_DEP_1) | instskip(NEXT) | instid1(VALU_DEP_1)
	v_cvt_u32_f32_e32 v2, v2
	v_readfirstlane_b32 s14, v2
	s_wait_alu 0xfffe
	s_mul_i32 s15, s15, s14
	s_wait_alu 0xfffe
	s_mul_hi_u32 s15, s14, s15
	s_wait_alu 0xfffe
	s_add_co_i32 s14, s14, s15
	s_wait_alu 0xfffe
	s_mul_hi_u32 s14, s6, s14
	s_wait_alu 0xfffe
	s_mul_i32 s14, s14, s44
	s_wait_alu 0xfffe
	s_sub_co_i32 s14, s6, s14
	s_wait_alu 0xfffe
	s_sub_co_i32 s15, s14, s44
	s_cmp_ge_u32 s14, s44
	s_wait_alu 0xfffe
	s_cselect_b32 s14, s15, s14
	s_wait_alu 0xfffe
	s_sub_co_i32 s15, s14, s44
	s_cmp_ge_u32 s14, s44
	s_wait_alu 0xfffe
	s_cselect_b32 s50, s15, s14
	s_wait_alu 0xfffe
	s_mov_b64 s[14:15], s[50:51]
.LBB68_101:                             ;   in Loop: Header=BB68_7 Depth=1
	s_wait_alu 0xfffe
	s_sub_nc_u64 s[6:7], s[6:7], s[14:15]
	s_mov_b32 s14, exec_lo
                                        ; implicit-def: $vgpr46
	s_wait_alu 0xfffe
	v_cmpx_gt_i64_e64 s[6:7], v[0:1]
	s_cbranch_execz .LBB68_110
; %bb.102:                              ;   in Loop: Header=BB68_7 Depth=1
	v_dual_mov_b32 v2, v33 :: v_dual_mov_b32 v9, v1
	v_mov_b32_e32 v8, v0
	s_mov_b32 s15, 0
                                        ; implicit-def: $sgpr21
	s_branch .LBB68_105
.LBB68_103:                             ;   in Loop: Header=BB68_105 Depth=2
	s_wait_alu 0xfffe
	s_or_b32 exec_lo, exec_lo, s22
	s_wait_loadcnt_dscnt 0x0
	s_barrier_signal -1
	s_barrier_wait -1
	global_inv scope:SCOPE_SE
	ds_load_b32 v10, v3 offset:3072
	s_mov_b32 s22, -1
	s_mov_b32 s24, -1
	s_wait_loadcnt_dscnt 0x0
	s_barrier_signal -1
	s_barrier_wait -1
	global_inv scope:SCOPE_SE
	v_and_b32_e32 v11, 0x7fff, v10
	s_delay_alu instid0(VALU_DEP_1)
	v_cmp_ne_u32_e32 vcc_lo, 0, v11
	s_cbranch_vccz .LBB68_108
.LBB68_104:                             ;   in Loop: Header=BB68_105 Depth=2
	s_wait_alu 0xfffe
	s_and_b32 s22, exec_lo, s22
	s_wait_alu 0xfffe
	s_or_b32 s15, s22, s15
	s_and_not1_b32 s21, s21, exec_lo
	s_and_b32 s22, s24, exec_lo
	s_wait_alu 0xfffe
	s_or_b32 s21, s21, s22
	s_and_not1_b32 exec_lo, exec_lo, s15
	s_cbranch_execz .LBB68_109
.LBB68_105:                             ;   Parent Loop BB68_7 Depth=1
                                        ; =>  This Inner Loop Header: Depth=2
	s_mov_b32 s22, exec_lo
	s_delay_alu instid0(VALU_DEP_1)
	v_cmpx_gt_u64_e64 s[12:13], v[8:9]
	s_cbranch_execz .LBB68_103
; %bb.106:                              ;   in Loop: Header=BB68_105 Depth=2
	ds_load_u16 v10, v2
	s_wait_dscnt 0x0
	v_cmp_lt_i16_e32 vcc_lo, -1, v10
	v_and_b32_e32 v11, 0xffff, v10
	s_wait_alu 0xfffd
	v_dual_cndmask_b32 v28, 0xffff, v44 :: v_dual_lshlrev_b32 v29, 16, v10
	s_delay_alu instid0(VALU_DEP_1) | instskip(NEXT) | instid1(VALU_DEP_2)
	v_cmp_o_f32_e32 vcc_lo, v29, v29
	v_xor_b32_e32 v11, v28, v11
	s_wait_alu 0xfffd
	s_delay_alu instid0(VALU_DEP_1) | instskip(NEXT) | instid1(VALU_DEP_1)
	v_cndmask_b32_e32 v11, 0xffff, v11, vcc_lo
	v_and_b32_e32 v11, v11, v45
	s_delay_alu instid0(VALU_DEP_1)
	v_cmp_eq_u32_e32 vcc_lo, v11, v20
	s_and_b32 exec_lo, exec_lo, vcc_lo
	s_cbranch_execz .LBB68_103
; %bb.107:                              ;   in Loop: Header=BB68_105 Depth=2
	v_perm_b32 v10, v10, s91, 0x5040100
	ds_store_b32 v3, v10 offset:3072
	s_branch .LBB68_103
.LBB68_108:                             ;   in Loop: Header=BB68_105 Depth=2
	v_add_co_u32 v8, vcc_lo, v8, s44
	s_wait_alu 0xfffd
	v_add_co_ci_u32_e64 v9, null, 0, v9, vcc_lo
	v_add_nc_u32_e32 v2, s90, v2
	s_mov_b32 s24, 0
	s_delay_alu instid0(VALU_DEP_2)
	v_cmp_le_i64_e32 vcc_lo, s[6:7], v[8:9]
	s_or_not1_b32 s22, vcc_lo, exec_lo
	s_branch .LBB68_104
.LBB68_109:                             ;   in Loop: Header=BB68_7 Depth=1
	s_or_b32 exec_lo, exec_lo, s15
	v_lshrrev_b32_e32 v46, 16, v10
	s_and_not1_b32 s6, s23, exec_lo
	s_wait_alu 0xfffe
	s_and_b32 s7, s21, exec_lo
	s_wait_alu 0xfffe
	s_or_b32 s23, s6, s7
.LBB68_110:                             ;   in Loop: Header=BB68_7 Depth=1
	s_or_b32 exec_lo, exec_lo, s14
	s_mov_b32 s21, 0
	s_mov_b32 s22, -1
.LBB68_111:                             ;   in Loop: Header=BB68_7 Depth=1
	s_wait_alu 0xfffe
	s_or_not1_b32 s6, s23, exec_lo
.LBB68_112:                             ;   in Loop: Header=BB68_7 Depth=1
	s_wait_alu 0xfffe
	s_or_b32 exec_lo, exec_lo, s17
	s_delay_alu instid0(SALU_CYCLE_1)
	s_and_not1_b32 s7, s99, exec_lo
	s_and_b32 s12, s22, exec_lo
	s_and_not1_b32 s13, s97, exec_lo
	s_and_b32 s14, s21, exec_lo
	s_and_not1_b32 s96, s96, exec_lo
	s_wait_alu 0xfffe
	s_or_b32 s99, s7, s12
	s_or_b32 s97, s13, s14
                                        ; implicit-def: $vgpr8_vgpr9
	s_and_saveexec_b32 s17, s6
	s_cbranch_execz .LBB68_6
; %bb.113:                              ;   in Loop: Header=BB68_7 Depth=1
	v_mov_b32_e32 v8, 1
	v_dual_mov_b32 v9, 0 :: v_dual_mov_b32 v2, 1
	s_xor_b32 s12, s19, -1
	s_mov_b32 s7, 0
	s_wait_alu 0xfffe
	s_and_saveexec_b32 s6, s12
	s_cbranch_execz .LBB68_122
; %bb.114:                              ;   in Loop: Header=BB68_7 Depth=1
	s_mov_b32 s7, exec_lo
	v_cmpx_le_i64_e64 v[26:27], v[4:5]
	s_wait_alu 0xfffe
	s_xor_b32 s7, exec_lo, s7
	s_cbranch_execz .LBB68_119
; %bb.115:                              ;   in Loop: Header=BB68_7 Depth=1
	ds_load_b64 v[8:9], v3 offset:5120
	v_and_b32_e32 v20, s20, v20
	v_or_b32_e32 v45, s16, v45
	s_wait_dscnt 0x0
	v_cmp_ne_u64_e32 vcc_lo, 0, v[8:9]
	s_cbranch_vccnz .LBB68_119
; %bb.116:                              ;   in Loop: Header=BB68_7 Depth=1
	s_and_saveexec_b32 s12, s2
; %bb.117:                              ;   in Loop: Header=BB68_7 Depth=1
	ds_store_b64 v3, v[4:5] offset:5128
; %bb.118:                              ;   in Loop: Header=BB68_7 Depth=1
	s_wait_alu 0xfffe
	s_or_b32 exec_lo, exec_lo, s12
	s_wait_loadcnt_dscnt 0x0
	s_barrier_signal -1
	s_barrier_wait -1
	global_inv scope:SCOPE_SE
.LBB68_119:                             ;   in Loop: Header=BB68_7 Depth=1
	s_wait_alu 0xfffe
	s_or_saveexec_b32 s7, s7
	v_mov_b32_e32 v2, 8
	s_mov_b32 s12, 0
	s_wait_alu 0xfffe
	s_xor_b32 exec_lo, exec_lo, s7
; %bb.120:                              ;   in Loop: Header=BB68_7 Depth=1
	v_sub_co_u32 v26, vcc_lo, v26, v4
	s_wait_alu 0xfffd
	v_sub_co_ci_u32_e64 v27, null, v27, v5, vcc_lo
	v_mov_b32_e32 v2, 0
	s_mov_b32 s12, exec_lo
; %bb.121:                              ;   in Loop: Header=BB68_7 Depth=1
	s_or_b32 exec_lo, exec_lo, s7
	s_delay_alu instid0(VALU_DEP_2)
	v_dual_mov_b32 v8, v26 :: v_dual_mov_b32 v9, v27
	s_wait_alu 0xfffe
	s_and_b32 s7, s12, exec_lo
.LBB68_122:                             ;   in Loop: Header=BB68_7 Depth=1
	s_wait_alu 0xfffe
	s_or_b32 exec_lo, exec_lo, s6
	s_mov_b32 s18, -1
	s_mov_b32 s6, -1
                                        ; implicit-def: $sgpr21
                                        ; implicit-def: $sgpr22
	s_and_saveexec_b32 s12, s7
	s_wait_alu 0xfffe
	s_xor_b32 s19, exec_lo, s12
	s_cbranch_execz .LBB68_264
; %bb.123:                              ;   in Loop: Header=BB68_7 Depth=1
	v_cmp_eq_u64_e32 vcc_lo, 1, v[6:7]
	v_cmp_eq_u64_e64 s6, 1, v[8:9]
                                        ; implicit-def: $sgpr22
                                        ; implicit-def: $sgpr21
	s_and_b32 s24, vcc_lo, s6
	s_mov_b32 s6, -1
	s_wait_alu 0xfffe
	s_and_saveexec_b32 s23, s24
	s_cbranch_execz .LBB68_157
; %bb.124:                              ;   in Loop: Header=BB68_7 Depth=1
	ds_load_b64 v[4:5], v3 offset:5120
	s_wait_loadcnt_dscnt 0x0
	s_barrier_signal -1
	s_barrier_wait -1
	global_inv scope:SCOPE_SE
	v_readfirstlane_b32 s12, v4
	v_readfirstlane_b32 s13, v5
	s_and_saveexec_b32 s6, s3
; %bb.125:                              ;   in Loop: Header=BB68_7 Depth=1
	ds_store_b16 v34, v3
; %bb.126:                              ;   in Loop: Header=BB68_7 Depth=1
	s_wait_alu 0xfffe
	s_or_b32 exec_lo, exec_lo, s6
	s_lshl_b32 s6, 1, s92
	v_or_b32_e32 v45, s16, v45
	s_wait_alu 0xfffe
	v_and_or_b32 v20, v20, s20, s6
	v_cmp_gt_i64_e64 s6, s[12:13], 0
	s_mov_b32 s21, -1
	s_mov_b32 s22, 0
	s_mov_b32 s25, 0
	s_mov_b32 s7, -1
	s_wait_loadcnt_dscnt 0x0
	s_and_b32 vcc_lo, exec_lo, s6
	s_barrier_signal -1
	s_barrier_wait -1
	global_inv scope:SCOPE_SE
                                        ; implicit-def: $vgpr46
	s_wait_alu 0xfffe
	s_cbranch_vccnz .LBB68_142
; %bb.127:                              ;   in Loop: Header=BB68_7 Depth=1
	s_mov_b32 s6, s51
	s_mov_b32 s7, s55
	s_wait_alu 0xfffe
	s_cmp_lg_u64 s[6:7], 0
	s_cbranch_scc0 .LBB68_184
; %bb.128:                              ;   in Loop: Header=BB68_7 Depth=1
	s_add_nc_u64 s[6:7], s[44:45], 0
	s_wait_alu 0xfffe
	s_xor_b64 s[6:7], s[6:7], 0
	s_wait_alu 0xfffe
	s_cvt_f32_u32 s14, s6
	s_cvt_f32_u32 s15, s7
	s_sub_nc_u64 s[60:61], 0, s[6:7]
	s_wait_alu 0xfffe
	s_delay_alu instid0(SALU_CYCLE_1) | instskip(SKIP_1) | instid1(SALU_CYCLE_2)
	s_fmamk_f32 s14, s15, 0x4f800000, s14
	s_wait_alu 0xfffe
	v_s_rcp_f32 s14, s14
	s_delay_alu instid0(TRANS32_DEP_1) | instskip(SKIP_1) | instid1(SALU_CYCLE_2)
	s_mul_f32 s14, s14, 0x5f7ffffc
	s_wait_alu 0xfffe
	s_mul_f32 s15, s14, 0x2f800000
	s_wait_alu 0xfffe
	s_delay_alu instid0(SALU_CYCLE_2) | instskip(SKIP_1) | instid1(SALU_CYCLE_2)
	s_trunc_f32 s15, s15
	s_wait_alu 0xfffe
	s_fmamk_f32 s14, s15, 0xcf800000, s14
	s_cvt_u32_f32 s15, s15
	s_wait_alu 0xfffe
	s_delay_alu instid0(SALU_CYCLE_1) | instskip(SKIP_1) | instid1(SALU_CYCLE_2)
	s_cvt_u32_f32 s14, s14
	s_wait_alu 0xfffe
	s_mul_u64 s[62:63], s[60:61], s[14:15]
	s_wait_alu 0xfffe
	s_mul_hi_u32 s65, s14, s63
	s_mul_i32 s64, s14, s63
	s_mul_hi_u32 s50, s14, s62
	s_mul_i32 s66, s15, s62
	s_wait_alu 0xfffe
	s_add_nc_u64 s[64:65], s[50:51], s[64:65]
	s_mul_hi_u32 s25, s15, s62
	s_mul_hi_u32 s67, s15, s63
	s_wait_alu 0xfffe
	s_add_co_u32 s50, s64, s66
	s_add_co_ci_u32 s50, s65, s25
	s_mul_i32 s62, s15, s63
	s_add_co_ci_u32 s63, s67, 0
	s_wait_alu 0xfffe
	s_add_nc_u64 s[62:63], s[50:51], s[62:63]
	s_wait_alu 0xfffe
	s_add_co_u32 s14, s14, s62
	s_cselect_b32 s25, -1, 0
	s_wait_alu 0xfffe
	s_cmp_lg_u32 s25, 0
	s_add_co_ci_u32 s15, s15, s63
	s_wait_alu 0xfffe
	s_mul_u64 s[60:61], s[60:61], s[14:15]
	s_wait_alu 0xfffe
	s_mul_hi_u32 s63, s14, s61
	s_mul_i32 s62, s14, s61
	s_mul_hi_u32 s50, s14, s60
	s_mul_i32 s64, s15, s60
	s_wait_alu 0xfffe
	s_add_nc_u64 s[62:63], s[50:51], s[62:63]
	s_mul_hi_u32 s25, s15, s60
	s_mul_hi_u32 s65, s15, s61
	s_wait_alu 0xfffe
	s_add_co_u32 s50, s62, s64
	s_add_co_ci_u32 s50, s63, s25
	s_mul_i32 s60, s15, s61
	s_add_co_ci_u32 s61, s65, 0
	s_wait_alu 0xfffe
	s_add_nc_u64 s[60:61], s[50:51], s[60:61]
	s_wait_alu 0xfffe
	s_add_co_u32 s25, s14, s60
	s_cselect_b32 s14, -1, 0
	s_wait_alu 0xfffe
	s_cmp_lg_u32 s14, 0
	s_add_co_ci_u32 s64, s15, s61
	s_ashr_i32 s14, s55, 31
	s_wait_alu 0xfffe
	s_mov_b32 s15, s14
	s_wait_alu 0xfffe
	s_add_nc_u64 s[60:61], s[54:55], s[14:15]
	s_wait_alu 0xfffe
	s_xor_b64 s[60:61], s[60:61], s[14:15]
	s_wait_alu 0xfffe
	s_mul_hi_u32 s63, s60, s64
	s_mul_i32 s62, s60, s64
	s_mul_hi_u32 s50, s60, s25
	s_mul_hi_u32 s66, s61, s25
	s_mul_i32 s25, s61, s25
	s_wait_alu 0xfffe
	s_add_nc_u64 s[62:63], s[50:51], s[62:63]
	s_mul_hi_u32 s65, s61, s64
	s_wait_alu 0xfffe
	s_add_co_u32 s25, s62, s25
	s_add_co_ci_u32 s50, s63, s66
	s_mul_i32 s64, s61, s64
	s_add_co_ci_u32 s65, s65, 0
	s_wait_alu 0xfffe
	s_add_nc_u64 s[62:63], s[50:51], s[64:65]
	s_wait_alu 0xfffe
	s_mul_u64 s[62:63], s[6:7], s[62:63]
	s_wait_alu 0xfffe
	s_sub_co_u32 s25, s60, s62
	s_cselect_b32 s50, -1, 0
	s_sub_co_i32 s60, s61, s63
	s_wait_alu 0xfffe
	s_cmp_lg_u32 s50, 0
	s_sub_co_ci_u32 s60, s60, s7
	s_sub_co_u32 s62, s25, s6
	s_cselect_b32 s64, -1, 0
	s_wait_alu 0xfffe
	s_cmp_lg_u32 s64, 0
	s_sub_co_ci_u32 s65, s60, 0
	s_wait_alu 0xfffe
	s_cmp_ge_u32 s65, s7
	s_cselect_b32 s66, -1, 0
	s_cmp_ge_u32 s62, s6
	s_cselect_b32 s67, -1, 0
	s_cmp_eq_u32 s65, s7
	s_wait_alu 0xfffe
	s_cselect_b32 s66, s67, s66
	s_cmp_lg_u32 s64, 0
	s_sub_co_ci_u32 s60, s60, s7
	s_sub_co_u32 s64, s62, s6
	s_cselect_b32 s67, -1, 0
	s_wait_alu 0xfffe
	s_cmp_lg_u32 s67, 0
	s_sub_co_ci_u32 s60, s60, 0
	s_cmp_lg_u32 s66, 0
	s_cselect_b32 s62, s64, s62
	s_wait_alu 0xfffe
	s_cselect_b32 s60, s60, s65
	s_cmp_lg_u32 s50, 0
	s_sub_co_ci_u32 s50, s61, s63
	s_wait_alu 0xfffe
	s_cmp_ge_u32 s50, s7
	s_cselect_b32 s61, -1, 0
	s_cmp_ge_u32 s25, s6
	s_cselect_b32 s6, -1, 0
	s_cmp_eq_u32 s50, s7
	s_wait_alu 0xfffe
	s_cselect_b32 s6, s6, s61
	s_wait_alu 0xfffe
	s_cmp_lg_u32 s6, 0
	s_cselect_b32 s7, s60, s50
	s_cselect_b32 s6, s62, s25
	s_wait_alu 0xfffe
	s_xor_b64 s[6:7], s[6:7], s[14:15]
	s_wait_alu 0xfffe
	s_sub_nc_u64 s[6:7], s[6:7], s[14:15]
	s_cbranch_execnz .LBB68_130
.LBB68_129:                             ;   in Loop: Header=BB68_7 Depth=1
	v_cvt_f32_u32_e32 v4, s44
	s_sub_co_i32 s7, 0, s44
	s_delay_alu instid0(VALU_DEP_1) | instskip(NEXT) | instid1(TRANS32_DEP_1)
	v_rcp_iflag_f32_e32 v4, v4
	v_mul_f32_e32 v4, 0x4f7ffffe, v4
	s_delay_alu instid0(VALU_DEP_1) | instskip(NEXT) | instid1(VALU_DEP_1)
	v_cvt_u32_f32_e32 v4, v4
	v_readfirstlane_b32 s6, v4
	s_wait_alu 0xfffe
	s_mul_i32 s7, s7, s6
	s_wait_alu 0xfffe
	s_mul_hi_u32 s7, s6, s7
	s_wait_alu 0xfffe
	s_add_co_i32 s6, s6, s7
	s_wait_alu 0xfffe
	s_mul_hi_u32 s6, s54, s6
	s_wait_alu 0xfffe
	s_mul_i32 s6, s6, s44
	s_wait_alu 0xfffe
	s_sub_co_i32 s6, s54, s6
	s_wait_alu 0xfffe
	s_sub_co_i32 s7, s6, s44
	s_cmp_ge_u32 s6, s44
	s_wait_alu 0xfffe
	s_cselect_b32 s6, s7, s6
	s_wait_alu 0xfffe
	s_sub_co_i32 s7, s6, s44
	s_cmp_ge_u32 s6, s44
	s_wait_alu 0xfffe
	s_cselect_b32 s50, s7, s6
	s_wait_alu 0xfffe
	s_mov_b64 s[6:7], s[50:51]
.LBB68_130:                             ;   in Loop: Header=BB68_7 Depth=1
	s_wait_alu 0xfffe
	s_sub_nc_u64 s[14:15], s[54:55], s[6:7]
	s_mov_b32 s7, 0
	s_mov_b32 s25, 0
	s_mov_b32 s50, exec_lo
                                        ; implicit-def: $vgpr46
	s_wait_alu 0xfffe
	v_cmpx_gt_i64_e64 s[14:15], v[0:1]
	s_cbranch_execz .LBB68_141
; %bb.131:                              ;   in Loop: Header=BB68_7 Depth=1
	v_dual_mov_b32 v4, v12 :: v_dual_mov_b32 v5, v13
	v_dual_mov_b32 v11, v1 :: v_dual_mov_b32 v10, v0
                                        ; implicit-def: $sgpr60
	s_branch .LBB68_134
.LBB68_132:                             ;   in Loop: Header=BB68_134 Depth=2
	s_wait_alu 0xfffe
	s_or_b32 exec_lo, exec_lo, s6
	s_wait_loadcnt_dscnt 0x0
	s_barrier_signal -1
	s_barrier_wait -1
	global_inv scope:SCOPE_SE
	ds_load_b32 v26, v3 offset:3072
	s_mov_b32 s6, -1
	s_mov_b32 s61, -1
	s_wait_loadcnt_dscnt 0x0
	s_barrier_signal -1
	s_barrier_wait -1
	global_inv scope:SCOPE_SE
	v_and_b32_e32 v27, 0x7fff, v26
	s_delay_alu instid0(VALU_DEP_1)
	v_cmp_ne_u32_e32 vcc_lo, 0, v27
	s_cbranch_vccz .LBB68_137
.LBB68_133:                             ;   in Loop: Header=BB68_134 Depth=2
	s_wait_alu 0xfffe
	s_and_b32 s6, exec_lo, s6
	s_wait_alu 0xfffe
	s_or_b32 s25, s6, s25
	s_and_not1_b32 s6, s60, exec_lo
	s_and_b32 s60, s61, exec_lo
	s_wait_alu 0xfffe
	s_or_b32 s60, s6, s60
	s_and_not1_b32 exec_lo, exec_lo, s25
	s_cbranch_execz .LBB68_140
.LBB68_134:                             ;   Parent Loop BB68_7 Depth=1
                                        ; =>  This Inner Loop Header: Depth=2
	s_mov_b32 s6, exec_lo
	s_delay_alu instid0(VALU_DEP_1)
	v_cmpx_gt_i64_e64 s[36:37], v[10:11]
	s_cbranch_execz .LBB68_132
; %bb.135:                              ;   in Loop: Header=BB68_134 Depth=2
	global_load_u16 v26, v[4:5], off
	s_wait_loadcnt 0x0
	v_cmp_lt_i16_e32 vcc_lo, -1, v26
	v_and_b32_e32 v27, 0xffff, v26
	s_wait_alu 0xfffd
	v_dual_cndmask_b32 v28, 0xffff, v44 :: v_dual_lshlrev_b32 v29, 16, v26
	s_delay_alu instid0(VALU_DEP_1) | instskip(NEXT) | instid1(VALU_DEP_2)
	v_cmp_o_f32_e32 vcc_lo, v29, v29
	v_xor_b32_e32 v27, v28, v27
	s_wait_alu 0xfffd
	s_delay_alu instid0(VALU_DEP_1) | instskip(NEXT) | instid1(VALU_DEP_1)
	v_cndmask_b32_e32 v27, 0xffff, v27, vcc_lo
	v_and_b32_e32 v27, v27, v45
	s_delay_alu instid0(VALU_DEP_1)
	v_cmp_eq_u32_e32 vcc_lo, v27, v20
	s_and_b32 exec_lo, exec_lo, vcc_lo
	s_cbranch_execz .LBB68_132
; %bb.136:                              ;   in Loop: Header=BB68_134 Depth=2
	v_perm_b32 v26, v26, s91, 0x5040100
	ds_store_b32 v3, v26 offset:3072
	s_branch .LBB68_132
.LBB68_137:                             ;   in Loop: Header=BB68_134 Depth=2
	v_add_co_u32 v10, vcc_lo, v10, s44
	s_wait_alu 0xfffd
	v_add_co_ci_u32_e64 v11, null, 0, v11, vcc_lo
	v_add_co_u32 v4, s6, v4, s46
	s_wait_alu 0xf1fe
	v_add_co_ci_u32_e64 v5, null, s47, v5, s6
	s_delay_alu instid0(VALU_DEP_3)
	v_cmp_le_i64_e32 vcc_lo, s[14:15], v[10:11]
	s_mov_b32 s61, 0
	s_or_not1_b32 s6, vcc_lo, exec_lo
	s_branch .LBB68_133
.LBB68_138:                             ;   in Loop: Header=BB68_7 Depth=1
                                        ; implicit-def: $sgpr6_sgpr7
	s_branch .LBB68_86
.LBB68_139:                             ;   in Loop: Header=BB68_7 Depth=1
                                        ; implicit-def: $sgpr14_sgpr15
	s_branch .LBB68_100
.LBB68_140:                             ;   in Loop: Header=BB68_7 Depth=1
	s_or_b32 exec_lo, exec_lo, s25
	v_lshrrev_b32_e32 v46, 16, v26
	s_wait_alu 0xfffe
	s_and_b32 s25, s60, exec_lo
.LBB68_141:                             ;   in Loop: Header=BB68_7 Depth=1
	s_or_b32 exec_lo, exec_lo, s50
.LBB68_142:                             ;   in Loop: Header=BB68_7 Depth=1
	s_delay_alu instid0(SALU_CYCLE_1)
	s_and_b32 vcc_lo, exec_lo, s7
	s_wait_alu 0xfffe
	s_cbranch_vccz .LBB68_156
; %bb.143:                              ;   in Loop: Header=BB68_7 Depth=1
	s_add_nc_u64 s[6:7], s[12:13], s[52:53]
	s_mov_b32 s14, s51
	s_wait_alu 0xfffe
	s_mov_b32 s15, s7
	s_wait_alu 0xfffe
	s_cmp_lg_u64 s[14:15], 0
	s_cbranch_scc0 .LBB68_185
; %bb.144:                              ;   in Loop: Header=BB68_7 Depth=1
	s_add_nc_u64 s[14:15], s[44:45], 0
	s_wait_alu 0xfffe
	s_xor_b64 s[14:15], s[14:15], 0
	s_wait_alu 0xfffe
	s_cvt_f32_u32 s21, s14
	s_cvt_f32_u32 s22, s15
	s_sub_nc_u64 s[62:63], 0, s[14:15]
	s_wait_alu 0xfffe
	s_delay_alu instid0(SALU_CYCLE_1) | instskip(SKIP_1) | instid1(SALU_CYCLE_2)
	s_fmamk_f32 s21, s22, 0x4f800000, s21
	s_wait_alu 0xfffe
	v_s_rcp_f32 s21, s21
	s_delay_alu instid0(TRANS32_DEP_1) | instskip(SKIP_1) | instid1(SALU_CYCLE_2)
	s_mul_f32 s21, s21, 0x5f7ffffc
	s_wait_alu 0xfffe
	s_mul_f32 s22, s21, 0x2f800000
	s_wait_alu 0xfffe
	s_delay_alu instid0(SALU_CYCLE_2) | instskip(SKIP_1) | instid1(SALU_CYCLE_2)
	s_trunc_f32 s22, s22
	s_wait_alu 0xfffe
	s_fmamk_f32 s21, s22, 0xcf800000, s21
	s_cvt_u32_f32 s61, s22
	s_wait_alu 0xfffe
	s_delay_alu instid0(SALU_CYCLE_1) | instskip(SKIP_1) | instid1(SALU_CYCLE_2)
	s_cvt_u32_f32 s60, s21
	s_wait_alu 0xfffe
	s_mul_u64 s[64:65], s[62:63], s[60:61]
	s_wait_alu 0xfffe
	s_mul_hi_u32 s67, s60, s65
	s_mul_i32 s66, s60, s65
	s_mul_hi_u32 s50, s60, s64
	s_mul_i32 s22, s61, s64
	s_wait_alu 0xfffe
	s_add_nc_u64 s[66:67], s[50:51], s[66:67]
	s_mul_hi_u32 s21, s61, s64
	s_mul_hi_u32 s68, s61, s65
	s_wait_alu 0xfffe
	s_add_co_u32 s22, s66, s22
	s_add_co_ci_u32 s50, s67, s21
	s_mul_i32 s64, s61, s65
	s_add_co_ci_u32 s65, s68, 0
	s_wait_alu 0xfffe
	s_add_nc_u64 s[64:65], s[50:51], s[64:65]
	s_wait_alu 0xfffe
	s_add_co_u32 s60, s60, s64
	s_cselect_b32 s21, -1, 0
	s_wait_alu 0xfffe
	s_cmp_lg_u32 s21, 0
	s_add_co_ci_u32 s61, s61, s65
	s_wait_alu 0xfffe
	s_mul_u64 s[62:63], s[62:63], s[60:61]
	s_wait_alu 0xfffe
	s_mul_hi_u32 s65, s60, s63
	s_mul_i32 s64, s60, s63
	s_mul_hi_u32 s50, s60, s62
	s_mul_i32 s22, s61, s62
	s_wait_alu 0xfffe
	s_add_nc_u64 s[64:65], s[50:51], s[64:65]
	s_mul_hi_u32 s21, s61, s62
	s_mul_hi_u32 s66, s61, s63
	s_wait_alu 0xfffe
	s_add_co_u32 s22, s64, s22
	s_add_co_ci_u32 s50, s65, s21
	s_mul_i32 s62, s61, s63
	s_add_co_ci_u32 s63, s66, 0
	s_wait_alu 0xfffe
	s_add_nc_u64 s[62:63], s[50:51], s[62:63]
	s_wait_alu 0xfffe
	s_add_co_u32 s21, s60, s62
	s_cselect_b32 s22, -1, 0
	s_wait_alu 0xfffe
	s_cmp_lg_u32 s22, 0
	s_add_co_ci_u32 s22, s61, s63
	s_ashr_i32 s60, s7, 31
	s_wait_alu 0xfffe
	s_mov_b32 s61, s60
	s_wait_alu 0xfffe
	s_add_nc_u64 s[62:63], s[6:7], s[60:61]
	s_wait_alu 0xfffe
	s_xor_b64 s[62:63], s[62:63], s[60:61]
	s_wait_alu 0xfffe
	s_mul_hi_u32 s65, s62, s22
	s_mul_i32 s64, s62, s22
	s_mul_hi_u32 s50, s62, s21
	s_mul_hi_u32 s68, s63, s21
	s_mul_i32 s21, s63, s21
	s_wait_alu 0xfffe
	s_add_nc_u64 s[64:65], s[50:51], s[64:65]
	s_mul_hi_u32 s67, s63, s22
	s_wait_alu 0xfffe
	s_add_co_u32 s21, s64, s21
	s_add_co_ci_u32 s50, s65, s68
	s_mul_i32 s66, s63, s22
	s_add_co_ci_u32 s67, s67, 0
	s_wait_alu 0xfffe
	s_add_nc_u64 s[64:65], s[50:51], s[66:67]
	s_wait_alu 0xfffe
	s_mul_u64 s[64:65], s[14:15], s[64:65]
	s_wait_alu 0xfffe
	s_sub_co_u32 s21, s62, s64
	s_cselect_b32 s22, -1, 0
	s_sub_co_i32 s50, s63, s65
	s_wait_alu 0xfffe
	s_cmp_lg_u32 s22, 0
	s_sub_co_ci_u32 s50, s50, s15
	s_sub_co_u32 s62, s21, s14
	s_cselect_b32 s64, -1, 0
	s_wait_alu 0xfffe
	s_cmp_lg_u32 s64, 0
	s_sub_co_ci_u32 s66, s50, 0
	s_wait_alu 0xfffe
	s_cmp_ge_u32 s66, s15
	s_cselect_b32 s67, -1, 0
	s_cmp_ge_u32 s62, s14
	s_cselect_b32 s68, -1, 0
	s_cmp_eq_u32 s66, s15
	s_wait_alu 0xfffe
	s_cselect_b32 s67, s68, s67
	s_cmp_lg_u32 s64, 0
	s_sub_co_ci_u32 s50, s50, s15
	s_sub_co_u32 s64, s62, s14
	s_cselect_b32 s68, -1, 0
	s_wait_alu 0xfffe
	s_cmp_lg_u32 s68, 0
	s_sub_co_ci_u32 s50, s50, 0
	s_cmp_lg_u32 s67, 0
	s_cselect_b32 s62, s64, s62
	s_wait_alu 0xfffe
	s_cselect_b32 s50, s50, s66
	s_cmp_lg_u32 s22, 0
	s_sub_co_ci_u32 s22, s63, s65
	s_wait_alu 0xfffe
	s_cmp_ge_u32 s22, s15
	s_cselect_b32 s63, -1, 0
	s_cmp_ge_u32 s21, s14
	s_cselect_b32 s14, -1, 0
	s_cmp_eq_u32 s22, s15
	s_wait_alu 0xfffe
	s_cselect_b32 s14, s14, s63
	s_wait_alu 0xfffe
	s_cmp_lg_u32 s14, 0
	s_cselect_b32 s15, s50, s22
	s_cselect_b32 s14, s62, s21
	s_wait_alu 0xfffe
	s_xor_b64 s[14:15], s[14:15], s[60:61]
	s_wait_alu 0xfffe
	s_sub_nc_u64 s[14:15], s[14:15], s[60:61]
	s_cbranch_execnz .LBB68_146
.LBB68_145:                             ;   in Loop: Header=BB68_7 Depth=1
	v_cvt_f32_u32_e32 v4, s44
	s_sub_co_i32 s15, 0, s44
	s_delay_alu instid0(VALU_DEP_1) | instskip(NEXT) | instid1(TRANS32_DEP_1)
	v_rcp_iflag_f32_e32 v4, v4
	v_mul_f32_e32 v4, 0x4f7ffffe, v4
	s_delay_alu instid0(VALU_DEP_1) | instskip(NEXT) | instid1(VALU_DEP_1)
	v_cvt_u32_f32_e32 v4, v4
	v_readfirstlane_b32 s14, v4
	s_wait_alu 0xfffe
	s_mul_i32 s15, s15, s14
	s_wait_alu 0xfffe
	s_mul_hi_u32 s15, s14, s15
	s_wait_alu 0xfffe
	s_add_co_i32 s14, s14, s15
	s_wait_alu 0xfffe
	s_mul_hi_u32 s14, s6, s14
	s_wait_alu 0xfffe
	s_mul_i32 s14, s14, s44
	s_wait_alu 0xfffe
	s_sub_co_i32 s14, s6, s14
	s_wait_alu 0xfffe
	s_sub_co_i32 s15, s14, s44
	s_cmp_ge_u32 s14, s44
	s_wait_alu 0xfffe
	s_cselect_b32 s14, s15, s14
	s_wait_alu 0xfffe
	s_sub_co_i32 s15, s14, s44
	s_cmp_ge_u32 s14, s44
	s_wait_alu 0xfffe
	s_cselect_b32 s50, s15, s14
	s_wait_alu 0xfffe
	s_mov_b64 s[14:15], s[50:51]
.LBB68_146:                             ;   in Loop: Header=BB68_7 Depth=1
	s_wait_alu 0xfffe
	s_sub_nc_u64 s[6:7], s[6:7], s[14:15]
	s_mov_b32 s14, exec_lo
                                        ; implicit-def: $vgpr46
	s_wait_alu 0xfffe
	v_cmpx_gt_i64_e64 s[6:7], v[0:1]
	s_cbranch_execz .LBB68_155
; %bb.147:                              ;   in Loop: Header=BB68_7 Depth=1
	v_dual_mov_b32 v10, v33 :: v_dual_mov_b32 v5, v1
	v_mov_b32_e32 v4, v0
	s_mov_b32 s15, 0
                                        ; implicit-def: $sgpr21
	s_branch .LBB68_150
.LBB68_148:                             ;   in Loop: Header=BB68_150 Depth=2
	s_wait_alu 0xfffe
	s_or_b32 exec_lo, exec_lo, s22
	s_wait_loadcnt_dscnt 0x0
	s_barrier_signal -1
	s_barrier_wait -1
	global_inv scope:SCOPE_SE
	ds_load_b32 v11, v3 offset:3072
	s_mov_b32 s22, -1
	s_mov_b32 s50, -1
	s_wait_loadcnt_dscnt 0x0
	s_barrier_signal -1
	s_barrier_wait -1
	global_inv scope:SCOPE_SE
	v_and_b32_e32 v26, 0x7fff, v11
	s_delay_alu instid0(VALU_DEP_1)
	v_cmp_eq_u32_e32 vcc_lo, 0, v26
	s_cbranch_vccnz .LBB68_153
.LBB68_149:                             ;   in Loop: Header=BB68_150 Depth=2
	s_wait_alu 0xfffe
	s_and_b32 s22, exec_lo, s22
	s_wait_alu 0xfffe
	s_or_b32 s15, s22, s15
	s_and_not1_b32 s21, s21, exec_lo
	s_and_b32 s22, s50, exec_lo
	s_wait_alu 0xfffe
	s_or_b32 s21, s21, s22
	s_and_not1_b32 exec_lo, exec_lo, s15
	s_cbranch_execz .LBB68_154
.LBB68_150:                             ;   Parent Loop BB68_7 Depth=1
                                        ; =>  This Inner Loop Header: Depth=2
	s_mov_b32 s22, exec_lo
	s_delay_alu instid0(VALU_DEP_1)
	v_cmpx_gt_u64_e64 s[12:13], v[4:5]
	s_cbranch_execz .LBB68_148
; %bb.151:                              ;   in Loop: Header=BB68_150 Depth=2
	ds_load_u16 v11, v10
	s_wait_dscnt 0x0
	v_cmp_lt_i16_e32 vcc_lo, -1, v11
	v_and_b32_e32 v26, 0xffff, v11
	s_wait_alu 0xfffd
	v_dual_cndmask_b32 v27, 0xffff, v44 :: v_dual_lshlrev_b32 v28, 16, v11
	s_delay_alu instid0(VALU_DEP_1) | instskip(NEXT) | instid1(VALU_DEP_2)
	v_cmp_o_f32_e32 vcc_lo, v28, v28
	v_xor_b32_e32 v26, v27, v26
	s_wait_alu 0xfffd
	s_delay_alu instid0(VALU_DEP_1) | instskip(NEXT) | instid1(VALU_DEP_1)
	v_cndmask_b32_e32 v26, 0xffff, v26, vcc_lo
	v_and_b32_e32 v26, v26, v45
	s_delay_alu instid0(VALU_DEP_1)
	v_cmp_eq_u32_e32 vcc_lo, v26, v20
	s_and_b32 exec_lo, exec_lo, vcc_lo
	s_cbranch_execz .LBB68_148
; %bb.152:                              ;   in Loop: Header=BB68_150 Depth=2
	v_perm_b32 v11, v11, s91, 0x5040100
	ds_store_b32 v3, v11 offset:3072
	s_branch .LBB68_148
.LBB68_153:                             ;   in Loop: Header=BB68_150 Depth=2
	v_add_co_u32 v4, vcc_lo, v4, s44
	s_wait_alu 0xfffd
	v_add_co_ci_u32_e64 v5, null, 0, v5, vcc_lo
	v_add_nc_u32_e32 v10, s90, v10
	s_mov_b32 s50, 0
	s_delay_alu instid0(VALU_DEP_2)
	v_cmp_le_i64_e32 vcc_lo, s[6:7], v[4:5]
	s_or_not1_b32 s22, vcc_lo, exec_lo
	s_branch .LBB68_149
.LBB68_154:                             ;   in Loop: Header=BB68_7 Depth=1
	s_or_b32 exec_lo, exec_lo, s15
	v_lshrrev_b32_e32 v46, 16, v11
	s_and_not1_b32 s6, s25, exec_lo
	s_wait_alu 0xfffe
	s_and_b32 s7, s21, exec_lo
	s_wait_alu 0xfffe
	s_or_b32 s25, s6, s7
.LBB68_155:                             ;   in Loop: Header=BB68_7 Depth=1
	s_or_b32 exec_lo, exec_lo, s14
	s_mov_b32 s21, 0
	s_mov_b32 s22, -1
.LBB68_156:                             ;   in Loop: Header=BB68_7 Depth=1
	s_wait_alu 0xfffe
	s_or_not1_b32 s6, s25, exec_lo
.LBB68_157:                             ;   in Loop: Header=BB68_7 Depth=1
	s_wait_alu 0xfffe
	s_or_b32 exec_lo, exec_lo, s23
	s_mov_b32 s7, 0
	s_and_saveexec_b32 s23, s6
	s_cbranch_execz .LBB68_263
; %bb.158:                              ;   in Loop: Header=BB68_7 Depth=1
	v_mov_b32_e32 v4, 1
	v_dual_mov_b32 v5, 0 :: v_dual_mov_b32 v2, 1
	s_xor_b32 s12, s24, -1
	s_wait_alu 0xfffe
	s_and_saveexec_b32 s6, s12
	s_cbranch_execz .LBB68_168
; %bb.159:                              ;   in Loop: Header=BB68_7 Depth=1
	s_mov_b32 s7, exec_lo
	v_cmpx_le_i64_e64 v[8:9], v[6:7]
	s_wait_alu 0xfffe
	s_xor_b32 s7, exec_lo, s7
	s_cbranch_execz .LBB68_165
; %bb.160:                              ;   in Loop: Header=BB68_7 Depth=1
	ds_load_b64 v[4:5], v3 offset:5120
	s_lshl_b32 s12, 1, s92
	v_or_b32_e32 v45, s16, v45
	s_wait_alu 0xfffe
	v_and_or_b32 v20, v20, s20, s12
	s_wait_dscnt 0x0
	v_cmp_ne_u64_e32 vcc_lo, 0, v[4:5]
	s_cbranch_vccnz .LBB68_164
; %bb.161:                              ;   in Loop: Header=BB68_7 Depth=1
	s_and_saveexec_b32 s12, s2
; %bb.162:                              ;   in Loop: Header=BB68_7 Depth=1
	ds_store_b64 v3, v[6:7] offset:5128
; %bb.163:                              ;   in Loop: Header=BB68_7 Depth=1
	s_wait_alu 0xfffe
	s_or_b32 exec_lo, exec_lo, s12
	s_wait_loadcnt_dscnt 0x0
	s_barrier_signal -1
	s_barrier_wait -1
	global_inv scope:SCOPE_SE
.LBB68_164:                             ;   in Loop: Header=BB68_7 Depth=1
                                        ; implicit-def: $vgpr4_vgpr5_vgpr6_vgpr7
.LBB68_165:                             ;   in Loop: Header=BB68_7 Depth=1
	s_wait_alu 0xfffe
	s_or_saveexec_b32 s7, s7
	v_mov_b32_e32 v2, 8
	s_mov_b32 s12, 0
	s_wait_alu 0xfffe
	s_xor_b32 exec_lo, exec_lo, s7
; %bb.166:                              ;   in Loop: Header=BB68_7 Depth=1
	v_sub_co_u32 v8, vcc_lo, v8, v6
	s_wait_alu 0xfffd
	v_sub_co_ci_u32_e64 v9, null, v9, v7, vcc_lo
	v_mov_b32_e32 v2, 0
	s_mov_b32 s12, exec_lo
; %bb.167:                              ;   in Loop: Header=BB68_7 Depth=1
	s_or_b32 exec_lo, exec_lo, s7
	s_delay_alu instid0(VALU_DEP_2)
	v_dual_mov_b32 v4, v8 :: v_dual_mov_b32 v5, v9
	s_wait_alu 0xfffe
	s_and_b32 s7, s12, exec_lo
.LBB68_168:                             ;   in Loop: Header=BB68_7 Depth=1
	s_wait_alu 0xfffe
	s_or_b32 exec_lo, exec_lo, s6
	s_mov_b32 s6, -1
                                        ; implicit-def: $sgpr25
                                        ; implicit-def: $sgpr60
	s_and_saveexec_b32 s24, s7
	s_cbranch_execz .LBB68_262
; %bb.169:                              ;   in Loop: Header=BB68_7 Depth=1
	v_cmp_eq_u64_e32 vcc_lo, 1, v[4:5]
	s_cmp_eq_u64 s[10:11], 1
                                        ; implicit-def: $sgpr60
                                        ; implicit-def: $sgpr25
	s_cselect_b32 s6, -1, 0
	s_wait_alu 0xfffe
	s_and_b32 s61, s6, vcc_lo
	s_mov_b32 s6, -1
	s_wait_alu 0xfffe
	s_and_saveexec_b32 s62, s61
	s_cbranch_execz .LBB68_203
; %bb.170:                              ;   in Loop: Header=BB68_7 Depth=1
	ds_load_b64 v[6:7], v3 offset:5120
	s_wait_loadcnt_dscnt 0x0
	s_barrier_signal -1
	s_barrier_wait -1
	global_inv scope:SCOPE_SE
	v_readfirstlane_b32 s12, v6
	v_readfirstlane_b32 s13, v7
	s_and_saveexec_b32 s6, s3
; %bb.171:                              ;   in Loop: Header=BB68_7 Depth=1
	ds_store_b16 v34, v3
; %bb.172:                              ;   in Loop: Header=BB68_7 Depth=1
	s_wait_alu 0xfffe
	s_or_b32 exec_lo, exec_lo, s6
	s_lshl_b32 s6, 2, s92
	v_or_b32_e32 v45, s16, v45
	s_wait_alu 0xfffe
	v_and_or_b32 v20, v20, s20, s6
	v_cmp_gt_i64_e64 s6, s[12:13], 0
	s_mov_b32 s25, -1
	s_mov_b32 s60, 0
	s_mov_b32 s63, 0
	s_mov_b32 s7, -1
	s_wait_loadcnt_dscnt 0x0
	s_and_b32 vcc_lo, exec_lo, s6
	s_barrier_signal -1
	s_barrier_wait -1
	global_inv scope:SCOPE_SE
                                        ; implicit-def: $vgpr46
	s_wait_alu 0xfffe
	s_cbranch_vccnz .LBB68_188
; %bb.173:                              ;   in Loop: Header=BB68_7 Depth=1
	s_mov_b32 s6, s51
	s_mov_b32 s7, s55
	s_wait_alu 0xfffe
	s_cmp_lg_u64 s[6:7], 0
	s_cbranch_scc0 .LBB68_229
; %bb.174:                              ;   in Loop: Header=BB68_7 Depth=1
	s_add_nc_u64 s[6:7], s[44:45], 0
	s_wait_alu 0xfffe
	s_xor_b64 s[6:7], s[6:7], 0
	s_wait_alu 0xfffe
	s_cvt_f32_u32 s14, s6
	s_cvt_f32_u32 s15, s7
	s_sub_nc_u64 s[64:65], 0, s[6:7]
	s_wait_alu 0xfffe
	s_delay_alu instid0(SALU_CYCLE_1) | instskip(SKIP_1) | instid1(SALU_CYCLE_2)
	s_fmamk_f32 s14, s15, 0x4f800000, s14
	s_wait_alu 0xfffe
	v_s_rcp_f32 s14, s14
	s_delay_alu instid0(TRANS32_DEP_1) | instskip(SKIP_1) | instid1(SALU_CYCLE_2)
	s_mul_f32 s14, s14, 0x5f7ffffc
	s_wait_alu 0xfffe
	s_mul_f32 s15, s14, 0x2f800000
	s_wait_alu 0xfffe
	s_delay_alu instid0(SALU_CYCLE_2) | instskip(SKIP_1) | instid1(SALU_CYCLE_2)
	s_trunc_f32 s15, s15
	s_wait_alu 0xfffe
	s_fmamk_f32 s14, s15, 0xcf800000, s14
	s_cvt_u32_f32 s15, s15
	s_wait_alu 0xfffe
	s_delay_alu instid0(SALU_CYCLE_1) | instskip(SKIP_1) | instid1(SALU_CYCLE_2)
	s_cvt_u32_f32 s14, s14
	s_wait_alu 0xfffe
	s_mul_u64 s[66:67], s[64:65], s[14:15]
	s_wait_alu 0xfffe
	s_mul_hi_u32 s69, s14, s67
	s_mul_i32 s68, s14, s67
	s_mul_hi_u32 s50, s14, s66
	s_mul_i32 s70, s15, s66
	s_wait_alu 0xfffe
	s_add_nc_u64 s[68:69], s[50:51], s[68:69]
	s_mul_hi_u32 s63, s15, s66
	s_mul_hi_u32 s71, s15, s67
	s_wait_alu 0xfffe
	s_add_co_u32 s50, s68, s70
	s_add_co_ci_u32 s50, s69, s63
	s_mul_i32 s66, s15, s67
	s_add_co_ci_u32 s67, s71, 0
	s_wait_alu 0xfffe
	s_add_nc_u64 s[66:67], s[50:51], s[66:67]
	s_wait_alu 0xfffe
	s_add_co_u32 s14, s14, s66
	s_cselect_b32 s50, -1, 0
	s_wait_alu 0xfffe
	s_cmp_lg_u32 s50, 0
	s_add_co_ci_u32 s15, s15, s67
	s_wait_alu 0xfffe
	s_mul_u64 s[64:65], s[64:65], s[14:15]
	s_wait_alu 0xfffe
	s_mul_hi_u32 s67, s14, s65
	s_mul_i32 s66, s14, s65
	s_mul_hi_u32 s50, s14, s64
	s_mul_i32 s68, s15, s64
	s_wait_alu 0xfffe
	s_add_nc_u64 s[66:67], s[50:51], s[66:67]
	s_mul_hi_u32 s63, s15, s64
	s_mul_hi_u32 s69, s15, s65
	s_wait_alu 0xfffe
	s_add_co_u32 s50, s66, s68
	s_add_co_ci_u32 s50, s67, s63
	s_mul_i32 s64, s15, s65
	s_add_co_ci_u32 s65, s69, 0
	s_wait_alu 0xfffe
	s_add_nc_u64 s[64:65], s[50:51], s[64:65]
	s_wait_alu 0xfffe
	s_add_co_u32 s63, s14, s64
	s_cselect_b32 s14, -1, 0
	s_wait_alu 0xfffe
	s_cmp_lg_u32 s14, 0
	s_add_co_ci_u32 s68, s15, s65
	s_ashr_i32 s14, s55, 31
	s_wait_alu 0xfffe
	s_mov_b32 s15, s14
	s_wait_alu 0xfffe
	s_add_nc_u64 s[64:65], s[54:55], s[14:15]
	s_wait_alu 0xfffe
	s_xor_b64 s[64:65], s[64:65], s[14:15]
	s_wait_alu 0xfffe
	s_mul_hi_u32 s67, s64, s68
	s_mul_i32 s66, s64, s68
	s_mul_hi_u32 s50, s64, s63
	s_mul_hi_u32 s70, s65, s63
	s_mul_i32 s63, s65, s63
	s_wait_alu 0xfffe
	s_add_nc_u64 s[66:67], s[50:51], s[66:67]
	s_mul_hi_u32 s69, s65, s68
	s_wait_alu 0xfffe
	s_add_co_u32 s50, s66, s63
	s_add_co_ci_u32 s50, s67, s70
	s_mul_i32 s68, s65, s68
	s_add_co_ci_u32 s69, s69, 0
	s_wait_alu 0xfffe
	s_add_nc_u64 s[66:67], s[50:51], s[68:69]
	s_wait_alu 0xfffe
	s_mul_u64 s[66:67], s[6:7], s[66:67]
	s_wait_alu 0xfffe
	s_sub_co_u32 s50, s64, s66
	s_cselect_b32 s63, -1, 0
	s_sub_co_i32 s64, s65, s67
	s_wait_alu 0xfffe
	s_cmp_lg_u32 s63, 0
	s_sub_co_ci_u32 s64, s64, s7
	s_sub_co_u32 s66, s50, s6
	s_cselect_b32 s68, -1, 0
	s_wait_alu 0xfffe
	s_cmp_lg_u32 s68, 0
	s_sub_co_ci_u32 s69, s64, 0
	s_wait_alu 0xfffe
	s_cmp_ge_u32 s69, s7
	s_cselect_b32 s70, -1, 0
	s_cmp_ge_u32 s66, s6
	s_cselect_b32 s71, -1, 0
	s_cmp_eq_u32 s69, s7
	s_cselect_b32 s70, s71, s70
	s_cmp_lg_u32 s68, 0
	s_sub_co_ci_u32 s64, s64, s7
	s_sub_co_u32 s68, s66, s6
	s_cselect_b32 s71, -1, 0
	s_delay_alu instid0(SALU_CYCLE_1)
	s_cmp_lg_u32 s71, 0
	s_wait_alu 0xfffe
	s_sub_co_ci_u32 s64, s64, 0
	s_cmp_lg_u32 s70, 0
	s_cselect_b32 s66, s68, s66
	s_wait_alu 0xfffe
	s_cselect_b32 s64, s64, s69
	s_cmp_lg_u32 s63, 0
	s_sub_co_ci_u32 s63, s65, s67
	s_wait_alu 0xfffe
	s_cmp_ge_u32 s63, s7
	s_cselect_b32 s65, -1, 0
	s_cmp_ge_u32 s50, s6
	s_cselect_b32 s6, -1, 0
	s_cmp_eq_u32 s63, s7
	s_wait_alu 0xfffe
	s_cselect_b32 s6, s6, s65
	s_wait_alu 0xfffe
	s_cmp_lg_u32 s6, 0
	s_cselect_b32 s7, s64, s63
	s_cselect_b32 s6, s66, s50
	s_wait_alu 0xfffe
	s_xor_b64 s[6:7], s[6:7], s[14:15]
	s_wait_alu 0xfffe
	s_sub_nc_u64 s[6:7], s[6:7], s[14:15]
	s_cbranch_execnz .LBB68_176
.LBB68_175:                             ;   in Loop: Header=BB68_7 Depth=1
	v_cvt_f32_u32_e32 v6, s44
	s_sub_co_i32 s7, 0, s44
	s_delay_alu instid0(VALU_DEP_1) | instskip(NEXT) | instid1(TRANS32_DEP_1)
	v_rcp_iflag_f32_e32 v6, v6
	v_mul_f32_e32 v6, 0x4f7ffffe, v6
	s_delay_alu instid0(VALU_DEP_1) | instskip(NEXT) | instid1(VALU_DEP_1)
	v_cvt_u32_f32_e32 v6, v6
	v_readfirstlane_b32 s6, v6
	s_wait_alu 0xfffe
	s_mul_i32 s7, s7, s6
	s_wait_alu 0xfffe
	s_mul_hi_u32 s7, s6, s7
	s_wait_alu 0xfffe
	s_add_co_i32 s6, s6, s7
	s_wait_alu 0xfffe
	s_mul_hi_u32 s6, s54, s6
	s_wait_alu 0xfffe
	s_mul_i32 s6, s6, s44
	s_wait_alu 0xfffe
	s_sub_co_i32 s6, s54, s6
	s_wait_alu 0xfffe
	s_sub_co_i32 s7, s6, s44
	s_cmp_ge_u32 s6, s44
	s_wait_alu 0xfffe
	s_cselect_b32 s6, s7, s6
	s_wait_alu 0xfffe
	s_sub_co_i32 s7, s6, s44
	s_cmp_ge_u32 s6, s44
	s_wait_alu 0xfffe
	s_cselect_b32 s50, s7, s6
	s_wait_alu 0xfffe
	s_mov_b64 s[6:7], s[50:51]
.LBB68_176:                             ;   in Loop: Header=BB68_7 Depth=1
	s_wait_alu 0xfffe
	s_sub_nc_u64 s[14:15], s[54:55], s[6:7]
	s_mov_b32 s7, 0
	s_mov_b32 s63, 0
	s_mov_b32 s50, exec_lo
                                        ; implicit-def: $vgpr46
	s_wait_alu 0xfffe
	v_cmpx_gt_i64_e64 s[14:15], v[0:1]
	s_cbranch_execz .LBB68_187
; %bb.177:                              ;   in Loop: Header=BB68_7 Depth=1
	v_dual_mov_b32 v6, v12 :: v_dual_mov_b32 v7, v13
	v_dual_mov_b32 v9, v1 :: v_dual_mov_b32 v8, v0
                                        ; implicit-def: $sgpr64
	s_branch .LBB68_180
.LBB68_178:                             ;   in Loop: Header=BB68_180 Depth=2
	s_wait_alu 0xfffe
	s_or_b32 exec_lo, exec_lo, s6
	s_wait_loadcnt_dscnt 0x0
	s_barrier_signal -1
	s_barrier_wait -1
	global_inv scope:SCOPE_SE
	ds_load_b32 v10, v3 offset:3072
	s_mov_b32 s6, -1
	s_mov_b32 s65, -1
	s_wait_loadcnt_dscnt 0x0
	s_barrier_signal -1
	s_barrier_wait -1
	global_inv scope:SCOPE_SE
	v_and_b32_e32 v11, 0x7fff, v10
	s_delay_alu instid0(VALU_DEP_1)
	v_cmp_ne_u32_e32 vcc_lo, 0, v11
	s_cbranch_vccz .LBB68_183
.LBB68_179:                             ;   in Loop: Header=BB68_180 Depth=2
	s_wait_alu 0xfffe
	s_and_b32 s6, exec_lo, s6
	s_wait_alu 0xfffe
	s_or_b32 s63, s6, s63
	s_and_not1_b32 s6, s64, exec_lo
	s_and_b32 s64, s65, exec_lo
	s_wait_alu 0xfffe
	s_or_b32 s64, s6, s64
	s_and_not1_b32 exec_lo, exec_lo, s63
	s_cbranch_execz .LBB68_186
.LBB68_180:                             ;   Parent Loop BB68_7 Depth=1
                                        ; =>  This Inner Loop Header: Depth=2
	s_mov_b32 s6, exec_lo
	s_delay_alu instid0(VALU_DEP_1)
	v_cmpx_gt_i64_e64 s[36:37], v[8:9]
	s_cbranch_execz .LBB68_178
; %bb.181:                              ;   in Loop: Header=BB68_180 Depth=2
	global_load_u16 v10, v[6:7], off
	s_wait_loadcnt 0x0
	v_cmp_lt_i16_e32 vcc_lo, -1, v10
	v_and_b32_e32 v11, 0xffff, v10
	s_wait_alu 0xfffd
	v_dual_cndmask_b32 v26, 0xffff, v44 :: v_dual_lshlrev_b32 v27, 16, v10
	s_delay_alu instid0(VALU_DEP_1) | instskip(NEXT) | instid1(VALU_DEP_2)
	v_cmp_o_f32_e32 vcc_lo, v27, v27
	v_xor_b32_e32 v11, v26, v11
	s_wait_alu 0xfffd
	s_delay_alu instid0(VALU_DEP_1) | instskip(NEXT) | instid1(VALU_DEP_1)
	v_cndmask_b32_e32 v11, 0xffff, v11, vcc_lo
	v_and_b32_e32 v11, v11, v45
	s_delay_alu instid0(VALU_DEP_1)
	v_cmp_eq_u32_e32 vcc_lo, v11, v20
	s_and_b32 exec_lo, exec_lo, vcc_lo
	s_cbranch_execz .LBB68_178
; %bb.182:                              ;   in Loop: Header=BB68_180 Depth=2
	v_perm_b32 v10, v10, s91, 0x5040100
	ds_store_b32 v3, v10 offset:3072
	s_branch .LBB68_178
.LBB68_183:                             ;   in Loop: Header=BB68_180 Depth=2
	v_add_co_u32 v8, vcc_lo, v8, s44
	s_wait_alu 0xfffd
	v_add_co_ci_u32_e64 v9, null, 0, v9, vcc_lo
	v_add_co_u32 v6, s6, v6, s46
	s_wait_alu 0xf1fe
	v_add_co_ci_u32_e64 v7, null, s47, v7, s6
	s_delay_alu instid0(VALU_DEP_3)
	v_cmp_le_i64_e32 vcc_lo, s[14:15], v[8:9]
	s_mov_b32 s65, 0
	s_or_not1_b32 s6, vcc_lo, exec_lo
	s_branch .LBB68_179
.LBB68_184:                             ;   in Loop: Header=BB68_7 Depth=1
                                        ; implicit-def: $sgpr6_sgpr7
	s_branch .LBB68_129
.LBB68_185:                             ;   in Loop: Header=BB68_7 Depth=1
                                        ; implicit-def: $sgpr14_sgpr15
	s_branch .LBB68_145
.LBB68_186:                             ;   in Loop: Header=BB68_7 Depth=1
	s_or_b32 exec_lo, exec_lo, s63
	v_lshrrev_b32_e32 v46, 16, v10
	s_wait_alu 0xfffe
	s_and_b32 s63, s64, exec_lo
.LBB68_187:                             ;   in Loop: Header=BB68_7 Depth=1
	s_or_b32 exec_lo, exec_lo, s50
.LBB68_188:                             ;   in Loop: Header=BB68_7 Depth=1
	s_delay_alu instid0(SALU_CYCLE_1)
	s_and_b32 vcc_lo, exec_lo, s7
	s_wait_alu 0xfffe
	s_cbranch_vccz .LBB68_202
; %bb.189:                              ;   in Loop: Header=BB68_7 Depth=1
	s_add_nc_u64 s[6:7], s[12:13], s[52:53]
	s_mov_b32 s14, s51
	s_wait_alu 0xfffe
	s_mov_b32 s15, s7
	s_wait_alu 0xfffe
	s_cmp_lg_u64 s[14:15], 0
	s_cbranch_scc0 .LBB68_230
; %bb.190:                              ;   in Loop: Header=BB68_7 Depth=1
	s_add_nc_u64 s[14:15], s[44:45], 0
	s_wait_alu 0xfffe
	s_xor_b64 s[14:15], s[14:15], 0
	s_wait_alu 0xfffe
	s_cvt_f32_u32 s25, s14
	s_cvt_f32_u32 s50, s15
	s_sub_nc_u64 s[66:67], 0, s[14:15]
	s_wait_alu 0xfffe
	s_delay_alu instid0(SALU_CYCLE_1) | instskip(SKIP_1) | instid1(SALU_CYCLE_2)
	s_fmamk_f32 s25, s50, 0x4f800000, s25
	s_wait_alu 0xfffe
	v_s_rcp_f32 s25, s25
	s_delay_alu instid0(TRANS32_DEP_1) | instskip(SKIP_1) | instid1(SALU_CYCLE_2)
	s_mul_f32 s25, s25, 0x5f7ffffc
	s_wait_alu 0xfffe
	s_mul_f32 s50, s25, 0x2f800000
	s_wait_alu 0xfffe
	s_delay_alu instid0(SALU_CYCLE_2) | instskip(SKIP_1) | instid1(SALU_CYCLE_2)
	s_trunc_f32 s50, s50
	s_wait_alu 0xfffe
	s_fmamk_f32 s25, s50, 0xcf800000, s25
	s_cvt_u32_f32 s65, s50
	s_wait_alu 0xfffe
	s_delay_alu instid0(SALU_CYCLE_1) | instskip(SKIP_1) | instid1(SALU_CYCLE_2)
	s_cvt_u32_f32 s64, s25
	s_wait_alu 0xfffe
	s_mul_u64 s[68:69], s[66:67], s[64:65]
	s_wait_alu 0xfffe
	s_mul_hi_u32 s71, s64, s69
	s_mul_i32 s70, s64, s69
	s_mul_hi_u32 s50, s64, s68
	s_mul_i32 s60, s65, s68
	s_wait_alu 0xfffe
	s_add_nc_u64 s[70:71], s[50:51], s[70:71]
	s_mul_hi_u32 s25, s65, s68
	s_mul_hi_u32 s72, s65, s69
	s_add_co_u32 s50, s70, s60
	s_wait_alu 0xfffe
	s_add_co_ci_u32 s50, s71, s25
	s_mul_i32 s68, s65, s69
	s_add_co_ci_u32 s69, s72, 0
	s_wait_alu 0xfffe
	s_add_nc_u64 s[68:69], s[50:51], s[68:69]
	s_wait_alu 0xfffe
	s_add_co_u32 s64, s64, s68
	s_cselect_b32 s25, -1, 0
	s_wait_alu 0xfffe
	s_cmp_lg_u32 s25, 0
	s_add_co_ci_u32 s65, s65, s69
	s_wait_alu 0xfffe
	s_mul_u64 s[66:67], s[66:67], s[64:65]
	s_wait_alu 0xfffe
	s_mul_hi_u32 s69, s64, s67
	s_mul_i32 s68, s64, s67
	s_mul_hi_u32 s50, s64, s66
	s_mul_i32 s60, s65, s66
	s_wait_alu 0xfffe
	s_add_nc_u64 s[68:69], s[50:51], s[68:69]
	s_mul_hi_u32 s25, s65, s66
	s_mul_hi_u32 s70, s65, s67
	s_wait_alu 0xfffe
	s_add_co_u32 s50, s68, s60
	s_add_co_ci_u32 s50, s69, s25
	s_mul_i32 s66, s65, s67
	s_add_co_ci_u32 s67, s70, 0
	s_wait_alu 0xfffe
	s_add_nc_u64 s[66:67], s[50:51], s[66:67]
	s_wait_alu 0xfffe
	s_add_co_u32 s25, s64, s66
	s_cselect_b32 s50, -1, 0
	s_wait_alu 0xfffe
	s_cmp_lg_u32 s50, 0
	s_add_co_ci_u32 s60, s65, s67
	s_ashr_i32 s64, s7, 31
	s_wait_alu 0xfffe
	s_mov_b32 s65, s64
	s_wait_alu 0xfffe
	s_add_nc_u64 s[66:67], s[6:7], s[64:65]
	s_wait_alu 0xfffe
	s_xor_b64 s[66:67], s[66:67], s[64:65]
	s_wait_alu 0xfffe
	s_mul_hi_u32 s69, s66, s60
	s_mul_i32 s68, s66, s60
	s_mul_hi_u32 s50, s66, s25
	s_mul_hi_u32 s72, s67, s25
	s_mul_i32 s25, s67, s25
	s_wait_alu 0xfffe
	s_add_nc_u64 s[68:69], s[50:51], s[68:69]
	s_mul_hi_u32 s71, s67, s60
	s_wait_alu 0xfffe
	s_add_co_u32 s25, s68, s25
	s_add_co_ci_u32 s50, s69, s72
	s_mul_i32 s70, s67, s60
	s_add_co_ci_u32 s71, s71, 0
	s_wait_alu 0xfffe
	s_add_nc_u64 s[68:69], s[50:51], s[70:71]
	s_wait_alu 0xfffe
	s_mul_u64 s[68:69], s[14:15], s[68:69]
	s_wait_alu 0xfffe
	s_sub_co_u32 s25, s66, s68
	s_cselect_b32 s50, -1, 0
	s_sub_co_i32 s60, s67, s69
	s_wait_alu 0xfffe
	s_cmp_lg_u32 s50, 0
	s_sub_co_ci_u32 s60, s60, s15
	s_sub_co_u32 s66, s25, s14
	s_cselect_b32 s68, -1, 0
	s_wait_alu 0xfffe
	s_cmp_lg_u32 s68, 0
	s_sub_co_ci_u32 s70, s60, 0
	s_delay_alu instid0(SALU_CYCLE_1)
	s_cmp_ge_u32 s70, s15
	s_cselect_b32 s71, -1, 0
	s_cmp_ge_u32 s66, s14
	s_cselect_b32 s72, -1, 0
	s_cmp_eq_u32 s70, s15
	s_wait_alu 0xfffe
	s_cselect_b32 s71, s72, s71
	s_cmp_lg_u32 s68, 0
	s_sub_co_ci_u32 s60, s60, s15
	s_sub_co_u32 s68, s66, s14
	s_cselect_b32 s72, -1, 0
	s_wait_alu 0xfffe
	s_cmp_lg_u32 s72, 0
	s_sub_co_ci_u32 s60, s60, 0
	s_cmp_lg_u32 s71, 0
	s_cselect_b32 s66, s68, s66
	s_wait_alu 0xfffe
	s_cselect_b32 s60, s60, s70
	s_cmp_lg_u32 s50, 0
	s_sub_co_ci_u32 s50, s67, s69
	s_wait_alu 0xfffe
	s_cmp_ge_u32 s50, s15
	s_cselect_b32 s67, -1, 0
	s_cmp_ge_u32 s25, s14
	s_cselect_b32 s14, -1, 0
	s_cmp_eq_u32 s50, s15
	s_wait_alu 0xfffe
	s_cselect_b32 s14, s14, s67
	s_wait_alu 0xfffe
	s_cmp_lg_u32 s14, 0
	s_cselect_b32 s15, s60, s50
	s_cselect_b32 s14, s66, s25
	s_wait_alu 0xfffe
	s_xor_b64 s[14:15], s[14:15], s[64:65]
	s_wait_alu 0xfffe
	s_sub_nc_u64 s[14:15], s[14:15], s[64:65]
	s_cbranch_execnz .LBB68_192
.LBB68_191:                             ;   in Loop: Header=BB68_7 Depth=1
	v_cvt_f32_u32_e32 v6, s44
	s_sub_co_i32 s15, 0, s44
	s_delay_alu instid0(VALU_DEP_1) | instskip(NEXT) | instid1(TRANS32_DEP_1)
	v_rcp_iflag_f32_e32 v6, v6
	v_mul_f32_e32 v6, 0x4f7ffffe, v6
	s_delay_alu instid0(VALU_DEP_1) | instskip(NEXT) | instid1(VALU_DEP_1)
	v_cvt_u32_f32_e32 v6, v6
	v_readfirstlane_b32 s14, v6
	s_wait_alu 0xfffe
	s_mul_i32 s15, s15, s14
	s_wait_alu 0xfffe
	s_mul_hi_u32 s15, s14, s15
	s_wait_alu 0xfffe
	s_add_co_i32 s14, s14, s15
	s_wait_alu 0xfffe
	s_mul_hi_u32 s14, s6, s14
	s_wait_alu 0xfffe
	s_mul_i32 s14, s14, s44
	s_wait_alu 0xfffe
	s_sub_co_i32 s14, s6, s14
	s_wait_alu 0xfffe
	s_sub_co_i32 s15, s14, s44
	s_cmp_ge_u32 s14, s44
	s_wait_alu 0xfffe
	s_cselect_b32 s14, s15, s14
	s_wait_alu 0xfffe
	s_sub_co_i32 s15, s14, s44
	s_cmp_ge_u32 s14, s44
	s_wait_alu 0xfffe
	s_cselect_b32 s50, s15, s14
	s_wait_alu 0xfffe
	s_mov_b64 s[14:15], s[50:51]
.LBB68_192:                             ;   in Loop: Header=BB68_7 Depth=1
	s_wait_alu 0xfffe
	s_sub_nc_u64 s[6:7], s[6:7], s[14:15]
	s_mov_b32 s14, exec_lo
                                        ; implicit-def: $vgpr46
	s_wait_alu 0xfffe
	v_cmpx_gt_i64_e64 s[6:7], v[0:1]
	s_cbranch_execz .LBB68_201
; %bb.193:                              ;   in Loop: Header=BB68_7 Depth=1
	v_dual_mov_b32 v8, v33 :: v_dual_mov_b32 v7, v1
	v_mov_b32_e32 v6, v0
	s_mov_b32 s15, 0
                                        ; implicit-def: $sgpr25
	s_branch .LBB68_196
.LBB68_194:                             ;   in Loop: Header=BB68_196 Depth=2
	s_wait_alu 0xfffe
	s_or_b32 exec_lo, exec_lo, s50
	s_wait_loadcnt_dscnt 0x0
	s_barrier_signal -1
	s_barrier_wait -1
	global_inv scope:SCOPE_SE
	ds_load_b32 v9, v3 offset:3072
	s_mov_b32 s50, -1
	s_mov_b32 s60, -1
	s_wait_loadcnt_dscnt 0x0
	s_barrier_signal -1
	s_barrier_wait -1
	global_inv scope:SCOPE_SE
	v_and_b32_e32 v10, 0x7fff, v9
	s_delay_alu instid0(VALU_DEP_1)
	v_cmp_eq_u32_e32 vcc_lo, 0, v10
	s_cbranch_vccnz .LBB68_199
.LBB68_195:                             ;   in Loop: Header=BB68_196 Depth=2
	s_wait_alu 0xfffe
	s_and_b32 s50, exec_lo, s50
	s_wait_alu 0xfffe
	s_or_b32 s15, s50, s15
	s_and_not1_b32 s25, s25, exec_lo
	s_and_b32 s50, s60, exec_lo
	s_wait_alu 0xfffe
	s_or_b32 s25, s25, s50
	s_and_not1_b32 exec_lo, exec_lo, s15
	s_cbranch_execz .LBB68_200
.LBB68_196:                             ;   Parent Loop BB68_7 Depth=1
                                        ; =>  This Inner Loop Header: Depth=2
	s_mov_b32 s50, exec_lo
	s_delay_alu instid0(VALU_DEP_1)
	v_cmpx_gt_u64_e64 s[12:13], v[6:7]
	s_cbranch_execz .LBB68_194
; %bb.197:                              ;   in Loop: Header=BB68_196 Depth=2
	ds_load_u16 v9, v8
	s_wait_dscnt 0x0
	v_cmp_lt_i16_e32 vcc_lo, -1, v9
	v_and_b32_e32 v10, 0xffff, v9
	s_wait_alu 0xfffd
	v_dual_cndmask_b32 v11, 0xffff, v44 :: v_dual_lshlrev_b32 v26, 16, v9
	s_delay_alu instid0(VALU_DEP_1) | instskip(NEXT) | instid1(VALU_DEP_2)
	v_cmp_o_f32_e32 vcc_lo, v26, v26
	v_xor_b32_e32 v10, v11, v10
	s_wait_alu 0xfffd
	s_delay_alu instid0(VALU_DEP_1) | instskip(NEXT) | instid1(VALU_DEP_1)
	v_cndmask_b32_e32 v10, 0xffff, v10, vcc_lo
	v_and_b32_e32 v10, v10, v45
	s_delay_alu instid0(VALU_DEP_1)
	v_cmp_eq_u32_e32 vcc_lo, v10, v20
	s_and_b32 exec_lo, exec_lo, vcc_lo
	s_cbranch_execz .LBB68_194
; %bb.198:                              ;   in Loop: Header=BB68_196 Depth=2
	v_perm_b32 v9, v9, s91, 0x5040100
	ds_store_b32 v3, v9 offset:3072
	s_branch .LBB68_194
.LBB68_199:                             ;   in Loop: Header=BB68_196 Depth=2
	v_add_co_u32 v6, vcc_lo, v6, s44
	s_wait_alu 0xfffd
	v_add_co_ci_u32_e64 v7, null, 0, v7, vcc_lo
	v_add_nc_u32_e32 v8, s90, v8
	s_mov_b32 s60, 0
	s_delay_alu instid0(VALU_DEP_2)
	v_cmp_le_i64_e32 vcc_lo, s[6:7], v[6:7]
	s_or_not1_b32 s50, vcc_lo, exec_lo
	s_branch .LBB68_195
.LBB68_200:                             ;   in Loop: Header=BB68_7 Depth=1
	s_or_b32 exec_lo, exec_lo, s15
	v_lshrrev_b32_e32 v46, 16, v9
	s_and_not1_b32 s6, s63, exec_lo
	s_wait_alu 0xfffe
	s_and_b32 s7, s25, exec_lo
	s_wait_alu 0xfffe
	s_or_b32 s63, s6, s7
.LBB68_201:                             ;   in Loop: Header=BB68_7 Depth=1
	s_or_b32 exec_lo, exec_lo, s14
	s_mov_b32 s25, 0
	s_mov_b32 s60, -1
.LBB68_202:                             ;   in Loop: Header=BB68_7 Depth=1
	s_wait_alu 0xfffe
	s_or_not1_b32 s6, s63, exec_lo
.LBB68_203:                             ;   in Loop: Header=BB68_7 Depth=1
	s_wait_alu 0xfffe
	s_or_b32 exec_lo, exec_lo, s62
	s_mov_b32 s7, 0
	s_and_saveexec_b32 s14, s6
	s_cbranch_execz .LBB68_261
; %bb.204:                              ;   in Loop: Header=BB68_7 Depth=1
	v_mov_b32_e32 v6, 1
	v_dual_mov_b32 v7, 0 :: v_dual_mov_b32 v2, 1
	s_xor_b32 s12, s61, -1
	s_wait_alu 0xfffe
	s_and_saveexec_b32 s6, s12
	s_cbranch_execz .LBB68_213
; %bb.205:                              ;   in Loop: Header=BB68_7 Depth=1
	s_mov_b32 s7, exec_lo
	v_cmpx_ge_i64_e64 s[10:11], v[4:5]
	s_wait_alu 0xfffe
	s_xor_b32 s7, exec_lo, s7
	s_cbranch_execz .LBB68_210
; %bb.206:                              ;   in Loop: Header=BB68_7 Depth=1
	ds_load_b64 v[6:7], v3 offset:5120
	s_lshl_b32 s12, 2, s92
	v_or_b32_e32 v45, s16, v45
	s_wait_alu 0xfffe
	v_and_or_b32 v20, v20, s20, s12
	s_wait_dscnt 0x0
	v_cmp_ne_u64_e32 vcc_lo, 0, v[6:7]
	s_cbranch_vccnz .LBB68_210
; %bb.207:                              ;   in Loop: Header=BB68_7 Depth=1
	s_and_saveexec_b32 s12, s2
; %bb.208:                              ;   in Loop: Header=BB68_7 Depth=1
	v_dual_mov_b32 v6, s10 :: v_dual_mov_b32 v7, s11
	ds_store_b64 v3, v[6:7] offset:5128
; %bb.209:                              ;   in Loop: Header=BB68_7 Depth=1
	s_wait_alu 0xfffe
	s_or_b32 exec_lo, exec_lo, s12
	s_wait_loadcnt_dscnt 0x0
	s_barrier_signal -1
	s_barrier_wait -1
	global_inv scope:SCOPE_SE
.LBB68_210:                             ;   in Loop: Header=BB68_7 Depth=1
	s_wait_alu 0xfffe
	s_or_saveexec_b32 s7, s7
	v_mov_b32_e32 v2, 8
	s_mov_b32 s12, 0
	s_wait_alu 0xfffe
	s_xor_b32 exec_lo, exec_lo, s7
; %bb.211:                              ;   in Loop: Header=BB68_7 Depth=1
	v_sub_co_u32 v4, vcc_lo, v4, s10
	s_wait_alu 0xfffd
	v_subrev_co_ci_u32_e64 v5, null, s11, v5, vcc_lo
	v_mov_b32_e32 v2, 0
	s_mov_b32 s12, exec_lo
; %bb.212:                              ;   in Loop: Header=BB68_7 Depth=1
	s_or_b32 exec_lo, exec_lo, s7
	s_delay_alu instid0(VALU_DEP_2)
	v_dual_mov_b32 v7, v5 :: v_dual_mov_b32 v6, v4
	s_wait_alu 0xfffe
	s_and_b32 s7, s12, exec_lo
.LBB68_213:                             ;   in Loop: Header=BB68_7 Depth=1
	s_wait_alu 0xfffe
	s_or_b32 exec_lo, exec_lo, s6
	s_mov_b32 s6, -1
                                        ; implicit-def: $sgpr63
                                        ; implicit-def: $sgpr62
	s_and_saveexec_b32 s15, s7
	s_cbranch_execz .LBB68_260
; %bb.214:                              ;   in Loop: Header=BB68_7 Depth=1
	v_cmp_eq_u64_e32 vcc_lo, 1, v[6:7]
	s_cmp_eq_u64 s[8:9], 1
	s_mov_b32 s7, -1
	s_cselect_b32 s6, -1, 0
                                        ; implicit-def: $sgpr63
                                        ; implicit-def: $sgpr62
	s_wait_alu 0xfffe
	s_and_b32 s20, s6, vcc_lo
	s_wait_alu 0xfffe
	s_and_saveexec_b32 s61, s20
	s_cbranch_execz .LBB68_248
; %bb.215:                              ;   in Loop: Header=BB68_7 Depth=1
	ds_load_b64 v[4:5], v3 offset:5120
	s_wait_loadcnt_dscnt 0x0
	s_barrier_signal -1
	s_barrier_wait -1
	global_inv scope:SCOPE_SE
	v_readfirstlane_b32 s10, v4
	v_readfirstlane_b32 s11, v5
	s_and_saveexec_b32 s6, s3
; %bb.216:                              ;   in Loop: Header=BB68_7 Depth=1
	ds_store_b16 v34, v3
; %bb.217:                              ;   in Loop: Header=BB68_7 Depth=1
	s_wait_alu 0xfffe
	s_or_b32 exec_lo, exec_lo, s6
	v_cmp_gt_i64_e64 s6, s[10:11], 0
	v_or_b32_e32 v20, s16, v20
	v_or_b32_e32 v45, s16, v45
	s_mov_b32 s62, -1
	s_mov_b32 s63, 0
	s_mov_b32 s64, 0
	s_and_b32 vcc_lo, exec_lo, s6
	s_wait_loadcnt_dscnt 0x0
	s_barrier_signal -1
	s_barrier_wait -1
	global_inv scope:SCOPE_SE
                                        ; implicit-def: $vgpr46
	s_wait_alu 0xfffe
	s_cbranch_vccnz .LBB68_233
; %bb.218:                              ;   in Loop: Header=BB68_7 Depth=1
	s_mov_b32 s6, s51
	s_mov_b32 s7, s55
	s_wait_alu 0xfffe
	s_cmp_lg_u64 s[6:7], 0
	s_cbranch_scc0 .LBB68_267
; %bb.219:                              ;   in Loop: Header=BB68_7 Depth=1
	s_add_nc_u64 s[6:7], s[44:45], 0
	s_wait_alu 0xfffe
	s_xor_b64 s[6:7], s[6:7], 0
	s_wait_alu 0xfffe
	s_cvt_f32_u32 s12, s6
	s_cvt_f32_u32 s13, s7
	s_sub_nc_u64 s[64:65], 0, s[6:7]
	s_wait_alu 0xfffe
	s_delay_alu instid0(SALU_CYCLE_1) | instskip(SKIP_1) | instid1(SALU_CYCLE_2)
	s_fmamk_f32 s12, s13, 0x4f800000, s12
	s_wait_alu 0xfffe
	v_s_rcp_f32 s12, s12
	s_delay_alu instid0(TRANS32_DEP_1) | instskip(SKIP_1) | instid1(SALU_CYCLE_2)
	s_mul_f32 s12, s12, 0x5f7ffffc
	s_wait_alu 0xfffe
	s_mul_f32 s13, s12, 0x2f800000
	s_wait_alu 0xfffe
	s_delay_alu instid0(SALU_CYCLE_2) | instskip(SKIP_1) | instid1(SALU_CYCLE_2)
	s_trunc_f32 s13, s13
	s_wait_alu 0xfffe
	s_fmamk_f32 s12, s13, 0xcf800000, s12
	s_cvt_u32_f32 s13, s13
	s_wait_alu 0xfffe
	s_delay_alu instid0(SALU_CYCLE_1) | instskip(SKIP_1) | instid1(SALU_CYCLE_2)
	s_cvt_u32_f32 s12, s12
	s_wait_alu 0xfffe
	s_mul_u64 s[66:67], s[64:65], s[12:13]
	s_wait_alu 0xfffe
	s_mul_hi_u32 s69, s12, s67
	s_mul_i32 s68, s12, s67
	s_mul_hi_u32 s50, s12, s66
	s_mul_i32 s71, s13, s66
	s_wait_alu 0xfffe
	s_add_nc_u64 s[68:69], s[50:51], s[68:69]
	s_mul_hi_u32 s70, s13, s66
	s_mul_hi_u32 s72, s13, s67
	s_wait_alu 0xfffe
	s_add_co_u32 s50, s68, s71
	s_add_co_ci_u32 s50, s69, s70
	s_mul_i32 s66, s13, s67
	s_add_co_ci_u32 s67, s72, 0
	s_wait_alu 0xfffe
	s_add_nc_u64 s[66:67], s[50:51], s[66:67]
	s_wait_alu 0xfffe
	s_add_co_u32 s12, s12, s66
	s_cselect_b32 s50, -1, 0
	s_wait_alu 0xfffe
	s_cmp_lg_u32 s50, 0
	s_add_co_ci_u32 s13, s13, s67
	s_wait_alu 0xfffe
	s_mul_u64 s[64:65], s[64:65], s[12:13]
	s_wait_alu 0xfffe
	s_mul_hi_u32 s67, s12, s65
	s_mul_i32 s66, s12, s65
	s_mul_hi_u32 s50, s12, s64
	s_mul_i32 s69, s13, s64
	s_wait_alu 0xfffe
	s_add_nc_u64 s[66:67], s[50:51], s[66:67]
	s_mul_hi_u32 s68, s13, s64
	s_mul_hi_u32 s70, s13, s65
	s_wait_alu 0xfffe
	s_add_co_u32 s50, s66, s69
	s_add_co_ci_u32 s50, s67, s68
	s_mul_i32 s64, s13, s65
	s_add_co_ci_u32 s65, s70, 0
	s_wait_alu 0xfffe
	s_add_nc_u64 s[64:65], s[50:51], s[64:65]
	s_wait_alu 0xfffe
	s_add_co_u32 s68, s12, s64
	s_cselect_b32 s12, -1, 0
	s_wait_alu 0xfffe
	s_cmp_lg_u32 s12, 0
	s_add_co_ci_u32 s69, s13, s65
	s_ashr_i32 s12, s55, 31
	s_wait_alu 0xfffe
	s_mov_b32 s13, s12
	s_wait_alu 0xfffe
	s_add_nc_u64 s[64:65], s[54:55], s[12:13]
	s_wait_alu 0xfffe
	s_xor_b64 s[64:65], s[64:65], s[12:13]
	s_wait_alu 0xfffe
	s_mul_hi_u32 s67, s64, s69
	s_mul_i32 s66, s64, s69
	s_mul_hi_u32 s50, s64, s68
	s_mul_i32 s72, s65, s68
	s_wait_alu 0xfffe
	s_add_nc_u64 s[66:67], s[50:51], s[66:67]
	s_mul_hi_u32 s71, s65, s68
	s_mul_hi_u32 s70, s65, s69
	s_wait_alu 0xfffe
	s_add_co_u32 s50, s66, s72
	s_add_co_ci_u32 s50, s67, s71
	s_mul_i32 s68, s65, s69
	s_add_co_ci_u32 s69, s70, 0
	s_wait_alu 0xfffe
	s_add_nc_u64 s[66:67], s[50:51], s[68:69]
	s_wait_alu 0xfffe
	s_mul_u64 s[66:67], s[6:7], s[66:67]
	s_wait_alu 0xfffe
	s_sub_co_u32 s50, s64, s66
	s_cselect_b32 s64, -1, 0
	s_sub_co_i32 s66, s65, s67
	s_wait_alu 0xfffe
	s_cmp_lg_u32 s64, 0
	s_sub_co_ci_u32 s66, s66, s7
	s_sub_co_u32 s68, s50, s6
	s_cselect_b32 s69, -1, 0
	s_wait_alu 0xfffe
	s_cmp_lg_u32 s69, 0
	s_sub_co_ci_u32 s70, s66, 0
	s_delay_alu instid0(SALU_CYCLE_1)
	s_cmp_ge_u32 s70, s7
	s_cselect_b32 s71, -1, 0
	s_cmp_ge_u32 s68, s6
	s_cselect_b32 s72, -1, 0
	s_cmp_eq_u32 s70, s7
	s_wait_alu 0xfffe
	s_cselect_b32 s71, s72, s71
	s_cmp_lg_u32 s69, 0
	s_sub_co_ci_u32 s66, s66, s7
	s_sub_co_u32 s69, s68, s6
	s_cselect_b32 s72, -1, 0
	s_wait_alu 0xfffe
	s_cmp_lg_u32 s72, 0
	s_sub_co_ci_u32 s66, s66, 0
	s_cmp_lg_u32 s71, 0
	s_cselect_b32 s68, s69, s68
	s_wait_alu 0xfffe
	s_cselect_b32 s66, s66, s70
	s_cmp_lg_u32 s64, 0
	s_sub_co_ci_u32 s64, s65, s67
	s_wait_alu 0xfffe
	s_cmp_ge_u32 s64, s7
	s_cselect_b32 s65, -1, 0
	s_cmp_ge_u32 s50, s6
	s_cselect_b32 s6, -1, 0
	s_cmp_eq_u32 s64, s7
	s_wait_alu 0xfffe
	s_cselect_b32 s6, s6, s65
	s_wait_alu 0xfffe
	s_cmp_lg_u32 s6, 0
	s_cselect_b32 s7, s66, s64
	s_cselect_b32 s6, s68, s50
	s_wait_alu 0xfffe
	s_xor_b64 s[6:7], s[6:7], s[12:13]
	s_wait_alu 0xfffe
	s_sub_nc_u64 s[6:7], s[6:7], s[12:13]
	s_cbranch_execnz .LBB68_221
.LBB68_220:                             ;   in Loop: Header=BB68_7 Depth=1
	v_cvt_f32_u32_e32 v4, s44
	s_sub_co_i32 s7, 0, s44
	s_delay_alu instid0(VALU_DEP_1) | instskip(NEXT) | instid1(TRANS32_DEP_1)
	v_rcp_iflag_f32_e32 v4, v4
	v_mul_f32_e32 v4, 0x4f7ffffe, v4
	s_delay_alu instid0(VALU_DEP_1) | instskip(NEXT) | instid1(VALU_DEP_1)
	v_cvt_u32_f32_e32 v4, v4
	v_readfirstlane_b32 s6, v4
	s_wait_alu 0xfffe
	s_mul_i32 s7, s7, s6
	s_wait_alu 0xfffe
	s_mul_hi_u32 s7, s6, s7
	s_wait_alu 0xfffe
	s_add_co_i32 s6, s6, s7
	s_wait_alu 0xfffe
	s_mul_hi_u32 s6, s54, s6
	s_wait_alu 0xfffe
	s_mul_i32 s6, s6, s44
	s_wait_alu 0xfffe
	s_sub_co_i32 s6, s54, s6
	s_wait_alu 0xfffe
	s_sub_co_i32 s7, s6, s44
	s_cmp_ge_u32 s6, s44
	s_wait_alu 0xfffe
	s_cselect_b32 s6, s7, s6
	s_wait_alu 0xfffe
	s_sub_co_i32 s7, s6, s44
	s_cmp_ge_u32 s6, s44
	s_wait_alu 0xfffe
	s_cselect_b32 s50, s7, s6
	s_wait_alu 0xfffe
	s_mov_b64 s[6:7], s[50:51]
.LBB68_221:                             ;   in Loop: Header=BB68_7 Depth=1
	s_wait_alu 0xfffe
	s_sub_nc_u64 s[12:13], s[54:55], s[6:7]
	s_mov_b32 s7, 0
	s_mov_b32 s64, 0
	s_mov_b32 s50, exec_lo
                                        ; implicit-def: $vgpr46
	s_wait_alu 0xfffe
	v_cmpx_gt_i64_e64 s[12:13], v[0:1]
	s_cbranch_execz .LBB68_232
; %bb.222:                              ;   in Loop: Header=BB68_7 Depth=1
	v_dual_mov_b32 v4, v12 :: v_dual_mov_b32 v5, v13
	v_dual_mov_b32 v9, v1 :: v_dual_mov_b32 v8, v0
                                        ; implicit-def: $sgpr65
	s_branch .LBB68_225
.LBB68_223:                             ;   in Loop: Header=BB68_225 Depth=2
	s_wait_alu 0xfffe
	s_or_b32 exec_lo, exec_lo, s6
	s_wait_loadcnt_dscnt 0x0
	s_barrier_signal -1
	s_barrier_wait -1
	global_inv scope:SCOPE_SE
	ds_load_b32 v10, v3 offset:3072
	s_mov_b32 s6, -1
	s_mov_b32 s66, -1
	s_wait_loadcnt_dscnt 0x0
	s_barrier_signal -1
	s_barrier_wait -1
	global_inv scope:SCOPE_SE
	v_and_b32_e32 v11, 0x7fff, v10
	s_delay_alu instid0(VALU_DEP_1)
	v_cmp_ne_u32_e32 vcc_lo, 0, v11
	s_cbranch_vccz .LBB68_228
.LBB68_224:                             ;   in Loop: Header=BB68_225 Depth=2
	s_wait_alu 0xfffe
	s_and_b32 s6, exec_lo, s6
	s_wait_alu 0xfffe
	s_or_b32 s64, s6, s64
	s_and_not1_b32 s6, s65, exec_lo
	s_and_b32 s65, s66, exec_lo
	s_wait_alu 0xfffe
	s_or_b32 s65, s6, s65
	s_and_not1_b32 exec_lo, exec_lo, s64
	s_cbranch_execz .LBB68_231
.LBB68_225:                             ;   Parent Loop BB68_7 Depth=1
                                        ; =>  This Inner Loop Header: Depth=2
	s_mov_b32 s6, exec_lo
	s_delay_alu instid0(VALU_DEP_1)
	v_cmpx_gt_i64_e64 s[36:37], v[8:9]
	s_cbranch_execz .LBB68_223
; %bb.226:                              ;   in Loop: Header=BB68_225 Depth=2
	global_load_u16 v10, v[4:5], off
	s_wait_loadcnt 0x0
	v_cmp_lt_i16_e32 vcc_lo, -1, v10
	v_and_b32_e32 v11, 0xffff, v10
	s_wait_alu 0xfffd
	v_dual_cndmask_b32 v26, 0xffff, v44 :: v_dual_lshlrev_b32 v27, 16, v10
	s_delay_alu instid0(VALU_DEP_1) | instskip(NEXT) | instid1(VALU_DEP_2)
	v_cmp_o_f32_e32 vcc_lo, v27, v27
	v_xor_b32_e32 v11, v26, v11
	s_wait_alu 0xfffd
	s_delay_alu instid0(VALU_DEP_1) | instskip(NEXT) | instid1(VALU_DEP_1)
	v_cndmask_b32_e32 v11, 0xffff, v11, vcc_lo
	v_and_b32_e32 v11, v11, v45
	s_delay_alu instid0(VALU_DEP_1)
	v_cmp_eq_u32_e32 vcc_lo, v11, v20
	s_and_b32 exec_lo, exec_lo, vcc_lo
	s_cbranch_execz .LBB68_223
; %bb.227:                              ;   in Loop: Header=BB68_225 Depth=2
	v_perm_b32 v10, v10, s91, 0x5040100
	ds_store_b32 v3, v10 offset:3072
	s_branch .LBB68_223
.LBB68_228:                             ;   in Loop: Header=BB68_225 Depth=2
	v_add_co_u32 v8, vcc_lo, v8, s44
	s_wait_alu 0xfffd
	v_add_co_ci_u32_e64 v9, null, 0, v9, vcc_lo
	v_add_co_u32 v4, s6, v4, s46
	s_wait_alu 0xf1fe
	v_add_co_ci_u32_e64 v5, null, s47, v5, s6
	s_delay_alu instid0(VALU_DEP_3)
	v_cmp_le_i64_e32 vcc_lo, s[12:13], v[8:9]
	s_mov_b32 s66, 0
	s_or_not1_b32 s6, vcc_lo, exec_lo
	s_branch .LBB68_224
.LBB68_229:                             ;   in Loop: Header=BB68_7 Depth=1
                                        ; implicit-def: $sgpr6_sgpr7
	s_branch .LBB68_175
.LBB68_230:                             ;   in Loop: Header=BB68_7 Depth=1
                                        ; implicit-def: $sgpr14_sgpr15
	s_branch .LBB68_191
.LBB68_231:                             ;   in Loop: Header=BB68_7 Depth=1
	s_or_b32 exec_lo, exec_lo, s64
	v_lshrrev_b32_e32 v46, 16, v10
	s_wait_alu 0xfffe
	s_and_b32 s64, s65, exec_lo
.LBB68_232:                             ;   in Loop: Header=BB68_7 Depth=1
	s_or_b32 exec_lo, exec_lo, s50
.LBB68_233:                             ;   in Loop: Header=BB68_7 Depth=1
	s_delay_alu instid0(SALU_CYCLE_1)
	s_and_b32 vcc_lo, exec_lo, s7
	s_wait_alu 0xfffe
	s_cbranch_vccz .LBB68_247
; %bb.234:                              ;   in Loop: Header=BB68_7 Depth=1
	s_add_nc_u64 s[6:7], s[10:11], s[52:53]
	s_mov_b32 s12, s51
	s_wait_alu 0xfffe
	s_mov_b32 s13, s7
	s_wait_alu 0xfffe
	s_cmp_lg_u64 s[12:13], 0
	s_cbranch_scc0 .LBB68_268
; %bb.235:                              ;   in Loop: Header=BB68_7 Depth=1
	s_add_nc_u64 s[12:13], s[44:45], 0
	s_wait_alu 0xfffe
	s_xor_b64 s[12:13], s[12:13], 0
	s_wait_alu 0xfffe
	s_cvt_f32_u32 s50, s12
	s_cvt_f32_u32 s62, s13
	s_sub_nc_u64 s[66:67], 0, s[12:13]
	s_wait_alu 0xfffe
	s_delay_alu instid0(SALU_CYCLE_1) | instskip(SKIP_1) | instid1(SALU_CYCLE_2)
	s_fmamk_f32 s50, s62, 0x4f800000, s50
	s_wait_alu 0xfffe
	v_s_rcp_f32 s50, s50
	s_delay_alu instid0(TRANS32_DEP_1) | instskip(SKIP_1) | instid1(SALU_CYCLE_2)
	s_mul_f32 s50, s50, 0x5f7ffffc
	s_wait_alu 0xfffe
	s_mul_f32 s62, s50, 0x2f800000
	s_wait_alu 0xfffe
	s_delay_alu instid0(SALU_CYCLE_2) | instskip(SKIP_1) | instid1(SALU_CYCLE_2)
	s_trunc_f32 s62, s62
	s_wait_alu 0xfffe
	s_fmamk_f32 s50, s62, 0xcf800000, s50
	s_cvt_u32_f32 s63, s62
	s_wait_alu 0xfffe
	s_delay_alu instid0(SALU_CYCLE_1) | instskip(SKIP_1) | instid1(SALU_CYCLE_2)
	s_cvt_u32_f32 s62, s50
	s_wait_alu 0xfffe
	s_mul_u64 s[68:69], s[66:67], s[62:63]
	s_wait_alu 0xfffe
	s_mul_hi_u32 s71, s62, s69
	s_mul_i32 s70, s62, s69
	s_mul_hi_u32 s50, s62, s68
	s_mul_i32 s72, s63, s68
	s_wait_alu 0xfffe
	s_add_nc_u64 s[70:71], s[50:51], s[70:71]
	s_mul_hi_u32 s65, s63, s68
	s_mul_hi_u32 s73, s63, s69
	s_add_co_u32 s50, s70, s72
	s_wait_alu 0xfffe
	s_add_co_ci_u32 s50, s71, s65
	s_mul_i32 s68, s63, s69
	s_add_co_ci_u32 s69, s73, 0
	s_wait_alu 0xfffe
	s_add_nc_u64 s[68:69], s[50:51], s[68:69]
	s_wait_alu 0xfffe
	s_add_co_u32 s62, s62, s68
	s_cselect_b32 s50, -1, 0
	s_wait_alu 0xfffe
	s_cmp_lg_u32 s50, 0
	s_add_co_ci_u32 s63, s63, s69
	s_wait_alu 0xfffe
	s_mul_u64 s[66:67], s[66:67], s[62:63]
	s_wait_alu 0xfffe
	s_mul_hi_u32 s69, s62, s67
	s_mul_i32 s68, s62, s67
	s_mul_hi_u32 s50, s62, s66
	s_mul_i32 s70, s63, s66
	s_wait_alu 0xfffe
	s_add_nc_u64 s[68:69], s[50:51], s[68:69]
	s_mul_hi_u32 s65, s63, s66
	s_mul_hi_u32 s71, s63, s67
	s_wait_alu 0xfffe
	s_add_co_u32 s50, s68, s70
	s_add_co_ci_u32 s50, s69, s65
	s_mul_i32 s66, s63, s67
	s_add_co_ci_u32 s67, s71, 0
	s_wait_alu 0xfffe
	s_add_nc_u64 s[66:67], s[50:51], s[66:67]
	s_wait_alu 0xfffe
	s_add_co_u32 s65, s62, s66
	s_cselect_b32 s50, -1, 0
	s_wait_alu 0xfffe
	s_cmp_lg_u32 s50, 0
	s_add_co_ci_u32 s70, s63, s67
	s_ashr_i32 s62, s7, 31
	s_wait_alu 0xfffe
	s_mov_b32 s63, s62
	s_wait_alu 0xfffe
	s_add_nc_u64 s[66:67], s[6:7], s[62:63]
	s_wait_alu 0xfffe
	s_xor_b64 s[66:67], s[66:67], s[62:63]
	s_wait_alu 0xfffe
	s_mul_hi_u32 s69, s66, s70
	s_mul_i32 s68, s66, s70
	s_mul_hi_u32 s50, s66, s65
	s_mul_hi_u32 s72, s67, s65
	s_mul_i32 s65, s67, s65
	s_wait_alu 0xfffe
	s_add_nc_u64 s[68:69], s[50:51], s[68:69]
	s_mul_hi_u32 s71, s67, s70
	s_wait_alu 0xfffe
	s_add_co_u32 s50, s68, s65
	s_add_co_ci_u32 s50, s69, s72
	s_mul_i32 s70, s67, s70
	s_add_co_ci_u32 s71, s71, 0
	s_wait_alu 0xfffe
	s_add_nc_u64 s[68:69], s[50:51], s[70:71]
	s_wait_alu 0xfffe
	s_mul_u64 s[68:69], s[12:13], s[68:69]
	s_wait_alu 0xfffe
	s_sub_co_u32 s50, s66, s68
	s_cselect_b32 s65, -1, 0
	s_sub_co_i32 s66, s67, s69
	s_wait_alu 0xfffe
	s_cmp_lg_u32 s65, 0
	s_sub_co_ci_u32 s66, s66, s13
	s_sub_co_u32 s68, s50, s12
	s_cselect_b32 s70, -1, 0
	s_delay_alu instid0(SALU_CYCLE_1) | instskip(SKIP_2) | instid1(SALU_CYCLE_1)
	s_cmp_lg_u32 s70, 0
	s_wait_alu 0xfffe
	s_sub_co_ci_u32 s71, s66, 0
	s_cmp_ge_u32 s71, s13
	s_cselect_b32 s72, -1, 0
	s_cmp_ge_u32 s68, s12
	s_cselect_b32 s73, -1, 0
	s_cmp_eq_u32 s71, s13
	s_wait_alu 0xfffe
	s_cselect_b32 s72, s73, s72
	s_cmp_lg_u32 s70, 0
	s_sub_co_ci_u32 s66, s66, s13
	s_sub_co_u32 s70, s68, s12
	s_cselect_b32 s73, -1, 0
	s_wait_alu 0xfffe
	s_cmp_lg_u32 s73, 0
	s_sub_co_ci_u32 s66, s66, 0
	s_cmp_lg_u32 s72, 0
	s_cselect_b32 s68, s70, s68
	s_wait_alu 0xfffe
	s_cselect_b32 s66, s66, s71
	s_cmp_lg_u32 s65, 0
	s_sub_co_ci_u32 s65, s67, s69
	s_wait_alu 0xfffe
	s_cmp_ge_u32 s65, s13
	s_cselect_b32 s67, -1, 0
	s_cmp_ge_u32 s50, s12
	s_cselect_b32 s12, -1, 0
	s_cmp_eq_u32 s65, s13
	s_wait_alu 0xfffe
	s_cselect_b32 s12, s12, s67
	s_wait_alu 0xfffe
	s_cmp_lg_u32 s12, 0
	s_cselect_b32 s13, s66, s65
	s_cselect_b32 s12, s68, s50
	s_wait_alu 0xfffe
	s_xor_b64 s[12:13], s[12:13], s[62:63]
	s_wait_alu 0xfffe
	s_sub_nc_u64 s[12:13], s[12:13], s[62:63]
	s_cbranch_execnz .LBB68_237
.LBB68_236:                             ;   in Loop: Header=BB68_7 Depth=1
	v_cvt_f32_u32_e32 v4, s44
	s_sub_co_i32 s13, 0, s44
	s_delay_alu instid0(VALU_DEP_1) | instskip(NEXT) | instid1(TRANS32_DEP_1)
	v_rcp_iflag_f32_e32 v4, v4
	v_mul_f32_e32 v4, 0x4f7ffffe, v4
	s_delay_alu instid0(VALU_DEP_1) | instskip(NEXT) | instid1(VALU_DEP_1)
	v_cvt_u32_f32_e32 v4, v4
	v_readfirstlane_b32 s12, v4
	s_wait_alu 0xfffe
	s_mul_i32 s13, s13, s12
	s_wait_alu 0xfffe
	s_mul_hi_u32 s13, s12, s13
	s_wait_alu 0xfffe
	s_add_co_i32 s12, s12, s13
	s_wait_alu 0xfffe
	s_mul_hi_u32 s12, s6, s12
	s_wait_alu 0xfffe
	s_mul_i32 s12, s12, s44
	s_wait_alu 0xfffe
	s_sub_co_i32 s12, s6, s12
	s_wait_alu 0xfffe
	s_sub_co_i32 s13, s12, s44
	s_cmp_ge_u32 s12, s44
	s_wait_alu 0xfffe
	s_cselect_b32 s12, s13, s12
	s_wait_alu 0xfffe
	s_sub_co_i32 s13, s12, s44
	s_cmp_ge_u32 s12, s44
	s_wait_alu 0xfffe
	s_cselect_b32 s50, s13, s12
	s_wait_alu 0xfffe
	s_mov_b64 s[12:13], s[50:51]
.LBB68_237:                             ;   in Loop: Header=BB68_7 Depth=1
	s_wait_alu 0xfffe
	s_sub_nc_u64 s[6:7], s[6:7], s[12:13]
	s_mov_b32 s12, exec_lo
                                        ; implicit-def: $vgpr46
	s_wait_alu 0xfffe
	v_cmpx_gt_i64_e64 s[6:7], v[0:1]
	s_cbranch_execz .LBB68_246
; %bb.238:                              ;   in Loop: Header=BB68_7 Depth=1
	v_dual_mov_b32 v8, v33 :: v_dual_mov_b32 v5, v1
	v_mov_b32_e32 v4, v0
	s_mov_b32 s13, 0
                                        ; implicit-def: $sgpr50
	s_branch .LBB68_241
.LBB68_239:                             ;   in Loop: Header=BB68_241 Depth=2
	s_wait_alu 0xfffe
	s_or_b32 exec_lo, exec_lo, s62
	s_wait_loadcnt_dscnt 0x0
	s_barrier_signal -1
	s_barrier_wait -1
	global_inv scope:SCOPE_SE
	ds_load_b32 v9, v3 offset:3072
	s_mov_b32 s62, -1
	s_mov_b32 s63, -1
	s_wait_loadcnt_dscnt 0x0
	s_barrier_signal -1
	s_barrier_wait -1
	global_inv scope:SCOPE_SE
	v_and_b32_e32 v10, 0x7fff, v9
	s_delay_alu instid0(VALU_DEP_1)
	v_cmp_eq_u32_e32 vcc_lo, 0, v10
	s_cbranch_vccnz .LBB68_244
.LBB68_240:                             ;   in Loop: Header=BB68_241 Depth=2
	s_wait_alu 0xfffe
	s_and_b32 s62, exec_lo, s62
	s_wait_alu 0xfffe
	s_or_b32 s13, s62, s13
	s_and_not1_b32 s50, s50, exec_lo
	s_and_b32 s62, s63, exec_lo
	s_wait_alu 0xfffe
	s_or_b32 s50, s50, s62
	s_and_not1_b32 exec_lo, exec_lo, s13
	s_cbranch_execz .LBB68_245
.LBB68_241:                             ;   Parent Loop BB68_7 Depth=1
                                        ; =>  This Inner Loop Header: Depth=2
	s_mov_b32 s62, exec_lo
	s_delay_alu instid0(VALU_DEP_1)
	v_cmpx_gt_u64_e64 s[10:11], v[4:5]
	s_cbranch_execz .LBB68_239
; %bb.242:                              ;   in Loop: Header=BB68_241 Depth=2
	ds_load_u16 v9, v8
	s_wait_dscnt 0x0
	v_cmp_lt_i16_e32 vcc_lo, -1, v9
	v_and_b32_e32 v10, 0xffff, v9
	s_wait_alu 0xfffd
	v_dual_cndmask_b32 v11, 0xffff, v44 :: v_dual_lshlrev_b32 v26, 16, v9
	s_delay_alu instid0(VALU_DEP_1) | instskip(NEXT) | instid1(VALU_DEP_2)
	v_cmp_o_f32_e32 vcc_lo, v26, v26
	v_xor_b32_e32 v10, v11, v10
	s_wait_alu 0xfffd
	s_delay_alu instid0(VALU_DEP_1) | instskip(NEXT) | instid1(VALU_DEP_1)
	v_cndmask_b32_e32 v10, 0xffff, v10, vcc_lo
	v_and_b32_e32 v10, v10, v45
	s_delay_alu instid0(VALU_DEP_1)
	v_cmp_eq_u32_e32 vcc_lo, v10, v20
	s_and_b32 exec_lo, exec_lo, vcc_lo
	s_cbranch_execz .LBB68_239
; %bb.243:                              ;   in Loop: Header=BB68_241 Depth=2
	v_perm_b32 v9, v9, s91, 0x5040100
	ds_store_b32 v3, v9 offset:3072
	s_branch .LBB68_239
.LBB68_244:                             ;   in Loop: Header=BB68_241 Depth=2
	v_add_co_u32 v4, vcc_lo, v4, s44
	s_wait_alu 0xfffd
	v_add_co_ci_u32_e64 v5, null, 0, v5, vcc_lo
	v_add_nc_u32_e32 v8, s90, v8
	s_mov_b32 s63, 0
	s_delay_alu instid0(VALU_DEP_2)
	v_cmp_le_i64_e32 vcc_lo, s[6:7], v[4:5]
	s_or_not1_b32 s62, vcc_lo, exec_lo
	s_branch .LBB68_240
.LBB68_245:                             ;   in Loop: Header=BB68_7 Depth=1
	s_or_b32 exec_lo, exec_lo, s13
	v_lshrrev_b32_e32 v46, 16, v9
	s_and_not1_b32 s6, s64, exec_lo
	s_wait_alu 0xfffe
	s_and_b32 s7, s50, exec_lo
	s_wait_alu 0xfffe
	s_or_b32 s64, s6, s7
.LBB68_246:                             ;   in Loop: Header=BB68_7 Depth=1
	s_or_b32 exec_lo, exec_lo, s12
	s_mov_b32 s62, 0
	s_mov_b32 s63, -1
.LBB68_247:                             ;   in Loop: Header=BB68_7 Depth=1
	s_wait_alu 0xfffe
	s_or_not1_b32 s7, s64, exec_lo
.LBB68_248:                             ;   in Loop: Header=BB68_7 Depth=1
	s_wait_alu 0xfffe
	s_or_b32 exec_lo, exec_lo, s61
	s_mov_b32 s10, 0
	s_and_saveexec_b32 s6, s7
	s_cbranch_execz .LBB68_259
; %bb.249:                              ;   in Loop: Header=BB68_7 Depth=1
	v_mov_b32_e32 v4, 1
	v_dual_mov_b32 v5, 0 :: v_dual_mov_b32 v2, 1
	s_xor_b32 s10, s20, -1
	s_wait_alu 0xfffe
	s_and_saveexec_b32 s7, s10
	s_cbranch_execz .LBB68_258
; %bb.250:                              ;   in Loop: Header=BB68_7 Depth=1
	s_mov_b32 s10, exec_lo
	v_cmpx_ge_i64_e64 s[8:9], v[6:7]
	s_wait_alu 0xfffe
	s_xor_b32 s10, exec_lo, s10
	s_cbranch_execz .LBB68_255
; %bb.251:                              ;   in Loop: Header=BB68_7 Depth=1
	ds_load_b64 v[4:5], v3 offset:5120
	v_or_b32_e32 v20, s16, v20
	v_or_b32_e32 v45, s16, v45
	s_wait_dscnt 0x0
	v_cmp_ne_u64_e32 vcc_lo, 0, v[4:5]
	s_cbranch_vccnz .LBB68_255
; %bb.252:                              ;   in Loop: Header=BB68_7 Depth=1
	s_and_saveexec_b32 s11, s2
; %bb.253:                              ;   in Loop: Header=BB68_7 Depth=1
	v_dual_mov_b32 v4, s8 :: v_dual_mov_b32 v5, s9
	ds_store_b64 v3, v[4:5] offset:5128
; %bb.254:                              ;   in Loop: Header=BB68_7 Depth=1
	s_wait_alu 0xfffe
	s_or_b32 exec_lo, exec_lo, s11
	s_wait_loadcnt_dscnt 0x0
	s_barrier_signal -1
	s_barrier_wait -1
	global_inv scope:SCOPE_SE
.LBB68_255:                             ;   in Loop: Header=BB68_7 Depth=1
	s_wait_alu 0xfffe
	s_and_not1_saveexec_b32 s10, s10
; %bb.256:                              ;   in Loop: Header=BB68_7 Depth=1
	v_sub_co_u32 v6, vcc_lo, v6, s8
	s_wait_alu 0xfffd
	v_subrev_co_ci_u32_e64 v7, null, s9, v7, vcc_lo
; %bb.257:                              ;   in Loop: Header=BB68_7 Depth=1
	s_wait_alu 0xfffe
	s_or_b32 exec_lo, exec_lo, s10
	v_mov_b32_e32 v4, v6
	s_delay_alu instid0(VALU_DEP_2)
	v_dual_mov_b32 v2, 8 :: v_dual_mov_b32 v5, v7
.LBB68_258:                             ;   in Loop: Header=BB68_7 Depth=1
	s_wait_alu 0xfffe
	s_or_b32 exec_lo, exec_lo, s7
	s_delay_alu instid0(VALU_DEP_1)
	v_dual_mov_b32 v7, v5 :: v_dual_mov_b32 v6, v4
	s_mov_b32 s10, exec_lo
.LBB68_259:                             ;   in Loop: Header=BB68_7 Depth=1
	s_wait_alu 0xfffe
	s_or_b32 exec_lo, exec_lo, s6
	s_delay_alu instid0(SALU_CYCLE_1)
	s_or_not1_b32 s6, s10, exec_lo
.LBB68_260:                             ;   in Loop: Header=BB68_7 Depth=1
	s_wait_alu 0xfffe
	s_or_b32 exec_lo, exec_lo, s15
	v_dual_mov_b32 v4, v6 :: v_dual_mov_b32 v5, v7
	s_and_not1_b32 s7, s60, exec_lo
	s_and_b32 s8, s63, exec_lo
	s_and_not1_b32 s9, s25, exec_lo
	s_and_b32 s10, s62, exec_lo
	s_wait_alu 0xfffe
	s_or_b32 s60, s7, s8
	s_or_b32 s25, s9, s10
	s_and_b32 s7, s6, exec_lo
.LBB68_261:                             ;   in Loop: Header=BB68_7 Depth=1
	s_wait_alu 0xfffe
	s_or_b32 exec_lo, exec_lo, s14
	s_delay_alu instid0(SALU_CYCLE_1)
	s_or_not1_b32 s6, s7, exec_lo
.LBB68_262:                             ;   in Loop: Header=BB68_7 Depth=1
	s_wait_alu 0xfffe
	s_or_b32 exec_lo, exec_lo, s24
	v_dual_mov_b32 v9, v5 :: v_dual_mov_b32 v8, v4
	s_and_not1_b32 s7, s22, exec_lo
	s_and_b32 s8, s60, exec_lo
	s_and_not1_b32 s9, s21, exec_lo
	s_and_b32 s10, s25, exec_lo
	s_wait_alu 0xfffe
	s_or_b32 s22, s7, s8
	s_or_b32 s21, s9, s10
	s_and_b32 s7, s6, exec_lo
.LBB68_263:                             ;   in Loop: Header=BB68_7 Depth=1
	s_wait_alu 0xfffe
	s_or_b32 exec_lo, exec_lo, s23
	s_delay_alu instid0(SALU_CYCLE_1)
	s_or_not1_b32 s6, s7, exec_lo
.LBB68_264:                             ;   in Loop: Header=BB68_7 Depth=1
	s_or_b32 exec_lo, exec_lo, s19
	s_mov_b32 s7, 0
	s_wait_alu 0xfffe
	s_and_saveexec_b32 s8, s6
	s_wait_alu 0xfffe
	s_xor_b32 s6, exec_lo, s8
	s_cbranch_execz .LBB68_5
; %bb.265:                              ;   in Loop: Header=BB68_7 Depth=1
	v_and_b32_e32 v2, 7, v2
	s_mov_b32 s8, -1
	s_mov_b32 s7, -1
	s_mov_b32 s9, exec_lo
	s_delay_alu instid0(VALU_DEP_1)
	v_cmpx_eq_u32_e32 0, v2
	s_cbranch_execz .LBB68_4
; %bb.266:                              ;   in Loop: Header=BB68_7 Depth=1
	s_xor_b32 s94, s94, 1
	s_add_co_i32 s10, s92, -2
	s_cmp_eq_u32 s92, 0
	s_wait_alu 0xfffe
	s_mov_b32 s92, s10
	s_cselect_b32 s8, -1, 0
	s_xor_b32 s7, exec_lo, -1
	s_wait_alu 0xfffe
	s_or_not1_b32 s8, s8, exec_lo
	s_branch .LBB68_4
.LBB68_267:                             ;   in Loop: Header=BB68_7 Depth=1
                                        ; implicit-def: $sgpr6_sgpr7
	s_branch .LBB68_220
.LBB68_268:                             ;   in Loop: Header=BB68_7 Depth=1
                                        ; implicit-def: $sgpr12_sgpr13
	s_branch .LBB68_236
.LBB68_269:
	s_or_b32 exec_lo, exec_lo, s93
	s_xor_b32 s5, s100, -1
	s_xor_b32 s1, s98, -1
	;; [unrolled: 1-line block ×3, first 2 shown]
	s_mov_b32 s3, 0
	s_and_saveexec_b32 s6, s1
	s_wait_alu 0xfffe
	s_xor_b32 s1, exec_lo, s6
	s_cbranch_execnz .LBB68_274
; %bb.270:
	s_and_not1_saveexec_b32 s0, s1
	s_cbranch_execnz .LBB68_296
.LBB68_271:
	s_wait_alu 0xfffe
	s_or_b32 exec_lo, exec_lo, s0
	s_and_saveexec_b32 s0, s3
.LBB68_272:
	; divergent unreachable
.LBB68_273:
	s_endpgm
.LBB68_274:
	s_and_saveexec_b32 s3, s5
	s_delay_alu instid0(SALU_CYCLE_1)
	s_xor_b32 s3, exec_lo, s3
	s_cbranch_execz .LBB68_294
; %bb.275:
	s_and_saveexec_b32 s5, s4
	s_delay_alu instid0(SALU_CYCLE_1)
	s_xor_b32 s4, exec_lo, s5
; %bb.276:
	v_and_b32_e32 v2, 0x8000, v20
	v_mov_b32_e32 v3, 0xffff
	s_delay_alu instid0(VALU_DEP_2) | instskip(SKIP_1) | instid1(VALU_DEP_2)
	v_cmp_eq_u32_e32 vcc_lo, 0, v2
	s_wait_alu 0xfffd
	v_cndmask_b32_e32 v2, 0x8000, v3, vcc_lo
	s_delay_alu instid0(VALU_DEP_1)
	v_xor_b32_e32 v46, v2, v20
; %bb.277:
	s_or_b32 exec_lo, exec_lo, s4
	s_and_saveexec_b32 s4, s2
; %bb.278:
	v_dual_mov_b32 v2, 0 :: v_dual_mov_b32 v3, s36
	ds_store_b32 v2, v3 offset:5140
; %bb.279:
	s_or_b32 exec_lo, exec_lo, s4
	s_wait_loadcnt_dscnt 0x0
	s_barrier_signal -1
	s_barrier_wait -1
	global_inv scope:SCOPE_SE
	s_and_saveexec_b32 s4, s0
	s_cbranch_execz .LBB68_291
; %bb.280:
	v_mov_b32_e32 v2, 0
	v_lshlrev_b32_e32 v6, 16, v46
	s_mov_b32 s5, 0
                                        ; implicit-def: $sgpr7
                                        ; implicit-def: $sgpr8
                                        ; implicit-def: $sgpr9
	ds_load_b32 v4, v2 offset:5140
	v_cmp_u_f32_e32 vcc_lo, v6, v6
	s_xor_b32 s6, vcc_lo, -1
	s_wait_dscnt 0x0
	v_ashrrev_i32_e32 v5, 31, v4
	s_branch .LBB68_283
.LBB68_281:                             ;   in Loop: Header=BB68_283 Depth=1
	s_wait_alu 0xfffe
	s_or_b32 exec_lo, exec_lo, s13
	s_delay_alu instid0(SALU_CYCLE_1)
	s_and_not1_b32 s0, s9, exec_lo
	s_and_b32 s9, s11, exec_lo
	s_and_not1_b32 s8, s8, exec_lo
	s_and_b32 s11, s12, exec_lo
	s_wait_alu 0xfffe
	s_or_b32 s9, s0, s9
	s_or_b32 s8, s8, s11
.LBB68_282:                             ;   in Loop: Header=BB68_283 Depth=1
	s_wait_alu 0xfffe
	s_or_b32 exec_lo, exec_lo, s10
	s_delay_alu instid0(SALU_CYCLE_1)
	s_and_b32 s0, exec_lo, s8
	s_wait_alu 0xfffe
	s_or_b32 s5, s0, s5
	s_and_not1_b32 s0, s7, exec_lo
	s_and_b32 s7, s9, exec_lo
	s_wait_alu 0xfffe
	s_or_b32 s7, s0, s7
	s_and_not1_b32 exec_lo, exec_lo, s5
	s_cbranch_execz .LBB68_286
.LBB68_283:                             ; =>This Inner Loop Header: Depth=1
	v_dual_mov_b32 v3, v1 :: v_dual_mov_b32 v2, v0
	s_or_b32 s9, s9, exec_lo
	s_or_b32 s8, s8, exec_lo
	s_mov_b32 s10, exec_lo
                                        ; implicit-def: $vgpr0_vgpr1
	s_delay_alu instid0(VALU_DEP_1)
	v_cmpx_lt_i64_e64 v[2:3], v[4:5]
	s_cbranch_execz .LBB68_282
; %bb.284:                              ;   in Loop: Header=BB68_283 Depth=1
	global_load_u16 v0, v[12:13], off
	s_mov_b32 s12, -1
	s_wait_loadcnt 0x0
	v_lshlrev_b32_e32 v0, 16, v0
	s_delay_alu instid0(VALU_DEP_1)
	v_cmp_o_f32_e32 vcc_lo, v0, v0
	v_cmp_neq_f32_e64 s0, v0, v6
                                        ; implicit-def: $vgpr0_vgpr1
	s_wait_alu 0xfffe
	s_or_b32 s11, s6, vcc_lo
	s_wait_alu 0xfffe
	s_and_b32 s0, s0, s11
	s_mov_b32 s11, 0
	s_wait_alu 0xfffe
	s_and_saveexec_b32 s13, s0
	s_cbranch_execz .LBB68_281
; %bb.285:                              ;   in Loop: Header=BB68_283 Depth=1
	v_add_co_u32 v0, vcc_lo, v2, s44
	s_wait_alu 0xfffd
	v_add_co_ci_u32_e64 v1, null, 0, v3, vcc_lo
	v_add_co_u32 v12, s0, v12, s46
	s_wait_alu 0xf1ff
	v_add_co_ci_u32_e64 v13, null, s47, v13, s0
	s_delay_alu instid0(VALU_DEP_3)
	v_cmp_le_i64_e32 vcc_lo, s[36:37], v[0:1]
	s_mov_b32 s11, exec_lo
	s_or_not1_b32 s12, vcc_lo, exec_lo
	s_branch .LBB68_281
.LBB68_286:
	s_or_b32 exec_lo, exec_lo, s5
	s_wait_alu 0xfffe
	s_xor_b32 s0, s7, -1
	s_wait_alu 0xfffe
	s_and_saveexec_b32 s5, s0
	s_delay_alu instid0(SALU_CYCLE_1)
	s_xor_b32 s5, exec_lo, s5
	s_cbranch_execz .LBB68_291
; %bb.287:
	s_mov_b32 s5, exec_lo
	s_brev_b32 s0, -2
.LBB68_288:                             ; =>This Inner Loop Header: Depth=1
	s_ctz_i32_b32 s6, s5
	s_wait_alu 0xfffe
	v_readlane_b32 s7, v2, s6
	s_lshl_b32 s6, 1, s6
	s_wait_alu 0xfffe
	s_and_not1_b32 s5, s5, s6
	s_min_i32 s0, s0, s7
	s_cmp_lg_u32 s5, 0
	s_cbranch_scc1 .LBB68_288
; %bb.289:
	v_mbcnt_lo_u32_b32 v0, exec_lo, 0
	s_mov_b32 s5, exec_lo
	s_delay_alu instid0(VALU_DEP_1)
	v_cmpx_eq_u32_e32 0, v0
	s_xor_b32 s5, exec_lo, s5
; %bb.290:
	s_wait_alu 0xfffe
	v_dual_mov_b32 v0, 0 :: v_dual_mov_b32 v1, s0
	ds_min_i32 v0, v1 offset:5140
.LBB68_291:
	s_or_b32 exec_lo, exec_lo, s4
	s_wait_loadcnt_dscnt 0x0
	s_barrier_signal -1
	s_barrier_wait -1
	global_inv scope:SCOPE_SE
	s_and_saveexec_b32 s0, s2
	s_cbranch_execz .LBB68_293
; %bb.292:
	v_mov_b32_e32 v2, 0
	s_mul_u64 s[6:7], s[34:35], s[26:27]
	s_mul_u64 s[4:5], s[40:41], s[26:27]
	s_wait_alu 0xfffe
	s_lshl_b64 s[6:7], s[6:7], 3
	s_lshl_b64 s[4:5], s[4:5], 1
	ds_load_b32 v0, v2 offset:5140
	s_wait_alu 0xfffe
	s_add_nc_u64 s[6:7], s[28:29], s[6:7]
	s_add_nc_u64 s[4:5], s[30:31], s[4:5]
	s_wait_dscnt 0x0
	v_ashrrev_i32_e32 v1, 31, v0
	s_clause 0x1
	global_store_b64 v2, v[0:1], s[6:7]
	global_store_b16 v2, v46, s[4:5]
.LBB68_293:
	s_wait_alu 0xfffe
	s_or_b32 exec_lo, exec_lo, s0
.LBB68_294:
	s_or_saveexec_b32 s0, s3
	s_mov_b32 s2, 0
	s_wait_alu 0xfffe
	s_xor_b32 exec_lo, exec_lo, s0
	s_cbranch_execnz .LBB68_297
.LBB68_295:
	s_or_b32 exec_lo, exec_lo, s0
	s_delay_alu instid0(SALU_CYCLE_1)
	s_and_b32 s3, s2, exec_lo
	s_and_not1_saveexec_b32 s0, s1
	s_cbranch_execz .LBB68_271
.LBB68_296:
	s_or_b32 s3, s3, exec_lo
	s_trap 2
	s_wait_alu 0xfffe
	s_or_b32 exec_lo, exec_lo, s0
	s_and_saveexec_b32 s0, s3
	s_cbranch_execnz .LBB68_272
	s_branch .LBB68_273
.LBB68_297:
	s_mov_b32 s2, exec_lo
	s_trap 2
	s_branch .LBB68_295
	.section	.rodata,"a",@progbits
	.p2align	6, 0x0
	.amdhsa_kernel _ZN2at6native12_GLOBAL__N_114gatherKthValueIN3c108BFloat16ElLi1EEEvNS_4cuda6detail10TensorInfoIKT_T0_EESA_SA_SA_SA_NS7_IS8_SA_EENS7_IlSA_EE
		.amdhsa_group_segment_fixed_size 5144
		.amdhsa_private_segment_fixed_size 0
		.amdhsa_kernarg_size 1536
		.amdhsa_user_sgpr_count 2
		.amdhsa_user_sgpr_dispatch_ptr 0
		.amdhsa_user_sgpr_queue_ptr 0
		.amdhsa_user_sgpr_kernarg_segment_ptr 1
		.amdhsa_user_sgpr_dispatch_id 0
		.amdhsa_user_sgpr_private_segment_size 0
		.amdhsa_wavefront_size32 1
		.amdhsa_uses_dynamic_stack 0
		.amdhsa_enable_private_segment 0
		.amdhsa_system_sgpr_workgroup_id_x 1
		.amdhsa_system_sgpr_workgroup_id_y 1
		.amdhsa_system_sgpr_workgroup_id_z 1
		.amdhsa_system_sgpr_workgroup_info 0
		.amdhsa_system_vgpr_workitem_id 0
		.amdhsa_next_free_vgpr 52
		.amdhsa_next_free_sgpr 101
		.amdhsa_reserve_vcc 1
		.amdhsa_float_round_mode_32 0
		.amdhsa_float_round_mode_16_64 0
		.amdhsa_float_denorm_mode_32 3
		.amdhsa_float_denorm_mode_16_64 3
		.amdhsa_fp16_overflow 0
		.amdhsa_workgroup_processor_mode 1
		.amdhsa_memory_ordered 1
		.amdhsa_forward_progress 1
		.amdhsa_inst_pref_size 158
		.amdhsa_round_robin_scheduling 0
		.amdhsa_exception_fp_ieee_invalid_op 0
		.amdhsa_exception_fp_denorm_src 0
		.amdhsa_exception_fp_ieee_div_zero 0
		.amdhsa_exception_fp_ieee_overflow 0
		.amdhsa_exception_fp_ieee_underflow 0
		.amdhsa_exception_fp_ieee_inexact 0
		.amdhsa_exception_int_div_zero 0
	.end_amdhsa_kernel
	.section	.text._ZN2at6native12_GLOBAL__N_114gatherKthValueIN3c108BFloat16ElLi1EEEvNS_4cuda6detail10TensorInfoIKT_T0_EESA_SA_SA_SA_NS7_IS8_SA_EENS7_IlSA_EE,"axG",@progbits,_ZN2at6native12_GLOBAL__N_114gatherKthValueIN3c108BFloat16ElLi1EEEvNS_4cuda6detail10TensorInfoIKT_T0_EESA_SA_SA_SA_NS7_IS8_SA_EENS7_IlSA_EE,comdat
.Lfunc_end68:
	.size	_ZN2at6native12_GLOBAL__N_114gatherKthValueIN3c108BFloat16ElLi1EEEvNS_4cuda6detail10TensorInfoIKT_T0_EESA_SA_SA_SA_NS7_IS8_SA_EENS7_IlSA_EE, .Lfunc_end68-_ZN2at6native12_GLOBAL__N_114gatherKthValueIN3c108BFloat16ElLi1EEEvNS_4cuda6detail10TensorInfoIKT_T0_EESA_SA_SA_SA_NS7_IS8_SA_EENS7_IlSA_EE
                                        ; -- End function
	.set _ZN2at6native12_GLOBAL__N_114gatherKthValueIN3c108BFloat16ElLi1EEEvNS_4cuda6detail10TensorInfoIKT_T0_EESA_SA_SA_SA_NS7_IS8_SA_EENS7_IlSA_EE.num_vgpr, 52
	.set _ZN2at6native12_GLOBAL__N_114gatherKthValueIN3c108BFloat16ElLi1EEEvNS_4cuda6detail10TensorInfoIKT_T0_EESA_SA_SA_SA_NS7_IS8_SA_EENS7_IlSA_EE.num_agpr, 0
	.set _ZN2at6native12_GLOBAL__N_114gatherKthValueIN3c108BFloat16ElLi1EEEvNS_4cuda6detail10TensorInfoIKT_T0_EESA_SA_SA_SA_NS7_IS8_SA_EENS7_IlSA_EE.numbered_sgpr, 101
	.set _ZN2at6native12_GLOBAL__N_114gatherKthValueIN3c108BFloat16ElLi1EEEvNS_4cuda6detail10TensorInfoIKT_T0_EESA_SA_SA_SA_NS7_IS8_SA_EENS7_IlSA_EE.num_named_barrier, 0
	.set _ZN2at6native12_GLOBAL__N_114gatherKthValueIN3c108BFloat16ElLi1EEEvNS_4cuda6detail10TensorInfoIKT_T0_EESA_SA_SA_SA_NS7_IS8_SA_EENS7_IlSA_EE.private_seg_size, 0
	.set _ZN2at6native12_GLOBAL__N_114gatherKthValueIN3c108BFloat16ElLi1EEEvNS_4cuda6detail10TensorInfoIKT_T0_EESA_SA_SA_SA_NS7_IS8_SA_EENS7_IlSA_EE.uses_vcc, 1
	.set _ZN2at6native12_GLOBAL__N_114gatherKthValueIN3c108BFloat16ElLi1EEEvNS_4cuda6detail10TensorInfoIKT_T0_EESA_SA_SA_SA_NS7_IS8_SA_EENS7_IlSA_EE.uses_flat_scratch, 0
	.set _ZN2at6native12_GLOBAL__N_114gatherKthValueIN3c108BFloat16ElLi1EEEvNS_4cuda6detail10TensorInfoIKT_T0_EESA_SA_SA_SA_NS7_IS8_SA_EENS7_IlSA_EE.has_dyn_sized_stack, 0
	.set _ZN2at6native12_GLOBAL__N_114gatherKthValueIN3c108BFloat16ElLi1EEEvNS_4cuda6detail10TensorInfoIKT_T0_EESA_SA_SA_SA_NS7_IS8_SA_EENS7_IlSA_EE.has_recursion, 0
	.set _ZN2at6native12_GLOBAL__N_114gatherKthValueIN3c108BFloat16ElLi1EEEvNS_4cuda6detail10TensorInfoIKT_T0_EESA_SA_SA_SA_NS7_IS8_SA_EENS7_IlSA_EE.has_indirect_call, 0
	.section	.AMDGPU.csdata,"",@progbits
; Kernel info:
; codeLenInByte = 20208
; TotalNumSgprs: 103
; NumVgprs: 52
; ScratchSize: 0
; MemoryBound: 0
; FloatMode: 240
; IeeeMode: 1
; LDSByteSize: 5144 bytes/workgroup (compile time only)
; SGPRBlocks: 0
; VGPRBlocks: 6
; NumSGPRsForWavesPerEU: 103
; NumVGPRsForWavesPerEU: 52
; Occupancy: 16
; WaveLimiterHint : 1
; COMPUTE_PGM_RSRC2:SCRATCH_EN: 0
; COMPUTE_PGM_RSRC2:USER_SGPR: 2
; COMPUTE_PGM_RSRC2:TRAP_HANDLER: 0
; COMPUTE_PGM_RSRC2:TGID_X_EN: 1
; COMPUTE_PGM_RSRC2:TGID_Y_EN: 1
; COMPUTE_PGM_RSRC2:TGID_Z_EN: 1
; COMPUTE_PGM_RSRC2:TIDIG_COMP_CNT: 0
	.section	.text._ZN2at6native12_GLOBAL__N_114gatherKthValueIN3c108BFloat16ElLi2EEEvNS_4cuda6detail10TensorInfoIKT_T0_EESA_SA_SA_SA_NS7_IS8_SA_EENS7_IlSA_EE,"axG",@progbits,_ZN2at6native12_GLOBAL__N_114gatherKthValueIN3c108BFloat16ElLi2EEEvNS_4cuda6detail10TensorInfoIKT_T0_EESA_SA_SA_SA_NS7_IS8_SA_EENS7_IlSA_EE,comdat
	.globl	_ZN2at6native12_GLOBAL__N_114gatherKthValueIN3c108BFloat16ElLi2EEEvNS_4cuda6detail10TensorInfoIKT_T0_EESA_SA_SA_SA_NS7_IS8_SA_EENS7_IlSA_EE ; -- Begin function _ZN2at6native12_GLOBAL__N_114gatherKthValueIN3c108BFloat16ElLi2EEEvNS_4cuda6detail10TensorInfoIKT_T0_EESA_SA_SA_SA_NS7_IS8_SA_EENS7_IlSA_EE
	.p2align	8
	.type	_ZN2at6native12_GLOBAL__N_114gatherKthValueIN3c108BFloat16ElLi2EEEvNS_4cuda6detail10TensorInfoIKT_T0_EESA_SA_SA_SA_NS7_IS8_SA_EENS7_IlSA_EE,@function
_ZN2at6native12_GLOBAL__N_114gatherKthValueIN3c108BFloat16ElLi2EEEvNS_4cuda6detail10TensorInfoIKT_T0_EESA_SA_SA_SA_NS7_IS8_SA_EENS7_IlSA_EE: ; @_ZN2at6native12_GLOBAL__N_114gatherKthValueIN3c108BFloat16ElLi2EEEvNS_4cuda6detail10TensorInfoIKT_T0_EESA_SA_SA_SA_NS7_IS8_SA_EENS7_IlSA_EE
; %bb.0:
	s_clause 0x1
	s_load_b64 s[8:9], s[0:1], 0x500
	s_load_b256 s[36:43], s[0:1], 0x1a0
	s_lshr_b32 s2, ttmp7, 16
	s_and_b32 s3, ttmp7, 0xffff
	s_mov_b32 s27, 0
	s_wait_kmcnt 0x0
	s_mul_i32 s2, s9, s2
	s_delay_alu instid0(SALU_CYCLE_1) | instskip(NEXT) | instid1(SALU_CYCLE_1)
	s_add_co_i32 s2, s2, s3
	s_mul_i32 s2, s2, s8
	s_delay_alu instid0(SALU_CYCLE_1) | instskip(NEXT) | instid1(SALU_CYCLE_1)
	s_add_co_i32 s26, s2, ttmp9
	v_cmp_le_i64_e64 s2, s[40:41], s[26:27]
	s_and_b32 vcc_lo, exec_lo, s2
	s_cbranch_vccnz .LBB69_282
; %bb.1:
	s_clause 0x1
	s_load_b64 s[10:11], s[0:1], 0x10
	s_load_b64 s[34:35], s[0:1], 0x1d0
	s_mov_b32 s2, s27
	s_wait_kmcnt 0x0
	s_mov_b32 s3, s11
	s_delay_alu instid0(SALU_CYCLE_1)
	s_cmp_lg_u64 s[2:3], 0
	s_add_nc_u64 s[2:3], s[26:27], 0
	s_cbranch_scc0 .LBB69_295
; %bb.2:
	s_ashr_i32 s4, s11, 31
	s_mov_b32 s15, 0
	s_mov_b32 s5, s4
	s_delay_alu instid0(SALU_CYCLE_1) | instskip(NEXT) | instid1(SALU_CYCLE_1)
	s_add_nc_u64 s[6:7], s[10:11], s[4:5]
	s_xor_b64 s[6:7], s[6:7], s[4:5]
	s_delay_alu instid0(SALU_CYCLE_1) | instskip(SKIP_2) | instid1(SALU_CYCLE_2)
	s_cvt_f32_u32 s9, s6
	s_cvt_f32_u32 s12, s7
	s_sub_nc_u64 s[16:17], 0, s[6:7]
	s_fmamk_f32 s9, s12, 0x4f800000, s9
	s_delay_alu instid0(SALU_CYCLE_3) | instskip(NEXT) | instid1(TRANS32_DEP_1)
	v_s_rcp_f32 s9, s9
	s_mul_f32 s9, s9, 0x5f7ffffc
	s_wait_alu 0xfffe
	s_delay_alu instid0(SALU_CYCLE_2) | instskip(NEXT) | instid1(SALU_CYCLE_3)
	s_mul_f32 s12, s9, 0x2f800000
	s_trunc_f32 s12, s12
	s_delay_alu instid0(SALU_CYCLE_3) | instskip(SKIP_2) | instid1(SALU_CYCLE_1)
	s_fmamk_f32 s9, s12, 0xcf800000, s9
	s_cvt_u32_f32 s13, s12
	s_wait_alu 0xfffe
	s_cvt_u32_f32 s12, s9
	s_delay_alu instid0(SALU_CYCLE_3) | instskip(NEXT) | instid1(SALU_CYCLE_1)
	s_mul_u64 s[18:19], s[16:17], s[12:13]
	s_mul_hi_u32 s21, s12, s19
	s_mul_i32 s20, s12, s19
	s_mul_hi_u32 s14, s12, s18
	s_mul_i32 s22, s13, s18
	s_add_nc_u64 s[20:21], s[14:15], s[20:21]
	s_mul_hi_u32 s9, s13, s18
	s_mul_hi_u32 s23, s13, s19
	s_add_co_u32 s14, s20, s22
	s_wait_alu 0xfffe
	s_add_co_ci_u32 s14, s21, s9
	s_mul_i32 s18, s13, s19
	s_add_co_ci_u32 s19, s23, 0
	s_delay_alu instid0(SALU_CYCLE_1) | instskip(NEXT) | instid1(SALU_CYCLE_1)
	s_add_nc_u64 s[18:19], s[14:15], s[18:19]
	s_add_co_u32 s12, s12, s18
	s_cselect_b32 s9, -1, 0
	s_wait_alu 0xfffe
	s_cmp_lg_u32 s9, 0
	s_add_co_ci_u32 s13, s13, s19
	s_delay_alu instid0(SALU_CYCLE_1) | instskip(NEXT) | instid1(SALU_CYCLE_1)
	s_mul_u64 s[16:17], s[16:17], s[12:13]
	s_mul_hi_u32 s19, s12, s17
	s_mul_i32 s18, s12, s17
	s_mul_hi_u32 s14, s12, s16
	s_mul_i32 s20, s13, s16
	s_add_nc_u64 s[18:19], s[14:15], s[18:19]
	s_mul_hi_u32 s9, s13, s16
	s_mul_hi_u32 s21, s13, s17
	s_add_co_u32 s14, s18, s20
	s_wait_alu 0xfffe
	s_add_co_ci_u32 s14, s19, s9
	s_mul_i32 s16, s13, s17
	s_add_co_ci_u32 s17, s21, 0
	s_delay_alu instid0(SALU_CYCLE_1) | instskip(NEXT) | instid1(SALU_CYCLE_1)
	s_add_nc_u64 s[16:17], s[14:15], s[16:17]
	s_add_co_u32 s9, s12, s16
	s_cselect_b32 s12, -1, 0
	s_delay_alu instid0(SALU_CYCLE_1) | instskip(SKIP_2) | instid1(SALU_CYCLE_1)
	s_cmp_lg_u32 s12, 0
	s_add_co_ci_u32 s18, s13, s17
	s_xor_b64 s[12:13], s[2:3], 0
	s_mul_hi_u32 s17, s12, s18
	s_mul_i32 s16, s12, s18
	s_wait_alu 0xfffe
	s_mul_hi_u32 s14, s12, s9
	s_mul_hi_u32 s20, s13, s9
	s_mul_i32 s9, s13, s9
	s_add_nc_u64 s[16:17], s[14:15], s[16:17]
	s_mul_hi_u32 s19, s13, s18
	s_wait_alu 0xfffe
	s_add_co_u32 s9, s16, s9
	s_add_co_ci_u32 s14, s17, s20
	s_mul_i32 s18, s13, s18
	s_add_co_ci_u32 s19, s19, 0
	s_delay_alu instid0(SALU_CYCLE_1) | instskip(NEXT) | instid1(SALU_CYCLE_1)
	s_add_nc_u64 s[16:17], s[14:15], s[18:19]
	s_mul_u64 s[18:19], s[6:7], s[16:17]
	s_delay_alu instid0(SALU_CYCLE_1)
	s_sub_co_u32 s9, s12, s18
	s_cselect_b32 s12, -1, 0
	s_sub_co_i32 s14, s13, s19
	s_cmp_lg_u32 s12, 0
	s_sub_co_ci_u32 s14, s14, s7
	s_wait_alu 0xfffe
	s_sub_co_u32 s18, s9, s6
	s_cselect_b32 s20, -1, 0
	s_delay_alu instid0(SALU_CYCLE_1) | instskip(SKIP_2) | instid1(SALU_CYCLE_1)
	s_cmp_lg_u32 s20, 0
	s_add_nc_u64 s[20:21], s[16:17], 1
	s_sub_co_ci_u32 s14, s14, 0
	s_cmp_ge_u32 s14, s7
	s_cselect_b32 s22, -1, 0
	s_cmp_ge_u32 s18, s6
	s_cselect_b32 s18, -1, 0
	s_cmp_eq_u32 s14, s7
	s_cselect_b32 s14, s18, s22
	s_add_nc_u64 s[22:23], s[16:17], 2
	s_cmp_lg_u32 s14, 0
	s_cselect_b32 s14, s22, s20
	s_cselect_b32 s18, s23, s21
	s_cmp_lg_u32 s12, 0
	s_sub_co_ci_u32 s12, s13, s19
	s_delay_alu instid0(SALU_CYCLE_1)
	s_cmp_ge_u32 s12, s7
	s_cselect_b32 s13, -1, 0
	s_cmp_ge_u32 s9, s6
	s_cselect_b32 s6, -1, 0
	s_cmp_eq_u32 s12, s7
	s_cselect_b32 s6, s6, s13
	s_delay_alu instid0(SALU_CYCLE_1) | instskip(SKIP_3) | instid1(SALU_CYCLE_1)
	s_cmp_lg_u32 s6, 0
	s_cselect_b32 s7, s18, s17
	s_cselect_b32 s6, s14, s16
	s_xor_b64 s[4:5], 0, s[4:5]
	s_xor_b64 s[6:7], s[6:7], s[4:5]
	s_delay_alu instid0(SALU_CYCLE_1)
	s_sub_nc_u64 s[12:13], s[6:7], s[4:5]
	s_cbranch_execnz .LBB69_4
.LBB69_3:
	v_cvt_f32_u32_e32 v1, s10
	s_sub_co_i32 s5, 0, s10
	s_mov_b32 s13, 0
	s_delay_alu instid0(VALU_DEP_1) | instskip(NEXT) | instid1(TRANS32_DEP_1)
	v_rcp_iflag_f32_e32 v1, v1
	v_mul_f32_e32 v1, 0x4f7ffffe, v1
	s_delay_alu instid0(VALU_DEP_1) | instskip(NEXT) | instid1(VALU_DEP_1)
	v_cvt_u32_f32_e32 v1, v1
	v_readfirstlane_b32 s4, v1
	s_mul_i32 s5, s5, s4
	s_delay_alu instid0(SALU_CYCLE_1) | instskip(NEXT) | instid1(SALU_CYCLE_1)
	s_mul_hi_u32 s5, s4, s5
	s_add_co_i32 s4, s4, s5
	s_delay_alu instid0(SALU_CYCLE_1) | instskip(NEXT) | instid1(SALU_CYCLE_1)
	s_mul_hi_u32 s4, s26, s4
	s_mul_i32 s5, s4, s10
	s_add_co_i32 s6, s4, 1
	s_sub_co_i32 s5, s26, s5
	s_delay_alu instid0(SALU_CYCLE_1)
	s_sub_co_i32 s7, s5, s10
	s_cmp_ge_u32 s5, s10
	s_cselect_b32 s4, s6, s4
	s_cselect_b32 s5, s7, s5
	s_add_co_i32 s6, s4, 1
	s_cmp_ge_u32 s5, s10
	s_cselect_b32 s12, s6, s4
.LBB69_4:
	s_load_b64 s[40:41], s[0:1], 0x370
	s_mov_b32 s4, 0
	s_mov_b32 s5, s35
	s_delay_alu instid0(SALU_CYCLE_1)
	s_cmp_lg_u64 s[4:5], 0
	s_cbranch_scc0 .LBB69_296
; %bb.5:
	s_ashr_i32 s6, s35, 31
	s_mov_b32 s21, s4
	s_mov_b32 s7, s6
	;; [unrolled: 1-line block ×3, first 2 shown]
	s_add_nc_u64 s[14:15], s[34:35], s[6:7]
	s_delay_alu instid0(SALU_CYCLE_1) | instskip(NEXT) | instid1(SALU_CYCLE_1)
	s_xor_b64 s[14:15], s[14:15], s[6:7]
	s_cvt_f32_u32 s5, s14
	s_cvt_f32_u32 s9, s15
	s_sub_nc_u64 s[18:19], 0, s[14:15]
	s_wait_alu 0xfffe
	s_delay_alu instid0(SALU_CYCLE_1) | instskip(NEXT) | instid1(SALU_CYCLE_3)
	s_fmamk_f32 s5, s9, 0x4f800000, s5
	v_s_rcp_f32 s5, s5
	s_delay_alu instid0(TRANS32_DEP_1) | instskip(SKIP_1) | instid1(SALU_CYCLE_2)
	s_mul_f32 s5, s5, 0x5f7ffffc
	s_wait_alu 0xfffe
	s_mul_f32 s9, s5, 0x2f800000
	s_wait_alu 0xfffe
	s_delay_alu instid0(SALU_CYCLE_2) | instskip(SKIP_1) | instid1(SALU_CYCLE_2)
	s_trunc_f32 s9, s9
	s_wait_alu 0xfffe
	s_fmamk_f32 s5, s9, 0xcf800000, s5
	s_cvt_u32_f32 s17, s9
	s_wait_alu 0xfffe
	s_delay_alu instid0(SALU_CYCLE_1) | instskip(NEXT) | instid1(SALU_CYCLE_3)
	s_cvt_u32_f32 s16, s5
	s_mul_u64 s[22:23], s[18:19], s[16:17]
	s_delay_alu instid0(SALU_CYCLE_1)
	s_mul_hi_u32 s29, s16, s23
	s_mul_i32 s28, s16, s23
	s_mul_hi_u32 s20, s16, s22
	s_mul_i32 s9, s17, s22
	s_add_nc_u64 s[20:21], s[20:21], s[28:29]
	s_mul_hi_u32 s5, s17, s22
	s_mul_hi_u32 s30, s17, s23
	s_wait_alu 0xfffe
	s_add_co_u32 s9, s20, s9
	s_add_co_ci_u32 s24, s21, s5
	s_mul_i32 s22, s17, s23
	s_add_co_ci_u32 s23, s30, 0
	s_delay_alu instid0(SALU_CYCLE_1)
	s_add_nc_u64 s[20:21], s[24:25], s[22:23]
	s_mov_b32 s23, s4
	s_add_co_u32 s16, s16, s20
	s_cselect_b32 s5, -1, 0
	s_wait_alu 0xfffe
	s_cmp_lg_u32 s5, 0
	s_add_co_ci_u32 s17, s17, s21
	s_mov_b32 s21, s4
	s_mul_u64 s[18:19], s[18:19], s[16:17]
	s_delay_alu instid0(SALU_CYCLE_1)
	s_mul_hi_u32 s25, s16, s19
	s_mul_i32 s24, s16, s19
	s_mul_hi_u32 s20, s16, s18
	s_mul_i32 s9, s17, s18
	s_add_nc_u64 s[20:21], s[20:21], s[24:25]
	s_mul_hi_u32 s5, s17, s18
	s_mul_hi_u32 s28, s17, s19
	s_wait_alu 0xfffe
	s_add_co_u32 s9, s20, s9
	s_add_co_ci_u32 s22, s21, s5
	s_mul_i32 s18, s17, s19
	s_add_co_ci_u32 s19, s28, 0
	s_mov_b32 s21, s4
	s_add_nc_u64 s[18:19], s[22:23], s[18:19]
	s_delay_alu instid0(SALU_CYCLE_1)
	s_add_co_u32 s5, s16, s18
	s_cselect_b32 s9, -1, 0
	s_wait_alu 0xfffe
	s_cmp_lg_u32 s9, 0
	s_add_co_ci_u32 s9, s17, s19
	s_xor_b64 s[16:17], s[2:3], 0
	s_mov_b32 s19, s4
	s_wait_alu 0xfffe
	s_mul_hi_u32 s23, s16, s9
	s_mul_i32 s22, s16, s9
	s_mul_hi_u32 s20, s16, s5
	s_mul_hi_u32 s18, s17, s5
	s_mul_i32 s5, s17, s5
	s_add_nc_u64 s[20:21], s[20:21], s[22:23]
	s_mul_hi_u32 s24, s17, s9
	s_wait_alu 0xfffe
	s_add_co_u32 s5, s20, s5
	s_add_co_ci_u32 s18, s21, s18
	s_mul_i32 s22, s17, s9
	s_add_co_ci_u32 s23, s24, 0
	s_delay_alu instid0(SALU_CYCLE_1) | instskip(NEXT) | instid1(SALU_CYCLE_1)
	s_add_nc_u64 s[18:19], s[18:19], s[22:23]
	s_mul_u64 s[20:21], s[14:15], s[18:19]
	s_delay_alu instid0(SALU_CYCLE_1)
	s_sub_co_u32 s5, s16, s20
	s_cselect_b32 s9, -1, 0
	s_sub_co_i32 s16, s17, s21
	s_wait_alu 0xfffe
	s_cmp_lg_u32 s9, 0
	s_sub_co_ci_u32 s16, s16, s15
	s_sub_co_u32 s20, s5, s14
	s_cselect_b32 s22, -1, 0
	s_delay_alu instid0(SALU_CYCLE_1) | instskip(SKIP_2) | instid1(SALU_CYCLE_1)
	s_cmp_lg_u32 s22, 0
	s_add_nc_u64 s[22:23], s[18:19], 1
	s_sub_co_ci_u32 s16, s16, 0
	s_cmp_ge_u32 s16, s15
	s_cselect_b32 s24, -1, 0
	s_cmp_ge_u32 s20, s14
	s_cselect_b32 s20, -1, 0
	s_cmp_eq_u32 s16, s15
	s_cselect_b32 s16, s20, s24
	s_add_nc_u64 s[24:25], s[18:19], 2
	s_cmp_lg_u32 s16, 0
	s_cselect_b32 s16, s24, s22
	s_cselect_b32 s20, s25, s23
	s_cmp_lg_u32 s9, 0
	s_sub_co_ci_u32 s9, s17, s21
	s_wait_alu 0xfffe
	s_cmp_ge_u32 s9, s15
	s_cselect_b32 s17, -1, 0
	s_cmp_ge_u32 s5, s14
	s_cselect_b32 s5, -1, 0
	s_cmp_eq_u32 s9, s15
	s_wait_alu 0xfffe
	s_cselect_b32 s5, s5, s17
	s_wait_alu 0xfffe
	s_cmp_lg_u32 s5, 0
	s_cselect_b32 s15, s20, s19
	s_cselect_b32 s14, s16, s18
	s_xor_b64 s[6:7], 0, s[6:7]
	s_delay_alu instid0(SALU_CYCLE_1) | instskip(NEXT) | instid1(SALU_CYCLE_1)
	s_xor_b64 s[14:15], s[14:15], s[6:7]
	s_sub_nc_u64 s[48:49], s[14:15], s[6:7]
	s_and_not1_b32 vcc_lo, exec_lo, s4
	s_cbranch_vccnz .LBB69_7
.LBB69_6:
	v_cvt_f32_u32_e32 v1, s34
	s_sub_co_i32 s5, 0, s34
	s_mov_b32 s49, 0
	s_delay_alu instid0(VALU_DEP_1) | instskip(NEXT) | instid1(TRANS32_DEP_1)
	v_rcp_iflag_f32_e32 v1, v1
	v_mul_f32_e32 v1, 0x4f7ffffe, v1
	s_delay_alu instid0(VALU_DEP_1) | instskip(NEXT) | instid1(VALU_DEP_1)
	v_cvt_u32_f32_e32 v1, v1
	v_readfirstlane_b32 s4, v1
	s_wait_alu 0xfffe
	s_mul_i32 s5, s5, s4
	s_wait_alu 0xfffe
	s_mul_hi_u32 s5, s4, s5
	s_wait_alu 0xfffe
	s_add_co_i32 s4, s4, s5
	s_wait_alu 0xfffe
	s_mul_hi_u32 s4, s26, s4
	s_wait_alu 0xfffe
	s_mul_i32 s5, s4, s34
	s_add_co_i32 s6, s4, 1
	s_wait_alu 0xfffe
	s_sub_co_i32 s5, s26, s5
	s_wait_alu 0xfffe
	s_sub_co_i32 s7, s5, s34
	s_cmp_ge_u32 s5, s34
	s_cselect_b32 s4, s6, s4
	s_cselect_b32 s5, s7, s5
	s_wait_alu 0xfffe
	s_add_co_i32 s6, s4, 1
	s_cmp_ge_u32 s5, s34
	s_cselect_b32 s48, s6, s4
.LBB69_7:
	s_mov_b32 s4, 0
	s_wait_kmcnt 0x0
	s_mov_b32 s5, s41
	s_wait_alu 0xfffe
	s_cmp_lg_u64 s[4:5], 0
	s_cbranch_scc0 .LBB69_297
; %bb.8:
	s_ashr_i32 s6, s41, 31
	s_mov_b32 s21, s4
	s_mov_b32 s7, s6
	;; [unrolled: 1-line block ×3, first 2 shown]
	s_add_nc_u64 s[14:15], s[40:41], s[6:7]
	s_delay_alu instid0(SALU_CYCLE_1) | instskip(NEXT) | instid1(SALU_CYCLE_1)
	s_xor_b64 s[14:15], s[14:15], s[6:7]
	s_cvt_f32_u32 s5, s14
	s_cvt_f32_u32 s9, s15
	s_sub_nc_u64 s[18:19], 0, s[14:15]
	s_wait_alu 0xfffe
	s_delay_alu instid0(SALU_CYCLE_1) | instskip(SKIP_1) | instid1(SALU_CYCLE_2)
	s_fmamk_f32 s5, s9, 0x4f800000, s5
	s_wait_alu 0xfffe
	v_s_rcp_f32 s5, s5
	s_delay_alu instid0(TRANS32_DEP_1) | instskip(SKIP_1) | instid1(SALU_CYCLE_2)
	s_mul_f32 s5, s5, 0x5f7ffffc
	s_wait_alu 0xfffe
	s_mul_f32 s9, s5, 0x2f800000
	s_wait_alu 0xfffe
	s_delay_alu instid0(SALU_CYCLE_2) | instskip(SKIP_1) | instid1(SALU_CYCLE_2)
	s_trunc_f32 s9, s9
	s_wait_alu 0xfffe
	s_fmamk_f32 s5, s9, 0xcf800000, s5
	s_cvt_u32_f32 s17, s9
	s_wait_alu 0xfffe
	s_delay_alu instid0(SALU_CYCLE_1) | instskip(NEXT) | instid1(SALU_CYCLE_3)
	s_cvt_u32_f32 s16, s5
	s_mul_u64 s[22:23], s[18:19], s[16:17]
	s_delay_alu instid0(SALU_CYCLE_1)
	s_mul_hi_u32 s29, s16, s23
	s_mul_i32 s28, s16, s23
	s_mul_hi_u32 s20, s16, s22
	s_mul_i32 s9, s17, s22
	s_add_nc_u64 s[20:21], s[20:21], s[28:29]
	s_mul_hi_u32 s5, s17, s22
	s_mul_hi_u32 s30, s17, s23
	s_wait_alu 0xfffe
	s_add_co_u32 s9, s20, s9
	s_add_co_ci_u32 s24, s21, s5
	s_mul_i32 s22, s17, s23
	s_add_co_ci_u32 s23, s30, 0
	s_delay_alu instid0(SALU_CYCLE_1)
	s_add_nc_u64 s[20:21], s[24:25], s[22:23]
	s_mov_b32 s23, s4
	s_add_co_u32 s16, s16, s20
	s_cselect_b32 s5, -1, 0
	s_wait_alu 0xfffe
	s_cmp_lg_u32 s5, 0
	s_add_co_ci_u32 s17, s17, s21
	s_mov_b32 s21, s4
	s_mul_u64 s[18:19], s[18:19], s[16:17]
	s_delay_alu instid0(SALU_CYCLE_1)
	s_mul_hi_u32 s25, s16, s19
	s_mul_i32 s24, s16, s19
	s_mul_hi_u32 s20, s16, s18
	s_mul_i32 s9, s17, s18
	s_add_nc_u64 s[20:21], s[20:21], s[24:25]
	s_mul_hi_u32 s5, s17, s18
	s_mul_hi_u32 s28, s17, s19
	s_wait_alu 0xfffe
	s_add_co_u32 s9, s20, s9
	s_add_co_ci_u32 s22, s21, s5
	s_mul_i32 s18, s17, s19
	s_add_co_ci_u32 s19, s28, 0
	s_mov_b32 s21, s4
	s_add_nc_u64 s[18:19], s[22:23], s[18:19]
	s_delay_alu instid0(SALU_CYCLE_1)
	s_add_co_u32 s5, s16, s18
	s_cselect_b32 s9, -1, 0
	s_wait_alu 0xfffe
	s_cmp_lg_u32 s9, 0
	s_add_co_ci_u32 s9, s17, s19
	s_xor_b64 s[2:3], s[2:3], 0
	s_mov_b32 s17, s4
	s_wait_alu 0xfffe
	s_mul_hi_u32 s19, s2, s9
	s_mul_i32 s18, s2, s9
	s_mul_hi_u32 s20, s2, s5
	s_mul_hi_u32 s16, s3, s5
	s_mul_i32 s5, s3, s5
	s_add_nc_u64 s[18:19], s[20:21], s[18:19]
	s_mul_hi_u32 s22, s3, s9
	s_wait_alu 0xfffe
	s_add_co_u32 s5, s18, s5
	s_add_co_ci_u32 s16, s19, s16
	s_mul_i32 s20, s3, s9
	s_add_co_ci_u32 s21, s22, 0
	s_delay_alu instid0(SALU_CYCLE_1) | instskip(NEXT) | instid1(SALU_CYCLE_1)
	s_add_nc_u64 s[16:17], s[16:17], s[20:21]
	s_mul_u64 s[18:19], s[14:15], s[16:17]
	s_delay_alu instid0(SALU_CYCLE_1)
	s_sub_co_u32 s2, s2, s18
	s_cselect_b32 s5, -1, 0
	s_sub_co_i32 s9, s3, s19
	s_wait_alu 0xfffe
	s_cmp_lg_u32 s5, 0
	s_sub_co_ci_u32 s9, s9, s15
	s_sub_co_u32 s18, s2, s14
	s_cselect_b32 s20, -1, 0
	s_delay_alu instid0(SALU_CYCLE_1)
	s_cmp_lg_u32 s20, 0
	s_add_nc_u64 s[20:21], s[16:17], 1
	s_wait_alu 0xfffe
	s_sub_co_ci_u32 s9, s9, 0
	s_wait_alu 0xfffe
	s_cmp_ge_u32 s9, s15
	s_cselect_b32 s22, -1, 0
	s_cmp_ge_u32 s18, s14
	s_cselect_b32 s18, -1, 0
	s_cmp_eq_u32 s9, s15
	s_cselect_b32 s9, s18, s22
	s_add_nc_u64 s[22:23], s[16:17], 2
	s_wait_alu 0xfffe
	s_cmp_lg_u32 s9, 0
	s_cselect_b32 s9, s22, s20
	s_cselect_b32 s18, s23, s21
	s_cmp_lg_u32 s5, 0
	s_sub_co_ci_u32 s3, s3, s19
	s_delay_alu instid0(SALU_CYCLE_1)
	s_cmp_ge_u32 s3, s15
	s_cselect_b32 s5, -1, 0
	s_cmp_ge_u32 s2, s14
	s_cselect_b32 s2, -1, 0
	s_cmp_eq_u32 s3, s15
	s_wait_alu 0xfffe
	s_cselect_b32 s2, s2, s5
	s_delay_alu instid0(SALU_CYCLE_1) | instskip(SKIP_3) | instid1(SALU_CYCLE_1)
	s_cmp_lg_u32 s2, 0
	s_cselect_b32 s3, s18, s17
	s_cselect_b32 s2, s9, s16
	s_xor_b64 s[6:7], 0, s[6:7]
	s_xor_b64 s[2:3], s[2:3], s[6:7]
	s_delay_alu instid0(SALU_CYCLE_1)
	s_sub_nc_u64 s[50:51], s[2:3], s[6:7]
	s_and_not1_b32 vcc_lo, exec_lo, s4
	s_cbranch_vccnz .LBB69_10
.LBB69_9:
	v_cvt_f32_u32_e32 v1, s40
	s_sub_co_i32 s3, 0, s40
	s_mov_b32 s51, 0
	s_delay_alu instid0(VALU_DEP_1) | instskip(NEXT) | instid1(TRANS32_DEP_1)
	v_rcp_iflag_f32_e32 v1, v1
	v_mul_f32_e32 v1, 0x4f7ffffe, v1
	s_delay_alu instid0(VALU_DEP_1) | instskip(NEXT) | instid1(VALU_DEP_1)
	v_cvt_u32_f32_e32 v1, v1
	v_readfirstlane_b32 s2, v1
	s_mul_i32 s3, s3, s2
	s_delay_alu instid0(SALU_CYCLE_1) | instskip(NEXT) | instid1(SALU_CYCLE_1)
	s_mul_hi_u32 s3, s2, s3
	s_add_co_i32 s2, s2, s3
	s_delay_alu instid0(SALU_CYCLE_1) | instskip(NEXT) | instid1(SALU_CYCLE_1)
	s_mul_hi_u32 s2, s26, s2
	s_mul_i32 s3, s2, s40
	s_add_co_i32 s4, s2, 1
	s_sub_co_i32 s3, s26, s3
	s_delay_alu instid0(SALU_CYCLE_1)
	s_sub_co_i32 s5, s3, s40
	s_cmp_ge_u32 s3, s40
	s_wait_alu 0xfffe
	s_cselect_b32 s2, s4, s2
	s_cselect_b32 s3, s5, s3
	s_add_co_i32 s4, s2, 1
	s_cmp_ge_u32 s3, s40
	s_wait_alu 0xfffe
	s_cselect_b32 s50, s4, s2
.LBB69_10:
	s_clause 0x1
	s_load_b128 s[4:7], s[0:1], 0xd0
	s_load_b64 s[16:17], s[0:1], 0x0
	v_cmp_eq_u32_e64 s2, 0, v0
	s_add_nc_u64 s[14:15], s[0:1], 0x500
	s_mov_b32 s25, 0
	s_and_saveexec_b32 s3, s2
	s_cbranch_execz .LBB69_12
; %bb.11:
	v_dual_mov_b32 v1, 0 :: v_dual_mov_b32 v4, s37
	s_delay_alu instid0(VALU_DEP_1)
	v_dual_mov_b32 v3, s36 :: v_dual_mov_b32 v2, v1
	ds_store_b32 v1, v1 offset:5136
	ds_store_b128 v1, v[1:4] offset:5120
.LBB69_12:
	s_or_b32 exec_lo, exec_lo, s3
	v_lshlrev_b32_e32 v39, 3, v0
	v_mad_co_u64_u32 v[4:5], null, s42, v0, 0
	s_clause 0x3
	s_load_b128 s[28:31], s[0:1], 0x430
	s_load_b64 s[18:19], s[0:1], 0x360
	s_load_b128 s[44:47], s[0:1], 0x290
	s_load_b64 s[54:55], s[0:1], 0x1c0
	v_or_b32_e32 v10, 6, v39
	s_mul_u64 s[0:1], s[12:13], s[10:11]
	v_mbcnt_lo_u32_b32 v34, -1, 0
	s_sub_nc_u64 s[0:1], s[26:27], s[0:1]
	s_wait_kmcnt 0x0
	s_mul_u64 s[4:5], s[12:13], s[4:5]
	v_mad_co_u64_u32 v[21:22], null, s42, v10, 0
	v_lshlrev_b32_e32 v35, 1, v0
	v_mov_b32_e32 v1, v5
	s_mul_u64 s[0:1], s[0:1], s[6:7]
	s_wait_alu 0xfffe
	s_lshl_b64 s[10:11], s[4:5], 1
	s_lshl_b64 s[6:7], s[0:1], 1
	v_add_nc_u32_e32 v36, 0xc00, v35
	v_mad_co_u64_u32 v[1:2], null, s43, v0, v[1:2]
	v_cmp_gt_u32_e32 vcc_lo, 32, v0
	v_cmp_gt_i32_e64 s0, 4, v34
	s_wait_alu 0xfffe
	s_add_nc_u64 s[4:5], s[16:17], s[10:11]
	v_dual_mov_b32 v3, 0 :: v_dual_add_nc_u32 v2, 2, v0
	v_dual_mov_b32 v5, v1 :: v_dual_lshlrev_b32 v16, 2, v0
	s_wait_alu 0xfffe
	s_add_nc_u64 s[60:61], s[4:5], s[6:7]
	s_and_b32 s33, vcc_lo, s0
	v_lshlrev_b64_e64 v[8:9], v34, -1
	s_wait_dscnt 0x0
	v_lshlrev_b64_e32 v[6:7], 1, v[4:5]
	s_barrier_signal -1
	s_barrier_wait -1
	global_inv scope:SCOPE_SE
	v_not_b32_e32 v37, v8
	v_not_b32_e32 v8, v0
	v_add_co_u32 v14, vcc_lo, s60, v6
	s_delay_alu instid0(VALU_DEP_1)
	v_add_co_ci_u32_e64 v15, null, s61, v7, vcc_lo
	v_cmp_gt_i64_e32 vcc_lo, s[36:37], v[2:3]
	s_load_b32 s4, s[14:15], 0xc
	v_or_b32_e32 v12, 4, v39
	v_or_b32_e32 v13, 2, v39
	s_add_nc_u64 s[6:7], s[10:11], s[6:7]
                                        ; implicit-def: $vgpr56 : SGPR spill to VGPR lane
	v_cmp_lt_i64_e64 s88, 0x600, s[36:37]
	v_cndmask_b32_e64 v2, v2, s36, vcc_lo
	v_cndmask_b32_e64 v9, 0, s37, vcc_lo
	v_mad_co_u64_u32 v[23:24], null, s42, v12, 0
	v_mad_co_u64_u32 v[25:26], null, s42, v13, 0
	s_delay_alu instid0(VALU_DEP_4) | instskip(SKIP_3) | instid1(VALU_DEP_3)
	v_add_co_u32 v8, vcc_lo, v2, v8
	v_mov_b32_e32 v1, v3
	s_wait_alu 0xfffd
	v_add_co_ci_u32_e64 v9, null, -1, v9, vcc_lo
	v_dual_mov_b32 v17, v3 :: v_dual_and_b32 v18, -2, v8
	s_add_nc_u64 s[66:67], s[16:17], s[6:7]
	v_add_co_u32 v42, s6, s36, v0
	s_delay_alu instid0(VALU_DEP_2)
	v_add_co_u32 v20, vcc_lo, v18, v0
	s_wait_alu 0xfffd
	v_add_co_ci_u32_e64 v2, null, 0, v9, vcc_lo
	v_mov_b32_e32 v2, v22
	s_wait_kmcnt 0x0
	s_and_b32 s56, s4, 0xffff
	s_bfe_u32 s9, s4, 0xb0005
	s_cmp_gt_u32 s56, 31
	s_movk_i32 s4, 0x3e0
	v_mad_co_u64_u32 v[10:11], null, s43, v10, v[2:3]
	s_cselect_b32 s89, -1, 0
	s_cmp_lt_u32 ttmp9, s8
	v_mov_b32_e32 v19, v9
	s_cselect_b32 s24, 12, 18
	s_wait_alu 0xfffe
	s_add_co_i32 s5, s9, -1
	s_bfe_u32 s92, s56, 0x30005
	s_wait_alu 0xfffe
	s_and_b32 s5, s5, 0xffff
	v_and_or_b32 v38, v0, s4, 0xc00
	v_cmp_lt_u64_e64 s4, 1, v[8:9]
	s_wait_alu 0xfffe
	s_cmp_gt_u32 s5, 6
	v_mov_b32_e32 v22, v10
	v_cmp_ne_u64_e64 s5, v[8:9], v[18:19]
	v_dual_mov_b32 v8, v24 :: v_dual_mov_b32 v9, v26
	v_mov_b32_e32 v28, s38
	s_cselect_b32 s93, -1, 0
	s_and_b32 s94, s9, 0x7f8
	s_cmp_lg_u32 s92, 0
	v_mad_co_u64_u32 v[11:12], null, s43, v12, v[8:9]
	v_mad_co_u64_u32 v[8:9], null, s43, v13, v[9:10]
	s_cselect_b32 s95, -1, 0
	s_lshl_b64 s[68:69], s[42:43], 1
	v_add_co_u32 v12, vcc_lo, s66, v6
	v_mul_lo_u32 v45, 0, s68
	v_cmp_gt_i64_e64 s0, s[36:37], v[0:1]
	s_mov_b32 s57, s25
	v_lshlrev_b64_e32 v[26:27], 3, v[4:5]
	v_writelane_b32 v56, s18, 0
	v_cmp_eq_u32_e64 s1, 0, v34
	v_cmp_gt_u32_e64 s3, 2, v0
	v_dual_mov_b32 v40, v11 :: v_dual_mov_b32 v41, v8
	v_mov_b32_e32 v46, 0x8000
	v_add_co_ci_u32_e64 v43, null, s37, 0, s6
	v_lshl_or_b32 v44, v34, 3, 0xc00
	s_wait_alu 0xfffd
	v_add_co_ci_u32_e64 v13, null, s67, v7, vcc_lo
	v_dual_mov_b32 v29, s39 :: v_dual_mov_b32 v48, 0
	v_dual_mov_b32 v24, 0 :: v_dual_mov_b32 v47, 0
	s_add_nc_u64 s[62:63], s[56:57], -1
	s_mul_u64 s[6:7], s[42:43], s[56:57]
	s_add_nc_u64 s[64:65], s[62:63], s[36:37]
	s_mov_b32 s90, s42
	s_mov_b32 s91, s43
	s_lshl_b64 s[70:71], s[42:43], 3
	s_wait_alu 0xfffe
	s_lshl_b64 s[58:59], s[6:7], 1
	s_lshl_b32 s96, s56, 1
	s_mov_b32 s98, 14
	s_movk_i32 s97, 0x3f80
	s_add_nc_u64 s[38:39], s[14:15], s[24:25]
	s_mov_b32 s99, 0
	s_mov_b32 s100, 0
	v_writelane_b32 v56, s19, 1
                                        ; implicit-def: $sgpr104
                                        ; implicit-def: $sgpr52
                                        ; implicit-def: $sgpr101
                                        ; implicit-def: $sgpr103
                                        ; implicit-def: $vcc_hi
                                        ; implicit-def: $sgpr102
	s_branch .LBB69_16
.LBB69_13:                              ;   in Loop: Header=BB69_16 Depth=1
	s_wait_alu 0xfffe
	s_or_b32 exec_lo, exec_lo, s9
	s_delay_alu instid0(SALU_CYCLE_1)
	s_and_b32 s7, s7, exec_lo
	s_and_not1_b32 s22, s22, exec_lo
	s_and_not1_b32 s21, s21, exec_lo
	s_or_not1_b32 s18, s8, exec_lo
.LBB69_14:                              ;   in Loop: Header=BB69_16 Depth=1
	s_wait_alu 0xfffe
	s_or_b32 exec_lo, exec_lo, s6
	s_delay_alu instid0(SALU_CYCLE_1)
	s_and_not1_b32 s6, s102, exec_lo
	s_and_b32 s7, s7, exec_lo
	s_and_not1_b32 s8, s103, exec_lo
	s_wait_alu 0xfffe
	s_or_b32 s102, s6, s7
	s_and_not1_b32 s6, vcc_hi, exec_lo
	s_and_b32 s7, s22, exec_lo
	s_and_b32 s9, s21, exec_lo
	s_wait_alu 0xfffe
	s_or_b32 vcc_hi, s6, s7
	s_or_b32 s103, s8, s9
	s_or_not1_b32 s18, s18, exec_lo
.LBB69_15:                              ;   in Loop: Header=BB69_16 Depth=1
	s_wait_alu 0xfffe
	s_or_b32 exec_lo, exec_lo, s17
	s_delay_alu instid0(SALU_CYCLE_1)
	s_and_b32 s6, exec_lo, s18
	v_dual_mov_b32 v29, v9 :: v_dual_mov_b32 v28, v8
	s_wait_alu 0xfffe
	s_or_b32 s99, s6, s99
	s_and_not1_b32 s6, s101, exec_lo
	s_and_b32 s7, s102, exec_lo
	s_and_not1_b32 s8, s52, exec_lo
	s_wait_alu 0xfffe
	s_or_b32 s101, s6, s7
	s_and_b32 s6, vcc_hi, exec_lo
	s_and_not1_b32 s7, s104, exec_lo
	s_and_b32 s9, s103, exec_lo
	s_wait_alu 0xfffe
	s_or_b32 s52, s8, s6
	s_or_b32 s104, s7, s9
	s_and_not1_b32 exec_lo, exec_lo, s99
	s_cbranch_execz .LBB69_278
.LBB69_16:                              ; =>This Loop Header: Depth=1
                                        ;     Child Loop BB69_21 Depth 2
                                        ;     Child Loop BB69_35 Depth 2
	;; [unrolled: 1-line block ×17, first 2 shown]
	ds_load_b128 v[4:7], v3 offset:5120
	s_wait_dscnt 0x0
	v_readfirstlane_b32 s73, v5
	v_readfirstlane_b32 s72, v4
	s_wait_alu 0xf1ff
	s_delay_alu instid0(VALU_DEP_1)
	v_cmp_gt_i64_e64 s6, s[72:73], 0
	s_and_b32 vcc_lo, exec_lo, s6
	s_wait_alu 0xfffe
	s_cbranch_vccnz .LBB69_48
; %bb.17:                               ;   in Loop: Header=BB69_16 Depth=1
	s_and_b32 vcc_lo, exec_lo, s88
	s_wait_alu 0xfffe
	s_cbranch_vccz .LBB69_29
; %bb.18:                               ;   in Loop: Header=BB69_16 Depth=1
	v_cmp_gt_i64_e32 vcc_lo, 0x601, v[6:7]
	s_mov_b32 s8, 0
	s_mov_b32 s6, 0
	s_cbranch_vccz .LBB69_30
; %bb.19:                               ;   in Loop: Header=BB69_16 Depth=1
	global_load_u16 v2, v3, s[38:39]
	global_load_u16 v8, v[14:15], off
	s_mov_b32 s9, 0
	s_wait_loadcnt 0x1
	v_and_b32_e32 v2, 0xffff, v2
	s_delay_alu instid0(VALU_DEP_1) | instskip(SKIP_3) | instid1(VALU_DEP_3)
	v_add_co_u32 v4, s6, v0, v2
	s_wait_alu 0xf1fe
	v_add_co_ci_u32_e64 v5, null, 0, 0, s6
	v_mul_lo_u32 v6, v2, s69
	v_mul_lo_u32 v10, s69, v4
	v_mul_hi_u32 v11, v2, s68
	s_delay_alu instid0(VALU_DEP_4) | instskip(SKIP_2) | instid1(VALU_DEP_2)
	v_mul_lo_u32 v7, s68, v5
	v_mad_co_u64_u32 v[4:5], null, s68, v4, s[66:67]
	v_add_nc_u32_e32 v6, v6, v45
	v_add3_u32 v5, v10, v5, v7
	s_delay_alu instid0(VALU_DEP_2)
	v_dual_mov_b32 v7, v1 :: v_dual_add_nc_u32 v10, v6, v11
	v_mul_lo_u32 v9, v2, s68
	v_mov_b32_e32 v6, v0
	s_branch .LBB69_21
.LBB69_20:                              ;   in Loop: Header=BB69_21 Depth=2
	s_wait_alu 0xfffe
	s_or_b32 exec_lo, exec_lo, s7
	v_add_co_u32 v4, vcc_lo, v4, v9
	s_wait_alu 0xfffd
	v_add_co_ci_u32_e64 v5, null, v5, v10, vcc_lo
	v_mov_b32_e32 v8, v11
	s_and_not1_b32 exec_lo, exec_lo, s9
	s_cbranch_execz .LBB69_82
.LBB69_21:                              ;   Parent Loop BB69_16 Depth=1
                                        ; =>  This Inner Loop Header: Depth=2
	s_delay_alu instid0(VALU_DEP_1)
	v_add_co_u32 v6, vcc_lo, v6, v2
	s_wait_alu 0xfffd
	v_add_co_ci_u32_e64 v7, null, 0, v7, vcc_lo
	s_wait_dscnt 0x0
	v_dual_mov_b32 v30, 0 :: v_dual_mov_b32 v11, 0
	s_mov_b32 s7, exec_lo
	s_delay_alu instid0(VALU_DEP_2)
	v_cmp_le_i64_e32 vcc_lo, s[36:37], v[6:7]
	v_cmpx_gt_i64_e64 s[36:37], v[6:7]
	s_cbranch_execz .LBB69_23
; %bb.22:                               ;   in Loop: Header=BB69_21 Depth=2
	global_load_u16 v11, v[4:5], off
.LBB69_23:                              ;   in Loop: Header=BB69_21 Depth=2
	s_wait_alu 0xfffe
	s_or_b32 exec_lo, exec_lo, s7
	s_wait_loadcnt 0x0
	v_cmp_lt_i16_e64 s6, -1, v8
	v_and_b32_e32 v31, 0xffff, v8
	v_lshlrev_b32_e32 v33, 16, v8
	s_wait_alu 0xf1ff
	s_delay_alu instid0(VALU_DEP_3) | instskip(NEXT) | instid1(VALU_DEP_2)
	v_cndmask_b32_e64 v32, 0xffff, v46, s6
	v_cmp_o_f32_e64 s6, v33, v33
	s_delay_alu instid0(VALU_DEP_2) | instskip(SKIP_1) | instid1(VALU_DEP_1)
	v_xor_b32_e32 v31, v32, v31
	s_wait_alu 0xf1ff
	v_cndmask_b32_e64 v31, 0xffff, v31, s6
	s_delay_alu instid0(VALU_DEP_1) | instskip(NEXT) | instid1(VALU_DEP_1)
	v_and_b32_e32 v31, v31, v47
	v_cmp_eq_u32_e64 s6, v31, v24
	s_cmp_lg_u32 s6, 0
	s_cselect_b32 s7, -1, 0
	s_wait_alu 0xfffe
	s_and_b32 s7, s1, s7
	s_wait_alu 0xfffe
	s_and_saveexec_b32 s10, s7
	s_cbranch_execz .LBB69_27
; %bb.24:                               ;   in Loop: Header=BB69_21 Depth=2
	s_mov_b32 s13, exec_lo
	s_bcnt1_i32_b32 s11, s6
	s_wait_alu 0xfffe
	v_mbcnt_lo_u32_b32 v30, s13, 0
	s_mov_b32 s12, exec_lo
                                        ; implicit-def: $vgpr31
	s_delay_alu instid0(VALU_DEP_1)
	v_cmpx_eq_u32_e32 0, v30
; %bb.25:                               ;   in Loop: Header=BB69_21 Depth=2
	s_bcnt1_i32_b32 s7, s13
	s_wait_alu 0xfffe
	s_mul_i32 s7, s11, s7
	s_wait_alu 0xfffe
	v_mov_b32_e32 v31, s7
	ds_add_rtn_u32 v31, v3, v31 offset:5136
; %bb.26:                               ;   in Loop: Header=BB69_21 Depth=2
	s_or_b32 exec_lo, exec_lo, s12
	s_wait_dscnt 0x0
	v_readfirstlane_b32 s7, v31
	s_wait_alu 0xf1ff
	s_delay_alu instid0(VALU_DEP_1)
	v_mad_u32_u24 v30, s11, v30, s7
.LBB69_27:                              ;   in Loop: Header=BB69_21 Depth=2
	s_wait_alu 0xfffe
	s_or_b32 exec_lo, exec_lo, s10
	ds_bpermute_b32 v30, v3, v30
	s_and_b32 s7, exec_lo, vcc_lo
	s_wait_alu 0xfffe
	s_or_b32 s9, s7, s9
	s_and_saveexec_b32 s7, s6
	s_cbranch_execz .LBB69_20
; %bb.28:                               ;   in Loop: Header=BB69_21 Depth=2
	v_and_b32_e32 v31, s6, v37
	s_delay_alu instid0(VALU_DEP_1) | instskip(NEXT) | instid1(VALU_DEP_1)
	v_bcnt_u32_b32 v31, v31, 0
	v_lshlrev_b32_e32 v31, 1, v31
	s_wait_dscnt 0x0
	s_delay_alu instid0(VALU_DEP_1)
	v_lshl_add_u32 v30, v30, 1, v31
	ds_store_b16 v30, v8
	s_branch .LBB69_20
.LBB69_29:                              ;   in Loop: Header=BB69_16 Depth=1
	s_mov_b32 s8, -1
	s_mov_b32 s6, 0
.LBB69_30:                              ;   in Loop: Header=BB69_16 Depth=1
	s_wait_alu 0xfffe
	s_and_b32 vcc_lo, exec_lo, s8
	s_wait_alu 0xfffe
	s_cbranch_vccz .LBB69_46
.LBB69_31:                              ;   in Loop: Header=BB69_16 Depth=1
	s_and_saveexec_b32 s7, s0
	s_cbranch_execz .LBB69_43
; %bb.32:                               ;   in Loop: Header=BB69_16 Depth=1
	global_load_u16 v4, v3, s[38:39]
	global_load_u16 v30, v[14:15], off
	v_mov_b32_e32 v6, v0
	s_mov_b32 s12, exec_lo
	s_wait_loadcnt 0x1
	v_and_b32_e32 v2, 0xffff, v4
	v_readfirstlane_b32 s6, v4
	s_delay_alu instid0(VALU_DEP_2) | instskip(NEXT) | instid1(VALU_DEP_1)
	v_add_nc_u32_e32 v2, v2, v0
	v_cmpx_gt_i64_e64 s[36:37], v[2:3]
	s_cbranch_execz .LBB69_42
; %bb.33:                               ;   in Loop: Header=BB69_16 Depth=1
	s_and_b32 s24, s6, 0xffff
	v_dual_mov_b32 v9, v1 :: v_dual_mov_b32 v8, v0
	s_wait_alu 0xfffe
	s_cmp_eq_u32 s24, 1
	v_dual_mov_b32 v5, v3 :: v_dual_mov_b32 v4, v2
	s_cselect_b32 s6, -1, 0
                                        ; implicit-def: $vgpr6_vgpr7
	s_wait_alu 0xfffe
	s_and_b32 s9, s4, s6
	s_mov_b32 s6, -1
	s_wait_alu 0xfffe
	s_and_saveexec_b32 s8, s9
	s_cbranch_execz .LBB69_37
; %bb.34:                               ;   in Loop: Header=BB69_16 Depth=1
	v_add_co_u32 v4, s6, v2, 1
	s_wait_alu 0xf1ff
	v_add_co_ci_u32_e64 v5, null, 0, 0, s6
	s_wait_loadcnt 0x0
	v_dual_mov_b32 v8, v18 :: v_dual_lshlrev_b32 v11, 16, v30
	v_dual_mov_b32 v9, v19 :: v_dual_mov_b32 v10, v35
	s_delay_alu instid0(VALU_DEP_3)
	v_mov_b32_e32 v7, v5
	v_dual_mov_b32 v6, v4 :: v_dual_mov_b32 v5, v3
	v_mov_b32_e32 v4, v2
	s_mov_b32 s9, 0
.LBB69_35:                              ;   Parent Loop BB69_16 Depth=1
                                        ; =>  This Inner Loop Header: Depth=2
	s_delay_alu instid0(VALU_DEP_2) | instskip(NEXT) | instid1(VALU_DEP_2)
	v_mul_lo_u32 v49, v5, s90
	v_mul_lo_u32 v50, v4, s91
	v_mad_co_u64_u32 v[30:31], null, v4, s90, 0
	v_mul_lo_u32 v51, v7, s42
	v_mul_lo_u32 v52, v6, s43
	v_mad_co_u64_u32 v[32:33], null, v6, s42, 0
	s_delay_alu instid0(VALU_DEP_4) | instskip(NEXT) | instid1(VALU_DEP_2)
	v_add3_u32 v31, v31, v50, v49
	v_add3_u32 v33, v33, v52, v51
	s_delay_alu instid0(VALU_DEP_2) | instskip(NEXT) | instid1(VALU_DEP_2)
	v_lshlrev_b64_e32 v[30:31], 1, v[30:31]
	v_lshlrev_b64_e32 v[32:33], 1, v[32:33]
	s_delay_alu instid0(VALU_DEP_2) | instskip(SKIP_1) | instid1(VALU_DEP_3)
	v_add_co_u32 v30, vcc_lo, s60, v30
	s_wait_alu 0xfffd
	v_add_co_ci_u32_e64 v31, null, s61, v31, vcc_lo
	s_delay_alu instid0(VALU_DEP_3)
	v_add_co_u32 v32, vcc_lo, s60, v32
	s_wait_alu 0xfffd
	v_add_co_ci_u32_e64 v33, null, s61, v33, vcc_lo
	s_clause 0x1
	global_load_u16 v31, v[30:31], off
	global_load_u16 v30, v[32:33], off
	v_add_co_u32 v8, vcc_lo, v8, -2
	s_wait_alu 0xfffd
	v_add_co_ci_u32_e64 v9, null, -1, v9, vcc_lo
	v_add_co_u32 v6, vcc_lo, v6, 2
	s_wait_alu 0xfffd
	v_add_co_ci_u32_e64 v7, null, 0, v7, vcc_lo
	s_delay_alu instid0(VALU_DEP_3) | instskip(SKIP_4) | instid1(VALU_DEP_3)
	v_cmp_eq_u64_e64 s6, 0, v[8:9]
	v_add_co_u32 v4, vcc_lo, v4, 2
	s_wait_alu 0xfffd
	v_add_co_ci_u32_e64 v5, null, 0, v5, vcc_lo
	s_wait_alu 0xfffe
	s_or_b32 s9, s6, s9
	s_wait_loadcnt 0x1
	v_alignbit_b32 v11, v31, v11, 16
	s_wait_loadcnt 0x0
	v_perm_b32 v31, v30, v31, 0x5040100
	ds_store_b32 v10, v11
	v_dual_mov_b32 v11, v31 :: v_dual_add_nc_u32 v10, 4, v10
	s_wait_alu 0xfffe
	s_and_not1_b32 exec_lo, exec_lo, s9
	s_cbranch_execnz .LBB69_35
; %bb.36:                               ;   in Loop: Header=BB69_16 Depth=1
	s_or_b32 exec_lo, exec_lo, s9
	v_add_co_u32 v4, vcc_lo, v2, v18
	s_wait_alu 0xfffd
	v_add_co_ci_u32_e64 v5, null, 0, v19, vcc_lo
	v_dual_mov_b32 v8, v20 :: v_dual_mov_b32 v9, v21
	s_delay_alu instid0(VALU_DEP_3)
	v_add_co_u32 v6, vcc_lo, v4, -1
	s_or_not1_b32 s6, s5, exec_lo
	s_wait_alu 0xfffd
	v_add_co_ci_u32_e64 v2, null, -1, v5, vcc_lo
.LBB69_37:                              ;   in Loop: Header=BB69_16 Depth=1
	s_wait_alu 0xfffe
	s_or_b32 exec_lo, exec_lo, s8
	s_and_saveexec_b32 s13, s6
	s_cbranch_execz .LBB69_41
; %bb.38:                               ;   in Loop: Header=BB69_16 Depth=1
	v_mad_co_u64_u32 v[10:11], null, s68, v4, s[66:67]
	v_mul_lo_u32 v2, s68, v5
	v_mul_lo_u32 v6, s69, v4
	s_sub_nc_u64 s[8:9], 0, s[24:25]
	s_mul_u64 s[10:11], s[68:69], s[24:25]
	s_mov_b32 s14, 0
	s_delay_alu instid0(VALU_DEP_1)
	v_add3_u32 v11, v6, v11, v2
.LBB69_39:                              ;   Parent Loop BB69_16 Depth=1
                                        ; =>  This Inner Loop Header: Depth=2
	s_wait_loadcnt 0x0
	v_mov_b32_e32 v2, v30
	global_load_u16 v30, v[10:11], off
	v_dual_mov_b32 v32, v5 :: v_dual_lshlrev_b32 v7, 1, v8
	v_mov_b32_e32 v31, v4
	ds_store_b16 v7, v2
	v_add_co_u32 v4, vcc_lo, v31, s24
	s_wait_alu 0xfffd
	v_add_co_ci_u32_e64 v5, null, 0, v32, vcc_lo
	s_wait_alu 0xfffe
	v_add_co_u32 v10, vcc_lo, v10, s10
	s_wait_alu 0xfffd
	v_add_co_ci_u32_e64 v11, null, s11, v11, vcc_lo
	v_cmp_le_i64_e32 vcc_lo, s[36:37], v[4:5]
	v_add_co_u32 v6, s6, s8, v4
	s_wait_alu 0xf1ff
	v_add_co_ci_u32_e64 v8, null, s9, v5, s6
	v_dual_mov_b32 v8, v31 :: v_dual_mov_b32 v9, v32
	s_or_b32 s14, vcc_lo, s14
	s_wait_alu 0xfffe
	s_and_not1_b32 exec_lo, exec_lo, s14
	s_cbranch_execnz .LBB69_39
; %bb.40:                               ;   in Loop: Header=BB69_16 Depth=1
	s_or_b32 exec_lo, exec_lo, s14
.LBB69_41:                              ;   in Loop: Header=BB69_16 Depth=1
	s_wait_alu 0xfffe
	s_or_b32 exec_lo, exec_lo, s13
.LBB69_42:                              ;   in Loop: Header=BB69_16 Depth=1
	s_wait_alu 0xfffe
	s_or_b32 exec_lo, exec_lo, s12
	v_lshlrev_b32_e32 v2, 1, v6
	s_wait_loadcnt 0x0
	ds_store_b16 v2, v30
.LBB69_43:                              ;   in Loop: Header=BB69_16 Depth=1
	s_wait_alu 0xfffe
	s_or_b32 exec_lo, exec_lo, s7
	s_wait_loadcnt_dscnt 0x0
	s_barrier_signal -1
	s_barrier_wait -1
	global_inv scope:SCOPE_SE
	s_and_saveexec_b32 s6, s2
; %bb.44:                               ;   in Loop: Header=BB69_16 Depth=1
	v_dual_mov_b32 v4, s36 :: v_dual_mov_b32 v5, s37
	ds_store_b64 v3, v[4:5] offset:5120
; %bb.45:                               ;   in Loop: Header=BB69_16 Depth=1
	s_wait_alu 0xfffe
	s_or_b32 exec_lo, exec_lo, s6
	s_mov_b32 s6, -1
	s_wait_loadcnt_dscnt 0x0
	s_barrier_signal -1
	s_barrier_wait -1
.LBB69_46:                              ;   in Loop: Header=BB69_16 Depth=1
	s_wait_alu 0xfffe
	s_and_b32 vcc_lo, exec_lo, s6
	s_wait_alu 0xfffe
	s_cbranch_vccz .LBB69_48
; %bb.47:                               ;   in Loop: Header=BB69_16 Depth=1
	s_wait_loadcnt 0x0
	global_inv scope:SCOPE_SE
	ds_load_b64 v[4:5], v3 offset:5120
	s_wait_dscnt 0x0
	v_readfirstlane_b32 s72, v4
.LBB69_48:                              ;   in Loop: Header=BB69_16 Depth=1
	s_delay_alu instid0(VALU_DEP_1)
	s_cmp_lt_i32 s72, 1
	s_mov_b32 s6, -1
                                        ; implicit-def: $vgpr4_vgpr5
                                        ; implicit-def: $vgpr8_vgpr9
	s_cbranch_scc1 .LBB69_58
; %bb.49:                               ;   in Loop: Header=BB69_16 Depth=1
	s_wait_alu 0xfffe
	s_and_b32 vcc_lo, exec_lo, s6
	s_wait_alu 0xfffe
	s_cbranch_vccnz .LBB69_72
.LBB69_50:                              ;   in Loop: Header=BB69_16 Depth=1
	s_lshl_b32 s6, s100, 7
	s_and_saveexec_b32 s7, s1
	s_cbranch_execz .LBB69_52
.LBB69_51:                              ;   in Loop: Header=BB69_16 Depth=1
	s_wait_alu 0xfffe
	v_lshl_add_u32 v2, s6, 3, v38
	ds_store_b128 v2, v[4:7]
	ds_store_b128 v2, v[8:11] offset:16
.LBB69_52:                              ;   in Loop: Header=BB69_16 Depth=1
	s_wait_alu 0xfffe
	s_or_b32 exec_lo, exec_lo, s7
	s_wait_loadcnt_dscnt 0x0
	s_barrier_signal -1
	s_barrier_wait -1
	global_inv scope:SCOPE_SE
	s_and_saveexec_b32 s7, s33
	s_cbranch_execz .LBB69_89
; %bb.53:                               ;   in Loop: Header=BB69_16 Depth=1
	v_mov_b32_e32 v4, 0
	v_mov_b32_e32 v5, 0
	s_and_not1_b32 vcc_lo, exec_lo, s89
	s_wait_alu 0xfffe
	s_cbranch_vccnz .LBB69_88
; %bb.54:                               ;   in Loop: Header=BB69_16 Depth=1
	v_mov_b32_e32 v4, 0
	v_mov_b32_e32 v5, 0
	s_and_not1_b32 vcc_lo, exec_lo, s93
	s_wait_alu 0xfffe
	s_cbranch_vccnz .LBB69_85
; %bb.55:                               ;   in Loop: Header=BB69_16 Depth=1
	v_lshl_add_u32 v2, s100, 10, v44
	s_mov_b32 s8, 0
.LBB69_56:                              ;   Parent Loop BB69_16 Depth=1
                                        ; =>  This Inner Loop Header: Depth=2
	ds_load_2addr_b64 v[6:9], v2 offset1:4
	ds_load_2addr_b64 v[30:33], v2 offset0:8 offset1:12
	ds_load_2addr_b64 v[49:52], v2 offset0:16 offset1:20
	s_wait_alu 0xfffe
	s_add_co_i32 s8, s8, 8
	s_wait_alu 0xfffe
	s_cmp_eq_u32 s94, s8
	s_wait_dscnt 0x2
	v_add_co_u32 v4, vcc_lo, v6, v4
	s_wait_alu 0xfffd
	v_add_co_ci_u32_e64 v5, null, v7, v5, vcc_lo
	s_delay_alu instid0(VALU_DEP_2) | instskip(SKIP_1) | instid1(VALU_DEP_2)
	v_add_co_u32 v8, vcc_lo, v8, v4
	s_wait_alu 0xfffd
	v_add_co_ci_u32_e64 v9, null, v9, v5, vcc_lo
	ds_load_2addr_b64 v[4:7], v2 offset0:24 offset1:28
	s_wait_dscnt 0x2
	v_add_co_u32 v8, vcc_lo, v30, v8
	s_wait_alu 0xfffd
	v_add_co_ci_u32_e64 v9, null, v31, v9, vcc_lo
	v_add_nc_u32_e32 v2, 0x100, v2
	s_delay_alu instid0(VALU_DEP_3) | instskip(SKIP_1) | instid1(VALU_DEP_3)
	v_add_co_u32 v8, vcc_lo, v32, v8
	s_wait_alu 0xfffd
	v_add_co_ci_u32_e64 v9, null, v33, v9, vcc_lo
	s_wait_dscnt 0x1
	s_delay_alu instid0(VALU_DEP_2) | instskip(SKIP_1) | instid1(VALU_DEP_2)
	v_add_co_u32 v8, vcc_lo, v49, v8
	s_wait_alu 0xfffd
	v_add_co_ci_u32_e64 v9, null, v50, v9, vcc_lo
	s_delay_alu instid0(VALU_DEP_2) | instskip(SKIP_1) | instid1(VALU_DEP_2)
	v_add_co_u32 v8, vcc_lo, v51, v8
	s_wait_alu 0xfffd
	v_add_co_ci_u32_e64 v9, null, v52, v9, vcc_lo
	s_wait_dscnt 0x0
	s_delay_alu instid0(VALU_DEP_2) | instskip(SKIP_1) | instid1(VALU_DEP_2)
	v_add_co_u32 v4, vcc_lo, v4, v8
	s_wait_alu 0xfffd
	v_add_co_ci_u32_e64 v5, null, v5, v9, vcc_lo
	s_delay_alu instid0(VALU_DEP_2) | instskip(SKIP_1) | instid1(VALU_DEP_2)
	v_add_co_u32 v4, vcc_lo, v6, v4
	s_wait_alu 0xfffd
	v_add_co_ci_u32_e64 v5, null, v7, v5, vcc_lo
	s_cbranch_scc0 .LBB69_56
; %bb.57:                               ;   in Loop: Header=BB69_16 Depth=1
	s_mov_b32 s8, s94
	s_and_not1_b32 vcc_lo, exec_lo, s95
	s_wait_alu 0xfffe
	s_cbranch_vccz .LBB69_86
	s_branch .LBB69_88
.LBB69_58:                              ;   in Loop: Header=BB69_16 Depth=1
	global_load_u16 v2, v3, s[38:39]
	s_mov_b32 s7, s37
	s_wait_loadcnt 0x0
	v_readfirstlane_b32 s6, v2
	s_wait_alu 0xfffe
	s_and_b32 s8, 0xffff, s6
	s_mov_b32 s6, s25
	s_wait_alu 0xfffe
	s_lshl_b32 s74, s8, 2
	s_cmp_lg_u64 s[6:7], 0
	s_cbranch_scc0 .LBB69_81
; %bb.59:                               ;   in Loop: Header=BB69_16 Depth=1
	s_mov_b32 s75, s25
	s_wait_alu 0xfffe
	s_add_nc_u64 s[6:7], s[74:75], 0
	s_wait_alu 0xfffe
	s_xor_b64 s[6:7], s[6:7], 0
	s_wait_alu 0xfffe
	s_cvt_f32_u32 s8, s6
	s_cvt_f32_u32 s9, s7
	s_sub_nc_u64 s[10:11], 0, s[6:7]
	s_wait_alu 0xfffe
	s_delay_alu instid0(SALU_CYCLE_1) | instskip(SKIP_1) | instid1(SALU_CYCLE_2)
	s_fmamk_f32 s8, s9, 0x4f800000, s8
	s_wait_alu 0xfffe
	v_s_rcp_f32 s8, s8
	s_delay_alu instid0(TRANS32_DEP_1) | instskip(SKIP_1) | instid1(SALU_CYCLE_2)
	s_mul_f32 s8, s8, 0x5f7ffffc
	s_wait_alu 0xfffe
	s_mul_f32 s9, s8, 0x2f800000
	s_wait_alu 0xfffe
	s_delay_alu instid0(SALU_CYCLE_2) | instskip(SKIP_1) | instid1(SALU_CYCLE_2)
	s_trunc_f32 s9, s9
	s_wait_alu 0xfffe
	s_fmamk_f32 s8, s9, 0xcf800000, s8
	s_cvt_u32_f32 s9, s9
	s_wait_alu 0xfffe
	s_delay_alu instid0(SALU_CYCLE_1) | instskip(SKIP_1) | instid1(SALU_CYCLE_2)
	s_cvt_u32_f32 s8, s8
	s_wait_alu 0xfffe
	s_mul_u64 s[12:13], s[10:11], s[8:9]
	s_wait_alu 0xfffe
	s_mul_hi_u32 s15, s8, s13
	s_mul_i32 s14, s8, s13
	s_mul_hi_u32 s24, s8, s12
	s_mul_i32 s17, s9, s12
	s_wait_alu 0xfffe
	s_add_nc_u64 s[14:15], s[24:25], s[14:15]
	s_mul_hi_u32 s16, s9, s12
	s_mul_hi_u32 s18, s9, s13
	s_mul_i32 s12, s9, s13
	s_wait_alu 0xfffe
	s_add_co_u32 s13, s14, s17
	s_add_co_ci_u32 s24, s15, s16
	s_add_co_ci_u32 s13, s18, 0
	s_wait_alu 0xfffe
	s_add_nc_u64 s[12:13], s[24:25], s[12:13]
	s_wait_alu 0xfffe
	s_add_co_u32 s8, s8, s12
	s_cselect_b32 s12, -1, 0
	s_wait_alu 0xfffe
	s_cmp_lg_u32 s12, 0
	s_add_co_ci_u32 s9, s9, s13
	s_wait_alu 0xfffe
	s_mul_u64 s[10:11], s[10:11], s[8:9]
	s_wait_alu 0xfffe
	s_mul_hi_u32 s13, s8, s11
	s_mul_i32 s12, s8, s11
	s_mul_hi_u32 s24, s8, s10
	s_mul_i32 s15, s9, s10
	s_wait_alu 0xfffe
	s_add_nc_u64 s[12:13], s[24:25], s[12:13]
	s_mul_hi_u32 s14, s9, s10
	s_mul_hi_u32 s16, s9, s11
	s_mul_i32 s10, s9, s11
	s_wait_alu 0xfffe
	s_add_co_u32 s11, s12, s15
	s_add_co_ci_u32 s24, s13, s14
	s_add_co_ci_u32 s11, s16, 0
	s_wait_alu 0xfffe
	s_add_nc_u64 s[10:11], s[24:25], s[10:11]
	s_wait_alu 0xfffe
	s_add_co_u32 s14, s8, s10
	s_cselect_b32 s8, -1, 0
	s_wait_alu 0xfffe
	s_cmp_lg_u32 s8, 0
	s_add_co_ci_u32 s15, s9, s11
	s_ashr_i32 s8, s37, 31
	s_wait_alu 0xfffe
	s_mov_b32 s9, s8
	s_wait_alu 0xfffe
	s_add_nc_u64 s[10:11], s[36:37], s[8:9]
	s_wait_alu 0xfffe
	s_xor_b64 s[10:11], s[10:11], s[8:9]
	s_wait_alu 0xfffe
	s_mul_hi_u32 s13, s10, s15
	s_mul_i32 s12, s10, s15
	s_mul_hi_u32 s24, s10, s14
	s_mul_i32 s18, s11, s14
	s_wait_alu 0xfffe
	s_add_nc_u64 s[12:13], s[24:25], s[12:13]
	s_mul_hi_u32 s17, s11, s14
	s_mul_hi_u32 s16, s11, s15
	s_wait_alu 0xfffe
	s_add_co_u32 s12, s12, s18
	s_add_co_ci_u32 s24, s13, s17
	s_mul_i32 s14, s11, s15
	s_add_co_ci_u32 s15, s16, 0
	s_wait_alu 0xfffe
	s_add_nc_u64 s[12:13], s[24:25], s[14:15]
	s_wait_alu 0xfffe
	s_mul_u64 s[12:13], s[6:7], s[12:13]
	s_wait_alu 0xfffe
	s_sub_co_u32 s10, s10, s12
	s_cselect_b32 s12, -1, 0
	s_sub_co_i32 s14, s11, s13
	s_wait_alu 0xfffe
	s_cmp_lg_u32 s12, 0
	s_sub_co_ci_u32 s14, s14, s7
	s_sub_co_u32 s15, s10, s6
	s_cselect_b32 s16, -1, 0
	s_wait_alu 0xfffe
	s_cmp_lg_u32 s16, 0
	s_sub_co_ci_u32 s17, s14, 0
	s_wait_alu 0xfffe
	s_cmp_ge_u32 s17, s7
	s_cselect_b32 s18, -1, 0
	s_cmp_ge_u32 s15, s6
	s_cselect_b32 s19, -1, 0
	s_cmp_eq_u32 s17, s7
	s_wait_alu 0xfffe
	s_cselect_b32 s18, s19, s18
	s_cmp_lg_u32 s16, 0
	s_sub_co_ci_u32 s14, s14, s7
	s_sub_co_u32 s16, s15, s6
	s_cselect_b32 s19, -1, 0
	s_wait_alu 0xfffe
	s_cmp_lg_u32 s19, 0
	s_sub_co_ci_u32 s14, s14, 0
	s_cmp_lg_u32 s18, 0
	s_cselect_b32 s15, s16, s15
	s_wait_alu 0xfffe
	s_cselect_b32 s14, s14, s17
	s_cmp_lg_u32 s12, 0
	s_sub_co_ci_u32 s11, s11, s13
	s_wait_alu 0xfffe
	s_cmp_ge_u32 s11, s7
	s_cselect_b32 s12, -1, 0
	s_cmp_ge_u32 s10, s6
	s_cselect_b32 s6, -1, 0
	s_cmp_eq_u32 s11, s7
	s_wait_alu 0xfffe
	s_cselect_b32 s6, s6, s12
	s_wait_alu 0xfffe
	s_cmp_lg_u32 s6, 0
	s_cselect_b32 s7, s14, s11
	s_cselect_b32 s6, s15, s10
	s_wait_alu 0xfffe
	s_xor_b64 s[6:7], s[6:7], s[8:9]
	s_wait_alu 0xfffe
	s_sub_nc_u64 s[76:77], s[6:7], s[8:9]
	s_cbranch_execnz .LBB69_61
.LBB69_60:                              ;   in Loop: Header=BB69_16 Depth=1
	s_wait_alu 0xfffe
	v_cvt_f32_u32_e32 v4, s74
	s_sub_co_i32 s7, 0, s74
	s_delay_alu instid0(VALU_DEP_1) | instskip(NEXT) | instid1(TRANS32_DEP_1)
	v_rcp_iflag_f32_e32 v4, v4
	v_mul_f32_e32 v4, 0x4f7ffffe, v4
	s_delay_alu instid0(VALU_DEP_1) | instskip(NEXT) | instid1(VALU_DEP_1)
	v_cvt_u32_f32_e32 v4, v4
	v_readfirstlane_b32 s6, v4
	s_wait_alu 0xfffe
	s_mul_i32 s7, s7, s6
	s_wait_alu 0xfffe
	s_mul_hi_u32 s7, s6, s7
	s_wait_alu 0xfffe
	s_add_co_i32 s6, s6, s7
	s_wait_alu 0xfffe
	s_mul_hi_u32 s6, s36, s6
	s_wait_alu 0xfffe
	s_mul_i32 s6, s6, s74
	s_wait_alu 0xfffe
	s_sub_co_i32 s6, s36, s6
	s_wait_alu 0xfffe
	s_sub_co_i32 s7, s6, s74
	s_cmp_ge_u32 s6, s74
	s_wait_alu 0xfffe
	s_cselect_b32 s6, s7, s6
	s_wait_alu 0xfffe
	s_sub_co_i32 s7, s6, s74
	s_cmp_ge_u32 s6, s74
	s_wait_alu 0xfffe
	s_cselect_b32 s24, s7, s6
	s_wait_alu 0xfffe
	s_mov_b64 s[76:77], s[24:25]
.LBB69_61:                              ;   in Loop: Header=BB69_16 Depth=1
	v_mov_b32_e32 v4, 0
	v_dual_mov_b32 v8, 0 :: v_dual_mov_b32 v5, 0
	v_dual_mov_b32 v6, 0 :: v_dual_mov_b32 v9, 0
	;; [unrolled: 1-line block ×3, first 2 shown]
	v_dual_mov_b32 v11, 0 :: v_dual_and_b32 v2, 0xffff, v2
	s_wait_alu 0xfffe
	s_sub_nc_u64 s[78:79], s[36:37], s[76:77]
	s_mov_b32 s53, exec_lo
	s_wait_alu 0xfffe
	v_cmpx_gt_i64_e64 s[78:79], v[16:17]
	s_cbranch_execz .LBB69_65
; %bb.62:                               ;   in Loop: Header=BB69_16 Depth=1
	v_mul_lo_u32 v4, v2, s71
	v_mul_lo_u32 v5, 0, s70
	v_mul_hi_u32 v6, v2, s70
	v_mul_lo_u32 v49, v2, s70
	v_dual_mov_b32 v30, s60 :: v_dual_mov_b32 v33, v17
	v_mov_b32_e32 v32, v16
	s_mov_b64 s[80:81], 0
	v_dual_mov_b32 v31, s61 :: v_dual_add_nc_u32 v4, v4, v5
	s_mov_b32 s73, 0
	s_mov_b64 s[82:83], 0
	s_mov_b64 s[84:85], 0
	;; [unrolled: 1-line block ×3, first 2 shown]
	v_add_nc_u32_e32 v50, v4, v6
.LBB69_63:                              ;   Parent Loop BB69_16 Depth=1
                                        ; =>  This Inner Loop Header: Depth=2
	v_add_co_u32 v4, vcc_lo, v30, v26
	s_wait_alu 0xfffd
	v_add_co_ci_u32_e64 v5, null, v31, v27, vcc_lo
	global_load_u16 v6, v[4:5], off
	v_add_co_u32 v4, vcc_lo, v30, v25
	s_wait_alu 0xfffd
	v_add_co_ci_u32_e64 v5, null, v31, v41, vcc_lo
	global_load_u16 v7, v[4:5], off
	;; [unrolled: 4-line block ×4, first 2 shown]
	s_wait_loadcnt 0x3
	v_cmp_lt_i16_e64 s9, -1, v6
	s_wait_loadcnt 0x2
	v_lshlrev_b32_e32 v5, 16, v7
	s_delay_alu instid0(VALU_DEP_1) | instskip(SKIP_2) | instid1(VALU_DEP_1)
	v_cmp_o_f32_e32 vcc_lo, v5, v5
	s_wait_loadcnt 0x1
	v_lshlrev_b32_e32 v5, 16, v8
	v_cmp_o_f32_e64 s6, v5, v5
	s_wait_loadcnt 0x0
	v_lshlrev_b32_e32 v5, 16, v4
	s_delay_alu instid0(VALU_DEP_1) | instskip(SKIP_1) | instid1(VALU_DEP_1)
	v_cmp_o_f32_e64 s7, v5, v5
	v_lshlrev_b32_e32 v5, 16, v6
	v_cmp_o_f32_e64 s8, v5, v5
	v_and_b32_e32 v5, 0xffff, v6
	s_wait_alu 0xf1ff
	v_cndmask_b32_e64 v6, 0xffff, v46, s9
	v_cmp_lt_i16_e64 s9, -1, v7
	s_delay_alu instid0(VALU_DEP_2) | instskip(SKIP_2) | instid1(VALU_DEP_3)
	v_xor_b32_e32 v5, v6, v5
	v_and_b32_e32 v6, 0xffff, v7
	s_wait_alu 0xf1ff
	v_cndmask_b32_e64 v7, 0xffff, v46, s9
	v_cmp_lt_i16_e64 s9, -1, v8
	v_cndmask_b32_e64 v5, 0xffff, v5, s8
	s_delay_alu instid0(VALU_DEP_3)
	v_xor_b32_e32 v6, v7, v6
	v_and_b32_e32 v7, 0xffff, v8
	s_wait_alu 0xf1ff
	v_cndmask_b32_e64 v8, 0xffff, v46, s9
	v_cmp_lt_i16_e64 s9, -1, v4
	v_and_b32_e32 v4, 0xffff, v4
	s_wait_alu 0xfffd
	v_cndmask_b32_e32 v6, 0xffff, v6, vcc_lo
	v_xor_b32_e32 v7, v8, v7
	s_wait_alu 0xf1ff
	v_cndmask_b32_e64 v8, 0xffff, v46, s9
	s_delay_alu instid0(VALU_DEP_2) | instskip(NEXT) | instid1(VALU_DEP_2)
	v_cndmask_b32_e64 v7, 0xffff, v7, s6
	v_xor_b32_e32 v4, v8, v4
	v_and_b32_e32 v8, v5, v47
	v_bfe_u32 v5, v5, s98, 2
	s_delay_alu instid0(VALU_DEP_3) | instskip(NEXT) | instid1(VALU_DEP_3)
	v_cndmask_b32_e64 v4, 0xffff, v4, s7
	v_cmp_eq_u32_e64 s8, v8, v24
	v_and_b32_e32 v8, v6, v47
	s_delay_alu instid0(VALU_DEP_4)
	v_cmp_eq_u32_e64 s9, 0, v5
	v_cmp_eq_u32_e64 s10, 1, v5
	;; [unrolled: 1-line block ×4, first 2 shown]
	v_cmp_eq_u32_e32 vcc_lo, v8, v24
	v_and_b32_e32 v8, v7, v47
	v_bfe_u32 v5, v6, s98, 2
	s_and_b32 s9, s8, s9
	s_and_b32 s10, s8, s10
	;; [unrolled: 1-line block ×3, first 2 shown]
	v_cmp_eq_u32_e64 s6, v8, v24
	v_and_b32_e32 v8, v4, v47
	v_bfe_u32 v4, v4, s98, 2
	v_cmp_eq_u32_e64 s13, 0, v5
	v_cmp_eq_u32_e64 s14, 1, v5
	;; [unrolled: 1-line block ×4, first 2 shown]
	v_bfe_u32 v5, v7, s98, 2
	v_cmp_eq_u32_e64 s21, 0, v4
	v_cmp_eq_u32_e64 s22, 1, v4
	v_cmp_eq_u32_e64 s23, 2, v4
	v_cmp_eq_u32_e64 s24, 3, v4
	s_wait_alu 0xfffe
	v_cndmask_b32_e64 v4, 0, 1, s9
	v_cmp_eq_u32_e64 s17, 0, v5
	s_and_b32 s13, vcc_lo, s13
	v_cmp_eq_u32_e64 s7, v8, v24
	v_cmp_eq_u32_e64 s18, 1, v5
	v_cmp_ne_u32_e64 s9, 0, v4
	s_wait_alu 0xfffe
	v_cndmask_b32_e64 v4, 0, 1, s13
	s_and_b32 s17, s6, s17
	s_and_b32 s21, s7, s21
	s_and_b32 s14, vcc_lo, s14
	s_and_b32 s18, s6, s18
	v_cmp_ne_u32_e64 s13, 0, v4
	s_wait_alu 0xfffe
	v_cndmask_b32_e64 v4, 0, 1, s17
	s_and_b32 s22, s7, s22
	v_cmp_eq_u32_e64 s19, 2, v5
	s_and_b32 s15, vcc_lo, s15
	s_and_b32 s23, s7, s23
	v_cmp_ne_u32_e64 s17, 0, v4
	v_cndmask_b32_e64 v4, 0, 1, s21
	s_and_b32 s19, s6, s19
	s_and_b32 s8, s8, s12
	v_cmp_eq_u32_e64 s20, 3, v5
	s_and_b32 s12, vcc_lo, s16
	v_cmp_ne_u32_e64 s21, 0, v4
	v_cndmask_b32_e64 v4, 0, 1, s10
	s_and_b32 s7, s7, s24
	s_and_b32 s6, s6, s20
	v_add_co_u32 v30, s16, v30, v49
	s_delay_alu instid0(VALU_DEP_2) | instskip(SKIP_4) | instid1(VALU_DEP_2)
	v_cmp_ne_u32_e64 s10, 0, v4
	v_cndmask_b32_e64 v4, 0, 1, s14
	s_bcnt1_i32_b32 s9, s9
	s_bcnt1_i32_b32 s13, s13
	v_add_co_ci_u32_e64 v31, null, v31, v50, s16
	v_cmp_ne_u32_e64 s14, 0, v4
	v_cndmask_b32_e64 v4, 0, 1, s18
	s_bcnt1_i32_b32 s16, s17
	s_bcnt1_i32_b32 s10, s10
	s_wait_alu 0xfffe
	s_add_co_i32 s9, s13, s9
	s_bcnt1_i32_b32 s14, s14
	v_cmp_ne_u32_e64 s18, 0, v4
	v_cndmask_b32_e64 v4, 0, 1, s22
	s_bcnt1_i32_b32 s17, s21
	s_wait_alu 0xfffe
	s_add_co_i32 s10, s14, s10
	s_add_co_i32 s9, s9, s16
	s_bcnt1_i32_b32 s18, s18
	v_cmp_ne_u32_e64 s22, 0, v4
	v_cndmask_b32_e64 v4, 0, 1, s11
	s_wait_alu 0xfffe
	s_add_co_i32 s10, s10, s18
	s_add_co_i32 s24, s9, s17
	s_bcnt1_i32_b32 s20, s22
	v_cmp_ne_u32_e64 s11, 0, v4
	v_cndmask_b32_e64 v4, 0, 1, s15
	s_wait_alu 0xfffe
	s_add_nc_u64 s[86:87], s[86:87], s[24:25]
	s_add_co_i32 s24, s10, s20
	s_bcnt1_i32_b32 s11, s11
	v_cmp_ne_u32_e64 s15, 0, v4
	v_cndmask_b32_e64 v4, 0, 1, s19
	s_wait_alu 0xfffe
	s_add_nc_u64 s[84:85], s[84:85], s[24:25]
	s_wait_alu 0xfffe
	v_mov_b32_e32 v6, s84
	s_bcnt1_i32_b32 s15, s15
	v_cmp_ne_u32_e64 s19, 0, v4
	v_cndmask_b32_e64 v4, 0, 1, s23
	s_wait_alu 0xfffe
	s_add_co_i32 s11, s15, s11
	v_mov_b32_e32 v7, s85
	s_bcnt1_i32_b32 s19, s19
	v_cmp_ne_u32_e64 s23, 0, v4
	v_cndmask_b32_e64 v4, 0, 1, s8
	s_wait_alu 0xfffe
	s_add_co_i32 s11, s11, s19
	s_bcnt1_i32_b32 s21, s23
	s_delay_alu instid0(VALU_DEP_1) | instskip(SKIP_4) | instid1(VALU_DEP_3)
	v_cmp_ne_u32_e64 s8, 0, v4
	v_cndmask_b32_e64 v4, 0, 1, s12
	v_add_co_u32 v32, s12, v32, s74
	s_wait_alu 0xf1ff
	v_add_co_ci_u32_e64 v33, null, 0, v33, s12
	v_cmp_ne_u32_e32 vcc_lo, 0, v4
	v_cndmask_b32_e64 v4, 0, 1, s6
	s_bcnt1_i32_b32 s8, s8
	s_wait_alu 0xfffe
	s_add_co_i32 s24, s11, s21
	v_cmp_le_i64_e64 s12, s[78:79], v[32:33]
	s_bcnt1_i32_b32 s22, vcc_lo
	v_cmp_ne_u32_e64 s6, 0, v4
	v_cndmask_b32_e64 v4, 0, 1, s7
	s_wait_alu 0xfffe
	s_add_co_i32 s8, s22, s8
	s_add_nc_u64 s[82:83], s[82:83], s[24:25]
	s_bcnt1_i32_b32 s6, s6
	v_cmp_ne_u32_e64 s7, 0, v4
	s_wait_alu 0xfffe
	s_add_co_i32 s6, s8, s6
	v_mov_b32_e32 v4, s86
	v_dual_mov_b32 v8, s82 :: v_dual_mov_b32 v5, s87
	s_bcnt1_i32_b32 s7, s7
	v_mov_b32_e32 v9, s83
	s_wait_alu 0xfffe
	s_add_co_i32 s24, s6, s7
	s_or_b32 s73, s12, s73
	s_wait_alu 0xfffe
	s_add_nc_u64 s[80:81], s[80:81], s[24:25]
	s_wait_alu 0xfffe
	v_dual_mov_b32 v10, s80 :: v_dual_mov_b32 v11, s81
	s_and_not1_b32 exec_lo, exec_lo, s73
	s_cbranch_execnz .LBB69_63
; %bb.64:                               ;   in Loop: Header=BB69_16 Depth=1
	s_or_b32 exec_lo, exec_lo, s73
.LBB69_65:                              ;   in Loop: Header=BB69_16 Depth=1
	s_delay_alu instid0(SALU_CYCLE_1)
	s_or_b32 exec_lo, exec_lo, s53
	v_add_co_u32 v30, s6, s78, v0
	s_wait_alu 0xf1ff
	v_add_co_ci_u32_e64 v31, null, s79, 0, s6
	s_mov_b32 s10, exec_lo
	v_cmpx_gt_i64_e64 s[36:37], v[30:31]
	s_cbranch_execz .LBB69_71
; %bb.66:                               ;   in Loop: Header=BB69_16 Depth=1
	v_mul_lo_u32 v49, v31, s42
	v_mul_lo_u32 v50, v30, s43
	v_mad_co_u64_u32 v[32:33], null, v30, s42, 0
	v_mul_hi_u32 v53, v2, s68
	s_mov_b32 s11, 0
	s_delay_alu instid0(VALU_DEP_2) | instskip(SKIP_1) | instid1(VALU_DEP_2)
	v_add3_u32 v33, v33, v50, v49
	v_mul_lo_u32 v49, v2, s69
	v_lshlrev_b64_e32 v[32:33], 1, v[32:33]
	s_delay_alu instid0(VALU_DEP_2) | instskip(SKIP_1) | instid1(VALU_DEP_3)
	v_add_nc_u32_e32 v54, v49, v45
	v_mul_lo_u32 v49, v2, s68
	v_add_co_u32 v32, vcc_lo, s60, v32
	s_wait_alu 0xfffd
	s_delay_alu instid0(VALU_DEP_4) | instskip(SKIP_4) | instid1(VALU_DEP_2)
	v_add_co_ci_u32_e64 v33, null, s61, v33, vcc_lo
	global_load_u16 v52, v[32:33], off
	v_add_co_u32 v32, vcc_lo, v42, v2
	s_wait_alu 0xfffd
	v_add_co_ci_u32_e64 v33, null, 0, v43, vcc_lo
	v_sub_co_u32 v32, vcc_lo, v32, s76
	s_wait_alu 0xfffd
	s_delay_alu instid0(VALU_DEP_2) | instskip(NEXT) | instid1(VALU_DEP_2)
	v_subrev_co_ci_u32_e64 v33, null, s77, v33, vcc_lo
	v_mul_lo_u32 v51, s69, v32
	s_delay_alu instid0(VALU_DEP_2) | instskip(SKIP_1) | instid1(VALU_DEP_1)
	v_mul_lo_u32 v50, s68, v33
	v_mad_co_u64_u32 v[32:33], null, s68, v32, s[66:67]
	v_add3_u32 v33, v51, v33, v50
	v_add_nc_u32_e32 v50, v54, v53
	s_branch .LBB69_68
.LBB69_67:                              ;   in Loop: Header=BB69_68 Depth=2
	s_wait_alu 0xfffe
	s_or_b32 exec_lo, exec_lo, s7
	s_wait_loadcnt 0x0
	v_cmp_lt_i16_e64 s6, -1, v52
	v_and_b32_e32 v53, 0xffff, v52
	v_lshlrev_b32_e32 v52, 16, v52
	s_and_b32 s8, exec_lo, vcc_lo
	s_wait_alu 0xfffe
	s_or_b32 s11, s8, s11
	v_cndmask_b32_e64 v54, 0xffff, v46, s6
	v_cmp_o_f32_e64 s6, v52, v52
	s_delay_alu instid0(VALU_DEP_2) | instskip(SKIP_1) | instid1(VALU_DEP_1)
	v_xor_b32_e32 v53, v54, v53
	s_wait_alu 0xf1ff
	v_cndmask_b32_e64 v52, 0xffff, v53, s6
	s_delay_alu instid0(VALU_DEP_1) | instskip(SKIP_1) | instid1(VALU_DEP_2)
	v_and_b32_e32 v53, v52, v47
	v_bfe_u32 v52, v52, s98, 2
	v_cmp_eq_u32_e64 s6, v53, v24
	s_delay_alu instid0(VALU_DEP_2)
	v_cmp_eq_u32_e64 s7, 0, v52
	v_cmp_eq_u32_e32 vcc_lo, 1, v52
	v_cmp_eq_u32_e64 s8, 2, v52
	s_and_b32 s7, s6, s7
	s_wait_alu 0xfffe
	v_cndmask_b32_e64 v53, 0, 1, s7
	s_and_b32 s7, s6, vcc_lo
	v_cmp_eq_u32_e32 vcc_lo, 3, v52
	s_wait_alu 0xfffe
	v_cndmask_b32_e64 v54, 0, 1, s7
	s_and_b32 s7, s6, s8
	s_wait_alu 0xfffe
	v_cndmask_b32_e64 v55, 0, 1, s7
	v_cmp_ne_u32_e64 s7, 0, v53
	v_cmp_ne_u32_e64 s8, 0, v54
	s_and_b32 s6, s6, vcc_lo
	s_wait_alu 0xfffe
	v_cndmask_b32_e64 v52, 0, 1, s6
	s_bcnt1_i32_b32 s6, s7
	v_cmp_ne_u32_e64 s9, 0, v55
	s_bcnt1_i32_b32 s7, s8
	s_wait_alu 0xfffe
	v_add_co_u32 v4, vcc_lo, v4, s6
	s_wait_alu 0xfffd
	v_add_co_ci_u32_e64 v5, null, 0, v5, vcc_lo
	v_add_co_u32 v6, vcc_lo, v6, s7
	s_wait_alu 0xfffd
	v_add_co_ci_u32_e64 v7, null, 0, v7, vcc_lo
	v_cmp_ne_u32_e32 vcc_lo, 0, v52
	s_bcnt1_i32_b32 s8, s9
	v_mov_b32_e32 v52, v51
	s_wait_alu 0xfffe
	v_add_co_u32 v8, s6, v8, s8
	s_wait_alu 0xf1ff
	v_add_co_ci_u32_e64 v9, null, 0, v9, s6
	s_bcnt1_i32_b32 s6, vcc_lo
	s_wait_alu 0xfffe
	v_add_co_u32 v10, vcc_lo, v10, s6
	s_wait_alu 0xfffd
	v_add_co_ci_u32_e64 v11, null, 0, v11, vcc_lo
	v_add_co_u32 v32, vcc_lo, v32, v49
	s_wait_alu 0xfffd
	v_add_co_ci_u32_e64 v33, null, v33, v50, vcc_lo
	s_and_not1_b32 exec_lo, exec_lo, s11
	s_cbranch_execz .LBB69_70
.LBB69_68:                              ;   Parent Loop BB69_16 Depth=1
                                        ; =>  This Inner Loop Header: Depth=2
	v_add_co_u32 v30, vcc_lo, v30, v2
	s_wait_alu 0xfffd
	v_add_co_ci_u32_e64 v31, null, 0, v31, vcc_lo
	v_mov_b32_e32 v51, 0
	s_mov_b32 s7, exec_lo
	s_delay_alu instid0(VALU_DEP_2)
	v_cmp_le_i64_e32 vcc_lo, s[36:37], v[30:31]
	v_cmpx_gt_i64_e64 s[36:37], v[30:31]
	s_cbranch_execz .LBB69_67
; %bb.69:                               ;   in Loop: Header=BB69_68 Depth=2
	global_load_u16 v51, v[32:33], off
	s_branch .LBB69_67
.LBB69_70:                              ;   in Loop: Header=BB69_16 Depth=1
	s_or_b32 exec_lo, exec_lo, s11
.LBB69_71:                              ;   in Loop: Header=BB69_16 Depth=1
	s_wait_alu 0xfffe
	s_or_b32 exec_lo, exec_lo, s10
	s_branch .LBB69_50
.LBB69_72:                              ;   in Loop: Header=BB69_16 Depth=1
	global_load_u16 v2, v3, s[38:39]
	v_mov_b32_e32 v6, 0
	v_mov_b32_e32 v8, 0
	v_dual_mov_b32 v10, 0 :: v_dual_mov_b32 v9, 0
	v_mov_b32_e32 v11, 0
	s_mov_b32 s79, exec_lo
	v_mov_b32_e32 v7, 0
	s_wait_loadcnt 0x0
	v_readfirstlane_b32 s6, v2
	v_and_b32_e32 v2, 0xffff, v2
	s_and_b32 s53, 0xffff, s6
	s_delay_alu instid0(SALU_CYCLE_1) | instskip(SKIP_4) | instid1(SALU_CYCLE_1)
	s_lshl_b32 s78, s53, 2
	s_wait_alu 0xfffe
	s_cvt_f32_u32 s6, s78
	s_sub_co_i32 s7, 0, s78
	s_wait_alu 0xfffe
	v_rcp_iflag_f32_e32 v4, s6
	s_delay_alu instid0(TRANS32_DEP_1) | instskip(SKIP_2) | instid1(SALU_CYCLE_2)
	v_readfirstlane_b32 s6, v4
	s_mul_f32 s6, s6, 0x4f7ffffe
	s_wait_alu 0xfffe
	s_cvt_u32_f32 s6, s6
	s_wait_alu 0xfffe
	s_delay_alu instid0(SALU_CYCLE_2)
	s_mul_i32 s7, s7, s6
	s_wait_alu 0xfffe
	s_mul_hi_u32 s7, s6, s7
	s_wait_alu 0xfffe
	s_add_co_i32 s6, s6, s7
	s_wait_alu 0xfffe
	s_mul_hi_u32 s6, s72, s6
	s_wait_alu 0xfffe
	s_mul_i32 s7, s6, s78
	s_add_co_i32 s8, s6, 1
	s_wait_alu 0xfffe
	s_sub_co_i32 s7, s72, s7
	s_wait_alu 0xfffe
	s_sub_co_i32 s9, s7, s78
	s_cmp_ge_u32 s7, s78
	s_cselect_b32 s6, s8, s6
	s_wait_alu 0xfffe
	s_cselect_b32 s7, s9, s7
	s_add_co_i32 s8, s6, 1
	s_wait_alu 0xfffe
	s_cmp_ge_u32 s7, s78
	s_cselect_b32 s73, s8, s6
	s_wait_alu 0xfffe
	v_mul_hi_u32 v5, s73, v2
	v_mul_lo_u32 v4, s73, v2
	s_delay_alu instid0(VALU_DEP_1) | instskip(SKIP_2) | instid1(VALU_DEP_3)
	v_lshlrev_b64_e32 v[30:31], 2, v[4:5]
	v_mov_b32_e32 v4, 0
	v_mov_b32_e32 v5, 0
	v_cmpx_gt_u64_e64 v[30:31], v[16:17]
	s_cbranch_execz .LBB69_76
; %bb.73:                               ;   in Loop: Header=BB69_16 Depth=1
	v_mov_b32_e32 v33, v17
	v_dual_mov_b32 v49, v39 :: v_dual_mov_b32 v32, v16
	s_lshl_b32 s80, s53, 3
	s_mov_b64 s[20:21], 0
	s_mov_b32 s81, 0
	s_mov_b64 s[22:23], 0
	s_mov_b64 s[74:75], 0
	;; [unrolled: 1-line block ×3, first 2 shown]
.LBB69_74:                              ;   Parent Loop BB69_16 Depth=1
                                        ; =>  This Inner Loop Header: Depth=2
	ds_load_b64 v[4:5], v49
	v_add_co_u32 v32, vcc_lo, v32, s78
	s_wait_alu 0xfffd
	v_add_co_ci_u32_e64 v33, null, 0, v33, vcc_lo
	s_delay_alu instid0(VALU_DEP_1)
	v_cmp_ge_u64_e32 vcc_lo, v[32:33], v[30:31]
	s_wait_dscnt 0x0
	v_cmp_lt_i16_e64 s6, -1, v4
	v_lshrrev_b32_e32 v7, 16, v5
	v_lshrrev_b32_e32 v6, 16, v4
	v_and_b32_e32 v8, 0xffff, v4
	v_lshlrev_b32_e32 v10, 16, v4
	s_wait_alu 0xf1ff
	v_cndmask_b32_e64 v9, 0xffff, v46, s6
	v_cmp_lt_i16_e64 s6, -1, v5
	v_and_b32_e32 v11, 0xffff, v5
	v_cmp_lt_i16_e64 s7, -1, v7
	v_lshlrev_b32_e32 v51, 16, v5
	v_xor_b32_e32 v8, v9, v8
	s_wait_alu 0xf1ff
	v_cndmask_b32_e64 v50, 0xffff, v46, s6
	v_cmp_lt_i16_e64 s6, -1, v6
	v_and_b32_e32 v4, 0xffff0000, v4
	v_and_b32_e32 v5, 0xffff0000, v5
	s_delay_alu instid0(VALU_DEP_4)
	v_xor_b32_e32 v11, v50, v11
	v_cndmask_b32_e64 v50, 0xffff, v46, s7
	v_cmp_o_f32_e64 s7, v10, v10
	s_wait_alu 0xf1ff
	v_cndmask_b32_e64 v9, 0xffff, v46, s6
	v_cmp_o_f32_e64 s6, v51, v51
	v_xor_b32_e32 v7, v50, v7
	v_cndmask_b32_e64 v8, 0xffff, v8, s7
	s_delay_alu instid0(VALU_DEP_4)
	v_xor_b32_e32 v6, v9, v6
	s_wait_alu 0xf1ff
	v_cndmask_b32_e64 v9, 0xffff, v11, s6
	v_cmp_o_f32_e64 s6, v5, v5
	v_cmp_o_f32_e64 s7, v4, v4
	v_and_b32_e32 v5, v8, v47
	v_bfe_u32 v8, v8, s98, 2
	s_wait_alu 0xf1ff
	s_delay_alu instid0(VALU_DEP_3)
	v_cndmask_b32_e64 v4, 0xffff, v6, s7
	v_cndmask_b32_e64 v6, 0xffff, v7, s6
	v_and_b32_e32 v7, v9, v47
	v_bfe_u32 v9, v9, s98, 2
	v_cmp_eq_u32_e64 s6, v5, v24
	v_cmp_eq_u32_e64 s8, 0, v8
	v_and_b32_e32 v5, v4, v47
	v_cmp_eq_u32_e64 s7, v7, v24
	v_bfe_u32 v4, v4, s98, 2
	v_cmp_eq_u32_e64 s9, 0, v9
	v_cmp_eq_u32_e64 s10, 1, v8
	;; [unrolled: 1-line block ×3, first 2 shown]
	v_and_b32_e32 v7, v6, v47
	v_bfe_u32 v6, v6, s98, 2
	v_cmp_eq_u32_e64 s11, 1, v9
	v_cmp_eq_u32_e64 s13, 2, v9
	;; [unrolled: 1-line block ×3, first 2 shown]
	s_and_b32 s8, s6, s8
	v_cmp_eq_u32_e64 s15, 3, v9
	v_cmp_eq_u32_e64 s16, v5, v24
	;; [unrolled: 1-line block ×3, first 2 shown]
	s_wait_alu 0xfffe
	v_cndmask_b32_e64 v5, 0, 1, s8
	s_and_b32 s8, s7, s9
	s_and_b32 s10, s6, s10
	;; [unrolled: 1-line block ×3, first 2 shown]
	v_cmp_eq_u32_e64 s17, v7, v24
	v_cmp_eq_u32_e64 s19, 0, v6
	s_wait_alu 0xfffe
	v_cndmask_b32_e64 v7, 0, 1, s8
	v_cmp_eq_u32_e64 s8, 1, v4
	v_cndmask_b32_e64 v8, 0, 1, s10
	s_and_b32 s10, s7, s11
	v_cndmask_b32_e64 v10, 0, 1, s12
	s_and_b32 s12, s7, s13
	s_and_b32 s6, s6, s14
	v_cmp_eq_u32_e64 s9, 1, v6
	s_wait_alu 0xfffe
	v_cndmask_b32_e64 v9, 0, 1, s10
	v_cmp_eq_u32_e64 s10, 2, v4
	v_cmp_eq_u32_e64 s11, 2, v6
	v_cndmask_b32_e64 v11, 0, 1, s12
	v_cmp_eq_u32_e64 s12, 3, v4
	v_cndmask_b32_e64 v4, 0, 1, s6
	s_and_b32 s6, s7, s15
	s_and_b32 s7, s16, s18
	v_cmp_eq_u32_e64 s13, 3, v6
	s_wait_alu 0xfffe
	v_cndmask_b32_e64 v6, 0, 1, s6
	v_cmp_ne_u32_e64 s6, 0, v5
	v_cndmask_b32_e64 v5, 0, 1, s7
	s_and_b32 s14, s17, s19
	s_and_b32 s8, s16, s8
	v_cmp_ne_u32_e64 s7, 0, v7
	s_wait_alu 0xfffe
	v_cndmask_b32_e64 v7, 0, 1, s14
	v_cmp_ne_u32_e64 s14, 0, v8
	v_cndmask_b32_e64 v8, 0, 1, s8
	s_and_b32 s9, s17, s9
	s_and_b32 s10, s16, s10
	;; [unrolled: 1-line block ×4, first 2 shown]
	v_cmp_ne_u32_e64 s8, 0, v9
	s_wait_alu 0xfffe
	v_cndmask_b32_e64 v9, 0, 1, s9
	v_cmp_ne_u32_e64 s9, 0, v10
	v_cndmask_b32_e64 v10, 0, 1, s10
	v_cmp_ne_u32_e64 s10, 0, v11
	;; [unrolled: 2-line block ×3, first 2 shown]
	v_cndmask_b32_e64 v4, 0, 1, s12
	s_and_b32 s13, s17, s13
	s_bcnt1_i32_b32 s15, s6
	v_cmp_ne_u32_e64 s6, 0, v5
	v_cmp_ne_u32_e64 s12, 0, v6
	s_wait_alu 0xfffe
	v_cndmask_b32_e64 v6, 0, 1, s13
	v_cmp_ne_u32_e64 s13, 0, v8
	s_bcnt1_i32_b32 s16, s7
	v_cmp_ne_u32_e64 s7, 0, v7
	s_bcnt1_i32_b32 s18, s9
	;; [unrolled: 2-line block ×4, first 2 shown]
	s_bcnt1_i32_b32 s17, s8
	v_cmp_ne_u32_e64 s8, 0, v9
	s_bcnt1_i32_b32 s14, s14
	s_bcnt1_i32_b32 s13, s13
	s_wait_alu 0xfffe
	s_add_co_i32 s6, s6, s15
	s_bcnt1_i32_b32 s19, s10
	v_cmp_ne_u32_e64 s10, 0, v11
	s_bcnt1_i32_b32 s7, s7
	s_bcnt1_i32_b32 s9, s9
	;; [unrolled: 1-line block ×3, first 2 shown]
	s_add_co_i32 s13, s13, s14
	s_wait_alu 0xfffe
	s_add_co_i32 s6, s6, s16
	s_bcnt1_i32_b32 s82, s12
	v_cmp_ne_u32_e64 s12, 0, v6
	s_bcnt1_i32_b32 s8, s8
	s_add_co_i32 s9, s9, s18
	s_add_co_i32 s11, s11, s24
	;; [unrolled: 1-line block ×3, first 2 shown]
	s_wait_alu 0xfffe
	s_add_co_i32 s24, s6, s7
	s_bcnt1_i32_b32 s10, s10
	s_add_co_i32 s9, s9, s19
	s_wait_alu 0xfffe
	s_add_nc_u64 s[76:77], s[76:77], s[24:25]
	s_add_co_i32 s24, s13, s8
	s_bcnt1_i32_b32 s12, s12
	s_add_co_i32 s11, s11, s82
	s_wait_alu 0xfffe
	s_add_nc_u64 s[74:75], s[74:75], s[24:25]
	s_add_co_i32 s24, s9, s10
	v_dual_mov_b32 v4, s76 :: v_dual_add_nc_u32 v49, s80, v49
	s_wait_alu 0xfffe
	s_add_nc_u64 s[22:23], s[22:23], s[24:25]
	s_add_co_i32 s24, s11, s12
	v_mov_b32_e32 v6, s74
	s_wait_alu 0xfffe
	s_add_nc_u64 s[20:21], s[20:21], s[24:25]
	v_mov_b32_e32 v8, s22
	s_wait_alu 0xfffe
	v_dual_mov_b32 v10, s20 :: v_dual_mov_b32 v5, s77
	v_mov_b32_e32 v7, s75
	v_mov_b32_e32 v9, s23
	;; [unrolled: 1-line block ×3, first 2 shown]
	s_or_b32 s81, vcc_lo, s81
	s_wait_alu 0xfffe
	s_and_not1_b32 exec_lo, exec_lo, s81
	s_cbranch_execnz .LBB69_74
; %bb.75:                               ;   in Loop: Header=BB69_16 Depth=1
	s_or_b32 exec_lo, exec_lo, s81
.LBB69_76:                              ;   in Loop: Header=BB69_16 Depth=1
	s_delay_alu instid0(SALU_CYCLE_1)
	s_or_b32 exec_lo, exec_lo, s79
	v_add_co_u32 v30, vcc_lo, v30, v0
	s_wait_alu 0xfffd
	v_add_co_ci_u32_e64 v31, null, 0, v31, vcc_lo
	s_and_b32 s24, s72, 0x7fffffff
	s_mov_b32 s11, exec_lo
	s_wait_alu 0xfffe
	v_cmpx_gt_u64_e64 s[24:25], v[30:31]
	s_cbranch_execz .LBB69_80
; %bb.77:                               ;   in Loop: Header=BB69_16 Depth=1
	s_mul_i32 s73, s73, s53
	s_lshl_b32 s13, s53, 1
	s_wait_alu 0xfffe
	v_lshl_add_u32 v32, s73, 3, v35
	s_mov_b32 s12, 0
.LBB69_78:                              ;   Parent Loop BB69_16 Depth=1
                                        ; =>  This Inner Loop Header: Depth=2
	ds_load_u16 v33, v32
	v_add_co_u32 v30, vcc_lo, v30, v2
	s_wait_alu 0xfffd
	v_add_co_ci_u32_e64 v31, null, 0, v31, vcc_lo
	v_add_nc_u32_e32 v32, s13, v32
	s_delay_alu instid0(VALU_DEP_2)
	v_cmp_le_u64_e32 vcc_lo, s[24:25], v[30:31]
	s_wait_dscnt 0x0
	v_cmp_lt_i16_e64 s6, -1, v33
	v_and_b32_e32 v49, 0xffff, v33
	v_lshlrev_b32_e32 v33, 16, v33
	s_wait_alu 0xf1ff
	s_delay_alu instid0(VALU_DEP_3) | instskip(NEXT) | instid1(VALU_DEP_2)
	v_cndmask_b32_e64 v50, 0xffff, v46, s6
	v_cmp_o_f32_e64 s6, v33, v33
	s_delay_alu instid0(VALU_DEP_2) | instskip(SKIP_1) | instid1(VALU_DEP_1)
	v_xor_b32_e32 v49, v50, v49
	s_wait_alu 0xf1ff
	v_cndmask_b32_e64 v33, 0xffff, v49, s6
	s_delay_alu instid0(VALU_DEP_1) | instskip(SKIP_1) | instid1(VALU_DEP_2)
	v_and_b32_e32 v49, v33, v47
	v_bfe_u32 v33, v33, s98, 2
	v_cmp_eq_u32_e64 s6, v49, v24
	s_delay_alu instid0(VALU_DEP_2)
	v_cmp_eq_u32_e64 s7, 0, v33
	v_cmp_eq_u32_e64 s8, 1, v33
	;; [unrolled: 1-line block ×4, first 2 shown]
	s_and_b32 s7, s6, s7
	s_wait_alu 0xfffe
	v_cndmask_b32_e64 v33, 0, 1, s7
	s_and_b32 s7, s6, s8
	s_wait_alu 0xfffe
	v_cndmask_b32_e64 v49, 0, 1, s7
	s_and_b32 s7, s6, s9
	s_and_b32 s6, s6, s10
	s_wait_alu 0xfffe
	v_cndmask_b32_e64 v50, 0, 1, s7
	v_cndmask_b32_e64 v51, 0, 1, s6
	v_cmp_ne_u32_e64 s6, 0, v33
	v_cmp_ne_u32_e64 s7, 0, v49
	s_delay_alu instid0(VALU_DEP_4) | instskip(NEXT) | instid1(VALU_DEP_4)
	v_cmp_ne_u32_e64 s8, 0, v50
	v_cmp_ne_u32_e64 s9, 0, v51
	s_bcnt1_i32_b32 s6, s6
	s_bcnt1_i32_b32 s7, s7
	s_wait_alu 0xfffe
	v_add_co_u32 v4, s6, v4, s6
	s_bcnt1_i32_b32 s8, s8
	v_add_co_ci_u32_e64 v5, null, 0, v5, s6
	v_add_co_u32 v6, s6, v6, s7
	s_bcnt1_i32_b32 s9, s9
	v_add_co_ci_u32_e64 v7, null, 0, v7, s6
	s_wait_alu 0xfffe
	v_add_co_u32 v8, s6, v8, s8
	s_wait_alu 0xf1ff
	v_add_co_ci_u32_e64 v9, null, 0, v9, s6
	v_add_co_u32 v10, s6, v10, s9
	s_wait_alu 0xf1ff
	v_add_co_ci_u32_e64 v11, null, 0, v11, s6
	s_or_b32 s12, vcc_lo, s12
	s_wait_alu 0xfffe
	s_and_not1_b32 exec_lo, exec_lo, s12
	s_cbranch_execnz .LBB69_78
; %bb.79:                               ;   in Loop: Header=BB69_16 Depth=1
	s_or_b32 exec_lo, exec_lo, s12
.LBB69_80:                              ;   in Loop: Header=BB69_16 Depth=1
	s_delay_alu instid0(SALU_CYCLE_1)
	s_or_b32 exec_lo, exec_lo, s11
	s_lshl_b32 s6, s100, 7
	s_and_saveexec_b32 s7, s1
	s_cbranch_execnz .LBB69_51
	s_branch .LBB69_52
.LBB69_81:                              ;   in Loop: Header=BB69_16 Depth=1
                                        ; implicit-def: $sgpr76_sgpr77
	s_branch .LBB69_60
.LBB69_82:                              ;   in Loop: Header=BB69_16 Depth=1
	s_or_b32 exec_lo, exec_lo, s9
	s_wait_dscnt 0x0
	s_barrier_signal -1
	s_barrier_wait -1
	global_inv scope:SCOPE_SE
	s_and_saveexec_b32 s6, s2
	s_cbranch_execz .LBB69_84
; %bb.83:                               ;   in Loop: Header=BB69_16 Depth=1
	ds_load_b32 v4, v3 offset:5136
	s_wait_dscnt 0x0
	v_ashrrev_i32_e32 v5, 31, v4
	ds_store_b64 v3, v[4:5] offset:5120
.LBB69_84:                              ;   in Loop: Header=BB69_16 Depth=1
	s_wait_alu 0xfffe
	s_or_b32 exec_lo, exec_lo, s6
	s_wait_loadcnt_dscnt 0x0
	s_barrier_signal -1
	s_mov_b32 s6, -1
	s_barrier_wait -1
	s_and_b32 vcc_lo, exec_lo, s8
	s_wait_alu 0xfffe
	s_cbranch_vccnz .LBB69_31
	s_branch .LBB69_46
.LBB69_85:                              ;   in Loop: Header=BB69_16 Depth=1
	s_mov_b32 s8, 0
	s_and_not1_b32 vcc_lo, exec_lo, s95
	s_wait_alu 0xfffe
	s_cbranch_vccnz .LBB69_88
.LBB69_86:                              ;   in Loop: Header=BB69_16 Depth=1
	s_lshl_b32 s9, s100, 10
	s_lshl_b32 s8, s8, 5
	s_wait_alu 0xfffe
	v_add3_u32 v2, s9, s8, v44
	s_mov_b32 s8, s92
.LBB69_87:                              ;   Parent Loop BB69_16 Depth=1
                                        ; =>  This Inner Loop Header: Depth=2
	ds_load_b64 v[6:7], v2
	v_add_nc_u32_e32 v2, 32, v2
	s_wait_alu 0xfffe
	s_add_co_i32 s8, s8, -1
	s_wait_alu 0xfffe
	s_cmp_lg_u32 s8, 0
	s_wait_dscnt 0x0
	v_add_co_u32 v4, vcc_lo, v6, v4
	s_wait_alu 0xfffd
	v_add_co_ci_u32_e64 v5, null, v7, v5, vcc_lo
	s_cbranch_scc1 .LBB69_87
.LBB69_88:                              ;   in Loop: Header=BB69_16 Depth=1
	v_add_lshl_u32 v2, s6, v34, 3
	ds_store_b64 v2, v[4:5] offset:3072
.LBB69_89:                              ;   in Loop: Header=BB69_16 Depth=1
	s_wait_alu 0xfffe
	s_or_b32 exec_lo, exec_lo, s7
	s_lshl_b32 s6, s6, 3
	s_wait_loadcnt_dscnt 0x0
	s_wait_alu 0xfffe
	v_mov_b32_e32 v2, s6
	s_barrier_signal -1
	s_barrier_wait -1
	global_inv scope:SCOPE_SE
	v_cmp_eq_u64_e32 vcc_lo, 1, v[28:29]
	ds_load_b128 v[4:7], v2 offset:3072
	ds_load_b128 v[8:11], v2 offset:3088
	s_lshl_b32 s16, 3, s98
	s_mov_b32 s18, -1
	s_wait_alu 0xfffe
	s_not_b32 s20, s16
                                        ; implicit-def: $sgpr22
                                        ; implicit-def: $sgpr21
	s_wait_dscnt 0x1
	v_cmp_eq_u64_e64 s6, 1, v[4:5]
	s_wait_dscnt 0x0
	v_readfirstlane_b32 s10, v8
	v_readfirstlane_b32 s11, v9
	;; [unrolled: 1-line block ×4, first 2 shown]
	s_and_b32 s19, s6, vcc_lo
	s_mov_b32 s6, -1
	s_wait_alu 0xfffe
	s_and_saveexec_b32 s17, s19
	s_cbranch_execz .LBB69_121
; %bb.90:                               ;   in Loop: Header=BB69_16 Depth=1
	ds_load_b64 v[8:9], v3 offset:5120
	s_wait_loadcnt_dscnt 0x0
	s_barrier_signal -1
	s_barrier_wait -1
	global_inv scope:SCOPE_SE
	v_readfirstlane_b32 s12, v8
	v_readfirstlane_b32 s13, v9
	s_and_saveexec_b32 s6, s3
; %bb.91:                               ;   in Loop: Header=BB69_16 Depth=1
	ds_store_b16 v36, v3
; %bb.92:                               ;   in Loop: Header=BB69_16 Depth=1
	s_wait_alu 0xfffe
	s_or_b32 exec_lo, exec_lo, s6
	v_cmp_lt_i64_e64 s6, s[12:13], 1
	v_and_b32_e32 v24, s20, v24
	v_or_b32_e32 v47, s16, v47
	s_mov_b32 s21, -1
	s_mov_b32 s22, 0
	s_mov_b32 s23, 0
	s_and_b32 vcc_lo, exec_lo, s6
	s_mov_b32 s7, -1
	s_wait_loadcnt_dscnt 0x0
	s_barrier_signal -1
	s_barrier_wait -1
	global_inv scope:SCOPE_SE
                                        ; implicit-def: $vgpr48
	s_wait_alu 0xfffe
	s_cbranch_vccz .LBB69_106
; %bb.93:                               ;   in Loop: Header=BB69_16 Depth=1
	s_mov_b32 s6, s25
	s_mov_b32 s7, s65
	s_wait_alu 0xfffe
	s_cmp_lg_u64 s[6:7], 0
	s_cbranch_scc0 .LBB69_147
; %bb.94:                               ;   in Loop: Header=BB69_16 Depth=1
	s_add_nc_u64 s[6:7], s[56:57], 0
	s_wait_alu 0xfffe
	s_xor_b64 s[6:7], s[6:7], 0
	s_wait_alu 0xfffe
	s_cvt_f32_u32 s14, s6
	s_cvt_f32_u32 s15, s7
	s_sub_nc_u64 s[72:73], 0, s[6:7]
	s_wait_alu 0xfffe
	s_delay_alu instid0(SALU_CYCLE_1) | instskip(SKIP_1) | instid1(SALU_CYCLE_2)
	s_fmamk_f32 s14, s15, 0x4f800000, s14
	s_wait_alu 0xfffe
	v_s_rcp_f32 s14, s14
	s_delay_alu instid0(TRANS32_DEP_1) | instskip(SKIP_1) | instid1(SALU_CYCLE_2)
	s_mul_f32 s14, s14, 0x5f7ffffc
	s_wait_alu 0xfffe
	s_mul_f32 s15, s14, 0x2f800000
	s_wait_alu 0xfffe
	s_delay_alu instid0(SALU_CYCLE_2) | instskip(SKIP_1) | instid1(SALU_CYCLE_2)
	s_trunc_f32 s15, s15
	s_wait_alu 0xfffe
	s_fmamk_f32 s14, s15, 0xcf800000, s14
	s_cvt_u32_f32 s15, s15
	s_wait_alu 0xfffe
	s_delay_alu instid0(SALU_CYCLE_1) | instskip(SKIP_1) | instid1(SALU_CYCLE_2)
	s_cvt_u32_f32 s14, s14
	s_wait_alu 0xfffe
	s_mul_u64 s[74:75], s[72:73], s[14:15]
	s_wait_alu 0xfffe
	s_mul_hi_u32 s77, s14, s75
	s_mul_i32 s76, s14, s75
	s_mul_hi_u32 s24, s14, s74
	s_mul_i32 s53, s15, s74
	s_wait_alu 0xfffe
	s_add_nc_u64 s[76:77], s[24:25], s[76:77]
	s_mul_hi_u32 s23, s15, s74
	s_mul_hi_u32 s78, s15, s75
	s_wait_alu 0xfffe
	s_add_co_u32 s24, s76, s53
	s_add_co_ci_u32 s24, s77, s23
	s_mul_i32 s74, s15, s75
	s_add_co_ci_u32 s75, s78, 0
	s_wait_alu 0xfffe
	s_add_nc_u64 s[74:75], s[24:25], s[74:75]
	s_wait_alu 0xfffe
	s_add_co_u32 s14, s14, s74
	s_cselect_b32 s23, -1, 0
	s_wait_alu 0xfffe
	s_cmp_lg_u32 s23, 0
	s_add_co_ci_u32 s15, s15, s75
	s_wait_alu 0xfffe
	s_mul_u64 s[72:73], s[72:73], s[14:15]
	s_wait_alu 0xfffe
	s_mul_hi_u32 s75, s14, s73
	s_mul_i32 s74, s14, s73
	s_mul_hi_u32 s24, s14, s72
	s_mul_i32 s53, s15, s72
	s_wait_alu 0xfffe
	s_add_nc_u64 s[74:75], s[24:25], s[74:75]
	s_mul_hi_u32 s23, s15, s72
	s_mul_hi_u32 s76, s15, s73
	s_wait_alu 0xfffe
	s_add_co_u32 s24, s74, s53
	s_add_co_ci_u32 s24, s75, s23
	s_mul_i32 s72, s15, s73
	s_add_co_ci_u32 s73, s76, 0
	s_wait_alu 0xfffe
	s_add_nc_u64 s[72:73], s[24:25], s[72:73]
	s_wait_alu 0xfffe
	s_add_co_u32 s23, s14, s72
	s_cselect_b32 s14, -1, 0
	s_wait_alu 0xfffe
	s_cmp_lg_u32 s14, 0
	s_add_co_ci_u32 s53, s15, s73
	s_ashr_i32 s14, s65, 31
	s_wait_alu 0xfffe
	s_mov_b32 s15, s14
	s_wait_alu 0xfffe
	s_add_nc_u64 s[72:73], s[64:65], s[14:15]
	s_wait_alu 0xfffe
	s_xor_b64 s[72:73], s[72:73], s[14:15]
	s_wait_alu 0xfffe
	s_mul_hi_u32 s75, s72, s53
	s_mul_i32 s74, s72, s53
	s_mul_hi_u32 s24, s72, s23
	s_mul_hi_u32 s78, s73, s23
	s_mul_i32 s23, s73, s23
	s_wait_alu 0xfffe
	s_add_nc_u64 s[74:75], s[24:25], s[74:75]
	s_mul_hi_u32 s77, s73, s53
	s_wait_alu 0xfffe
	s_add_co_u32 s23, s74, s23
	s_add_co_ci_u32 s24, s75, s78
	s_mul_i32 s76, s73, s53
	s_add_co_ci_u32 s77, s77, 0
	s_wait_alu 0xfffe
	s_add_nc_u64 s[74:75], s[24:25], s[76:77]
	s_wait_alu 0xfffe
	s_mul_u64 s[74:75], s[6:7], s[74:75]
	s_wait_alu 0xfffe
	s_sub_co_u32 s23, s72, s74
	s_cselect_b32 s24, -1, 0
	s_sub_co_i32 s53, s73, s75
	s_wait_alu 0xfffe
	s_cmp_lg_u32 s24, 0
	s_sub_co_ci_u32 s53, s53, s7
	s_sub_co_u32 s72, s23, s6
	s_cselect_b32 s74, -1, 0
	s_wait_alu 0xfffe
	s_cmp_lg_u32 s74, 0
	s_sub_co_ci_u32 s76, s53, 0
	s_wait_alu 0xfffe
	s_cmp_ge_u32 s76, s7
	s_cselect_b32 s77, -1, 0
	s_cmp_ge_u32 s72, s6
	s_cselect_b32 s78, -1, 0
	s_cmp_eq_u32 s76, s7
	s_wait_alu 0xfffe
	s_cselect_b32 s77, s78, s77
	s_cmp_lg_u32 s74, 0
	s_sub_co_ci_u32 s53, s53, s7
	s_sub_co_u32 s74, s72, s6
	s_cselect_b32 s78, -1, 0
	s_wait_alu 0xfffe
	s_cmp_lg_u32 s78, 0
	s_sub_co_ci_u32 s53, s53, 0
	s_cmp_lg_u32 s77, 0
	s_cselect_b32 s72, s74, s72
	s_cselect_b32 s53, s53, s76
	s_cmp_lg_u32 s24, 0
	s_sub_co_ci_u32 s24, s73, s75
	s_wait_alu 0xfffe
	s_cmp_ge_u32 s24, s7
	s_cselect_b32 s73, -1, 0
	s_cmp_ge_u32 s23, s6
	s_cselect_b32 s6, -1, 0
	s_cmp_eq_u32 s24, s7
	s_wait_alu 0xfffe
	s_cselect_b32 s6, s6, s73
	s_wait_alu 0xfffe
	s_cmp_lg_u32 s6, 0
	s_cselect_b32 s7, s53, s24
	s_cselect_b32 s6, s72, s23
	s_wait_alu 0xfffe
	s_xor_b64 s[6:7], s[6:7], s[14:15]
	s_wait_alu 0xfffe
	s_sub_nc_u64 s[6:7], s[6:7], s[14:15]
	s_cbranch_execnz .LBB69_96
.LBB69_95:                              ;   in Loop: Header=BB69_16 Depth=1
	v_cvt_f32_u32_e32 v2, s56
	s_sub_co_i32 s7, 0, s56
	s_delay_alu instid0(VALU_DEP_1) | instskip(NEXT) | instid1(TRANS32_DEP_1)
	v_rcp_iflag_f32_e32 v2, v2
	v_mul_f32_e32 v2, 0x4f7ffffe, v2
	s_delay_alu instid0(VALU_DEP_1) | instskip(NEXT) | instid1(VALU_DEP_1)
	v_cvt_u32_f32_e32 v2, v2
	v_readfirstlane_b32 s6, v2
	s_wait_alu 0xfffe
	s_mul_i32 s7, s7, s6
	s_wait_alu 0xfffe
	s_mul_hi_u32 s7, s6, s7
	s_wait_alu 0xfffe
	s_add_co_i32 s6, s6, s7
	s_wait_alu 0xfffe
	s_mul_hi_u32 s6, s64, s6
	s_wait_alu 0xfffe
	s_mul_i32 s6, s6, s56
	s_wait_alu 0xfffe
	s_sub_co_i32 s6, s64, s6
	s_wait_alu 0xfffe
	s_sub_co_i32 s7, s6, s56
	s_cmp_ge_u32 s6, s56
	s_wait_alu 0xfffe
	s_cselect_b32 s6, s7, s6
	s_wait_alu 0xfffe
	s_sub_co_i32 s7, s6, s56
	s_cmp_ge_u32 s6, s56
	s_wait_alu 0xfffe
	s_cselect_b32 s24, s7, s6
	s_wait_alu 0xfffe
	s_mov_b64 s[6:7], s[24:25]
.LBB69_96:                              ;   in Loop: Header=BB69_16 Depth=1
	s_wait_alu 0xfffe
	s_sub_nc_u64 s[14:15], s[64:65], s[6:7]
	s_mov_b32 s7, 0
	s_mov_b32 s23, 0
	s_mov_b32 s24, exec_lo
                                        ; implicit-def: $vgpr48
	s_wait_alu 0xfffe
	v_cmpx_gt_i64_e64 s[14:15], v[0:1]
	s_cbranch_execz .LBB69_105
; %bb.97:                               ;   in Loop: Header=BB69_16 Depth=1
	v_dual_mov_b32 v8, v12 :: v_dual_mov_b32 v9, v13
	v_dual_mov_b32 v11, v1 :: v_dual_mov_b32 v10, v0
                                        ; implicit-def: $sgpr53
	s_branch .LBB69_100
.LBB69_98:                              ;   in Loop: Header=BB69_100 Depth=2
	s_wait_alu 0xfffe
	s_or_b32 exec_lo, exec_lo, s6
	s_wait_loadcnt_dscnt 0x0
	s_barrier_signal -1
	s_barrier_wait -1
	global_inv scope:SCOPE_SE
	ds_load_b32 v2, v3 offset:3072
	s_mov_b32 s6, -1
	s_mov_b32 s72, -1
	s_wait_loadcnt_dscnt 0x0
	s_barrier_signal -1
	s_barrier_wait -1
	global_inv scope:SCOPE_SE
	v_and_b32_e32 v30, 0x7fff, v2
	s_delay_alu instid0(VALU_DEP_1)
	v_cmp_ne_u32_e32 vcc_lo, 0, v30
	s_cbranch_vccz .LBB69_103
.LBB69_99:                              ;   in Loop: Header=BB69_100 Depth=2
	s_wait_alu 0xfffe
	s_and_b32 s6, exec_lo, s6
	s_wait_alu 0xfffe
	s_or_b32 s23, s6, s23
	s_and_not1_b32 s6, s53, exec_lo
	s_and_b32 s53, s72, exec_lo
	s_wait_alu 0xfffe
	s_or_b32 s53, s6, s53
	s_and_not1_b32 exec_lo, exec_lo, s23
	s_cbranch_execz .LBB69_104
.LBB69_100:                             ;   Parent Loop BB69_16 Depth=1
                                        ; =>  This Inner Loop Header: Depth=2
	s_mov_b32 s6, exec_lo
	s_delay_alu instid0(VALU_DEP_1)
	v_cmpx_gt_i64_e64 s[36:37], v[10:11]
	s_cbranch_execz .LBB69_98
; %bb.101:                              ;   in Loop: Header=BB69_100 Depth=2
	global_load_u16 v2, v[8:9], off
	s_wait_loadcnt 0x0
	v_cmp_lt_i16_e32 vcc_lo, -1, v2
	v_and_b32_e32 v30, 0xffff, v2
	v_lshlrev_b32_e32 v32, 16, v2
	s_wait_alu 0xfffd
	v_cndmask_b32_e32 v31, 0xffff, v46, vcc_lo
	s_delay_alu instid0(VALU_DEP_2) | instskip(NEXT) | instid1(VALU_DEP_2)
	v_cmp_o_f32_e32 vcc_lo, v32, v32
	v_xor_b32_e32 v30, v31, v30
	s_wait_alu 0xfffd
	s_delay_alu instid0(VALU_DEP_1) | instskip(NEXT) | instid1(VALU_DEP_1)
	v_cndmask_b32_e32 v30, 0xffff, v30, vcc_lo
	v_and_b32_e32 v30, v30, v47
	s_delay_alu instid0(VALU_DEP_1)
	v_cmp_eq_u32_e32 vcc_lo, v30, v24
	s_and_b32 exec_lo, exec_lo, vcc_lo
	s_cbranch_execz .LBB69_98
; %bb.102:                              ;   in Loop: Header=BB69_100 Depth=2
	v_perm_b32 v2, v2, s97, 0x5040100
	ds_store_b32 v3, v2 offset:3072
	s_branch .LBB69_98
.LBB69_103:                             ;   in Loop: Header=BB69_100 Depth=2
	v_add_co_u32 v10, vcc_lo, v10, s56
	s_wait_alu 0xfffd
	v_add_co_ci_u32_e64 v11, null, 0, v11, vcc_lo
	v_add_co_u32 v8, s6, v8, s58
	s_wait_alu 0xf1fe
	v_add_co_ci_u32_e64 v9, null, s59, v9, s6
	s_delay_alu instid0(VALU_DEP_3)
	v_cmp_le_i64_e32 vcc_lo, s[14:15], v[10:11]
	s_mov_b32 s72, 0
	s_or_not1_b32 s6, vcc_lo, exec_lo
	s_branch .LBB69_99
.LBB69_104:                             ;   in Loop: Header=BB69_16 Depth=1
	s_or_b32 exec_lo, exec_lo, s23
	v_lshrrev_b32_e32 v48, 16, v2
	s_and_b32 s23, s53, exec_lo
.LBB69_105:                             ;   in Loop: Header=BB69_16 Depth=1
	s_or_b32 exec_lo, exec_lo, s24
.LBB69_106:                             ;   in Loop: Header=BB69_16 Depth=1
	s_delay_alu instid0(SALU_CYCLE_1)
	s_and_b32 vcc_lo, exec_lo, s7
	s_wait_alu 0xfffe
	s_cbranch_vccz .LBB69_120
; %bb.107:                              ;   in Loop: Header=BB69_16 Depth=1
	s_add_nc_u64 s[6:7], s[12:13], s[62:63]
	s_mov_b32 s14, s25
	s_wait_alu 0xfffe
	s_mov_b32 s15, s7
	s_wait_alu 0xfffe
	s_cmp_lg_u64 s[14:15], 0
	s_cbranch_scc0 .LBB69_148
; %bb.108:                              ;   in Loop: Header=BB69_16 Depth=1
	s_add_nc_u64 s[14:15], s[56:57], 0
	s_wait_alu 0xfffe
	s_xor_b64 s[14:15], s[14:15], 0
	s_wait_alu 0xfffe
	s_cvt_f32_u32 s21, s14
	s_cvt_f32_u32 s22, s15
	s_sub_nc_u64 s[74:75], 0, s[14:15]
	s_wait_alu 0xfffe
	s_delay_alu instid0(SALU_CYCLE_1) | instskip(SKIP_1) | instid1(SALU_CYCLE_2)
	s_fmamk_f32 s21, s22, 0x4f800000, s21
	s_wait_alu 0xfffe
	v_s_rcp_f32 s21, s21
	s_delay_alu instid0(TRANS32_DEP_1) | instskip(SKIP_1) | instid1(SALU_CYCLE_2)
	s_mul_f32 s21, s21, 0x5f7ffffc
	s_wait_alu 0xfffe
	s_mul_f32 s22, s21, 0x2f800000
	s_wait_alu 0xfffe
	s_delay_alu instid0(SALU_CYCLE_2) | instskip(SKIP_1) | instid1(SALU_CYCLE_2)
	s_trunc_f32 s22, s22
	s_wait_alu 0xfffe
	s_fmamk_f32 s21, s22, 0xcf800000, s21
	s_cvt_u32_f32 s73, s22
	s_wait_alu 0xfffe
	s_delay_alu instid0(SALU_CYCLE_1) | instskip(SKIP_1) | instid1(SALU_CYCLE_2)
	s_cvt_u32_f32 s72, s21
	s_wait_alu 0xfffe
	s_mul_u64 s[76:77], s[74:75], s[72:73]
	s_wait_alu 0xfffe
	s_mul_hi_u32 s79, s72, s77
	s_mul_i32 s78, s72, s77
	s_mul_hi_u32 s24, s72, s76
	s_mul_i32 s22, s73, s76
	s_wait_alu 0xfffe
	s_add_nc_u64 s[78:79], s[24:25], s[78:79]
	s_mul_hi_u32 s21, s73, s76
	s_mul_hi_u32 s53, s73, s77
	s_wait_alu 0xfffe
	s_add_co_u32 s22, s78, s22
	s_add_co_ci_u32 s24, s79, s21
	s_mul_i32 s76, s73, s77
	s_add_co_ci_u32 s77, s53, 0
	s_wait_alu 0xfffe
	s_add_nc_u64 s[76:77], s[24:25], s[76:77]
	s_wait_alu 0xfffe
	s_add_co_u32 s72, s72, s76
	s_cselect_b32 s21, -1, 0
	s_wait_alu 0xfffe
	s_cmp_lg_u32 s21, 0
	s_add_co_ci_u32 s73, s73, s77
	s_wait_alu 0xfffe
	s_mul_u64 s[74:75], s[74:75], s[72:73]
	s_wait_alu 0xfffe
	s_mul_hi_u32 s77, s72, s75
	s_mul_i32 s76, s72, s75
	s_mul_hi_u32 s24, s72, s74
	s_mul_i32 s22, s73, s74
	s_wait_alu 0xfffe
	s_add_nc_u64 s[76:77], s[24:25], s[76:77]
	s_mul_hi_u32 s21, s73, s74
	s_mul_hi_u32 s53, s73, s75
	s_wait_alu 0xfffe
	s_add_co_u32 s22, s76, s22
	s_add_co_ci_u32 s24, s77, s21
	s_mul_i32 s74, s73, s75
	s_add_co_ci_u32 s75, s53, 0
	s_wait_alu 0xfffe
	s_add_nc_u64 s[74:75], s[24:25], s[74:75]
	s_wait_alu 0xfffe
	s_add_co_u32 s21, s72, s74
	s_cselect_b32 s22, -1, 0
	s_wait_alu 0xfffe
	s_cmp_lg_u32 s22, 0
	s_add_co_ci_u32 s22, s73, s75
	s_ashr_i32 s72, s7, 31
	s_wait_alu 0xfffe
	s_mov_b32 s73, s72
	s_wait_alu 0xfffe
	s_add_nc_u64 s[74:75], s[6:7], s[72:73]
	s_wait_alu 0xfffe
	s_xor_b64 s[74:75], s[74:75], s[72:73]
	s_wait_alu 0xfffe
	s_mul_hi_u32 s77, s74, s22
	s_mul_i32 s76, s74, s22
	s_mul_hi_u32 s24, s74, s21
	s_mul_hi_u32 s79, s75, s21
	s_mul_i32 s21, s75, s21
	s_wait_alu 0xfffe
	s_add_nc_u64 s[76:77], s[24:25], s[76:77]
	s_mul_hi_u32 s53, s75, s22
	s_wait_alu 0xfffe
	s_add_co_u32 s21, s76, s21
	s_add_co_ci_u32 s24, s77, s79
	s_mul_i32 s78, s75, s22
	s_add_co_ci_u32 s79, s53, 0
	s_wait_alu 0xfffe
	s_add_nc_u64 s[76:77], s[24:25], s[78:79]
	s_wait_alu 0xfffe
	s_mul_u64 s[76:77], s[14:15], s[76:77]
	s_wait_alu 0xfffe
	s_sub_co_u32 s21, s74, s76
	s_cselect_b32 s22, -1, 0
	s_sub_co_i32 s24, s75, s77
	s_wait_alu 0xfffe
	s_cmp_lg_u32 s22, 0
	s_sub_co_ci_u32 s24, s24, s15
	s_sub_co_u32 s53, s21, s14
	s_cselect_b32 s74, -1, 0
	s_wait_alu 0xfffe
	s_cmp_lg_u32 s74, 0
	s_sub_co_ci_u32 s76, s24, 0
	s_wait_alu 0xfffe
	s_cmp_ge_u32 s76, s15
	s_cselect_b32 s78, -1, 0
	s_cmp_ge_u32 s53, s14
	s_cselect_b32 s79, -1, 0
	s_cmp_eq_u32 s76, s15
	s_wait_alu 0xfffe
	s_cselect_b32 s78, s79, s78
	s_cmp_lg_u32 s74, 0
	s_sub_co_ci_u32 s24, s24, s15
	s_sub_co_u32 s74, s53, s14
	s_cselect_b32 s79, -1, 0
	s_wait_alu 0xfffe
	s_cmp_lg_u32 s79, 0
	s_sub_co_ci_u32 s24, s24, 0
	s_cmp_lg_u32 s78, 0
	s_cselect_b32 s53, s74, s53
	s_wait_alu 0xfffe
	s_cselect_b32 s24, s24, s76
	s_cmp_lg_u32 s22, 0
	s_sub_co_ci_u32 s22, s75, s77
	s_wait_alu 0xfffe
	s_cmp_ge_u32 s22, s15
	s_cselect_b32 s74, -1, 0
	s_cmp_ge_u32 s21, s14
	s_cselect_b32 s14, -1, 0
	s_cmp_eq_u32 s22, s15
	s_wait_alu 0xfffe
	s_cselect_b32 s14, s14, s74
	s_wait_alu 0xfffe
	s_cmp_lg_u32 s14, 0
	s_cselect_b32 s15, s24, s22
	s_cselect_b32 s14, s53, s21
	s_wait_alu 0xfffe
	s_xor_b64 s[14:15], s[14:15], s[72:73]
	s_wait_alu 0xfffe
	s_sub_nc_u64 s[14:15], s[14:15], s[72:73]
	s_cbranch_execnz .LBB69_110
.LBB69_109:                             ;   in Loop: Header=BB69_16 Depth=1
	v_cvt_f32_u32_e32 v2, s56
	s_sub_co_i32 s15, 0, s56
	s_delay_alu instid0(VALU_DEP_1) | instskip(NEXT) | instid1(TRANS32_DEP_1)
	v_rcp_iflag_f32_e32 v2, v2
	v_mul_f32_e32 v2, 0x4f7ffffe, v2
	s_delay_alu instid0(VALU_DEP_1) | instskip(NEXT) | instid1(VALU_DEP_1)
	v_cvt_u32_f32_e32 v2, v2
	v_readfirstlane_b32 s14, v2
	s_wait_alu 0xfffe
	s_mul_i32 s15, s15, s14
	s_wait_alu 0xfffe
	s_mul_hi_u32 s15, s14, s15
	s_wait_alu 0xfffe
	s_add_co_i32 s14, s14, s15
	s_wait_alu 0xfffe
	s_mul_hi_u32 s14, s6, s14
	s_wait_alu 0xfffe
	s_mul_i32 s14, s14, s56
	s_wait_alu 0xfffe
	s_sub_co_i32 s14, s6, s14
	s_wait_alu 0xfffe
	s_sub_co_i32 s15, s14, s56
	s_cmp_ge_u32 s14, s56
	s_wait_alu 0xfffe
	s_cselect_b32 s14, s15, s14
	s_wait_alu 0xfffe
	s_sub_co_i32 s15, s14, s56
	s_cmp_ge_u32 s14, s56
	s_wait_alu 0xfffe
	s_cselect_b32 s24, s15, s14
	s_wait_alu 0xfffe
	s_mov_b64 s[14:15], s[24:25]
.LBB69_110:                             ;   in Loop: Header=BB69_16 Depth=1
	s_wait_alu 0xfffe
	s_sub_nc_u64 s[6:7], s[6:7], s[14:15]
	s_mov_b32 s14, exec_lo
                                        ; implicit-def: $vgpr48
	s_wait_alu 0xfffe
	v_cmpx_gt_i64_e64 s[6:7], v[0:1]
	s_cbranch_execz .LBB69_119
; %bb.111:                              ;   in Loop: Header=BB69_16 Depth=1
	v_dual_mov_b32 v2, v35 :: v_dual_mov_b32 v9, v1
	v_mov_b32_e32 v8, v0
	s_mov_b32 s15, 0
                                        ; implicit-def: $sgpr21
	s_branch .LBB69_114
.LBB69_112:                             ;   in Loop: Header=BB69_114 Depth=2
	s_wait_alu 0xfffe
	s_or_b32 exec_lo, exec_lo, s22
	s_wait_loadcnt_dscnt 0x0
	s_barrier_signal -1
	s_barrier_wait -1
	global_inv scope:SCOPE_SE
	ds_load_b32 v10, v3 offset:3072
	s_mov_b32 s22, -1
	s_mov_b32 s24, -1
	s_wait_loadcnt_dscnt 0x0
	s_barrier_signal -1
	s_barrier_wait -1
	global_inv scope:SCOPE_SE
	v_and_b32_e32 v11, 0x7fff, v10
	s_delay_alu instid0(VALU_DEP_1)
	v_cmp_ne_u32_e32 vcc_lo, 0, v11
	s_cbranch_vccz .LBB69_117
.LBB69_113:                             ;   in Loop: Header=BB69_114 Depth=2
	s_wait_alu 0xfffe
	s_and_b32 s22, exec_lo, s22
	s_wait_alu 0xfffe
	s_or_b32 s15, s22, s15
	s_and_not1_b32 s21, s21, exec_lo
	s_and_b32 s22, s24, exec_lo
	s_wait_alu 0xfffe
	s_or_b32 s21, s21, s22
	s_and_not1_b32 exec_lo, exec_lo, s15
	s_cbranch_execz .LBB69_118
.LBB69_114:                             ;   Parent Loop BB69_16 Depth=1
                                        ; =>  This Inner Loop Header: Depth=2
	s_mov_b32 s22, exec_lo
	s_delay_alu instid0(VALU_DEP_1)
	v_cmpx_gt_u64_e64 s[12:13], v[8:9]
	s_cbranch_execz .LBB69_112
; %bb.115:                              ;   in Loop: Header=BB69_114 Depth=2
	ds_load_u16 v10, v2
	s_wait_dscnt 0x0
	v_cmp_lt_i16_e32 vcc_lo, -1, v10
	v_and_b32_e32 v11, 0xffff, v10
	v_lshlrev_b32_e32 v31, 16, v10
	s_wait_alu 0xfffd
	v_cndmask_b32_e32 v30, 0xffff, v46, vcc_lo
	s_delay_alu instid0(VALU_DEP_2) | instskip(NEXT) | instid1(VALU_DEP_2)
	v_cmp_o_f32_e32 vcc_lo, v31, v31
	v_xor_b32_e32 v11, v30, v11
	s_wait_alu 0xfffd
	s_delay_alu instid0(VALU_DEP_1) | instskip(NEXT) | instid1(VALU_DEP_1)
	v_cndmask_b32_e32 v11, 0xffff, v11, vcc_lo
	v_and_b32_e32 v11, v11, v47
	s_delay_alu instid0(VALU_DEP_1)
	v_cmp_eq_u32_e32 vcc_lo, v11, v24
	s_and_b32 exec_lo, exec_lo, vcc_lo
	s_cbranch_execz .LBB69_112
; %bb.116:                              ;   in Loop: Header=BB69_114 Depth=2
	v_perm_b32 v10, v10, s97, 0x5040100
	ds_store_b32 v3, v10 offset:3072
	s_branch .LBB69_112
.LBB69_117:                             ;   in Loop: Header=BB69_114 Depth=2
	v_add_co_u32 v8, vcc_lo, v8, s56
	s_wait_alu 0xfffd
	v_add_co_ci_u32_e64 v9, null, 0, v9, vcc_lo
	v_add_nc_u32_e32 v2, s96, v2
	s_mov_b32 s24, 0
	s_delay_alu instid0(VALU_DEP_2)
	v_cmp_le_i64_e32 vcc_lo, s[6:7], v[8:9]
	s_or_not1_b32 s22, vcc_lo, exec_lo
	s_branch .LBB69_113
.LBB69_118:                             ;   in Loop: Header=BB69_16 Depth=1
	s_or_b32 exec_lo, exec_lo, s15
	v_lshrrev_b32_e32 v48, 16, v10
	s_and_not1_b32 s6, s23, exec_lo
	s_wait_alu 0xfffe
	s_and_b32 s7, s21, exec_lo
	s_wait_alu 0xfffe
	s_or_b32 s23, s6, s7
.LBB69_119:                             ;   in Loop: Header=BB69_16 Depth=1
	s_or_b32 exec_lo, exec_lo, s14
	s_mov_b32 s21, 0
	s_mov_b32 s22, -1
.LBB69_120:                             ;   in Loop: Header=BB69_16 Depth=1
	s_wait_alu 0xfffe
	s_or_not1_b32 s6, s23, exec_lo
.LBB69_121:                             ;   in Loop: Header=BB69_16 Depth=1
	s_wait_alu 0xfffe
	s_or_b32 exec_lo, exec_lo, s17
	s_delay_alu instid0(SALU_CYCLE_1)
	s_and_not1_b32 s7, vcc_hi, exec_lo
	s_and_b32 s12, s22, exec_lo
	s_and_not1_b32 s13, s103, exec_lo
	s_and_b32 s14, s21, exec_lo
	s_and_not1_b32 s102, s102, exec_lo
	s_wait_alu 0xfffe
	s_or_b32 vcc_hi, s7, s12
	s_or_b32 s103, s13, s14
                                        ; implicit-def: $vgpr8_vgpr9
	s_and_saveexec_b32 s17, s6
	s_cbranch_execz .LBB69_15
; %bb.122:                              ;   in Loop: Header=BB69_16 Depth=1
	v_mov_b32_e32 v8, 1
	v_dual_mov_b32 v9, 0 :: v_dual_mov_b32 v2, 1
	s_xor_b32 s12, s19, -1
	s_mov_b32 s7, 0
	s_wait_alu 0xfffe
	s_and_saveexec_b32 s6, s12
	s_cbranch_execz .LBB69_131
; %bb.123:                              ;   in Loop: Header=BB69_16 Depth=1
	s_mov_b32 s7, exec_lo
	v_cmpx_le_i64_e64 v[28:29], v[4:5]
	s_wait_alu 0xfffe
	s_xor_b32 s7, exec_lo, s7
	s_cbranch_execz .LBB69_128
; %bb.124:                              ;   in Loop: Header=BB69_16 Depth=1
	ds_load_b64 v[8:9], v3 offset:5120
	v_and_b32_e32 v24, s20, v24
	v_or_b32_e32 v47, s16, v47
	s_wait_dscnt 0x0
	v_cmp_ne_u64_e32 vcc_lo, 0, v[8:9]
	s_cbranch_vccnz .LBB69_128
; %bb.125:                              ;   in Loop: Header=BB69_16 Depth=1
	s_and_saveexec_b32 s12, s2
; %bb.126:                              ;   in Loop: Header=BB69_16 Depth=1
	ds_store_b64 v3, v[4:5] offset:5128
; %bb.127:                              ;   in Loop: Header=BB69_16 Depth=1
	s_wait_alu 0xfffe
	s_or_b32 exec_lo, exec_lo, s12
	s_wait_loadcnt_dscnt 0x0
	s_barrier_signal -1
	s_barrier_wait -1
	global_inv scope:SCOPE_SE
.LBB69_128:                             ;   in Loop: Header=BB69_16 Depth=1
	s_wait_alu 0xfffe
	s_or_saveexec_b32 s7, s7
	v_mov_b32_e32 v2, 8
	s_mov_b32 s12, 0
	s_wait_alu 0xfffe
	s_xor_b32 exec_lo, exec_lo, s7
; %bb.129:                              ;   in Loop: Header=BB69_16 Depth=1
	v_sub_co_u32 v28, vcc_lo, v28, v4
	s_wait_alu 0xfffd
	v_sub_co_ci_u32_e64 v29, null, v29, v5, vcc_lo
	v_mov_b32_e32 v2, 0
	s_mov_b32 s12, exec_lo
; %bb.130:                              ;   in Loop: Header=BB69_16 Depth=1
	s_or_b32 exec_lo, exec_lo, s7
	s_delay_alu instid0(VALU_DEP_2)
	v_dual_mov_b32 v8, v28 :: v_dual_mov_b32 v9, v29
	s_wait_alu 0xfffe
	s_and_b32 s7, s12, exec_lo
.LBB69_131:                             ;   in Loop: Header=BB69_16 Depth=1
	s_wait_alu 0xfffe
	s_or_b32 exec_lo, exec_lo, s6
	s_mov_b32 s18, -1
	s_mov_b32 s6, -1
                                        ; implicit-def: $sgpr21
                                        ; implicit-def: $sgpr22
	s_and_saveexec_b32 s12, s7
	s_wait_alu 0xfffe
	s_xor_b32 s19, exec_lo, s12
	s_cbranch_execz .LBB69_273
; %bb.132:                              ;   in Loop: Header=BB69_16 Depth=1
	v_cmp_eq_u64_e32 vcc_lo, 1, v[6:7]
	v_cmp_eq_u64_e64 s6, 1, v[8:9]
                                        ; implicit-def: $sgpr22
                                        ; implicit-def: $sgpr21
	s_and_b32 s53, vcc_lo, s6
	s_mov_b32 s6, -1
	s_and_saveexec_b32 s23, s53
	s_cbranch_execz .LBB69_166
; %bb.133:                              ;   in Loop: Header=BB69_16 Depth=1
	ds_load_b64 v[4:5], v3 offset:5120
	s_wait_loadcnt_dscnt 0x0
	s_barrier_signal -1
	s_barrier_wait -1
	global_inv scope:SCOPE_SE
	v_readfirstlane_b32 s12, v4
	v_readfirstlane_b32 s13, v5
	s_and_saveexec_b32 s6, s3
; %bb.134:                              ;   in Loop: Header=BB69_16 Depth=1
	ds_store_b16 v36, v3
; %bb.135:                              ;   in Loop: Header=BB69_16 Depth=1
	s_wait_alu 0xfffe
	s_or_b32 exec_lo, exec_lo, s6
	s_lshl_b32 s6, 1, s98
	v_or_b32_e32 v47, s16, v47
	s_wait_alu 0xfffe
	v_and_or_b32 v24, v24, s20, s6
	v_cmp_gt_i64_e64 s6, s[12:13], 0
	s_mov_b32 s21, -1
	s_mov_b32 s22, 0
	s_mov_b32 s72, 0
	s_mov_b32 s7, -1
	s_wait_loadcnt_dscnt 0x0
	s_and_b32 vcc_lo, exec_lo, s6
	s_barrier_signal -1
	s_barrier_wait -1
	global_inv scope:SCOPE_SE
                                        ; implicit-def: $vgpr48
	s_wait_alu 0xfffe
	s_cbranch_vccnz .LBB69_151
; %bb.136:                              ;   in Loop: Header=BB69_16 Depth=1
	s_mov_b32 s6, s25
	s_mov_b32 s7, s65
	s_wait_alu 0xfffe
	s_cmp_lg_u64 s[6:7], 0
	s_cbranch_scc0 .LBB69_193
; %bb.137:                              ;   in Loop: Header=BB69_16 Depth=1
	s_add_nc_u64 s[6:7], s[56:57], 0
	s_wait_alu 0xfffe
	s_xor_b64 s[6:7], s[6:7], 0
	s_wait_alu 0xfffe
	s_cvt_f32_u32 s14, s6
	s_cvt_f32_u32 s15, s7
	s_sub_nc_u64 s[72:73], 0, s[6:7]
	s_wait_alu 0xfffe
	s_delay_alu instid0(SALU_CYCLE_1) | instskip(SKIP_1) | instid1(SALU_CYCLE_2)
	s_fmamk_f32 s14, s15, 0x4f800000, s14
	s_wait_alu 0xfffe
	v_s_rcp_f32 s14, s14
	s_delay_alu instid0(TRANS32_DEP_1) | instskip(SKIP_1) | instid1(SALU_CYCLE_2)
	s_mul_f32 s14, s14, 0x5f7ffffc
	s_wait_alu 0xfffe
	s_mul_f32 s15, s14, 0x2f800000
	s_wait_alu 0xfffe
	s_delay_alu instid0(SALU_CYCLE_2) | instskip(SKIP_1) | instid1(SALU_CYCLE_2)
	s_trunc_f32 s15, s15
	s_wait_alu 0xfffe
	s_fmamk_f32 s14, s15, 0xcf800000, s14
	s_cvt_u32_f32 s15, s15
	s_wait_alu 0xfffe
	s_delay_alu instid0(SALU_CYCLE_1) | instskip(SKIP_1) | instid1(SALU_CYCLE_2)
	s_cvt_u32_f32 s14, s14
	s_wait_alu 0xfffe
	s_mul_u64 s[74:75], s[72:73], s[14:15]
	s_wait_alu 0xfffe
	s_mul_hi_u32 s77, s14, s75
	s_mul_i32 s76, s14, s75
	s_mul_hi_u32 s24, s14, s74
	s_mul_i32 s79, s15, s74
	s_wait_alu 0xfffe
	s_add_nc_u64 s[76:77], s[24:25], s[76:77]
	s_mul_hi_u32 s78, s15, s74
	s_mul_hi_u32 s80, s15, s75
	s_wait_alu 0xfffe
	s_add_co_u32 s24, s76, s79
	s_add_co_ci_u32 s24, s77, s78
	s_mul_i32 s74, s15, s75
	s_add_co_ci_u32 s75, s80, 0
	s_wait_alu 0xfffe
	s_add_nc_u64 s[74:75], s[24:25], s[74:75]
	s_wait_alu 0xfffe
	s_add_co_u32 s14, s14, s74
	s_cselect_b32 s24, -1, 0
	s_wait_alu 0xfffe
	s_cmp_lg_u32 s24, 0
	s_add_co_ci_u32 s15, s15, s75
	s_wait_alu 0xfffe
	s_mul_u64 s[72:73], s[72:73], s[14:15]
	s_wait_alu 0xfffe
	s_mul_hi_u32 s75, s14, s73
	s_mul_i32 s74, s14, s73
	s_mul_hi_u32 s24, s14, s72
	s_mul_i32 s77, s15, s72
	s_wait_alu 0xfffe
	s_add_nc_u64 s[74:75], s[24:25], s[74:75]
	s_mul_hi_u32 s76, s15, s72
	s_mul_hi_u32 s78, s15, s73
	s_wait_alu 0xfffe
	s_add_co_u32 s24, s74, s77
	s_add_co_ci_u32 s24, s75, s76
	s_mul_i32 s72, s15, s73
	s_add_co_ci_u32 s73, s78, 0
	s_wait_alu 0xfffe
	s_add_nc_u64 s[72:73], s[24:25], s[72:73]
	s_wait_alu 0xfffe
	s_add_co_u32 s76, s14, s72
	s_cselect_b32 s14, -1, 0
	s_wait_alu 0xfffe
	s_cmp_lg_u32 s14, 0
	s_add_co_ci_u32 s77, s15, s73
	s_ashr_i32 s14, s65, 31
	s_wait_alu 0xfffe
	s_mov_b32 s15, s14
	s_wait_alu 0xfffe
	s_add_nc_u64 s[72:73], s[64:65], s[14:15]
	s_wait_alu 0xfffe
	s_xor_b64 s[72:73], s[72:73], s[14:15]
	s_wait_alu 0xfffe
	s_mul_hi_u32 s75, s72, s77
	s_mul_i32 s74, s72, s77
	s_mul_hi_u32 s24, s72, s76
	s_mul_i32 s80, s73, s76
	s_wait_alu 0xfffe
	s_add_nc_u64 s[74:75], s[24:25], s[74:75]
	s_mul_hi_u32 s79, s73, s76
	s_mul_hi_u32 s78, s73, s77
	s_wait_alu 0xfffe
	s_add_co_u32 s24, s74, s80
	s_add_co_ci_u32 s24, s75, s79
	s_mul_i32 s76, s73, s77
	s_add_co_ci_u32 s77, s78, 0
	s_wait_alu 0xfffe
	s_add_nc_u64 s[74:75], s[24:25], s[76:77]
	s_wait_alu 0xfffe
	s_mul_u64 s[74:75], s[6:7], s[74:75]
	s_wait_alu 0xfffe
	s_sub_co_u32 s24, s72, s74
	s_cselect_b32 s72, -1, 0
	s_sub_co_i32 s74, s73, s75
	s_wait_alu 0xfffe
	s_cmp_lg_u32 s72, 0
	s_sub_co_ci_u32 s74, s74, s7
	s_sub_co_u32 s76, s24, s6
	s_cselect_b32 s77, -1, 0
	s_wait_alu 0xfffe
	s_cmp_lg_u32 s77, 0
	s_sub_co_ci_u32 s78, s74, 0
	s_wait_alu 0xfffe
	s_cmp_ge_u32 s78, s7
	s_cselect_b32 s79, -1, 0
	s_cmp_ge_u32 s76, s6
	s_cselect_b32 s80, -1, 0
	s_cmp_eq_u32 s78, s7
	s_wait_alu 0xfffe
	s_cselect_b32 s79, s80, s79
	s_cmp_lg_u32 s77, 0
	s_sub_co_ci_u32 s74, s74, s7
	s_sub_co_u32 s77, s76, s6
	s_cselect_b32 s80, -1, 0
	s_wait_alu 0xfffe
	s_cmp_lg_u32 s80, 0
	s_sub_co_ci_u32 s74, s74, 0
	s_cmp_lg_u32 s79, 0
	s_cselect_b32 s76, s77, s76
	s_wait_alu 0xfffe
	s_cselect_b32 s74, s74, s78
	s_cmp_lg_u32 s72, 0
	s_sub_co_ci_u32 s72, s73, s75
	s_wait_alu 0xfffe
	s_cmp_ge_u32 s72, s7
	s_cselect_b32 s73, -1, 0
	s_cmp_ge_u32 s24, s6
	s_cselect_b32 s6, -1, 0
	s_cmp_eq_u32 s72, s7
	s_wait_alu 0xfffe
	s_cselect_b32 s6, s6, s73
	s_wait_alu 0xfffe
	s_cmp_lg_u32 s6, 0
	s_cselect_b32 s7, s74, s72
	s_cselect_b32 s6, s76, s24
	s_wait_alu 0xfffe
	s_xor_b64 s[6:7], s[6:7], s[14:15]
	s_wait_alu 0xfffe
	s_sub_nc_u64 s[6:7], s[6:7], s[14:15]
	s_cbranch_execnz .LBB69_139
.LBB69_138:                             ;   in Loop: Header=BB69_16 Depth=1
	v_cvt_f32_u32_e32 v4, s56
	s_sub_co_i32 s7, 0, s56
	s_delay_alu instid0(VALU_DEP_1) | instskip(NEXT) | instid1(TRANS32_DEP_1)
	v_rcp_iflag_f32_e32 v4, v4
	v_mul_f32_e32 v4, 0x4f7ffffe, v4
	s_delay_alu instid0(VALU_DEP_1) | instskip(NEXT) | instid1(VALU_DEP_1)
	v_cvt_u32_f32_e32 v4, v4
	v_readfirstlane_b32 s6, v4
	s_wait_alu 0xfffe
	s_mul_i32 s7, s7, s6
	s_wait_alu 0xfffe
	s_mul_hi_u32 s7, s6, s7
	s_wait_alu 0xfffe
	s_add_co_i32 s6, s6, s7
	s_wait_alu 0xfffe
	s_mul_hi_u32 s6, s64, s6
	s_wait_alu 0xfffe
	s_mul_i32 s6, s6, s56
	s_wait_alu 0xfffe
	s_sub_co_i32 s6, s64, s6
	s_wait_alu 0xfffe
	s_sub_co_i32 s7, s6, s56
	s_cmp_ge_u32 s6, s56
	s_wait_alu 0xfffe
	s_cselect_b32 s6, s7, s6
	s_wait_alu 0xfffe
	s_sub_co_i32 s7, s6, s56
	s_cmp_ge_u32 s6, s56
	s_wait_alu 0xfffe
	s_cselect_b32 s24, s7, s6
	s_wait_alu 0xfffe
	s_mov_b64 s[6:7], s[24:25]
.LBB69_139:                             ;   in Loop: Header=BB69_16 Depth=1
	s_wait_alu 0xfffe
	s_sub_nc_u64 s[14:15], s[64:65], s[6:7]
	s_mov_b32 s7, 0
	s_mov_b32 s72, 0
	s_mov_b32 s24, exec_lo
                                        ; implicit-def: $vgpr48
	s_wait_alu 0xfffe
	v_cmpx_gt_i64_e64 s[14:15], v[0:1]
	s_cbranch_execz .LBB69_150
; %bb.140:                              ;   in Loop: Header=BB69_16 Depth=1
	v_dual_mov_b32 v4, v12 :: v_dual_mov_b32 v5, v13
	v_dual_mov_b32 v11, v1 :: v_dual_mov_b32 v10, v0
                                        ; implicit-def: $sgpr73
	s_branch .LBB69_143
.LBB69_141:                             ;   in Loop: Header=BB69_143 Depth=2
	s_wait_alu 0xfffe
	s_or_b32 exec_lo, exec_lo, s6
	s_wait_loadcnt_dscnt 0x0
	s_barrier_signal -1
	s_barrier_wait -1
	global_inv scope:SCOPE_SE
	ds_load_b32 v28, v3 offset:3072
	s_mov_b32 s6, -1
	s_mov_b32 s74, -1
	s_wait_loadcnt_dscnt 0x0
	s_barrier_signal -1
	s_barrier_wait -1
	global_inv scope:SCOPE_SE
	v_and_b32_e32 v29, 0x7fff, v28
	s_delay_alu instid0(VALU_DEP_1)
	v_cmp_ne_u32_e32 vcc_lo, 0, v29
	s_cbranch_vccz .LBB69_146
.LBB69_142:                             ;   in Loop: Header=BB69_143 Depth=2
	s_wait_alu 0xfffe
	s_and_b32 s6, exec_lo, s6
	s_wait_alu 0xfffe
	s_or_b32 s72, s6, s72
	s_and_not1_b32 s6, s73, exec_lo
	s_and_b32 s73, s74, exec_lo
	s_wait_alu 0xfffe
	s_or_b32 s73, s6, s73
	s_and_not1_b32 exec_lo, exec_lo, s72
	s_cbranch_execz .LBB69_149
.LBB69_143:                             ;   Parent Loop BB69_16 Depth=1
                                        ; =>  This Inner Loop Header: Depth=2
	s_mov_b32 s6, exec_lo
	s_delay_alu instid0(VALU_DEP_1)
	v_cmpx_gt_i64_e64 s[36:37], v[10:11]
	s_cbranch_execz .LBB69_141
; %bb.144:                              ;   in Loop: Header=BB69_143 Depth=2
	global_load_u16 v28, v[4:5], off
	s_wait_loadcnt 0x0
	v_cmp_lt_i16_e32 vcc_lo, -1, v28
	v_and_b32_e32 v29, 0xffff, v28
	s_wait_alu 0xfffd
	v_dual_cndmask_b32 v30, 0xffff, v46 :: v_dual_lshlrev_b32 v31, 16, v28
	s_delay_alu instid0(VALU_DEP_1) | instskip(NEXT) | instid1(VALU_DEP_2)
	v_cmp_o_f32_e32 vcc_lo, v31, v31
	v_xor_b32_e32 v29, v30, v29
	s_wait_alu 0xfffd
	s_delay_alu instid0(VALU_DEP_1) | instskip(NEXT) | instid1(VALU_DEP_1)
	v_cndmask_b32_e32 v29, 0xffff, v29, vcc_lo
	v_and_b32_e32 v29, v29, v47
	s_delay_alu instid0(VALU_DEP_1)
	v_cmp_eq_u32_e32 vcc_lo, v29, v24
	s_and_b32 exec_lo, exec_lo, vcc_lo
	s_cbranch_execz .LBB69_141
; %bb.145:                              ;   in Loop: Header=BB69_143 Depth=2
	v_perm_b32 v28, v28, s97, 0x5040100
	ds_store_b32 v3, v28 offset:3072
	s_branch .LBB69_141
.LBB69_146:                             ;   in Loop: Header=BB69_143 Depth=2
	v_add_co_u32 v10, vcc_lo, v10, s56
	s_wait_alu 0xfffd
	v_add_co_ci_u32_e64 v11, null, 0, v11, vcc_lo
	v_add_co_u32 v4, s6, v4, s58
	s_wait_alu 0xf1fe
	v_add_co_ci_u32_e64 v5, null, s59, v5, s6
	s_delay_alu instid0(VALU_DEP_3)
	v_cmp_le_i64_e32 vcc_lo, s[14:15], v[10:11]
	s_mov_b32 s74, 0
	s_or_not1_b32 s6, vcc_lo, exec_lo
	s_branch .LBB69_142
.LBB69_147:                             ;   in Loop: Header=BB69_16 Depth=1
                                        ; implicit-def: $sgpr6_sgpr7
	s_branch .LBB69_95
.LBB69_148:                             ;   in Loop: Header=BB69_16 Depth=1
                                        ; implicit-def: $sgpr14_sgpr15
	s_branch .LBB69_109
.LBB69_149:                             ;   in Loop: Header=BB69_16 Depth=1
	s_or_b32 exec_lo, exec_lo, s72
	v_lshrrev_b32_e32 v48, 16, v28
	s_wait_alu 0xfffe
	s_and_b32 s72, s73, exec_lo
.LBB69_150:                             ;   in Loop: Header=BB69_16 Depth=1
	s_or_b32 exec_lo, exec_lo, s24
.LBB69_151:                             ;   in Loop: Header=BB69_16 Depth=1
	s_delay_alu instid0(SALU_CYCLE_1)
	s_and_b32 vcc_lo, exec_lo, s7
	s_wait_alu 0xfffe
	s_cbranch_vccz .LBB69_165
; %bb.152:                              ;   in Loop: Header=BB69_16 Depth=1
	s_add_nc_u64 s[6:7], s[12:13], s[62:63]
	s_mov_b32 s14, s25
	s_wait_alu 0xfffe
	s_mov_b32 s15, s7
	s_wait_alu 0xfffe
	s_cmp_lg_u64 s[14:15], 0
	s_cbranch_scc0 .LBB69_194
; %bb.153:                              ;   in Loop: Header=BB69_16 Depth=1
	s_add_nc_u64 s[14:15], s[56:57], 0
	s_wait_alu 0xfffe
	s_xor_b64 s[14:15], s[14:15], 0
	s_wait_alu 0xfffe
	s_cvt_f32_u32 s21, s14
	s_cvt_f32_u32 s22, s15
	s_sub_nc_u64 s[76:77], 0, s[14:15]
	s_wait_alu 0xfffe
	s_delay_alu instid0(SALU_CYCLE_1) | instskip(SKIP_1) | instid1(SALU_CYCLE_2)
	s_fmamk_f32 s21, s22, 0x4f800000, s21
	s_wait_alu 0xfffe
	v_s_rcp_f32 s21, s21
	s_delay_alu instid0(TRANS32_DEP_1) | instskip(SKIP_1) | instid1(SALU_CYCLE_2)
	s_mul_f32 s21, s21, 0x5f7ffffc
	s_wait_alu 0xfffe
	s_mul_f32 s22, s21, 0x2f800000
	s_wait_alu 0xfffe
	s_delay_alu instid0(SALU_CYCLE_2) | instskip(SKIP_1) | instid1(SALU_CYCLE_2)
	s_trunc_f32 s22, s22
	s_wait_alu 0xfffe
	s_fmamk_f32 s21, s22, 0xcf800000, s21
	s_cvt_u32_f32 s75, s22
	s_wait_alu 0xfffe
	s_delay_alu instid0(SALU_CYCLE_1) | instskip(SKIP_1) | instid1(SALU_CYCLE_2)
	s_cvt_u32_f32 s74, s21
	s_wait_alu 0xfffe
	s_mul_u64 s[78:79], s[76:77], s[74:75]
	s_wait_alu 0xfffe
	s_mul_hi_u32 s81, s74, s79
	s_mul_i32 s80, s74, s79
	s_mul_hi_u32 s24, s74, s78
	s_mul_i32 s22, s75, s78
	s_wait_alu 0xfffe
	s_add_nc_u64 s[80:81], s[24:25], s[80:81]
	s_mul_hi_u32 s21, s75, s78
	s_mul_hi_u32 s73, s75, s79
	s_wait_alu 0xfffe
	s_add_co_u32 s22, s80, s22
	s_add_co_ci_u32 s24, s81, s21
	s_mul_i32 s78, s75, s79
	s_add_co_ci_u32 s79, s73, 0
	s_wait_alu 0xfffe
	s_add_nc_u64 s[78:79], s[24:25], s[78:79]
	s_wait_alu 0xfffe
	s_add_co_u32 s74, s74, s78
	s_cselect_b32 s21, -1, 0
	s_wait_alu 0xfffe
	s_cmp_lg_u32 s21, 0
	s_add_co_ci_u32 s75, s75, s79
	s_wait_alu 0xfffe
	s_mul_u64 s[76:77], s[76:77], s[74:75]
	s_wait_alu 0xfffe
	s_mul_hi_u32 s79, s74, s77
	s_mul_i32 s78, s74, s77
	s_mul_hi_u32 s24, s74, s76
	s_mul_i32 s22, s75, s76
	s_wait_alu 0xfffe
	s_add_nc_u64 s[78:79], s[24:25], s[78:79]
	s_mul_hi_u32 s21, s75, s76
	s_mul_hi_u32 s73, s75, s77
	s_wait_alu 0xfffe
	s_add_co_u32 s22, s78, s22
	s_add_co_ci_u32 s24, s79, s21
	s_mul_i32 s76, s75, s77
	s_add_co_ci_u32 s77, s73, 0
	s_wait_alu 0xfffe
	s_add_nc_u64 s[76:77], s[24:25], s[76:77]
	s_wait_alu 0xfffe
	s_add_co_u32 s21, s74, s76
	s_cselect_b32 s22, -1, 0
	s_wait_alu 0xfffe
	s_cmp_lg_u32 s22, 0
	s_add_co_ci_u32 s22, s75, s77
	s_ashr_i32 s74, s7, 31
	s_wait_alu 0xfffe
	s_mov_b32 s75, s74
	s_wait_alu 0xfffe
	s_add_nc_u64 s[76:77], s[6:7], s[74:75]
	s_wait_alu 0xfffe
	s_xor_b64 s[76:77], s[76:77], s[74:75]
	s_wait_alu 0xfffe
	s_mul_hi_u32 s79, s76, s22
	s_mul_i32 s78, s76, s22
	s_mul_hi_u32 s24, s76, s21
	s_mul_hi_u32 s81, s77, s21
	s_mul_i32 s21, s77, s21
	s_wait_alu 0xfffe
	s_add_nc_u64 s[78:79], s[24:25], s[78:79]
	s_mul_hi_u32 s73, s77, s22
	s_wait_alu 0xfffe
	s_add_co_u32 s21, s78, s21
	s_add_co_ci_u32 s24, s79, s81
	s_mul_i32 s80, s77, s22
	s_add_co_ci_u32 s81, s73, 0
	s_wait_alu 0xfffe
	s_add_nc_u64 s[78:79], s[24:25], s[80:81]
	s_wait_alu 0xfffe
	s_mul_u64 s[78:79], s[14:15], s[78:79]
	s_wait_alu 0xfffe
	s_sub_co_u32 s21, s76, s78
	s_cselect_b32 s22, -1, 0
	s_sub_co_i32 s24, s77, s79
	s_wait_alu 0xfffe
	s_cmp_lg_u32 s22, 0
	s_sub_co_ci_u32 s24, s24, s15
	s_sub_co_u32 s73, s21, s14
	s_cselect_b32 s76, -1, 0
	s_wait_alu 0xfffe
	s_cmp_lg_u32 s76, 0
	s_sub_co_ci_u32 s78, s24, 0
	s_wait_alu 0xfffe
	s_cmp_ge_u32 s78, s15
	s_cselect_b32 s80, -1, 0
	s_cmp_ge_u32 s73, s14
	s_cselect_b32 s81, -1, 0
	s_cmp_eq_u32 s78, s15
	s_wait_alu 0xfffe
	s_cselect_b32 s80, s81, s80
	s_cmp_lg_u32 s76, 0
	s_sub_co_ci_u32 s24, s24, s15
	s_sub_co_u32 s76, s73, s14
	s_cselect_b32 s81, -1, 0
	s_wait_alu 0xfffe
	s_cmp_lg_u32 s81, 0
	s_sub_co_ci_u32 s24, s24, 0
	s_cmp_lg_u32 s80, 0
	s_cselect_b32 s73, s76, s73
	s_wait_alu 0xfffe
	s_cselect_b32 s24, s24, s78
	s_cmp_lg_u32 s22, 0
	s_sub_co_ci_u32 s22, s77, s79
	s_wait_alu 0xfffe
	s_cmp_ge_u32 s22, s15
	s_cselect_b32 s76, -1, 0
	s_cmp_ge_u32 s21, s14
	s_cselect_b32 s14, -1, 0
	s_cmp_eq_u32 s22, s15
	s_wait_alu 0xfffe
	s_cselect_b32 s14, s14, s76
	s_wait_alu 0xfffe
	s_cmp_lg_u32 s14, 0
	s_cselect_b32 s15, s24, s22
	s_cselect_b32 s14, s73, s21
	s_wait_alu 0xfffe
	s_xor_b64 s[14:15], s[14:15], s[74:75]
	s_wait_alu 0xfffe
	s_sub_nc_u64 s[14:15], s[14:15], s[74:75]
	s_cbranch_execnz .LBB69_155
.LBB69_154:                             ;   in Loop: Header=BB69_16 Depth=1
	v_cvt_f32_u32_e32 v4, s56
	s_sub_co_i32 s15, 0, s56
	s_delay_alu instid0(VALU_DEP_1) | instskip(NEXT) | instid1(TRANS32_DEP_1)
	v_rcp_iflag_f32_e32 v4, v4
	v_mul_f32_e32 v4, 0x4f7ffffe, v4
	s_delay_alu instid0(VALU_DEP_1) | instskip(NEXT) | instid1(VALU_DEP_1)
	v_cvt_u32_f32_e32 v4, v4
	v_readfirstlane_b32 s14, v4
	s_wait_alu 0xfffe
	s_mul_i32 s15, s15, s14
	s_wait_alu 0xfffe
	s_mul_hi_u32 s15, s14, s15
	s_wait_alu 0xfffe
	s_add_co_i32 s14, s14, s15
	s_wait_alu 0xfffe
	s_mul_hi_u32 s14, s6, s14
	s_wait_alu 0xfffe
	s_mul_i32 s14, s14, s56
	s_wait_alu 0xfffe
	s_sub_co_i32 s14, s6, s14
	s_wait_alu 0xfffe
	s_sub_co_i32 s15, s14, s56
	s_cmp_ge_u32 s14, s56
	s_wait_alu 0xfffe
	s_cselect_b32 s14, s15, s14
	s_wait_alu 0xfffe
	s_sub_co_i32 s15, s14, s56
	s_cmp_ge_u32 s14, s56
	s_wait_alu 0xfffe
	s_cselect_b32 s24, s15, s14
	s_wait_alu 0xfffe
	s_mov_b64 s[14:15], s[24:25]
.LBB69_155:                             ;   in Loop: Header=BB69_16 Depth=1
	s_wait_alu 0xfffe
	s_sub_nc_u64 s[6:7], s[6:7], s[14:15]
	s_mov_b32 s14, exec_lo
                                        ; implicit-def: $vgpr48
	s_wait_alu 0xfffe
	v_cmpx_gt_i64_e64 s[6:7], v[0:1]
	s_cbranch_execz .LBB69_164
; %bb.156:                              ;   in Loop: Header=BB69_16 Depth=1
	v_dual_mov_b32 v10, v35 :: v_dual_mov_b32 v5, v1
	v_mov_b32_e32 v4, v0
	s_mov_b32 s15, 0
                                        ; implicit-def: $sgpr21
	s_branch .LBB69_159
.LBB69_157:                             ;   in Loop: Header=BB69_159 Depth=2
	s_wait_alu 0xfffe
	s_or_b32 exec_lo, exec_lo, s22
	s_wait_loadcnt_dscnt 0x0
	s_barrier_signal -1
	s_barrier_wait -1
	global_inv scope:SCOPE_SE
	ds_load_b32 v11, v3 offset:3072
	s_mov_b32 s22, -1
	s_mov_b32 s24, -1
	s_wait_loadcnt_dscnt 0x0
	s_barrier_signal -1
	s_barrier_wait -1
	global_inv scope:SCOPE_SE
	v_and_b32_e32 v28, 0x7fff, v11
	s_delay_alu instid0(VALU_DEP_1)
	v_cmp_eq_u32_e32 vcc_lo, 0, v28
	s_cbranch_vccnz .LBB69_162
.LBB69_158:                             ;   in Loop: Header=BB69_159 Depth=2
	s_wait_alu 0xfffe
	s_and_b32 s22, exec_lo, s22
	s_wait_alu 0xfffe
	s_or_b32 s15, s22, s15
	s_and_not1_b32 s21, s21, exec_lo
	s_and_b32 s22, s24, exec_lo
	s_wait_alu 0xfffe
	s_or_b32 s21, s21, s22
	s_and_not1_b32 exec_lo, exec_lo, s15
	s_cbranch_execz .LBB69_163
.LBB69_159:                             ;   Parent Loop BB69_16 Depth=1
                                        ; =>  This Inner Loop Header: Depth=2
	s_mov_b32 s22, exec_lo
	s_delay_alu instid0(VALU_DEP_1)
	v_cmpx_gt_u64_e64 s[12:13], v[4:5]
	s_cbranch_execz .LBB69_157
; %bb.160:                              ;   in Loop: Header=BB69_159 Depth=2
	ds_load_u16 v11, v10
	s_wait_dscnt 0x0
	v_cmp_lt_i16_e32 vcc_lo, -1, v11
	v_and_b32_e32 v28, 0xffff, v11
	s_wait_alu 0xfffd
	v_dual_cndmask_b32 v29, 0xffff, v46 :: v_dual_lshlrev_b32 v30, 16, v11
	s_delay_alu instid0(VALU_DEP_1) | instskip(NEXT) | instid1(VALU_DEP_2)
	v_cmp_o_f32_e32 vcc_lo, v30, v30
	v_xor_b32_e32 v28, v29, v28
	s_wait_alu 0xfffd
	s_delay_alu instid0(VALU_DEP_1) | instskip(NEXT) | instid1(VALU_DEP_1)
	v_cndmask_b32_e32 v28, 0xffff, v28, vcc_lo
	v_and_b32_e32 v28, v28, v47
	s_delay_alu instid0(VALU_DEP_1)
	v_cmp_eq_u32_e32 vcc_lo, v28, v24
	s_and_b32 exec_lo, exec_lo, vcc_lo
	s_cbranch_execz .LBB69_157
; %bb.161:                              ;   in Loop: Header=BB69_159 Depth=2
	v_perm_b32 v11, v11, s97, 0x5040100
	ds_store_b32 v3, v11 offset:3072
	s_branch .LBB69_157
.LBB69_162:                             ;   in Loop: Header=BB69_159 Depth=2
	v_add_co_u32 v4, vcc_lo, v4, s56
	s_wait_alu 0xfffd
	v_add_co_ci_u32_e64 v5, null, 0, v5, vcc_lo
	v_add_nc_u32_e32 v10, s96, v10
	s_mov_b32 s24, 0
	s_delay_alu instid0(VALU_DEP_2)
	v_cmp_le_i64_e32 vcc_lo, s[6:7], v[4:5]
	s_or_not1_b32 s22, vcc_lo, exec_lo
	s_branch .LBB69_158
.LBB69_163:                             ;   in Loop: Header=BB69_16 Depth=1
	s_or_b32 exec_lo, exec_lo, s15
	v_lshrrev_b32_e32 v48, 16, v11
	s_and_not1_b32 s6, s72, exec_lo
	s_wait_alu 0xfffe
	s_and_b32 s7, s21, exec_lo
	s_wait_alu 0xfffe
	s_or_b32 s72, s6, s7
.LBB69_164:                             ;   in Loop: Header=BB69_16 Depth=1
	s_or_b32 exec_lo, exec_lo, s14
	s_mov_b32 s21, 0
	s_mov_b32 s22, -1
.LBB69_165:                             ;   in Loop: Header=BB69_16 Depth=1
	s_wait_alu 0xfffe
	s_or_not1_b32 s6, s72, exec_lo
.LBB69_166:                             ;   in Loop: Header=BB69_16 Depth=1
	s_wait_alu 0xfffe
	s_or_b32 exec_lo, exec_lo, s23
	s_mov_b32 s7, 0
	s_and_saveexec_b32 s23, s6
	s_cbranch_execz .LBB69_272
; %bb.167:                              ;   in Loop: Header=BB69_16 Depth=1
	v_mov_b32_e32 v4, 1
	v_dual_mov_b32 v5, 0 :: v_dual_mov_b32 v2, 1
	s_xor_b32 s12, s53, -1
	s_wait_alu 0xfffe
	s_and_saveexec_b32 s6, s12
	s_cbranch_execz .LBB69_177
; %bb.168:                              ;   in Loop: Header=BB69_16 Depth=1
	s_mov_b32 s7, exec_lo
	v_cmpx_le_i64_e64 v[8:9], v[6:7]
	s_wait_alu 0xfffe
	s_xor_b32 s7, exec_lo, s7
	s_cbranch_execz .LBB69_174
; %bb.169:                              ;   in Loop: Header=BB69_16 Depth=1
	ds_load_b64 v[4:5], v3 offset:5120
	s_lshl_b32 s12, 1, s98
	v_or_b32_e32 v47, s16, v47
	s_wait_alu 0xfffe
	v_and_or_b32 v24, v24, s20, s12
	s_wait_dscnt 0x0
	v_cmp_ne_u64_e32 vcc_lo, 0, v[4:5]
	s_cbranch_vccnz .LBB69_173
; %bb.170:                              ;   in Loop: Header=BB69_16 Depth=1
	s_and_saveexec_b32 s12, s2
; %bb.171:                              ;   in Loop: Header=BB69_16 Depth=1
	ds_store_b64 v3, v[6:7] offset:5128
; %bb.172:                              ;   in Loop: Header=BB69_16 Depth=1
	s_wait_alu 0xfffe
	s_or_b32 exec_lo, exec_lo, s12
	s_wait_loadcnt_dscnt 0x0
	s_barrier_signal -1
	s_barrier_wait -1
	global_inv scope:SCOPE_SE
.LBB69_173:                             ;   in Loop: Header=BB69_16 Depth=1
                                        ; implicit-def: $vgpr4_vgpr5_vgpr6_vgpr7
.LBB69_174:                             ;   in Loop: Header=BB69_16 Depth=1
	s_wait_alu 0xfffe
	s_or_saveexec_b32 s7, s7
	v_mov_b32_e32 v2, 8
	s_mov_b32 s12, 0
	s_wait_alu 0xfffe
	s_xor_b32 exec_lo, exec_lo, s7
; %bb.175:                              ;   in Loop: Header=BB69_16 Depth=1
	v_sub_co_u32 v8, vcc_lo, v8, v6
	s_wait_alu 0xfffd
	v_sub_co_ci_u32_e64 v9, null, v9, v7, vcc_lo
	v_mov_b32_e32 v2, 0
	s_mov_b32 s12, exec_lo
; %bb.176:                              ;   in Loop: Header=BB69_16 Depth=1
	s_or_b32 exec_lo, exec_lo, s7
	s_delay_alu instid0(VALU_DEP_2)
	v_dual_mov_b32 v4, v8 :: v_dual_mov_b32 v5, v9
	s_wait_alu 0xfffe
	s_and_b32 s7, s12, exec_lo
.LBB69_177:                             ;   in Loop: Header=BB69_16 Depth=1
	s_wait_alu 0xfffe
	s_or_b32 exec_lo, exec_lo, s6
	s_mov_b32 s6, -1
                                        ; implicit-def: $sgpr72
                                        ; implicit-def: $sgpr73
	s_and_saveexec_b32 s53, s7
	s_cbranch_execz .LBB69_271
; %bb.178:                              ;   in Loop: Header=BB69_16 Depth=1
	v_cmp_eq_u64_e32 vcc_lo, 1, v[4:5]
	s_cmp_eq_u64 s[10:11], 1
                                        ; implicit-def: $sgpr73
                                        ; implicit-def: $sgpr72
	s_cselect_b32 s6, -1, 0
	s_wait_alu 0xfffe
	s_and_b32 s74, s6, vcc_lo
	s_mov_b32 s6, -1
	s_wait_alu 0xfffe
	s_and_saveexec_b32 s75, s74
	s_cbranch_execz .LBB69_212
; %bb.179:                              ;   in Loop: Header=BB69_16 Depth=1
	ds_load_b64 v[6:7], v3 offset:5120
	s_wait_loadcnt_dscnt 0x0
	s_barrier_signal -1
	s_barrier_wait -1
	global_inv scope:SCOPE_SE
	v_readfirstlane_b32 s12, v6
	v_readfirstlane_b32 s13, v7
	s_and_saveexec_b32 s6, s3
; %bb.180:                              ;   in Loop: Header=BB69_16 Depth=1
	ds_store_b16 v36, v3
; %bb.181:                              ;   in Loop: Header=BB69_16 Depth=1
	s_wait_alu 0xfffe
	s_or_b32 exec_lo, exec_lo, s6
	s_lshl_b32 s6, 2, s98
	v_or_b32_e32 v47, s16, v47
	s_wait_alu 0xfffe
	v_and_or_b32 v24, v24, s20, s6
	v_cmp_gt_i64_e64 s6, s[12:13], 0
	s_mov_b32 s72, -1
	s_mov_b32 s73, 0
	s_mov_b32 s76, 0
	s_mov_b32 s7, -1
	s_wait_loadcnt_dscnt 0x0
	s_and_b32 vcc_lo, exec_lo, s6
	s_barrier_signal -1
	s_barrier_wait -1
	global_inv scope:SCOPE_SE
                                        ; implicit-def: $vgpr48
	s_wait_alu 0xfffe
	s_cbranch_vccnz .LBB69_197
; %bb.182:                              ;   in Loop: Header=BB69_16 Depth=1
	s_mov_b32 s6, s25
	s_mov_b32 s7, s65
	s_wait_alu 0xfffe
	s_cmp_lg_u64 s[6:7], 0
	s_cbranch_scc0 .LBB69_238
; %bb.183:                              ;   in Loop: Header=BB69_16 Depth=1
	s_add_nc_u64 s[6:7], s[56:57], 0
	s_wait_alu 0xfffe
	s_xor_b64 s[6:7], s[6:7], 0
	s_wait_alu 0xfffe
	s_cvt_f32_u32 s14, s6
	s_cvt_f32_u32 s15, s7
	s_sub_nc_u64 s[76:77], 0, s[6:7]
	s_wait_alu 0xfffe
	s_delay_alu instid0(SALU_CYCLE_1) | instskip(SKIP_1) | instid1(SALU_CYCLE_2)
	s_fmamk_f32 s14, s15, 0x4f800000, s14
	s_wait_alu 0xfffe
	v_s_rcp_f32 s14, s14
	s_delay_alu instid0(TRANS32_DEP_1) | instskip(SKIP_1) | instid1(SALU_CYCLE_2)
	s_mul_f32 s14, s14, 0x5f7ffffc
	s_wait_alu 0xfffe
	s_mul_f32 s15, s14, 0x2f800000
	s_wait_alu 0xfffe
	s_delay_alu instid0(SALU_CYCLE_2) | instskip(SKIP_1) | instid1(SALU_CYCLE_2)
	s_trunc_f32 s15, s15
	s_wait_alu 0xfffe
	s_fmamk_f32 s14, s15, 0xcf800000, s14
	s_cvt_u32_f32 s15, s15
	s_wait_alu 0xfffe
	s_delay_alu instid0(SALU_CYCLE_1) | instskip(SKIP_1) | instid1(SALU_CYCLE_2)
	s_cvt_u32_f32 s14, s14
	s_wait_alu 0xfffe
	s_mul_u64 s[78:79], s[76:77], s[14:15]
	s_wait_alu 0xfffe
	s_mul_hi_u32 s81, s14, s79
	s_mul_i32 s80, s14, s79
	s_mul_hi_u32 s24, s14, s78
	s_mul_i32 s83, s15, s78
	s_wait_alu 0xfffe
	s_add_nc_u64 s[80:81], s[24:25], s[80:81]
	s_mul_hi_u32 s82, s15, s78
	s_mul_hi_u32 s84, s15, s79
	s_wait_alu 0xfffe
	s_add_co_u32 s24, s80, s83
	s_add_co_ci_u32 s24, s81, s82
	s_mul_i32 s78, s15, s79
	s_add_co_ci_u32 s79, s84, 0
	s_wait_alu 0xfffe
	s_add_nc_u64 s[78:79], s[24:25], s[78:79]
	s_wait_alu 0xfffe
	s_add_co_u32 s14, s14, s78
	s_cselect_b32 s24, -1, 0
	s_wait_alu 0xfffe
	s_cmp_lg_u32 s24, 0
	s_add_co_ci_u32 s15, s15, s79
	s_wait_alu 0xfffe
	s_mul_u64 s[76:77], s[76:77], s[14:15]
	s_wait_alu 0xfffe
	s_mul_hi_u32 s79, s14, s77
	s_mul_i32 s78, s14, s77
	s_mul_hi_u32 s24, s14, s76
	s_mul_i32 s81, s15, s76
	s_wait_alu 0xfffe
	s_add_nc_u64 s[78:79], s[24:25], s[78:79]
	s_mul_hi_u32 s80, s15, s76
	s_mul_hi_u32 s82, s15, s77
	s_wait_alu 0xfffe
	s_add_co_u32 s24, s78, s81
	s_add_co_ci_u32 s24, s79, s80
	s_mul_i32 s76, s15, s77
	s_add_co_ci_u32 s77, s82, 0
	s_wait_alu 0xfffe
	s_add_nc_u64 s[76:77], s[24:25], s[76:77]
	s_wait_alu 0xfffe
	s_add_co_u32 s80, s14, s76
	s_cselect_b32 s14, -1, 0
	s_wait_alu 0xfffe
	s_cmp_lg_u32 s14, 0
	s_add_co_ci_u32 s81, s15, s77
	s_ashr_i32 s14, s65, 31
	s_wait_alu 0xfffe
	s_mov_b32 s15, s14
	s_wait_alu 0xfffe
	s_add_nc_u64 s[76:77], s[64:65], s[14:15]
	s_wait_alu 0xfffe
	s_xor_b64 s[76:77], s[76:77], s[14:15]
	s_wait_alu 0xfffe
	s_mul_hi_u32 s79, s76, s81
	s_mul_i32 s78, s76, s81
	s_mul_hi_u32 s24, s76, s80
	s_mul_i32 s84, s77, s80
	s_wait_alu 0xfffe
	s_add_nc_u64 s[78:79], s[24:25], s[78:79]
	s_mul_hi_u32 s83, s77, s80
	s_mul_hi_u32 s82, s77, s81
	s_wait_alu 0xfffe
	s_add_co_u32 s24, s78, s84
	s_add_co_ci_u32 s24, s79, s83
	s_mul_i32 s80, s77, s81
	s_add_co_ci_u32 s81, s82, 0
	s_wait_alu 0xfffe
	s_add_nc_u64 s[78:79], s[24:25], s[80:81]
	s_wait_alu 0xfffe
	s_mul_u64 s[78:79], s[6:7], s[78:79]
	s_wait_alu 0xfffe
	s_sub_co_u32 s24, s76, s78
	s_cselect_b32 s76, -1, 0
	s_sub_co_i32 s78, s77, s79
	s_wait_alu 0xfffe
	s_cmp_lg_u32 s76, 0
	s_sub_co_ci_u32 s78, s78, s7
	s_sub_co_u32 s80, s24, s6
	s_cselect_b32 s81, -1, 0
	s_wait_alu 0xfffe
	s_cmp_lg_u32 s81, 0
	s_sub_co_ci_u32 s82, s78, 0
	s_wait_alu 0xfffe
	s_cmp_ge_u32 s82, s7
	s_cselect_b32 s83, -1, 0
	s_cmp_ge_u32 s80, s6
	s_cselect_b32 s84, -1, 0
	s_cmp_eq_u32 s82, s7
	s_wait_alu 0xfffe
	s_cselect_b32 s83, s84, s83
	s_cmp_lg_u32 s81, 0
	s_sub_co_ci_u32 s78, s78, s7
	s_sub_co_u32 s81, s80, s6
	s_cselect_b32 s84, -1, 0
	s_wait_alu 0xfffe
	s_cmp_lg_u32 s84, 0
	s_sub_co_ci_u32 s78, s78, 0
	s_cmp_lg_u32 s83, 0
	s_cselect_b32 s80, s81, s80
	s_wait_alu 0xfffe
	s_cselect_b32 s78, s78, s82
	s_cmp_lg_u32 s76, 0
	s_sub_co_ci_u32 s76, s77, s79
	s_wait_alu 0xfffe
	s_cmp_ge_u32 s76, s7
	s_cselect_b32 s77, -1, 0
	s_cmp_ge_u32 s24, s6
	s_cselect_b32 s6, -1, 0
	s_cmp_eq_u32 s76, s7
	s_wait_alu 0xfffe
	s_cselect_b32 s6, s6, s77
	s_wait_alu 0xfffe
	s_cmp_lg_u32 s6, 0
	s_cselect_b32 s7, s78, s76
	s_cselect_b32 s6, s80, s24
	s_wait_alu 0xfffe
	s_xor_b64 s[6:7], s[6:7], s[14:15]
	s_wait_alu 0xfffe
	s_sub_nc_u64 s[6:7], s[6:7], s[14:15]
	s_cbranch_execnz .LBB69_185
.LBB69_184:                             ;   in Loop: Header=BB69_16 Depth=1
	v_cvt_f32_u32_e32 v6, s56
	s_sub_co_i32 s7, 0, s56
	s_delay_alu instid0(VALU_DEP_1) | instskip(NEXT) | instid1(TRANS32_DEP_1)
	v_rcp_iflag_f32_e32 v6, v6
	v_mul_f32_e32 v6, 0x4f7ffffe, v6
	s_delay_alu instid0(VALU_DEP_1) | instskip(NEXT) | instid1(VALU_DEP_1)
	v_cvt_u32_f32_e32 v6, v6
	v_readfirstlane_b32 s6, v6
	s_wait_alu 0xfffe
	s_mul_i32 s7, s7, s6
	s_wait_alu 0xfffe
	s_mul_hi_u32 s7, s6, s7
	s_wait_alu 0xfffe
	s_add_co_i32 s6, s6, s7
	s_wait_alu 0xfffe
	s_mul_hi_u32 s6, s64, s6
	s_wait_alu 0xfffe
	s_mul_i32 s6, s6, s56
	s_wait_alu 0xfffe
	s_sub_co_i32 s6, s64, s6
	s_wait_alu 0xfffe
	s_sub_co_i32 s7, s6, s56
	s_cmp_ge_u32 s6, s56
	s_wait_alu 0xfffe
	s_cselect_b32 s6, s7, s6
	s_wait_alu 0xfffe
	s_sub_co_i32 s7, s6, s56
	s_cmp_ge_u32 s6, s56
	s_wait_alu 0xfffe
	s_cselect_b32 s24, s7, s6
	s_wait_alu 0xfffe
	s_mov_b64 s[6:7], s[24:25]
.LBB69_185:                             ;   in Loop: Header=BB69_16 Depth=1
	s_wait_alu 0xfffe
	s_sub_nc_u64 s[14:15], s[64:65], s[6:7]
	s_mov_b32 s7, 0
	s_mov_b32 s76, 0
	s_mov_b32 s24, exec_lo
                                        ; implicit-def: $vgpr48
	s_wait_alu 0xfffe
	v_cmpx_gt_i64_e64 s[14:15], v[0:1]
	s_cbranch_execz .LBB69_196
; %bb.186:                              ;   in Loop: Header=BB69_16 Depth=1
	v_dual_mov_b32 v6, v12 :: v_dual_mov_b32 v7, v13
	v_dual_mov_b32 v9, v1 :: v_dual_mov_b32 v8, v0
                                        ; implicit-def: $sgpr77
	s_branch .LBB69_189
.LBB69_187:                             ;   in Loop: Header=BB69_189 Depth=2
	s_wait_alu 0xfffe
	s_or_b32 exec_lo, exec_lo, s6
	s_wait_loadcnt_dscnt 0x0
	s_barrier_signal -1
	s_barrier_wait -1
	global_inv scope:SCOPE_SE
	ds_load_b32 v10, v3 offset:3072
	s_mov_b32 s6, -1
	s_mov_b32 s78, -1
	s_wait_loadcnt_dscnt 0x0
	s_barrier_signal -1
	s_barrier_wait -1
	global_inv scope:SCOPE_SE
	v_and_b32_e32 v11, 0x7fff, v10
	s_delay_alu instid0(VALU_DEP_1)
	v_cmp_ne_u32_e32 vcc_lo, 0, v11
	s_cbranch_vccz .LBB69_192
.LBB69_188:                             ;   in Loop: Header=BB69_189 Depth=2
	s_wait_alu 0xfffe
	s_and_b32 s6, exec_lo, s6
	s_wait_alu 0xfffe
	s_or_b32 s76, s6, s76
	s_and_not1_b32 s6, s77, exec_lo
	s_and_b32 s77, s78, exec_lo
	s_wait_alu 0xfffe
	s_or_b32 s77, s6, s77
	s_and_not1_b32 exec_lo, exec_lo, s76
	s_cbranch_execz .LBB69_195
.LBB69_189:                             ;   Parent Loop BB69_16 Depth=1
                                        ; =>  This Inner Loop Header: Depth=2
	s_mov_b32 s6, exec_lo
	s_delay_alu instid0(VALU_DEP_1)
	v_cmpx_gt_i64_e64 s[36:37], v[8:9]
	s_cbranch_execz .LBB69_187
; %bb.190:                              ;   in Loop: Header=BB69_189 Depth=2
	global_load_u16 v10, v[6:7], off
	s_wait_loadcnt 0x0
	v_cmp_lt_i16_e32 vcc_lo, -1, v10
	v_and_b32_e32 v11, 0xffff, v10
	v_lshlrev_b32_e32 v29, 16, v10
	s_wait_alu 0xfffd
	v_cndmask_b32_e32 v28, 0xffff, v46, vcc_lo
	s_delay_alu instid0(VALU_DEP_2) | instskip(NEXT) | instid1(VALU_DEP_2)
	v_cmp_o_f32_e32 vcc_lo, v29, v29
	v_xor_b32_e32 v11, v28, v11
	s_wait_alu 0xfffd
	s_delay_alu instid0(VALU_DEP_1) | instskip(NEXT) | instid1(VALU_DEP_1)
	v_cndmask_b32_e32 v11, 0xffff, v11, vcc_lo
	v_and_b32_e32 v11, v11, v47
	s_delay_alu instid0(VALU_DEP_1)
	v_cmp_eq_u32_e32 vcc_lo, v11, v24
	s_and_b32 exec_lo, exec_lo, vcc_lo
	s_cbranch_execz .LBB69_187
; %bb.191:                              ;   in Loop: Header=BB69_189 Depth=2
	v_perm_b32 v10, v10, s97, 0x5040100
	ds_store_b32 v3, v10 offset:3072
	s_branch .LBB69_187
.LBB69_192:                             ;   in Loop: Header=BB69_189 Depth=2
	v_add_co_u32 v8, vcc_lo, v8, s56
	s_wait_alu 0xfffd
	v_add_co_ci_u32_e64 v9, null, 0, v9, vcc_lo
	v_add_co_u32 v6, s6, v6, s58
	s_wait_alu 0xf1fe
	v_add_co_ci_u32_e64 v7, null, s59, v7, s6
	s_delay_alu instid0(VALU_DEP_3)
	v_cmp_le_i64_e32 vcc_lo, s[14:15], v[8:9]
	s_mov_b32 s78, 0
	s_or_not1_b32 s6, vcc_lo, exec_lo
	s_branch .LBB69_188
.LBB69_193:                             ;   in Loop: Header=BB69_16 Depth=1
                                        ; implicit-def: $sgpr6_sgpr7
	s_branch .LBB69_138
.LBB69_194:                             ;   in Loop: Header=BB69_16 Depth=1
                                        ; implicit-def: $sgpr14_sgpr15
	s_branch .LBB69_154
.LBB69_195:                             ;   in Loop: Header=BB69_16 Depth=1
	s_or_b32 exec_lo, exec_lo, s76
	v_lshrrev_b32_e32 v48, 16, v10
	s_wait_alu 0xfffe
	s_and_b32 s76, s77, exec_lo
.LBB69_196:                             ;   in Loop: Header=BB69_16 Depth=1
	s_or_b32 exec_lo, exec_lo, s24
.LBB69_197:                             ;   in Loop: Header=BB69_16 Depth=1
	s_delay_alu instid0(SALU_CYCLE_1)
	s_and_b32 vcc_lo, exec_lo, s7
	s_wait_alu 0xfffe
	s_cbranch_vccz .LBB69_211
; %bb.198:                              ;   in Loop: Header=BB69_16 Depth=1
	s_add_nc_u64 s[6:7], s[12:13], s[62:63]
	s_mov_b32 s14, s25
	s_wait_alu 0xfffe
	s_mov_b32 s15, s7
	s_wait_alu 0xfffe
	s_cmp_lg_u64 s[14:15], 0
	s_cbranch_scc0 .LBB69_239
; %bb.199:                              ;   in Loop: Header=BB69_16 Depth=1
	s_add_nc_u64 s[14:15], s[56:57], 0
	s_wait_alu 0xfffe
	s_xor_b64 s[14:15], s[14:15], 0
	s_wait_alu 0xfffe
	s_cvt_f32_u32 s24, s14
	s_cvt_f32_u32 s72, s15
	s_sub_nc_u64 s[78:79], 0, s[14:15]
	s_wait_alu 0xfffe
	s_delay_alu instid0(SALU_CYCLE_1) | instskip(SKIP_1) | instid1(SALU_CYCLE_2)
	s_fmamk_f32 s24, s72, 0x4f800000, s24
	s_wait_alu 0xfffe
	v_s_rcp_f32 s24, s24
	s_delay_alu instid0(TRANS32_DEP_1) | instskip(SKIP_1) | instid1(SALU_CYCLE_2)
	s_mul_f32 s24, s24, 0x5f7ffffc
	s_wait_alu 0xfffe
	s_mul_f32 s72, s24, 0x2f800000
	s_wait_alu 0xfffe
	s_delay_alu instid0(SALU_CYCLE_2) | instskip(SKIP_1) | instid1(SALU_CYCLE_2)
	s_trunc_f32 s72, s72
	s_wait_alu 0xfffe
	s_fmamk_f32 s24, s72, 0xcf800000, s24
	s_cvt_u32_f32 s73, s72
	s_wait_alu 0xfffe
	s_delay_alu instid0(SALU_CYCLE_1) | instskip(SKIP_1) | instid1(SALU_CYCLE_2)
	s_cvt_u32_f32 s72, s24
	s_wait_alu 0xfffe
	s_mul_u64 s[80:81], s[78:79], s[72:73]
	s_wait_alu 0xfffe
	s_mul_hi_u32 s83, s72, s81
	s_mul_i32 s82, s72, s81
	s_mul_hi_u32 s24, s72, s80
	s_mul_i32 s84, s73, s80
	s_wait_alu 0xfffe
	s_add_nc_u64 s[82:83], s[24:25], s[82:83]
	s_mul_hi_u32 s77, s73, s80
	s_mul_hi_u32 s85, s73, s81
	s_wait_alu 0xfffe
	s_add_co_u32 s24, s82, s84
	s_add_co_ci_u32 s24, s83, s77
	s_mul_i32 s80, s73, s81
	s_add_co_ci_u32 s81, s85, 0
	s_wait_alu 0xfffe
	s_add_nc_u64 s[80:81], s[24:25], s[80:81]
	s_wait_alu 0xfffe
	s_add_co_u32 s72, s72, s80
	s_cselect_b32 s24, -1, 0
	s_wait_alu 0xfffe
	s_cmp_lg_u32 s24, 0
	s_add_co_ci_u32 s73, s73, s81
	s_wait_alu 0xfffe
	s_mul_u64 s[78:79], s[78:79], s[72:73]
	s_wait_alu 0xfffe
	s_mul_hi_u32 s81, s72, s79
	s_mul_i32 s80, s72, s79
	s_mul_hi_u32 s24, s72, s78
	s_mul_i32 s82, s73, s78
	s_wait_alu 0xfffe
	s_add_nc_u64 s[80:81], s[24:25], s[80:81]
	s_mul_hi_u32 s77, s73, s78
	s_mul_hi_u32 s83, s73, s79
	s_wait_alu 0xfffe
	s_add_co_u32 s24, s80, s82
	s_add_co_ci_u32 s24, s81, s77
	s_mul_i32 s78, s73, s79
	s_add_co_ci_u32 s79, s83, 0
	s_wait_alu 0xfffe
	s_add_nc_u64 s[78:79], s[24:25], s[78:79]
	s_wait_alu 0xfffe
	s_add_co_u32 s77, s72, s78
	s_cselect_b32 s24, -1, 0
	s_wait_alu 0xfffe
	s_cmp_lg_u32 s24, 0
	s_add_co_ci_u32 s82, s73, s79
	s_ashr_i32 s72, s7, 31
	s_wait_alu 0xfffe
	s_mov_b32 s73, s72
	s_wait_alu 0xfffe
	s_add_nc_u64 s[78:79], s[6:7], s[72:73]
	s_wait_alu 0xfffe
	s_xor_b64 s[78:79], s[78:79], s[72:73]
	s_wait_alu 0xfffe
	s_mul_hi_u32 s81, s78, s82
	s_mul_i32 s80, s78, s82
	s_mul_hi_u32 s24, s78, s77
	s_mul_hi_u32 s84, s79, s77
	s_mul_i32 s77, s79, s77
	s_wait_alu 0xfffe
	s_add_nc_u64 s[80:81], s[24:25], s[80:81]
	s_mul_hi_u32 s83, s79, s82
	s_wait_alu 0xfffe
	s_add_co_u32 s24, s80, s77
	s_add_co_ci_u32 s24, s81, s84
	s_mul_i32 s82, s79, s82
	s_add_co_ci_u32 s83, s83, 0
	s_wait_alu 0xfffe
	s_add_nc_u64 s[80:81], s[24:25], s[82:83]
	s_wait_alu 0xfffe
	s_mul_u64 s[80:81], s[14:15], s[80:81]
	s_wait_alu 0xfffe
	s_sub_co_u32 s24, s78, s80
	s_cselect_b32 s77, -1, 0
	s_sub_co_i32 s78, s79, s81
	s_wait_alu 0xfffe
	s_cmp_lg_u32 s77, 0
	s_sub_co_ci_u32 s78, s78, s15
	s_sub_co_u32 s80, s24, s14
	s_cselect_b32 s82, -1, 0
	s_wait_alu 0xfffe
	s_cmp_lg_u32 s82, 0
	s_sub_co_ci_u32 s83, s78, 0
	s_wait_alu 0xfffe
	s_cmp_ge_u32 s83, s15
	s_cselect_b32 s84, -1, 0
	s_cmp_ge_u32 s80, s14
	s_cselect_b32 s85, -1, 0
	s_cmp_eq_u32 s83, s15
	s_wait_alu 0xfffe
	s_cselect_b32 s84, s85, s84
	s_cmp_lg_u32 s82, 0
	s_sub_co_ci_u32 s78, s78, s15
	s_sub_co_u32 s82, s80, s14
	s_cselect_b32 s85, -1, 0
	s_wait_alu 0xfffe
	s_cmp_lg_u32 s85, 0
	s_sub_co_ci_u32 s78, s78, 0
	s_cmp_lg_u32 s84, 0
	s_cselect_b32 s80, s82, s80
	s_wait_alu 0xfffe
	s_cselect_b32 s78, s78, s83
	s_cmp_lg_u32 s77, 0
	s_sub_co_ci_u32 s77, s79, s81
	s_wait_alu 0xfffe
	s_cmp_ge_u32 s77, s15
	s_cselect_b32 s79, -1, 0
	s_cmp_ge_u32 s24, s14
	s_cselect_b32 s14, -1, 0
	s_cmp_eq_u32 s77, s15
	s_wait_alu 0xfffe
	s_cselect_b32 s14, s14, s79
	s_wait_alu 0xfffe
	s_cmp_lg_u32 s14, 0
	s_cselect_b32 s15, s78, s77
	s_cselect_b32 s14, s80, s24
	s_wait_alu 0xfffe
	s_xor_b64 s[14:15], s[14:15], s[72:73]
	s_wait_alu 0xfffe
	s_sub_nc_u64 s[14:15], s[14:15], s[72:73]
	s_cbranch_execnz .LBB69_201
.LBB69_200:                             ;   in Loop: Header=BB69_16 Depth=1
	v_cvt_f32_u32_e32 v6, s56
	s_sub_co_i32 s15, 0, s56
	s_delay_alu instid0(VALU_DEP_1) | instskip(NEXT) | instid1(TRANS32_DEP_1)
	v_rcp_iflag_f32_e32 v6, v6
	v_mul_f32_e32 v6, 0x4f7ffffe, v6
	s_delay_alu instid0(VALU_DEP_1) | instskip(NEXT) | instid1(VALU_DEP_1)
	v_cvt_u32_f32_e32 v6, v6
	v_readfirstlane_b32 s14, v6
	s_wait_alu 0xfffe
	s_mul_i32 s15, s15, s14
	s_wait_alu 0xfffe
	s_mul_hi_u32 s15, s14, s15
	s_wait_alu 0xfffe
	s_add_co_i32 s14, s14, s15
	s_wait_alu 0xfffe
	s_mul_hi_u32 s14, s6, s14
	s_wait_alu 0xfffe
	s_mul_i32 s14, s14, s56
	s_wait_alu 0xfffe
	s_sub_co_i32 s14, s6, s14
	s_wait_alu 0xfffe
	s_sub_co_i32 s15, s14, s56
	s_cmp_ge_u32 s14, s56
	s_wait_alu 0xfffe
	s_cselect_b32 s14, s15, s14
	s_wait_alu 0xfffe
	s_sub_co_i32 s15, s14, s56
	s_cmp_ge_u32 s14, s56
	s_wait_alu 0xfffe
	s_cselect_b32 s24, s15, s14
	s_wait_alu 0xfffe
	s_mov_b64 s[14:15], s[24:25]
.LBB69_201:                             ;   in Loop: Header=BB69_16 Depth=1
	s_wait_alu 0xfffe
	s_sub_nc_u64 s[6:7], s[6:7], s[14:15]
	s_mov_b32 s14, exec_lo
                                        ; implicit-def: $vgpr48
	s_wait_alu 0xfffe
	v_cmpx_gt_i64_e64 s[6:7], v[0:1]
	s_cbranch_execz .LBB69_210
; %bb.202:                              ;   in Loop: Header=BB69_16 Depth=1
	v_dual_mov_b32 v8, v35 :: v_dual_mov_b32 v7, v1
	v_mov_b32_e32 v6, v0
	s_mov_b32 s15, 0
                                        ; implicit-def: $sgpr24
	s_branch .LBB69_205
.LBB69_203:                             ;   in Loop: Header=BB69_205 Depth=2
	s_wait_alu 0xfffe
	s_or_b32 exec_lo, exec_lo, s72
	s_wait_loadcnt_dscnt 0x0
	s_barrier_signal -1
	s_barrier_wait -1
	global_inv scope:SCOPE_SE
	ds_load_b32 v9, v3 offset:3072
	s_mov_b32 s72, -1
	s_mov_b32 s73, -1
	s_wait_loadcnt_dscnt 0x0
	s_barrier_signal -1
	s_barrier_wait -1
	global_inv scope:SCOPE_SE
	v_and_b32_e32 v10, 0x7fff, v9
	s_delay_alu instid0(VALU_DEP_1)
	v_cmp_eq_u32_e32 vcc_lo, 0, v10
	s_cbranch_vccnz .LBB69_208
.LBB69_204:                             ;   in Loop: Header=BB69_205 Depth=2
	s_wait_alu 0xfffe
	s_and_b32 s72, exec_lo, s72
	s_wait_alu 0xfffe
	s_or_b32 s15, s72, s15
	s_and_not1_b32 s24, s24, exec_lo
	s_and_b32 s72, s73, exec_lo
	s_wait_alu 0xfffe
	s_or_b32 s24, s24, s72
	s_and_not1_b32 exec_lo, exec_lo, s15
	s_cbranch_execz .LBB69_209
.LBB69_205:                             ;   Parent Loop BB69_16 Depth=1
                                        ; =>  This Inner Loop Header: Depth=2
	s_mov_b32 s72, exec_lo
	s_delay_alu instid0(VALU_DEP_1)
	v_cmpx_gt_u64_e64 s[12:13], v[6:7]
	s_cbranch_execz .LBB69_203
; %bb.206:                              ;   in Loop: Header=BB69_205 Depth=2
	ds_load_u16 v9, v8
	s_wait_dscnt 0x0
	v_cmp_lt_i16_e32 vcc_lo, -1, v9
	v_and_b32_e32 v10, 0xffff, v9
	s_wait_alu 0xfffd
	v_dual_cndmask_b32 v11, 0xffff, v46 :: v_dual_lshlrev_b32 v28, 16, v9
	s_delay_alu instid0(VALU_DEP_1) | instskip(NEXT) | instid1(VALU_DEP_2)
	v_cmp_o_f32_e32 vcc_lo, v28, v28
	v_xor_b32_e32 v10, v11, v10
	s_wait_alu 0xfffd
	s_delay_alu instid0(VALU_DEP_1) | instskip(NEXT) | instid1(VALU_DEP_1)
	v_cndmask_b32_e32 v10, 0xffff, v10, vcc_lo
	v_and_b32_e32 v10, v10, v47
	s_delay_alu instid0(VALU_DEP_1)
	v_cmp_eq_u32_e32 vcc_lo, v10, v24
	s_and_b32 exec_lo, exec_lo, vcc_lo
	s_cbranch_execz .LBB69_203
; %bb.207:                              ;   in Loop: Header=BB69_205 Depth=2
	v_perm_b32 v9, v9, s97, 0x5040100
	ds_store_b32 v3, v9 offset:3072
	s_branch .LBB69_203
.LBB69_208:                             ;   in Loop: Header=BB69_205 Depth=2
	v_add_co_u32 v6, vcc_lo, v6, s56
	s_wait_alu 0xfffd
	v_add_co_ci_u32_e64 v7, null, 0, v7, vcc_lo
	v_add_nc_u32_e32 v8, s96, v8
	s_mov_b32 s73, 0
	s_delay_alu instid0(VALU_DEP_2)
	v_cmp_le_i64_e32 vcc_lo, s[6:7], v[6:7]
	s_or_not1_b32 s72, vcc_lo, exec_lo
	s_branch .LBB69_204
.LBB69_209:                             ;   in Loop: Header=BB69_16 Depth=1
	s_or_b32 exec_lo, exec_lo, s15
	v_lshrrev_b32_e32 v48, 16, v9
	s_and_not1_b32 s6, s76, exec_lo
	s_wait_alu 0xfffe
	s_and_b32 s7, s24, exec_lo
	s_wait_alu 0xfffe
	s_or_b32 s76, s6, s7
.LBB69_210:                             ;   in Loop: Header=BB69_16 Depth=1
	s_or_b32 exec_lo, exec_lo, s14
	s_mov_b32 s72, 0
	s_mov_b32 s73, -1
.LBB69_211:                             ;   in Loop: Header=BB69_16 Depth=1
	s_wait_alu 0xfffe
	s_or_not1_b32 s6, s76, exec_lo
.LBB69_212:                             ;   in Loop: Header=BB69_16 Depth=1
	s_wait_alu 0xfffe
	s_or_b32 exec_lo, exec_lo, s75
	s_mov_b32 s7, 0
	s_and_saveexec_b32 s14, s6
	s_cbranch_execz .LBB69_270
; %bb.213:                              ;   in Loop: Header=BB69_16 Depth=1
	v_mov_b32_e32 v6, 1
	v_dual_mov_b32 v7, 0 :: v_dual_mov_b32 v2, 1
	s_xor_b32 s12, s74, -1
	s_wait_alu 0xfffe
	s_and_saveexec_b32 s6, s12
	s_cbranch_execz .LBB69_222
; %bb.214:                              ;   in Loop: Header=BB69_16 Depth=1
	s_mov_b32 s7, exec_lo
	v_cmpx_ge_i64_e64 s[10:11], v[4:5]
	s_wait_alu 0xfffe
	s_xor_b32 s7, exec_lo, s7
	s_cbranch_execz .LBB69_219
; %bb.215:                              ;   in Loop: Header=BB69_16 Depth=1
	ds_load_b64 v[6:7], v3 offset:5120
	s_lshl_b32 s12, 2, s98
	v_or_b32_e32 v47, s16, v47
	s_wait_alu 0xfffe
	v_and_or_b32 v24, v24, s20, s12
	s_wait_dscnt 0x0
	v_cmp_ne_u64_e32 vcc_lo, 0, v[6:7]
	s_cbranch_vccnz .LBB69_219
; %bb.216:                              ;   in Loop: Header=BB69_16 Depth=1
	s_and_saveexec_b32 s12, s2
; %bb.217:                              ;   in Loop: Header=BB69_16 Depth=1
	v_dual_mov_b32 v6, s10 :: v_dual_mov_b32 v7, s11
	ds_store_b64 v3, v[6:7] offset:5128
; %bb.218:                              ;   in Loop: Header=BB69_16 Depth=1
	s_wait_alu 0xfffe
	s_or_b32 exec_lo, exec_lo, s12
	s_wait_loadcnt_dscnt 0x0
	s_barrier_signal -1
	s_barrier_wait -1
	global_inv scope:SCOPE_SE
.LBB69_219:                             ;   in Loop: Header=BB69_16 Depth=1
	s_wait_alu 0xfffe
	s_or_saveexec_b32 s7, s7
	v_mov_b32_e32 v2, 8
	s_mov_b32 s12, 0
	s_wait_alu 0xfffe
	s_xor_b32 exec_lo, exec_lo, s7
; %bb.220:                              ;   in Loop: Header=BB69_16 Depth=1
	v_sub_co_u32 v4, vcc_lo, v4, s10
	s_wait_alu 0xfffd
	v_subrev_co_ci_u32_e64 v5, null, s11, v5, vcc_lo
	v_mov_b32_e32 v2, 0
	s_mov_b32 s12, exec_lo
; %bb.221:                              ;   in Loop: Header=BB69_16 Depth=1
	s_or_b32 exec_lo, exec_lo, s7
	s_delay_alu instid0(VALU_DEP_2)
	v_dual_mov_b32 v7, v5 :: v_dual_mov_b32 v6, v4
	s_wait_alu 0xfffe
	s_and_b32 s7, s12, exec_lo
.LBB69_222:                             ;   in Loop: Header=BB69_16 Depth=1
	s_wait_alu 0xfffe
	s_or_b32 exec_lo, exec_lo, s6
	s_mov_b32 s6, -1
                                        ; implicit-def: $sgpr76
                                        ; implicit-def: $sgpr75
	s_and_saveexec_b32 s15, s7
	s_cbranch_execz .LBB69_269
; %bb.223:                              ;   in Loop: Header=BB69_16 Depth=1
	v_cmp_eq_u64_e32 vcc_lo, 1, v[6:7]
	s_cmp_eq_u64 s[8:9], 1
	s_mov_b32 s7, -1
	s_cselect_b32 s6, -1, 0
                                        ; implicit-def: $sgpr76
                                        ; implicit-def: $sgpr75
	s_wait_alu 0xfffe
	s_and_b32 s20, s6, vcc_lo
	s_wait_alu 0xfffe
	s_and_saveexec_b32 s74, s20
	s_cbranch_execz .LBB69_257
; %bb.224:                              ;   in Loop: Header=BB69_16 Depth=1
	ds_load_b64 v[4:5], v3 offset:5120
	s_wait_loadcnt_dscnt 0x0
	s_barrier_signal -1
	s_barrier_wait -1
	global_inv scope:SCOPE_SE
	v_readfirstlane_b32 s10, v4
	v_readfirstlane_b32 s11, v5
	s_and_saveexec_b32 s6, s3
; %bb.225:                              ;   in Loop: Header=BB69_16 Depth=1
	ds_store_b16 v36, v3
; %bb.226:                              ;   in Loop: Header=BB69_16 Depth=1
	s_wait_alu 0xfffe
	s_or_b32 exec_lo, exec_lo, s6
	v_cmp_gt_i64_e64 s6, s[10:11], 0
	v_or_b32_e32 v24, s16, v24
	v_or_b32_e32 v47, s16, v47
	s_mov_b32 s75, -1
	s_mov_b32 s76, 0
	s_mov_b32 s77, 0
	s_and_b32 vcc_lo, exec_lo, s6
	s_wait_loadcnt_dscnt 0x0
	s_barrier_signal -1
	s_barrier_wait -1
	global_inv scope:SCOPE_SE
                                        ; implicit-def: $vgpr48
	s_wait_alu 0xfffe
	s_cbranch_vccnz .LBB69_242
; %bb.227:                              ;   in Loop: Header=BB69_16 Depth=1
	s_mov_b32 s6, s25
	s_mov_b32 s7, s65
	s_wait_alu 0xfffe
	s_cmp_lg_u64 s[6:7], 0
	s_cbranch_scc0 .LBB69_276
; %bb.228:                              ;   in Loop: Header=BB69_16 Depth=1
	s_add_nc_u64 s[6:7], s[56:57], 0
	s_wait_alu 0xfffe
	s_xor_b64 s[6:7], s[6:7], 0
	s_wait_alu 0xfffe
	s_cvt_f32_u32 s12, s6
	s_cvt_f32_u32 s13, s7
	s_sub_nc_u64 s[78:79], 0, s[6:7]
	s_wait_alu 0xfffe
	s_delay_alu instid0(SALU_CYCLE_1) | instskip(SKIP_1) | instid1(SALU_CYCLE_2)
	s_fmamk_f32 s12, s13, 0x4f800000, s12
	s_wait_alu 0xfffe
	v_s_rcp_f32 s12, s12
	s_delay_alu instid0(TRANS32_DEP_1) | instskip(SKIP_1) | instid1(SALU_CYCLE_2)
	s_mul_f32 s12, s12, 0x5f7ffffc
	s_wait_alu 0xfffe
	s_mul_f32 s13, s12, 0x2f800000
	s_wait_alu 0xfffe
	s_delay_alu instid0(SALU_CYCLE_2) | instskip(SKIP_1) | instid1(SALU_CYCLE_2)
	s_trunc_f32 s13, s13
	s_wait_alu 0xfffe
	s_fmamk_f32 s12, s13, 0xcf800000, s12
	s_cvt_u32_f32 s13, s13
	s_wait_alu 0xfffe
	s_delay_alu instid0(SALU_CYCLE_1) | instskip(SKIP_1) | instid1(SALU_CYCLE_2)
	s_cvt_u32_f32 s12, s12
	s_wait_alu 0xfffe
	s_mul_u64 s[80:81], s[78:79], s[12:13]
	s_wait_alu 0xfffe
	s_mul_hi_u32 s83, s12, s81
	s_mul_i32 s82, s12, s81
	s_mul_hi_u32 s24, s12, s80
	s_mul_i32 s84, s13, s80
	s_wait_alu 0xfffe
	s_add_nc_u64 s[82:83], s[24:25], s[82:83]
	s_mul_hi_u32 s77, s13, s80
	s_mul_hi_u32 s85, s13, s81
	s_wait_alu 0xfffe
	s_add_co_u32 s24, s82, s84
	s_add_co_ci_u32 s24, s83, s77
	s_mul_i32 s80, s13, s81
	s_add_co_ci_u32 s81, s85, 0
	s_wait_alu 0xfffe
	s_add_nc_u64 s[80:81], s[24:25], s[80:81]
	s_wait_alu 0xfffe
	s_add_co_u32 s12, s12, s80
	s_cselect_b32 s24, -1, 0
	s_wait_alu 0xfffe
	s_cmp_lg_u32 s24, 0
	s_add_co_ci_u32 s13, s13, s81
	s_wait_alu 0xfffe
	s_mul_u64 s[78:79], s[78:79], s[12:13]
	s_wait_alu 0xfffe
	s_mul_hi_u32 s81, s12, s79
	s_mul_i32 s80, s12, s79
	s_mul_hi_u32 s24, s12, s78
	s_mul_i32 s82, s13, s78
	s_wait_alu 0xfffe
	s_add_nc_u64 s[80:81], s[24:25], s[80:81]
	s_mul_hi_u32 s77, s13, s78
	s_mul_hi_u32 s83, s13, s79
	s_wait_alu 0xfffe
	s_add_co_u32 s24, s80, s82
	s_add_co_ci_u32 s24, s81, s77
	s_mul_i32 s78, s13, s79
	s_add_co_ci_u32 s79, s83, 0
	s_wait_alu 0xfffe
	s_add_nc_u64 s[78:79], s[24:25], s[78:79]
	s_wait_alu 0xfffe
	s_add_co_u32 s77, s12, s78
	s_cselect_b32 s12, -1, 0
	s_wait_alu 0xfffe
	s_cmp_lg_u32 s12, 0
	s_add_co_ci_u32 s82, s13, s79
	s_ashr_i32 s12, s65, 31
	s_wait_alu 0xfffe
	s_mov_b32 s13, s12
	s_wait_alu 0xfffe
	s_add_nc_u64 s[78:79], s[64:65], s[12:13]
	s_wait_alu 0xfffe
	s_xor_b64 s[78:79], s[78:79], s[12:13]
	s_wait_alu 0xfffe
	s_mul_hi_u32 s81, s78, s82
	s_mul_i32 s80, s78, s82
	s_mul_hi_u32 s24, s78, s77
	s_mul_hi_u32 s84, s79, s77
	s_mul_i32 s77, s79, s77
	s_wait_alu 0xfffe
	s_add_nc_u64 s[80:81], s[24:25], s[80:81]
	s_mul_hi_u32 s83, s79, s82
	s_wait_alu 0xfffe
	s_add_co_u32 s24, s80, s77
	s_add_co_ci_u32 s24, s81, s84
	s_mul_i32 s82, s79, s82
	s_add_co_ci_u32 s83, s83, 0
	s_wait_alu 0xfffe
	s_add_nc_u64 s[80:81], s[24:25], s[82:83]
	s_wait_alu 0xfffe
	s_mul_u64 s[80:81], s[6:7], s[80:81]
	s_wait_alu 0xfffe
	s_sub_co_u32 s24, s78, s80
	s_cselect_b32 s77, -1, 0
	s_sub_co_i32 s78, s79, s81
	s_wait_alu 0xfffe
	s_cmp_lg_u32 s77, 0
	s_sub_co_ci_u32 s78, s78, s7
	s_sub_co_u32 s80, s24, s6
	s_cselect_b32 s82, -1, 0
	s_wait_alu 0xfffe
	s_cmp_lg_u32 s82, 0
	s_sub_co_ci_u32 s83, s78, 0
	s_wait_alu 0xfffe
	s_cmp_ge_u32 s83, s7
	s_cselect_b32 s84, -1, 0
	s_cmp_ge_u32 s80, s6
	s_cselect_b32 s85, -1, 0
	s_cmp_eq_u32 s83, s7
	s_wait_alu 0xfffe
	s_cselect_b32 s84, s85, s84
	s_cmp_lg_u32 s82, 0
	s_sub_co_ci_u32 s78, s78, s7
	s_sub_co_u32 s82, s80, s6
	s_cselect_b32 s85, -1, 0
	s_wait_alu 0xfffe
	s_cmp_lg_u32 s85, 0
	s_sub_co_ci_u32 s78, s78, 0
	s_cmp_lg_u32 s84, 0
	s_cselect_b32 s80, s82, s80
	s_wait_alu 0xfffe
	s_cselect_b32 s78, s78, s83
	s_cmp_lg_u32 s77, 0
	s_sub_co_ci_u32 s77, s79, s81
	s_wait_alu 0xfffe
	s_cmp_ge_u32 s77, s7
	s_cselect_b32 s79, -1, 0
	s_cmp_ge_u32 s24, s6
	s_cselect_b32 s6, -1, 0
	s_cmp_eq_u32 s77, s7
	s_wait_alu 0xfffe
	s_cselect_b32 s6, s6, s79
	s_wait_alu 0xfffe
	s_cmp_lg_u32 s6, 0
	s_cselect_b32 s7, s78, s77
	s_cselect_b32 s6, s80, s24
	s_wait_alu 0xfffe
	s_xor_b64 s[6:7], s[6:7], s[12:13]
	s_wait_alu 0xfffe
	s_sub_nc_u64 s[6:7], s[6:7], s[12:13]
	s_cbranch_execnz .LBB69_230
.LBB69_229:                             ;   in Loop: Header=BB69_16 Depth=1
	v_cvt_f32_u32_e32 v4, s56
	s_sub_co_i32 s7, 0, s56
	s_delay_alu instid0(VALU_DEP_1) | instskip(NEXT) | instid1(TRANS32_DEP_1)
	v_rcp_iflag_f32_e32 v4, v4
	v_mul_f32_e32 v4, 0x4f7ffffe, v4
	s_delay_alu instid0(VALU_DEP_1) | instskip(NEXT) | instid1(VALU_DEP_1)
	v_cvt_u32_f32_e32 v4, v4
	v_readfirstlane_b32 s6, v4
	s_wait_alu 0xfffe
	s_mul_i32 s7, s7, s6
	s_wait_alu 0xfffe
	s_mul_hi_u32 s7, s6, s7
	s_wait_alu 0xfffe
	s_add_co_i32 s6, s6, s7
	s_wait_alu 0xfffe
	s_mul_hi_u32 s6, s64, s6
	s_wait_alu 0xfffe
	s_mul_i32 s6, s6, s56
	s_wait_alu 0xfffe
	s_sub_co_i32 s6, s64, s6
	s_wait_alu 0xfffe
	s_sub_co_i32 s7, s6, s56
	s_cmp_ge_u32 s6, s56
	s_wait_alu 0xfffe
	s_cselect_b32 s6, s7, s6
	s_wait_alu 0xfffe
	s_sub_co_i32 s7, s6, s56
	s_cmp_ge_u32 s6, s56
	s_wait_alu 0xfffe
	s_cselect_b32 s24, s7, s6
	s_wait_alu 0xfffe
	s_mov_b64 s[6:7], s[24:25]
.LBB69_230:                             ;   in Loop: Header=BB69_16 Depth=1
	s_wait_alu 0xfffe
	s_sub_nc_u64 s[12:13], s[64:65], s[6:7]
	s_mov_b32 s7, 0
	s_mov_b32 s77, 0
	s_mov_b32 s24, exec_lo
                                        ; implicit-def: $vgpr48
	s_wait_alu 0xfffe
	v_cmpx_gt_i64_e64 s[12:13], v[0:1]
	s_cbranch_execz .LBB69_241
; %bb.231:                              ;   in Loop: Header=BB69_16 Depth=1
	v_dual_mov_b32 v4, v12 :: v_dual_mov_b32 v5, v13
	v_dual_mov_b32 v9, v1 :: v_dual_mov_b32 v8, v0
                                        ; implicit-def: $sgpr78
	s_branch .LBB69_234
.LBB69_232:                             ;   in Loop: Header=BB69_234 Depth=2
	s_wait_alu 0xfffe
	s_or_b32 exec_lo, exec_lo, s6
	s_wait_loadcnt_dscnt 0x0
	s_barrier_signal -1
	s_barrier_wait -1
	global_inv scope:SCOPE_SE
	ds_load_b32 v10, v3 offset:3072
	s_mov_b32 s6, -1
	s_mov_b32 s79, -1
	s_wait_loadcnt_dscnt 0x0
	s_barrier_signal -1
	s_barrier_wait -1
	global_inv scope:SCOPE_SE
	v_and_b32_e32 v11, 0x7fff, v10
	s_delay_alu instid0(VALU_DEP_1)
	v_cmp_ne_u32_e32 vcc_lo, 0, v11
	s_cbranch_vccz .LBB69_237
.LBB69_233:                             ;   in Loop: Header=BB69_234 Depth=2
	s_wait_alu 0xfffe
	s_and_b32 s6, exec_lo, s6
	s_wait_alu 0xfffe
	s_or_b32 s77, s6, s77
	s_and_not1_b32 s6, s78, exec_lo
	s_and_b32 s78, s79, exec_lo
	s_wait_alu 0xfffe
	s_or_b32 s78, s6, s78
	s_and_not1_b32 exec_lo, exec_lo, s77
	s_cbranch_execz .LBB69_240
.LBB69_234:                             ;   Parent Loop BB69_16 Depth=1
                                        ; =>  This Inner Loop Header: Depth=2
	s_mov_b32 s6, exec_lo
	s_delay_alu instid0(VALU_DEP_1)
	v_cmpx_gt_i64_e64 s[36:37], v[8:9]
	s_cbranch_execz .LBB69_232
; %bb.235:                              ;   in Loop: Header=BB69_234 Depth=2
	global_load_u16 v10, v[4:5], off
	s_wait_loadcnt 0x0
	v_cmp_lt_i16_e32 vcc_lo, -1, v10
	v_and_b32_e32 v11, 0xffff, v10
	v_lshlrev_b32_e32 v29, 16, v10
	s_wait_alu 0xfffd
	v_cndmask_b32_e32 v28, 0xffff, v46, vcc_lo
	s_delay_alu instid0(VALU_DEP_2) | instskip(NEXT) | instid1(VALU_DEP_2)
	v_cmp_o_f32_e32 vcc_lo, v29, v29
	v_xor_b32_e32 v11, v28, v11
	s_wait_alu 0xfffd
	s_delay_alu instid0(VALU_DEP_1) | instskip(NEXT) | instid1(VALU_DEP_1)
	v_cndmask_b32_e32 v11, 0xffff, v11, vcc_lo
	v_and_b32_e32 v11, v11, v47
	s_delay_alu instid0(VALU_DEP_1)
	v_cmp_eq_u32_e32 vcc_lo, v11, v24
	s_and_b32 exec_lo, exec_lo, vcc_lo
	s_cbranch_execz .LBB69_232
; %bb.236:                              ;   in Loop: Header=BB69_234 Depth=2
	v_perm_b32 v10, v10, s97, 0x5040100
	ds_store_b32 v3, v10 offset:3072
	s_branch .LBB69_232
.LBB69_237:                             ;   in Loop: Header=BB69_234 Depth=2
	v_add_co_u32 v8, vcc_lo, v8, s56
	s_wait_alu 0xfffd
	v_add_co_ci_u32_e64 v9, null, 0, v9, vcc_lo
	v_add_co_u32 v4, s6, v4, s58
	s_wait_alu 0xf1fe
	v_add_co_ci_u32_e64 v5, null, s59, v5, s6
	s_delay_alu instid0(VALU_DEP_3)
	v_cmp_le_i64_e32 vcc_lo, s[12:13], v[8:9]
	s_mov_b32 s79, 0
	s_or_not1_b32 s6, vcc_lo, exec_lo
	s_branch .LBB69_233
.LBB69_238:                             ;   in Loop: Header=BB69_16 Depth=1
                                        ; implicit-def: $sgpr6_sgpr7
	s_branch .LBB69_184
.LBB69_239:                             ;   in Loop: Header=BB69_16 Depth=1
                                        ; implicit-def: $sgpr14_sgpr15
	s_branch .LBB69_200
.LBB69_240:                             ;   in Loop: Header=BB69_16 Depth=1
	s_or_b32 exec_lo, exec_lo, s77
	v_lshrrev_b32_e32 v48, 16, v10
	s_wait_alu 0xfffe
	s_and_b32 s77, s78, exec_lo
.LBB69_241:                             ;   in Loop: Header=BB69_16 Depth=1
	s_or_b32 exec_lo, exec_lo, s24
.LBB69_242:                             ;   in Loop: Header=BB69_16 Depth=1
	s_delay_alu instid0(SALU_CYCLE_1)
	s_and_b32 vcc_lo, exec_lo, s7
	s_wait_alu 0xfffe
	s_cbranch_vccz .LBB69_256
; %bb.243:                              ;   in Loop: Header=BB69_16 Depth=1
	s_add_nc_u64 s[6:7], s[10:11], s[62:63]
	s_mov_b32 s12, s25
	s_wait_alu 0xfffe
	s_mov_b32 s13, s7
	s_wait_alu 0xfffe
	s_cmp_lg_u64 s[12:13], 0
	s_cbranch_scc0 .LBB69_277
; %bb.244:                              ;   in Loop: Header=BB69_16 Depth=1
	s_add_nc_u64 s[12:13], s[56:57], 0
	s_wait_alu 0xfffe
	s_xor_b64 s[12:13], s[12:13], 0
	s_wait_alu 0xfffe
	s_cvt_f32_u32 s24, s12
	s_cvt_f32_u32 s75, s13
	s_sub_nc_u64 s[80:81], 0, s[12:13]
	s_wait_alu 0xfffe
	s_delay_alu instid0(SALU_CYCLE_1) | instskip(SKIP_1) | instid1(SALU_CYCLE_2)
	s_fmamk_f32 s24, s75, 0x4f800000, s24
	s_wait_alu 0xfffe
	v_s_rcp_f32 s24, s24
	s_delay_alu instid0(TRANS32_DEP_1) | instskip(SKIP_1) | instid1(SALU_CYCLE_2)
	s_mul_f32 s24, s24, 0x5f7ffffc
	s_wait_alu 0xfffe
	s_mul_f32 s75, s24, 0x2f800000
	s_wait_alu 0xfffe
	s_delay_alu instid0(SALU_CYCLE_2) | instskip(SKIP_1) | instid1(SALU_CYCLE_2)
	s_trunc_f32 s75, s75
	s_wait_alu 0xfffe
	s_fmamk_f32 s24, s75, 0xcf800000, s24
	s_cvt_u32_f32 s79, s75
	s_wait_alu 0xfffe
	s_delay_alu instid0(SALU_CYCLE_1) | instskip(SKIP_1) | instid1(SALU_CYCLE_2)
	s_cvt_u32_f32 s78, s24
	s_wait_alu 0xfffe
	s_mul_u64 s[82:83], s[80:81], s[78:79]
	s_wait_alu 0xfffe
	s_mul_hi_u32 s85, s78, s83
	s_mul_i32 s84, s78, s83
	s_mul_hi_u32 s24, s78, s82
	s_mul_i32 s76, s79, s82
	s_wait_alu 0xfffe
	s_add_nc_u64 s[84:85], s[24:25], s[84:85]
	s_mul_hi_u32 s75, s79, s82
	s_mul_hi_u32 s86, s79, s83
	s_wait_alu 0xfffe
	s_add_co_u32 s24, s84, s76
	s_add_co_ci_u32 s24, s85, s75
	s_mul_i32 s82, s79, s83
	s_add_co_ci_u32 s83, s86, 0
	s_wait_alu 0xfffe
	s_add_nc_u64 s[82:83], s[24:25], s[82:83]
	s_wait_alu 0xfffe
	s_add_co_u32 s78, s78, s82
	s_cselect_b32 s24, -1, 0
	s_wait_alu 0xfffe
	s_cmp_lg_u32 s24, 0
	s_add_co_ci_u32 s79, s79, s83
	s_wait_alu 0xfffe
	s_mul_u64 s[80:81], s[80:81], s[78:79]
	s_wait_alu 0xfffe
	s_mul_hi_u32 s83, s78, s81
	s_mul_i32 s82, s78, s81
	s_mul_hi_u32 s24, s78, s80
	s_mul_i32 s76, s79, s80
	s_wait_alu 0xfffe
	s_add_nc_u64 s[82:83], s[24:25], s[82:83]
	s_mul_hi_u32 s75, s79, s80
	s_mul_hi_u32 s84, s79, s81
	s_wait_alu 0xfffe
	s_add_co_u32 s24, s82, s76
	s_add_co_ci_u32 s24, s83, s75
	s_mul_i32 s80, s79, s81
	s_add_co_ci_u32 s81, s84, 0
	s_wait_alu 0xfffe
	s_add_nc_u64 s[80:81], s[24:25], s[80:81]
	s_wait_alu 0xfffe
	s_add_co_u32 s75, s78, s80
	s_cselect_b32 s24, -1, 0
	s_wait_alu 0xfffe
	s_cmp_lg_u32 s24, 0
	s_add_co_ci_u32 s76, s79, s81
	s_ashr_i32 s78, s7, 31
	s_wait_alu 0xfffe
	s_mov_b32 s79, s78
	s_wait_alu 0xfffe
	s_add_nc_u64 s[80:81], s[6:7], s[78:79]
	s_wait_alu 0xfffe
	s_xor_b64 s[80:81], s[80:81], s[78:79]
	s_wait_alu 0xfffe
	s_mul_hi_u32 s83, s80, s76
	s_mul_i32 s82, s80, s76
	s_mul_hi_u32 s24, s80, s75
	s_mul_hi_u32 s86, s81, s75
	s_mul_i32 s75, s81, s75
	s_wait_alu 0xfffe
	s_add_nc_u64 s[82:83], s[24:25], s[82:83]
	s_mul_hi_u32 s85, s81, s76
	s_wait_alu 0xfffe
	s_add_co_u32 s24, s82, s75
	s_add_co_ci_u32 s24, s83, s86
	s_mul_i32 s84, s81, s76
	s_add_co_ci_u32 s85, s85, 0
	s_wait_alu 0xfffe
	s_add_nc_u64 s[82:83], s[24:25], s[84:85]
	s_wait_alu 0xfffe
	s_mul_u64 s[82:83], s[12:13], s[82:83]
	s_wait_alu 0xfffe
	s_sub_co_u32 s24, s80, s82
	s_cselect_b32 s75, -1, 0
	s_sub_co_i32 s76, s81, s83
	s_wait_alu 0xfffe
	s_cmp_lg_u32 s75, 0
	s_sub_co_ci_u32 s76, s76, s13
	s_sub_co_u32 s80, s24, s12
	s_cselect_b32 s82, -1, 0
	s_wait_alu 0xfffe
	s_cmp_lg_u32 s82, 0
	s_sub_co_ci_u32 s84, s76, 0
	s_wait_alu 0xfffe
	s_cmp_ge_u32 s84, s13
	s_cselect_b32 s85, -1, 0
	s_cmp_ge_u32 s80, s12
	s_cselect_b32 s86, -1, 0
	s_cmp_eq_u32 s84, s13
	s_wait_alu 0xfffe
	s_cselect_b32 s85, s86, s85
	s_cmp_lg_u32 s82, 0
	s_sub_co_ci_u32 s76, s76, s13
	s_sub_co_u32 s82, s80, s12
	s_cselect_b32 s86, -1, 0
	s_wait_alu 0xfffe
	s_cmp_lg_u32 s86, 0
	s_sub_co_ci_u32 s76, s76, 0
	s_cmp_lg_u32 s85, 0
	s_cselect_b32 s80, s82, s80
	s_wait_alu 0xfffe
	s_cselect_b32 s76, s76, s84
	s_cmp_lg_u32 s75, 0
	s_sub_co_ci_u32 s75, s81, s83
	s_wait_alu 0xfffe
	s_cmp_ge_u32 s75, s13
	s_cselect_b32 s81, -1, 0
	s_cmp_ge_u32 s24, s12
	s_cselect_b32 s12, -1, 0
	s_cmp_eq_u32 s75, s13
	s_wait_alu 0xfffe
	s_cselect_b32 s12, s12, s81
	s_wait_alu 0xfffe
	s_cmp_lg_u32 s12, 0
	s_cselect_b32 s13, s76, s75
	s_cselect_b32 s12, s80, s24
	s_wait_alu 0xfffe
	s_xor_b64 s[12:13], s[12:13], s[78:79]
	s_wait_alu 0xfffe
	s_sub_nc_u64 s[12:13], s[12:13], s[78:79]
	s_cbranch_execnz .LBB69_246
.LBB69_245:                             ;   in Loop: Header=BB69_16 Depth=1
	v_cvt_f32_u32_e32 v4, s56
	s_sub_co_i32 s13, 0, s56
	s_delay_alu instid0(VALU_DEP_1) | instskip(NEXT) | instid1(TRANS32_DEP_1)
	v_rcp_iflag_f32_e32 v4, v4
	v_mul_f32_e32 v4, 0x4f7ffffe, v4
	s_delay_alu instid0(VALU_DEP_1) | instskip(NEXT) | instid1(VALU_DEP_1)
	v_cvt_u32_f32_e32 v4, v4
	v_readfirstlane_b32 s12, v4
	s_wait_alu 0xfffe
	s_mul_i32 s13, s13, s12
	s_wait_alu 0xfffe
	s_mul_hi_u32 s13, s12, s13
	s_wait_alu 0xfffe
	s_add_co_i32 s12, s12, s13
	s_wait_alu 0xfffe
	s_mul_hi_u32 s12, s6, s12
	s_wait_alu 0xfffe
	s_mul_i32 s12, s12, s56
	s_wait_alu 0xfffe
	s_sub_co_i32 s12, s6, s12
	s_wait_alu 0xfffe
	s_sub_co_i32 s13, s12, s56
	s_cmp_ge_u32 s12, s56
	s_wait_alu 0xfffe
	s_cselect_b32 s12, s13, s12
	s_wait_alu 0xfffe
	s_sub_co_i32 s13, s12, s56
	s_cmp_ge_u32 s12, s56
	s_wait_alu 0xfffe
	s_cselect_b32 s24, s13, s12
	s_wait_alu 0xfffe
	s_mov_b64 s[12:13], s[24:25]
.LBB69_246:                             ;   in Loop: Header=BB69_16 Depth=1
	s_wait_alu 0xfffe
	s_sub_nc_u64 s[6:7], s[6:7], s[12:13]
	s_mov_b32 s12, exec_lo
                                        ; implicit-def: $vgpr48
	s_wait_alu 0xfffe
	v_cmpx_gt_i64_e64 s[6:7], v[0:1]
	s_cbranch_execz .LBB69_255
; %bb.247:                              ;   in Loop: Header=BB69_16 Depth=1
	v_dual_mov_b32 v8, v35 :: v_dual_mov_b32 v5, v1
	v_mov_b32_e32 v4, v0
	s_mov_b32 s13, 0
                                        ; implicit-def: $sgpr24
	s_branch .LBB69_250
.LBB69_248:                             ;   in Loop: Header=BB69_250 Depth=2
	s_wait_alu 0xfffe
	s_or_b32 exec_lo, exec_lo, s75
	s_wait_loadcnt_dscnt 0x0
	s_barrier_signal -1
	s_barrier_wait -1
	global_inv scope:SCOPE_SE
	ds_load_b32 v9, v3 offset:3072
	s_mov_b32 s75, -1
	s_mov_b32 s76, -1
	s_wait_loadcnt_dscnt 0x0
	s_barrier_signal -1
	s_barrier_wait -1
	global_inv scope:SCOPE_SE
	v_and_b32_e32 v10, 0x7fff, v9
	s_delay_alu instid0(VALU_DEP_1)
	v_cmp_eq_u32_e32 vcc_lo, 0, v10
	s_cbranch_vccnz .LBB69_253
.LBB69_249:                             ;   in Loop: Header=BB69_250 Depth=2
	s_wait_alu 0xfffe
	s_and_b32 s75, exec_lo, s75
	s_wait_alu 0xfffe
	s_or_b32 s13, s75, s13
	s_and_not1_b32 s24, s24, exec_lo
	s_and_b32 s75, s76, exec_lo
	s_wait_alu 0xfffe
	s_or_b32 s24, s24, s75
	s_and_not1_b32 exec_lo, exec_lo, s13
	s_cbranch_execz .LBB69_254
.LBB69_250:                             ;   Parent Loop BB69_16 Depth=1
                                        ; =>  This Inner Loop Header: Depth=2
	s_mov_b32 s75, exec_lo
	s_delay_alu instid0(VALU_DEP_1)
	v_cmpx_gt_u64_e64 s[10:11], v[4:5]
	s_cbranch_execz .LBB69_248
; %bb.251:                              ;   in Loop: Header=BB69_250 Depth=2
	ds_load_u16 v9, v8
	s_wait_dscnt 0x0
	v_cmp_lt_i16_e32 vcc_lo, -1, v9
	v_and_b32_e32 v10, 0xffff, v9
	s_wait_alu 0xfffd
	v_dual_cndmask_b32 v11, 0xffff, v46 :: v_dual_lshlrev_b32 v28, 16, v9
	s_delay_alu instid0(VALU_DEP_1) | instskip(NEXT) | instid1(VALU_DEP_2)
	v_cmp_o_f32_e32 vcc_lo, v28, v28
	v_xor_b32_e32 v10, v11, v10
	s_wait_alu 0xfffd
	s_delay_alu instid0(VALU_DEP_1) | instskip(NEXT) | instid1(VALU_DEP_1)
	v_cndmask_b32_e32 v10, 0xffff, v10, vcc_lo
	v_and_b32_e32 v10, v10, v47
	s_delay_alu instid0(VALU_DEP_1)
	v_cmp_eq_u32_e32 vcc_lo, v10, v24
	s_and_b32 exec_lo, exec_lo, vcc_lo
	s_cbranch_execz .LBB69_248
; %bb.252:                              ;   in Loop: Header=BB69_250 Depth=2
	v_perm_b32 v9, v9, s97, 0x5040100
	ds_store_b32 v3, v9 offset:3072
	s_branch .LBB69_248
.LBB69_253:                             ;   in Loop: Header=BB69_250 Depth=2
	v_add_co_u32 v4, vcc_lo, v4, s56
	s_wait_alu 0xfffd
	v_add_co_ci_u32_e64 v5, null, 0, v5, vcc_lo
	v_add_nc_u32_e32 v8, s96, v8
	s_mov_b32 s76, 0
	s_delay_alu instid0(VALU_DEP_2)
	v_cmp_le_i64_e32 vcc_lo, s[6:7], v[4:5]
	s_or_not1_b32 s75, vcc_lo, exec_lo
	s_branch .LBB69_249
.LBB69_254:                             ;   in Loop: Header=BB69_16 Depth=1
	s_or_b32 exec_lo, exec_lo, s13
	v_lshrrev_b32_e32 v48, 16, v9
	s_and_not1_b32 s6, s77, exec_lo
	s_wait_alu 0xfffe
	s_and_b32 s7, s24, exec_lo
	s_wait_alu 0xfffe
	s_or_b32 s77, s6, s7
.LBB69_255:                             ;   in Loop: Header=BB69_16 Depth=1
	s_or_b32 exec_lo, exec_lo, s12
	s_mov_b32 s75, 0
	s_mov_b32 s76, -1
.LBB69_256:                             ;   in Loop: Header=BB69_16 Depth=1
	s_wait_alu 0xfffe
	s_or_not1_b32 s7, s77, exec_lo
.LBB69_257:                             ;   in Loop: Header=BB69_16 Depth=1
	s_wait_alu 0xfffe
	s_or_b32 exec_lo, exec_lo, s74
	s_mov_b32 s10, 0
	s_and_saveexec_b32 s6, s7
	s_cbranch_execz .LBB69_268
; %bb.258:                              ;   in Loop: Header=BB69_16 Depth=1
	v_mov_b32_e32 v4, 1
	v_dual_mov_b32 v5, 0 :: v_dual_mov_b32 v2, 1
	s_xor_b32 s10, s20, -1
	s_wait_alu 0xfffe
	s_and_saveexec_b32 s7, s10
	s_cbranch_execz .LBB69_267
; %bb.259:                              ;   in Loop: Header=BB69_16 Depth=1
	s_mov_b32 s10, exec_lo
	v_cmpx_ge_i64_e64 s[8:9], v[6:7]
	s_wait_alu 0xfffe
	s_xor_b32 s10, exec_lo, s10
	s_cbranch_execz .LBB69_264
; %bb.260:                              ;   in Loop: Header=BB69_16 Depth=1
	ds_load_b64 v[4:5], v3 offset:5120
	v_or_b32_e32 v24, s16, v24
	v_or_b32_e32 v47, s16, v47
	s_wait_dscnt 0x0
	v_cmp_ne_u64_e32 vcc_lo, 0, v[4:5]
	s_cbranch_vccnz .LBB69_264
; %bb.261:                              ;   in Loop: Header=BB69_16 Depth=1
	s_and_saveexec_b32 s11, s2
; %bb.262:                              ;   in Loop: Header=BB69_16 Depth=1
	v_dual_mov_b32 v4, s8 :: v_dual_mov_b32 v5, s9
	ds_store_b64 v3, v[4:5] offset:5128
; %bb.263:                              ;   in Loop: Header=BB69_16 Depth=1
	s_wait_alu 0xfffe
	s_or_b32 exec_lo, exec_lo, s11
	s_wait_loadcnt_dscnt 0x0
	s_barrier_signal -1
	s_barrier_wait -1
	global_inv scope:SCOPE_SE
.LBB69_264:                             ;   in Loop: Header=BB69_16 Depth=1
	s_wait_alu 0xfffe
	s_and_not1_saveexec_b32 s10, s10
; %bb.265:                              ;   in Loop: Header=BB69_16 Depth=1
	v_sub_co_u32 v6, vcc_lo, v6, s8
	s_wait_alu 0xfffd
	v_subrev_co_ci_u32_e64 v7, null, s9, v7, vcc_lo
; %bb.266:                              ;   in Loop: Header=BB69_16 Depth=1
	s_wait_alu 0xfffe
	s_or_b32 exec_lo, exec_lo, s10
	v_mov_b32_e32 v4, v6
	s_delay_alu instid0(VALU_DEP_2)
	v_dual_mov_b32 v2, 8 :: v_dual_mov_b32 v5, v7
.LBB69_267:                             ;   in Loop: Header=BB69_16 Depth=1
	s_wait_alu 0xfffe
	s_or_b32 exec_lo, exec_lo, s7
	s_delay_alu instid0(VALU_DEP_1)
	v_dual_mov_b32 v7, v5 :: v_dual_mov_b32 v6, v4
	s_mov_b32 s10, exec_lo
.LBB69_268:                             ;   in Loop: Header=BB69_16 Depth=1
	s_wait_alu 0xfffe
	s_or_b32 exec_lo, exec_lo, s6
	s_delay_alu instid0(SALU_CYCLE_1)
	s_or_not1_b32 s6, s10, exec_lo
.LBB69_269:                             ;   in Loop: Header=BB69_16 Depth=1
	s_wait_alu 0xfffe
	s_or_b32 exec_lo, exec_lo, s15
	v_dual_mov_b32 v4, v6 :: v_dual_mov_b32 v5, v7
	s_and_not1_b32 s7, s73, exec_lo
	s_and_b32 s8, s76, exec_lo
	s_and_not1_b32 s9, s72, exec_lo
	s_and_b32 s10, s75, exec_lo
	s_wait_alu 0xfffe
	s_or_b32 s73, s7, s8
	s_or_b32 s72, s9, s10
	s_and_b32 s7, s6, exec_lo
.LBB69_270:                             ;   in Loop: Header=BB69_16 Depth=1
	s_wait_alu 0xfffe
	s_or_b32 exec_lo, exec_lo, s14
	s_delay_alu instid0(SALU_CYCLE_1)
	s_or_not1_b32 s6, s7, exec_lo
.LBB69_271:                             ;   in Loop: Header=BB69_16 Depth=1
	s_or_b32 exec_lo, exec_lo, s53
	v_dual_mov_b32 v9, v5 :: v_dual_mov_b32 v8, v4
	s_and_not1_b32 s7, s22, exec_lo
	s_and_b32 s8, s73, exec_lo
	s_and_not1_b32 s9, s21, exec_lo
	s_and_b32 s10, s72, exec_lo
	s_wait_alu 0xfffe
	s_or_b32 s22, s7, s8
	s_or_b32 s21, s9, s10
	s_and_b32 s7, s6, exec_lo
.LBB69_272:                             ;   in Loop: Header=BB69_16 Depth=1
	s_wait_alu 0xfffe
	s_or_b32 exec_lo, exec_lo, s23
	s_delay_alu instid0(SALU_CYCLE_1)
	s_or_not1_b32 s6, s7, exec_lo
.LBB69_273:                             ;   in Loop: Header=BB69_16 Depth=1
	s_wait_alu 0xfffe
	s_or_b32 exec_lo, exec_lo, s19
	s_mov_b32 s7, 0
	s_and_saveexec_b32 s8, s6
	s_wait_alu 0xfffe
	s_xor_b32 s6, exec_lo, s8
	s_cbranch_execz .LBB69_14
; %bb.274:                              ;   in Loop: Header=BB69_16 Depth=1
	v_and_b32_e32 v2, 7, v2
	s_mov_b32 s8, -1
	s_mov_b32 s7, -1
	s_mov_b32 s9, exec_lo
	s_delay_alu instid0(VALU_DEP_1)
	v_cmpx_eq_u32_e32 0, v2
	s_cbranch_execz .LBB69_13
; %bb.275:                              ;   in Loop: Header=BB69_16 Depth=1
	s_xor_b32 s100, s100, 1
	s_add_co_i32 s10, s98, -2
	s_cmp_eq_u32 s98, 0
	s_wait_alu 0xfffe
	s_mov_b32 s98, s10
	s_cselect_b32 s8, -1, 0
	s_xor_b32 s7, exec_lo, -1
	s_wait_alu 0xfffe
	s_or_not1_b32 s8, s8, exec_lo
	s_branch .LBB69_13
.LBB69_276:                             ;   in Loop: Header=BB69_16 Depth=1
                                        ; implicit-def: $sgpr6_sgpr7
	s_branch .LBB69_229
.LBB69_277:                             ;   in Loop: Header=BB69_16 Depth=1
                                        ; implicit-def: $sgpr12_sgpr13
	s_branch .LBB69_245
.LBB69_278:
	s_or_b32 exec_lo, exec_lo, s99
	s_xor_b32 s5, s52, -1
	s_xor_b32 s1, s104, -1
	;; [unrolled: 1-line block ×3, first 2 shown]
	s_mov_b32 s3, 0
	s_and_saveexec_b32 s6, s1
	s_wait_alu 0xfffe
	s_xor_b32 s1, exec_lo, s6
	s_cbranch_execnz .LBB69_283
; %bb.279:
	s_and_not1_saveexec_b32 s0, s1
	s_cbranch_execnz .LBB69_308
.LBB69_280:
	s_wait_alu 0xfffe
	s_or_b32 exec_lo, exec_lo, s0
	s_and_saveexec_b32 s0, s3
.LBB69_281:
	; divergent unreachable
.LBB69_282:
	s_endpgm
.LBB69_283:
	s_and_saveexec_b32 s3, s5
	s_delay_alu instid0(SALU_CYCLE_1)
	s_xor_b32 s3, exec_lo, s3
	s_cbranch_execz .LBB69_306
; %bb.284:
	s_and_saveexec_b32 s5, s4
	s_wait_alu 0xfffe
	s_xor_b32 s4, exec_lo, s5
; %bb.285:
	v_and_b32_e32 v2, 0x8000, v24
	v_mov_b32_e32 v3, 0xffff
	s_delay_alu instid0(VALU_DEP_2) | instskip(SKIP_1) | instid1(VALU_DEP_2)
	v_cmp_eq_u32_e32 vcc_lo, 0, v2
	s_wait_alu 0xfffd
	v_cndmask_b32_e32 v2, 0x8000, v3, vcc_lo
	s_delay_alu instid0(VALU_DEP_1)
	v_xor_b32_e32 v48, v2, v24
; %bb.286:
	s_wait_alu 0xfffe
	s_or_b32 exec_lo, exec_lo, s4
	s_and_saveexec_b32 s4, s2
; %bb.287:
	v_dual_mov_b32 v2, 0 :: v_dual_mov_b32 v3, s36
	ds_store_b32 v2, v3 offset:5140
; %bb.288:
	s_wait_alu 0xfffe
	s_or_b32 exec_lo, exec_lo, s4
	s_wait_loadcnt_dscnt 0x0
	s_barrier_signal -1
	s_barrier_wait -1
	global_inv scope:SCOPE_SE
	s_and_saveexec_b32 s4, s0
	s_cbranch_execz .LBB69_303
; %bb.289:
	v_mov_b32_e32 v2, 0
	v_lshlrev_b32_e32 v6, 16, v48
	s_mov_b32 s5, 0
                                        ; implicit-def: $sgpr7
                                        ; implicit-def: $sgpr8
                                        ; implicit-def: $sgpr9
	ds_load_b32 v4, v2 offset:5140
	v_cmp_u_f32_e32 vcc_lo, v6, v6
	s_xor_b32 s6, vcc_lo, -1
	s_wait_dscnt 0x0
	v_ashrrev_i32_e32 v5, 31, v4
	s_branch .LBB69_292
.LBB69_290:                             ;   in Loop: Header=BB69_292 Depth=1
	s_wait_alu 0xfffe
	s_or_b32 exec_lo, exec_lo, s13
	s_delay_alu instid0(SALU_CYCLE_1)
	s_and_not1_b32 s0, s9, exec_lo
	s_and_b32 s9, s11, exec_lo
	s_and_not1_b32 s8, s8, exec_lo
	s_and_b32 s11, s12, exec_lo
	s_wait_alu 0xfffe
	s_or_b32 s9, s0, s9
	s_or_b32 s8, s8, s11
.LBB69_291:                             ;   in Loop: Header=BB69_292 Depth=1
	s_wait_alu 0xfffe
	s_or_b32 exec_lo, exec_lo, s10
	s_delay_alu instid0(SALU_CYCLE_1)
	s_and_b32 s0, exec_lo, s8
	s_wait_alu 0xfffe
	s_or_b32 s5, s0, s5
	s_and_not1_b32 s0, s7, exec_lo
	s_and_b32 s7, s9, exec_lo
	s_wait_alu 0xfffe
	s_or_b32 s7, s0, s7
	s_and_not1_b32 exec_lo, exec_lo, s5
	s_cbranch_execz .LBB69_298
.LBB69_292:                             ; =>This Inner Loop Header: Depth=1
	v_dual_mov_b32 v3, v1 :: v_dual_mov_b32 v2, v0
	s_or_b32 s9, s9, exec_lo
	s_or_b32 s8, s8, exec_lo
	s_mov_b32 s10, exec_lo
                                        ; implicit-def: $vgpr0_vgpr1
	s_delay_alu instid0(VALU_DEP_1)
	v_cmpx_lt_i64_e64 v[2:3], v[4:5]
	s_cbranch_execz .LBB69_291
; %bb.293:                              ;   in Loop: Header=BB69_292 Depth=1
	global_load_u16 v0, v[12:13], off
	s_mov_b32 s12, -1
	s_wait_loadcnt 0x0
	v_lshlrev_b32_e32 v0, 16, v0
	s_delay_alu instid0(VALU_DEP_1)
	v_cmp_o_f32_e32 vcc_lo, v0, v0
	v_cmp_neq_f32_e64 s0, v0, v6
                                        ; implicit-def: $vgpr0_vgpr1
	s_wait_alu 0xfffe
	s_or_b32 s11, s6, vcc_lo
	s_wait_alu 0xfffe
	s_and_b32 s0, s0, s11
	s_mov_b32 s11, 0
	s_wait_alu 0xfffe
	s_and_saveexec_b32 s13, s0
	s_cbranch_execz .LBB69_290
; %bb.294:                              ;   in Loop: Header=BB69_292 Depth=1
	v_add_co_u32 v0, vcc_lo, v2, s56
	s_wait_alu 0xfffd
	v_add_co_ci_u32_e64 v1, null, 0, v3, vcc_lo
	v_add_co_u32 v12, s0, v12, s58
	s_wait_alu 0xf1ff
	v_add_co_ci_u32_e64 v13, null, s59, v13, s0
	s_delay_alu instid0(VALU_DEP_3)
	v_cmp_le_i64_e32 vcc_lo, s[36:37], v[0:1]
	s_mov_b32 s11, exec_lo
	s_or_not1_b32 s12, vcc_lo, exec_lo
	s_branch .LBB69_290
.LBB69_295:
                                        ; implicit-def: $sgpr12_sgpr13
	s_branch .LBB69_3
.LBB69_296:
                                        ; implicit-def: $sgpr48_sgpr49
	s_branch .LBB69_6
.LBB69_297:
                                        ; implicit-def: $sgpr50_sgpr51
	s_branch .LBB69_9
.LBB69_298:
	s_or_b32 exec_lo, exec_lo, s5
	s_wait_alu 0xfffe
	s_xor_b32 s0, s7, -1
	s_wait_alu 0xfffe
	s_and_saveexec_b32 s5, s0
	s_wait_alu 0xfffe
	s_xor_b32 s5, exec_lo, s5
	s_cbranch_execz .LBB69_303
; %bb.299:
	s_mov_b32 s5, exec_lo
	s_brev_b32 s0, -2
.LBB69_300:                             ; =>This Inner Loop Header: Depth=1
	s_wait_alu 0xfffe
	s_ctz_i32_b32 s6, s5
	s_wait_alu 0xfffe
	v_readlane_b32 s7, v2, s6
	s_lshl_b32 s6, 1, s6
	s_wait_alu 0xfffe
	s_and_not1_b32 s5, s5, s6
	s_min_i32 s0, s0, s7
	s_wait_alu 0xfffe
	s_cmp_lg_u32 s5, 0
	s_cbranch_scc1 .LBB69_300
; %bb.301:
	v_mbcnt_lo_u32_b32 v0, exec_lo, 0
	s_mov_b32 s5, exec_lo
	s_delay_alu instid0(VALU_DEP_1)
	v_cmpx_eq_u32_e32 0, v0
	s_wait_alu 0xfffe
	s_xor_b32 s5, exec_lo, s5
; %bb.302:
	v_dual_mov_b32 v0, 0 :: v_dual_mov_b32 v1, s0
	ds_min_i32 v0, v1 offset:5140
.LBB69_303:
	s_wait_alu 0xfffe
	s_or_b32 exec_lo, exec_lo, s4
	s_wait_loadcnt_dscnt 0x0
	s_barrier_signal -1
	s_barrier_wait -1
	global_inv scope:SCOPE_SE
	s_and_saveexec_b32 s0, s2
	s_cbranch_execz .LBB69_305
; %bb.304:
	v_mov_b32_e32 v2, 0
	s_mul_u64 s[8:9], s[50:51], s[40:41]
	v_readlane_b32 s12, v56, 0
	s_mul_u64 s[4:5], s[48:49], s[34:35]
	v_readlane_b32 s13, v56, 1
	ds_load_b32 v0, v2 offset:5140
	s_mul_u64 s[10:11], s[50:51], s[28:29]
	s_wait_alu 0xfffe
	s_sub_nc_u64 s[8:9], s[26:27], s[8:9]
	s_mul_u64 s[6:7], s[48:49], s[44:45]
	s_sub_nc_u64 s[4:5], s[26:27], s[4:5]
	s_lshl_b64 s[10:11], s[10:11], 3
	s_wait_alu 0xfffe
	s_mul_u64 s[8:9], s[8:9], s[30:31]
	s_lshl_b64 s[6:7], s[6:7], 1
	s_mul_u64 s[4:5], s[4:5], s[46:47]
	s_add_nc_u64 s[10:11], s[12:13], s[10:11]
	s_wait_alu 0xfffe
	s_lshl_b64 s[8:9], s[8:9], 3
	s_add_nc_u64 s[6:7], s[54:55], s[6:7]
	s_lshl_b64 s[4:5], s[4:5], 1
	s_wait_alu 0xfffe
	s_add_nc_u64 s[8:9], s[10:11], s[8:9]
	s_add_nc_u64 s[4:5], s[6:7], s[4:5]
	s_wait_dscnt 0x0
	v_ashrrev_i32_e32 v1, 31, v0
	s_clause 0x1
	global_store_b64 v2, v[0:1], s[8:9]
	global_store_b16 v2, v48, s[4:5]
.LBB69_305:
	s_wait_alu 0xfffe
	s_or_b32 exec_lo, exec_lo, s0
.LBB69_306:
	s_or_saveexec_b32 s0, s3
	s_mov_b32 s2, 0
	s_wait_alu 0xfffe
	s_xor_b32 exec_lo, exec_lo, s0
	s_cbranch_execnz .LBB69_309
.LBB69_307:
	s_or_b32 exec_lo, exec_lo, s0
	s_delay_alu instid0(SALU_CYCLE_1)
	s_and_b32 s3, s2, exec_lo
	s_and_not1_saveexec_b32 s0, s1
	s_cbranch_execz .LBB69_280
.LBB69_308:
	s_or_b32 s3, s3, exec_lo
	s_trap 2
	s_wait_alu 0xfffe
	s_or_b32 exec_lo, exec_lo, s0
	s_and_saveexec_b32 s0, s3
	s_cbranch_execnz .LBB69_281
	s_branch .LBB69_282
.LBB69_309:
	s_mov_b32 s2, exec_lo
	s_trap 2
	s_branch .LBB69_307
	.section	.rodata,"a",@progbits
	.p2align	6, 0x0
	.amdhsa_kernel _ZN2at6native12_GLOBAL__N_114gatherKthValueIN3c108BFloat16ElLi2EEEvNS_4cuda6detail10TensorInfoIKT_T0_EESA_SA_SA_SA_NS7_IS8_SA_EENS7_IlSA_EE
		.amdhsa_group_segment_fixed_size 5144
		.amdhsa_private_segment_fixed_size 0
		.amdhsa_kernarg_size 1536
		.amdhsa_user_sgpr_count 2
		.amdhsa_user_sgpr_dispatch_ptr 0
		.amdhsa_user_sgpr_queue_ptr 0
		.amdhsa_user_sgpr_kernarg_segment_ptr 1
		.amdhsa_user_sgpr_dispatch_id 0
		.amdhsa_user_sgpr_private_segment_size 0
		.amdhsa_wavefront_size32 1
		.amdhsa_uses_dynamic_stack 0
		.amdhsa_enable_private_segment 0
		.amdhsa_system_sgpr_workgroup_id_x 1
		.amdhsa_system_sgpr_workgroup_id_y 1
		.amdhsa_system_sgpr_workgroup_id_z 1
		.amdhsa_system_sgpr_workgroup_info 0
		.amdhsa_system_vgpr_workitem_id 0
		.amdhsa_next_free_vgpr 57
		.amdhsa_next_free_sgpr 105
		.amdhsa_reserve_vcc 1
		.amdhsa_float_round_mode_32 0
		.amdhsa_float_round_mode_16_64 0
		.amdhsa_float_denorm_mode_32 3
		.amdhsa_float_denorm_mode_16_64 3
		.amdhsa_fp16_overflow 0
		.amdhsa_workgroup_processor_mode 1
		.amdhsa_memory_ordered 1
		.amdhsa_forward_progress 1
		.amdhsa_inst_pref_size 177
		.amdhsa_round_robin_scheduling 0
		.amdhsa_exception_fp_ieee_invalid_op 0
		.amdhsa_exception_fp_denorm_src 0
		.amdhsa_exception_fp_ieee_div_zero 0
		.amdhsa_exception_fp_ieee_overflow 0
		.amdhsa_exception_fp_ieee_underflow 0
		.amdhsa_exception_fp_ieee_inexact 0
		.amdhsa_exception_int_div_zero 0
	.end_amdhsa_kernel
	.section	.text._ZN2at6native12_GLOBAL__N_114gatherKthValueIN3c108BFloat16ElLi2EEEvNS_4cuda6detail10TensorInfoIKT_T0_EESA_SA_SA_SA_NS7_IS8_SA_EENS7_IlSA_EE,"axG",@progbits,_ZN2at6native12_GLOBAL__N_114gatherKthValueIN3c108BFloat16ElLi2EEEvNS_4cuda6detail10TensorInfoIKT_T0_EESA_SA_SA_SA_NS7_IS8_SA_EENS7_IlSA_EE,comdat
.Lfunc_end69:
	.size	_ZN2at6native12_GLOBAL__N_114gatherKthValueIN3c108BFloat16ElLi2EEEvNS_4cuda6detail10TensorInfoIKT_T0_EESA_SA_SA_SA_NS7_IS8_SA_EENS7_IlSA_EE, .Lfunc_end69-_ZN2at6native12_GLOBAL__N_114gatherKthValueIN3c108BFloat16ElLi2EEEvNS_4cuda6detail10TensorInfoIKT_T0_EESA_SA_SA_SA_NS7_IS8_SA_EENS7_IlSA_EE
                                        ; -- End function
	.set _ZN2at6native12_GLOBAL__N_114gatherKthValueIN3c108BFloat16ElLi2EEEvNS_4cuda6detail10TensorInfoIKT_T0_EESA_SA_SA_SA_NS7_IS8_SA_EENS7_IlSA_EE.num_vgpr, 57
	.set _ZN2at6native12_GLOBAL__N_114gatherKthValueIN3c108BFloat16ElLi2EEEvNS_4cuda6detail10TensorInfoIKT_T0_EESA_SA_SA_SA_NS7_IS8_SA_EENS7_IlSA_EE.num_agpr, 0
	.set _ZN2at6native12_GLOBAL__N_114gatherKthValueIN3c108BFloat16ElLi2EEEvNS_4cuda6detail10TensorInfoIKT_T0_EESA_SA_SA_SA_NS7_IS8_SA_EENS7_IlSA_EE.numbered_sgpr, 105
	.set _ZN2at6native12_GLOBAL__N_114gatherKthValueIN3c108BFloat16ElLi2EEEvNS_4cuda6detail10TensorInfoIKT_T0_EESA_SA_SA_SA_NS7_IS8_SA_EENS7_IlSA_EE.num_named_barrier, 0
	.set _ZN2at6native12_GLOBAL__N_114gatherKthValueIN3c108BFloat16ElLi2EEEvNS_4cuda6detail10TensorInfoIKT_T0_EESA_SA_SA_SA_NS7_IS8_SA_EENS7_IlSA_EE.private_seg_size, 0
	.set _ZN2at6native12_GLOBAL__N_114gatherKthValueIN3c108BFloat16ElLi2EEEvNS_4cuda6detail10TensorInfoIKT_T0_EESA_SA_SA_SA_NS7_IS8_SA_EENS7_IlSA_EE.uses_vcc, 1
	.set _ZN2at6native12_GLOBAL__N_114gatherKthValueIN3c108BFloat16ElLi2EEEvNS_4cuda6detail10TensorInfoIKT_T0_EESA_SA_SA_SA_NS7_IS8_SA_EENS7_IlSA_EE.uses_flat_scratch, 0
	.set _ZN2at6native12_GLOBAL__N_114gatherKthValueIN3c108BFloat16ElLi2EEEvNS_4cuda6detail10TensorInfoIKT_T0_EESA_SA_SA_SA_NS7_IS8_SA_EENS7_IlSA_EE.has_dyn_sized_stack, 0
	.set _ZN2at6native12_GLOBAL__N_114gatherKthValueIN3c108BFloat16ElLi2EEEvNS_4cuda6detail10TensorInfoIKT_T0_EESA_SA_SA_SA_NS7_IS8_SA_EENS7_IlSA_EE.has_recursion, 0
	.set _ZN2at6native12_GLOBAL__N_114gatherKthValueIN3c108BFloat16ElLi2EEEvNS_4cuda6detail10TensorInfoIKT_T0_EESA_SA_SA_SA_NS7_IS8_SA_EENS7_IlSA_EE.has_indirect_call, 0
	.section	.AMDGPU.csdata,"",@progbits
; Kernel info:
; codeLenInByte = 22536
; TotalNumSgprs: 107
; NumVgprs: 57
; ScratchSize: 0
; MemoryBound: 0
; FloatMode: 240
; IeeeMode: 1
; LDSByteSize: 5144 bytes/workgroup (compile time only)
; SGPRBlocks: 0
; VGPRBlocks: 7
; NumSGPRsForWavesPerEU: 107
; NumVGPRsForWavesPerEU: 57
; Occupancy: 16
; WaveLimiterHint : 1
; COMPUTE_PGM_RSRC2:SCRATCH_EN: 0
; COMPUTE_PGM_RSRC2:USER_SGPR: 2
; COMPUTE_PGM_RSRC2:TRAP_HANDLER: 0
; COMPUTE_PGM_RSRC2:TGID_X_EN: 1
; COMPUTE_PGM_RSRC2:TGID_Y_EN: 1
; COMPUTE_PGM_RSRC2:TGID_Z_EN: 1
; COMPUTE_PGM_RSRC2:TIDIG_COMP_CNT: 0
	.section	.text._ZN2at6native12_GLOBAL__N_114gatherKthValueIN3c108BFloat16ElLi3EEEvNS_4cuda6detail10TensorInfoIKT_T0_EESA_SA_SA_SA_NS7_IS8_SA_EENS7_IlSA_EE,"axG",@progbits,_ZN2at6native12_GLOBAL__N_114gatherKthValueIN3c108BFloat16ElLi3EEEvNS_4cuda6detail10TensorInfoIKT_T0_EESA_SA_SA_SA_NS7_IS8_SA_EENS7_IlSA_EE,comdat
	.globl	_ZN2at6native12_GLOBAL__N_114gatherKthValueIN3c108BFloat16ElLi3EEEvNS_4cuda6detail10TensorInfoIKT_T0_EESA_SA_SA_SA_NS7_IS8_SA_EENS7_IlSA_EE ; -- Begin function _ZN2at6native12_GLOBAL__N_114gatherKthValueIN3c108BFloat16ElLi3EEEvNS_4cuda6detail10TensorInfoIKT_T0_EESA_SA_SA_SA_NS7_IS8_SA_EENS7_IlSA_EE
	.p2align	8
	.type	_ZN2at6native12_GLOBAL__N_114gatherKthValueIN3c108BFloat16ElLi3EEEvNS_4cuda6detail10TensorInfoIKT_T0_EESA_SA_SA_SA_NS7_IS8_SA_EENS7_IlSA_EE,@function
_ZN2at6native12_GLOBAL__N_114gatherKthValueIN3c108BFloat16ElLi3EEEvNS_4cuda6detail10TensorInfoIKT_T0_EESA_SA_SA_SA_NS7_IS8_SA_EENS7_IlSA_EE: ; @_ZN2at6native12_GLOBAL__N_114gatherKthValueIN3c108BFloat16ElLi3EEEvNS_4cuda6detail10TensorInfoIKT_T0_EESA_SA_SA_SA_NS7_IS8_SA_EENS7_IlSA_EE
; %bb.0:
	s_clause 0x1
	s_load_b64 s[12:13], s[0:1], 0x500
	s_load_b256 s[36:43], s[0:1], 0x1a0
	s_lshr_b32 s2, ttmp7, 16
	s_and_b32 s3, ttmp7, 0xffff
	s_mov_b32 s27, 0
	s_wait_kmcnt 0x0
	s_mul_i32 s2, s13, s2
	s_delay_alu instid0(SALU_CYCLE_1) | instskip(NEXT) | instid1(SALU_CYCLE_1)
	s_add_co_i32 s2, s2, s3
	s_mul_i32 s2, s2, s12
	s_delay_alu instid0(SALU_CYCLE_1) | instskip(NEXT) | instid1(SALU_CYCLE_1)
	s_add_co_i32 s26, s2, ttmp9
	v_cmp_le_i64_e64 s2, s[40:41], s[26:27]
	s_and_b32 vcc_lo, exec_lo, s2
	s_cbranch_vccnz .LBB70_298
; %bb.1:
	s_load_b128 s[4:7], s[0:1], 0x10
	s_mov_b32 s2, s27
	s_wait_kmcnt 0x0
	s_mov_b32 s3, s7
	s_delay_alu instid0(SALU_CYCLE_1)
	s_cmp_lg_u64 s[2:3], 0
	s_add_nc_u64 s[2:3], s[26:27], 0
	s_cbranch_scc0 .LBB70_18
; %bb.2:
	s_ashr_i32 s8, s7, 31
	s_mov_b32 s17, 0
	s_mov_b32 s9, s8
	s_delay_alu instid0(SALU_CYCLE_1) | instskip(NEXT) | instid1(SALU_CYCLE_1)
	s_add_nc_u64 s[10:11], s[6:7], s[8:9]
	s_xor_b64 s[10:11], s[10:11], s[8:9]
	s_delay_alu instid0(SALU_CYCLE_1) | instskip(SKIP_2) | instid1(SALU_CYCLE_2)
	s_cvt_f32_u32 s13, s10
	s_cvt_f32_u32 s14, s11
	s_sub_nc_u64 s[18:19], 0, s[10:11]
	s_fmamk_f32 s13, s14, 0x4f800000, s13
	s_delay_alu instid0(SALU_CYCLE_3) | instskip(NEXT) | instid1(TRANS32_DEP_1)
	v_s_rcp_f32 s13, s13
	s_mul_f32 s13, s13, 0x5f7ffffc
	s_wait_alu 0xfffe
	s_delay_alu instid0(SALU_CYCLE_2) | instskip(NEXT) | instid1(SALU_CYCLE_3)
	s_mul_f32 s14, s13, 0x2f800000
	s_trunc_f32 s14, s14
	s_delay_alu instid0(SALU_CYCLE_3) | instskip(SKIP_2) | instid1(SALU_CYCLE_1)
	s_fmamk_f32 s13, s14, 0xcf800000, s13
	s_cvt_u32_f32 s15, s14
	s_wait_alu 0xfffe
	s_cvt_u32_f32 s14, s13
	s_delay_alu instid0(SALU_CYCLE_3) | instskip(NEXT) | instid1(SALU_CYCLE_1)
	s_mul_u64 s[20:21], s[18:19], s[14:15]
	s_mul_hi_u32 s23, s14, s21
	s_mul_i32 s22, s14, s21
	s_mul_hi_u32 s16, s14, s20
	s_mul_i32 s24, s15, s20
	s_add_nc_u64 s[22:23], s[16:17], s[22:23]
	s_mul_hi_u32 s13, s15, s20
	s_mul_hi_u32 s25, s15, s21
	s_add_co_u32 s16, s22, s24
	s_wait_alu 0xfffe
	s_add_co_ci_u32 s16, s23, s13
	s_mul_i32 s20, s15, s21
	s_add_co_ci_u32 s21, s25, 0
	s_delay_alu instid0(SALU_CYCLE_1) | instskip(NEXT) | instid1(SALU_CYCLE_1)
	s_add_nc_u64 s[20:21], s[16:17], s[20:21]
	s_add_co_u32 s14, s14, s20
	s_cselect_b32 s13, -1, 0
	s_wait_alu 0xfffe
	s_cmp_lg_u32 s13, 0
	s_add_co_ci_u32 s15, s15, s21
	s_delay_alu instid0(SALU_CYCLE_1) | instskip(NEXT) | instid1(SALU_CYCLE_1)
	s_mul_u64 s[18:19], s[18:19], s[14:15]
	s_mul_hi_u32 s21, s14, s19
	s_mul_i32 s20, s14, s19
	s_mul_hi_u32 s16, s14, s18
	s_mul_i32 s22, s15, s18
	s_add_nc_u64 s[20:21], s[16:17], s[20:21]
	s_mul_hi_u32 s13, s15, s18
	s_mul_hi_u32 s23, s15, s19
	s_add_co_u32 s16, s20, s22
	s_wait_alu 0xfffe
	s_add_co_ci_u32 s16, s21, s13
	s_mul_i32 s18, s15, s19
	s_add_co_ci_u32 s19, s23, 0
	s_delay_alu instid0(SALU_CYCLE_1) | instskip(NEXT) | instid1(SALU_CYCLE_1)
	s_add_nc_u64 s[18:19], s[16:17], s[18:19]
	s_add_co_u32 s13, s14, s18
	s_cselect_b32 s14, -1, 0
	s_delay_alu instid0(SALU_CYCLE_1) | instskip(SKIP_2) | instid1(SALU_CYCLE_1)
	s_cmp_lg_u32 s14, 0
	s_add_co_ci_u32 s20, s15, s19
	s_xor_b64 s[14:15], s[2:3], 0
	s_mul_hi_u32 s19, s14, s20
	s_mul_i32 s18, s14, s20
	s_wait_alu 0xfffe
	s_mul_hi_u32 s16, s14, s13
	s_mul_hi_u32 s22, s15, s13
	s_mul_i32 s13, s15, s13
	s_add_nc_u64 s[18:19], s[16:17], s[18:19]
	s_mul_hi_u32 s21, s15, s20
	s_wait_alu 0xfffe
	s_add_co_u32 s13, s18, s13
	s_add_co_ci_u32 s16, s19, s22
	s_mul_i32 s20, s15, s20
	s_add_co_ci_u32 s21, s21, 0
	s_delay_alu instid0(SALU_CYCLE_1) | instskip(NEXT) | instid1(SALU_CYCLE_1)
	s_add_nc_u64 s[18:19], s[16:17], s[20:21]
	s_mul_u64 s[20:21], s[10:11], s[18:19]
	s_delay_alu instid0(SALU_CYCLE_1)
	s_sub_co_u32 s13, s14, s20
	s_cselect_b32 s14, -1, 0
	s_sub_co_i32 s16, s15, s21
	s_cmp_lg_u32 s14, 0
	s_sub_co_ci_u32 s16, s16, s11
	s_wait_alu 0xfffe
	s_sub_co_u32 s20, s13, s10
	s_cselect_b32 s22, -1, 0
	s_delay_alu instid0(SALU_CYCLE_1) | instskip(SKIP_2) | instid1(SALU_CYCLE_1)
	s_cmp_lg_u32 s22, 0
	s_add_nc_u64 s[22:23], s[18:19], 1
	s_sub_co_ci_u32 s16, s16, 0
	s_cmp_ge_u32 s16, s11
	s_cselect_b32 s24, -1, 0
	s_cmp_ge_u32 s20, s10
	s_cselect_b32 s20, -1, 0
	s_cmp_eq_u32 s16, s11
	s_cselect_b32 s16, s20, s24
	s_add_nc_u64 s[24:25], s[18:19], 2
	s_cmp_lg_u32 s16, 0
	s_cselect_b32 s16, s24, s22
	s_cselect_b32 s20, s25, s23
	s_cmp_lg_u32 s14, 0
	s_sub_co_ci_u32 s14, s15, s21
	s_delay_alu instid0(SALU_CYCLE_1)
	s_cmp_ge_u32 s14, s11
	s_cselect_b32 s15, -1, 0
	s_cmp_ge_u32 s13, s10
	s_cselect_b32 s10, -1, 0
	s_cmp_eq_u32 s14, s11
	s_cselect_b32 s10, s10, s15
	s_delay_alu instid0(SALU_CYCLE_1) | instskip(SKIP_3) | instid1(SALU_CYCLE_1)
	s_cmp_lg_u32 s10, 0
	s_cselect_b32 s11, s20, s19
	s_cselect_b32 s10, s16, s18
	s_xor_b64 s[8:9], 0, s[8:9]
	s_xor_b64 s[10:11], s[10:11], s[8:9]
	s_delay_alu instid0(SALU_CYCLE_1)
	s_sub_nc_u64 s[14:15], s[10:11], s[8:9]
	s_cbranch_execnz .LBB70_4
.LBB70_3:
	v_cvt_f32_u32_e32 v1, s6
	s_sub_co_i32 s9, 0, s6
	s_mov_b32 s15, 0
	s_delay_alu instid0(VALU_DEP_1) | instskip(NEXT) | instid1(TRANS32_DEP_1)
	v_rcp_iflag_f32_e32 v1, v1
	v_mul_f32_e32 v1, 0x4f7ffffe, v1
	s_delay_alu instid0(VALU_DEP_1) | instskip(NEXT) | instid1(VALU_DEP_1)
	v_cvt_u32_f32_e32 v1, v1
	v_readfirstlane_b32 s8, v1
	s_mul_i32 s9, s9, s8
	s_delay_alu instid0(SALU_CYCLE_1) | instskip(NEXT) | instid1(SALU_CYCLE_1)
	s_mul_hi_u32 s9, s8, s9
	s_add_co_i32 s8, s8, s9
	s_delay_alu instid0(SALU_CYCLE_1) | instskip(NEXT) | instid1(SALU_CYCLE_1)
	s_mul_hi_u32 s8, s26, s8
	s_mul_i32 s9, s8, s6
	s_add_co_i32 s10, s8, 1
	s_sub_co_i32 s9, s26, s9
	s_delay_alu instid0(SALU_CYCLE_1)
	s_sub_co_i32 s11, s9, s6
	s_cmp_ge_u32 s9, s6
	s_cselect_b32 s8, s10, s8
	s_cselect_b32 s9, s11, s9
	s_add_co_i32 s10, s8, 1
	s_cmp_ge_u32 s9, s6
	s_cselect_b32 s14, s10, s8
.LBB70_4:
	s_delay_alu instid0(SALU_CYCLE_1) | instskip(SKIP_1) | instid1(SALU_CYCLE_1)
	s_or_b64 s[8:9], s[14:15], s[4:5]
	s_mov_b32 s8, 0
	s_cmp_lg_u64 s[8:9], 0
	s_cbranch_scc0 .LBB70_19
; %bb.5:
	s_ashr_i32 s10, s5, 31
	s_mov_b32 s23, s8
	s_mov_b32 s11, s10
	;; [unrolled: 1-line block ×3, first 2 shown]
	s_add_nc_u64 s[16:17], s[4:5], s[10:11]
	s_delay_alu instid0(SALU_CYCLE_1) | instskip(NEXT) | instid1(SALU_CYCLE_1)
	s_xor_b64 s[16:17], s[16:17], s[10:11]
	s_cvt_f32_u32 s9, s16
	s_cvt_f32_u32 s13, s17
	s_sub_nc_u64 s[20:21], 0, s[16:17]
	s_wait_alu 0xfffe
	s_delay_alu instid0(SALU_CYCLE_1) | instskip(NEXT) | instid1(SALU_CYCLE_3)
	s_fmamk_f32 s9, s13, 0x4f800000, s9
	v_s_rcp_f32 s9, s9
	s_delay_alu instid0(TRANS32_DEP_1) | instskip(SKIP_1) | instid1(SALU_CYCLE_2)
	s_mul_f32 s9, s9, 0x5f7ffffc
	s_wait_alu 0xfffe
	s_mul_f32 s13, s9, 0x2f800000
	s_wait_alu 0xfffe
	s_delay_alu instid0(SALU_CYCLE_2) | instskip(SKIP_1) | instid1(SALU_CYCLE_2)
	s_trunc_f32 s13, s13
	s_wait_alu 0xfffe
	s_fmamk_f32 s9, s13, 0xcf800000, s9
	s_cvt_u32_f32 s19, s13
	s_wait_alu 0xfffe
	s_delay_alu instid0(SALU_CYCLE_1) | instskip(NEXT) | instid1(SALU_CYCLE_3)
	s_cvt_u32_f32 s18, s9
	s_mul_u64 s[24:25], s[20:21], s[18:19]
	s_delay_alu instid0(SALU_CYCLE_1)
	s_mul_hi_u32 s31, s18, s25
	s_mul_i32 s30, s18, s25
	s_mul_hi_u32 s22, s18, s24
	s_mul_i32 s13, s19, s24
	s_add_nc_u64 s[22:23], s[22:23], s[30:31]
	s_mul_hi_u32 s9, s19, s24
	s_mul_hi_u32 s33, s19, s25
	s_wait_alu 0xfffe
	s_add_co_u32 s13, s22, s13
	s_add_co_ci_u32 s28, s23, s9
	s_mul_i32 s24, s19, s25
	s_add_co_ci_u32 s25, s33, 0
	s_delay_alu instid0(SALU_CYCLE_1)
	s_add_nc_u64 s[22:23], s[28:29], s[24:25]
	s_mov_b32 s25, s8
	s_add_co_u32 s18, s18, s22
	s_cselect_b32 s9, -1, 0
	s_wait_alu 0xfffe
	s_cmp_lg_u32 s9, 0
	s_add_co_ci_u32 s19, s19, s23
	s_mov_b32 s23, s8
	s_mul_u64 s[20:21], s[20:21], s[18:19]
	s_delay_alu instid0(SALU_CYCLE_1)
	s_mul_hi_u32 s29, s18, s21
	s_mul_i32 s28, s18, s21
	s_mul_hi_u32 s22, s18, s20
	s_mul_i32 s13, s19, s20
	s_add_nc_u64 s[22:23], s[22:23], s[28:29]
	s_mul_hi_u32 s9, s19, s20
	s_mul_hi_u32 s30, s19, s21
	s_wait_alu 0xfffe
	s_add_co_u32 s13, s22, s13
	s_add_co_ci_u32 s24, s23, s9
	s_mul_i32 s20, s19, s21
	s_add_co_ci_u32 s21, s30, 0
	s_mov_b32 s23, s8
	s_add_nc_u64 s[20:21], s[24:25], s[20:21]
	s_delay_alu instid0(SALU_CYCLE_1)
	s_add_co_u32 s9, s18, s20
	s_cselect_b32 s13, -1, 0
	s_wait_alu 0xfffe
	s_cmp_lg_u32 s13, 0
	s_add_co_ci_u32 s13, s19, s21
	s_ashr_i32 s18, s15, 31
	s_delay_alu instid0(SALU_CYCLE_1) | instskip(NEXT) | instid1(SALU_CYCLE_1)
	s_mov_b32 s19, s18
	s_add_nc_u64 s[20:21], s[14:15], s[18:19]
	s_delay_alu instid0(SALU_CYCLE_1)
	s_xor_b64 s[20:21], s[20:21], s[18:19]
	s_wait_alu 0xfffe
	s_mul_hi_u32 s29, s20, s13
	s_mul_i32 s28, s20, s13
	s_mul_hi_u32 s22, s20, s9
	s_mul_hi_u32 s24, s21, s9
	s_mul_i32 s9, s21, s9
	s_add_nc_u64 s[22:23], s[22:23], s[28:29]
	s_mul_hi_u32 s30, s21, s13
	s_wait_alu 0xfffe
	s_add_co_u32 s9, s22, s9
	s_add_co_ci_u32 s24, s23, s24
	s_mul_i32 s28, s21, s13
	s_add_co_ci_u32 s29, s30, 0
	s_delay_alu instid0(SALU_CYCLE_1) | instskip(NEXT) | instid1(SALU_CYCLE_1)
	s_add_nc_u64 s[22:23], s[24:25], s[28:29]
	s_mul_u64 s[24:25], s[16:17], s[22:23]
	s_delay_alu instid0(SALU_CYCLE_1)
	s_sub_co_u32 s9, s20, s24
	s_cselect_b32 s13, -1, 0
	s_sub_co_i32 s20, s21, s25
	s_wait_alu 0xfffe
	s_cmp_lg_u32 s13, 0
	s_sub_co_ci_u32 s20, s20, s17
	s_sub_co_u32 s24, s9, s16
	s_cselect_b32 s28, -1, 0
	s_delay_alu instid0(SALU_CYCLE_1) | instskip(SKIP_2) | instid1(SALU_CYCLE_1)
	s_cmp_lg_u32 s28, 0
	s_add_nc_u64 s[28:29], s[22:23], 1
	s_sub_co_ci_u32 s20, s20, 0
	s_cmp_ge_u32 s20, s17
	s_cselect_b32 s30, -1, 0
	s_cmp_ge_u32 s24, s16
	s_cselect_b32 s24, -1, 0
	s_cmp_eq_u32 s20, s17
	s_cselect_b32 s20, s24, s30
	s_add_nc_u64 s[30:31], s[22:23], 2
	s_cmp_lg_u32 s20, 0
	s_cselect_b32 s20, s30, s28
	s_cselect_b32 s24, s31, s29
	s_cmp_lg_u32 s13, 0
	s_sub_co_ci_u32 s13, s21, s25
	s_wait_alu 0xfffe
	s_cmp_ge_u32 s13, s17
	s_cselect_b32 s21, -1, 0
	s_cmp_ge_u32 s9, s16
	s_cselect_b32 s9, -1, 0
	s_cmp_eq_u32 s13, s17
	s_wait_alu 0xfffe
	s_cselect_b32 s9, s9, s21
	s_wait_alu 0xfffe
	s_cmp_lg_u32 s9, 0
	s_cselect_b32 s17, s24, s23
	s_cselect_b32 s16, s20, s22
	s_xor_b64 s[10:11], s[18:19], s[10:11]
	s_delay_alu instid0(SALU_CYCLE_1) | instskip(NEXT) | instid1(SALU_CYCLE_1)
	s_xor_b64 s[16:17], s[16:17], s[10:11]
	s_sub_nc_u64 s[16:17], s[16:17], s[10:11]
	s_load_b128 s[28:31], s[0:1], 0x1d0
	s_and_not1_b32 vcc_lo, exec_lo, s8
	s_cbranch_vccnz .LBB70_7
.LBB70_6:
	v_cvt_f32_u32_e32 v1, s4
	s_sub_co_i32 s9, 0, s4
	s_mov_b32 s17, 0
	s_delay_alu instid0(VALU_DEP_1) | instskip(NEXT) | instid1(TRANS32_DEP_1)
	v_rcp_iflag_f32_e32 v1, v1
	v_mul_f32_e32 v1, 0x4f7ffffe, v1
	s_delay_alu instid0(VALU_DEP_1) | instskip(NEXT) | instid1(VALU_DEP_1)
	v_cvt_u32_f32_e32 v1, v1
	v_readfirstlane_b32 s8, v1
	s_wait_alu 0xfffe
	s_mul_i32 s9, s9, s8
	s_wait_alu 0xfffe
	s_mul_hi_u32 s9, s8, s9
	s_wait_alu 0xfffe
	s_add_co_i32 s8, s8, s9
	s_wait_alu 0xfffe
	s_mul_hi_u32 s8, s14, s8
	s_wait_alu 0xfffe
	s_mul_i32 s9, s8, s4
	s_add_co_i32 s10, s8, 1
	s_wait_alu 0xfffe
	s_sub_co_i32 s9, s14, s9
	s_wait_alu 0xfffe
	s_sub_co_i32 s11, s9, s4
	s_cmp_ge_u32 s9, s4
	s_cselect_b32 s8, s10, s8
	s_cselect_b32 s9, s11, s9
	s_wait_alu 0xfffe
	s_add_co_i32 s10, s8, 1
	s_cmp_ge_u32 s9, s4
	s_cselect_b32 s16, s10, s8
.LBB70_7:
	s_mov_b32 s8, 0
	s_wait_kmcnt 0x0
	s_mov_b32 s9, s31
	s_wait_alu 0xfffe
	s_cmp_lg_u64 s[8:9], 0
	s_cbranch_scc0 .LBB70_20
; %bb.8:
	s_ashr_i32 s10, s31, 31
	s_mov_b32 s25, s8
	s_mov_b32 s11, s10
	;; [unrolled: 1-line block ×3, first 2 shown]
	s_add_nc_u64 s[18:19], s[30:31], s[10:11]
	s_delay_alu instid0(SALU_CYCLE_1) | instskip(NEXT) | instid1(SALU_CYCLE_1)
	s_xor_b64 s[18:19], s[18:19], s[10:11]
	s_cvt_f32_u32 s9, s18
	s_cvt_f32_u32 s13, s19
	s_sub_nc_u64 s[22:23], 0, s[18:19]
	s_wait_alu 0xfffe
	s_delay_alu instid0(SALU_CYCLE_1) | instskip(SKIP_1) | instid1(SALU_CYCLE_2)
	s_fmamk_f32 s9, s13, 0x4f800000, s9
	s_wait_alu 0xfffe
	v_s_rcp_f32 s9, s9
	s_delay_alu instid0(TRANS32_DEP_1) | instskip(SKIP_1) | instid1(SALU_CYCLE_2)
	s_mul_f32 s9, s9, 0x5f7ffffc
	s_wait_alu 0xfffe
	s_mul_f32 s13, s9, 0x2f800000
	s_wait_alu 0xfffe
	s_delay_alu instid0(SALU_CYCLE_2) | instskip(SKIP_1) | instid1(SALU_CYCLE_2)
	s_trunc_f32 s13, s13
	s_wait_alu 0xfffe
	s_fmamk_f32 s9, s13, 0xcf800000, s9
	s_cvt_u32_f32 s21, s13
	s_wait_alu 0xfffe
	s_delay_alu instid0(SALU_CYCLE_1) | instskip(NEXT) | instid1(SALU_CYCLE_3)
	s_cvt_u32_f32 s20, s9
	s_mul_u64 s[34:35], s[22:23], s[20:21]
	s_delay_alu instid0(SALU_CYCLE_1)
	s_mul_hi_u32 s45, s20, s35
	s_mul_i32 s44, s20, s35
	s_mul_hi_u32 s24, s20, s34
	s_mul_i32 s13, s21, s34
	s_add_nc_u64 s[24:25], s[24:25], s[44:45]
	s_mul_hi_u32 s9, s21, s34
	s_mul_hi_u32 s33, s21, s35
	s_wait_alu 0xfffe
	s_add_co_u32 s13, s24, s13
	s_add_co_ci_u32 s40, s25, s9
	s_mul_i32 s34, s21, s35
	s_add_co_ci_u32 s35, s33, 0
	s_wait_alu 0xfffe
	s_add_nc_u64 s[24:25], s[40:41], s[34:35]
	s_mov_b32 s35, s8
	s_add_co_u32 s20, s20, s24
	s_cselect_b32 s9, -1, 0
	s_wait_alu 0xfffe
	s_cmp_lg_u32 s9, 0
	s_add_co_ci_u32 s21, s21, s25
	s_mov_b32 s25, s8
	s_mul_u64 s[22:23], s[22:23], s[20:21]
	s_delay_alu instid0(SALU_CYCLE_1)
	s_mul_hi_u32 s41, s20, s23
	s_mul_i32 s40, s20, s23
	s_mul_hi_u32 s24, s20, s22
	s_mul_i32 s13, s21, s22
	s_wait_alu 0xfffe
	s_add_nc_u64 s[24:25], s[24:25], s[40:41]
	s_mul_hi_u32 s9, s21, s22
	s_mul_hi_u32 s33, s21, s23
	s_add_co_u32 s13, s24, s13
	s_wait_alu 0xfffe
	s_add_co_ci_u32 s34, s25, s9
	s_mul_i32 s22, s21, s23
	s_add_co_ci_u32 s23, s33, 0
	s_mov_b32 s25, s8
	s_add_nc_u64 s[22:23], s[34:35], s[22:23]
	s_delay_alu instid0(SALU_CYCLE_1)
	s_add_co_u32 s9, s20, s22
	s_cselect_b32 s13, -1, 0
	s_wait_alu 0xfffe
	s_cmp_lg_u32 s13, 0
	s_add_co_ci_u32 s13, s21, s23
	s_xor_b64 s[20:21], s[2:3], 0
	s_mov_b32 s23, s8
	s_wait_alu 0xfffe
	s_mul_hi_u32 s35, s20, s13
	s_mul_i32 s34, s20, s13
	s_mul_hi_u32 s24, s20, s9
	s_mul_hi_u32 s22, s21, s9
	s_mul_i32 s9, s21, s9
	s_add_nc_u64 s[24:25], s[24:25], s[34:35]
	s_mul_hi_u32 s33, s21, s13
	s_wait_alu 0xfffe
	s_add_co_u32 s9, s24, s9
	s_add_co_ci_u32 s22, s25, s22
	s_mul_i32 s34, s21, s13
	s_add_co_ci_u32 s35, s33, 0
	s_delay_alu instid0(SALU_CYCLE_1) | instskip(NEXT) | instid1(SALU_CYCLE_1)
	s_add_nc_u64 s[22:23], s[22:23], s[34:35]
	s_mul_u64 s[24:25], s[18:19], s[22:23]
	s_add_nc_u64 s[34:35], s[22:23], 1
	s_sub_co_u32 s9, s20, s24
	s_cselect_b32 s13, -1, 0
	s_sub_co_i32 s20, s21, s25
	s_wait_alu 0xfffe
	s_cmp_lg_u32 s13, 0
	s_add_nc_u64 s[40:41], s[22:23], 2
	s_sub_co_ci_u32 s20, s20, s19
	s_sub_co_u32 s24, s9, s18
	s_cselect_b32 s33, -1, 0
	s_delay_alu instid0(SALU_CYCLE_1) | instskip(SKIP_1) | instid1(SALU_CYCLE_1)
	s_cmp_lg_u32 s33, 0
	s_sub_co_ci_u32 s20, s20, 0
	s_cmp_ge_u32 s20, s19
	s_cselect_b32 s33, -1, 0
	s_cmp_ge_u32 s24, s18
	s_cselect_b32 s24, -1, 0
	s_cmp_eq_u32 s20, s19
	s_cselect_b32 s20, s24, s33
	s_delay_alu instid0(SALU_CYCLE_1)
	s_cmp_lg_u32 s20, 0
	s_wait_alu 0xfffe
	s_cselect_b32 s20, s40, s34
	s_cselect_b32 s24, s41, s35
	s_cmp_lg_u32 s13, 0
	s_sub_co_ci_u32 s13, s21, s25
	s_wait_alu 0xfffe
	s_cmp_ge_u32 s13, s19
	s_cselect_b32 s21, -1, 0
	s_cmp_ge_u32 s9, s18
	s_cselect_b32 s9, -1, 0
	s_cmp_eq_u32 s13, s19
	s_wait_alu 0xfffe
	s_cselect_b32 s9, s9, s21
	s_wait_alu 0xfffe
	s_cmp_lg_u32 s9, 0
	s_cselect_b32 s19, s24, s23
	s_cselect_b32 s18, s20, s22
	s_xor_b64 s[10:11], 0, s[10:11]
	s_delay_alu instid0(SALU_CYCLE_1) | instskip(NEXT) | instid1(SALU_CYCLE_1)
	s_xor_b64 s[18:19], s[18:19], s[10:11]
	s_sub_nc_u64 s[34:35], s[18:19], s[10:11]
	s_and_not1_b32 vcc_lo, exec_lo, s8
	s_cbranch_vccnz .LBB70_10
.LBB70_9:
	v_cvt_f32_u32_e32 v1, s30
	s_sub_co_i32 s9, 0, s30
	s_mov_b32 s35, 0
	s_delay_alu instid0(VALU_DEP_1) | instskip(NEXT) | instid1(TRANS32_DEP_1)
	v_rcp_iflag_f32_e32 v1, v1
	v_mul_f32_e32 v1, 0x4f7ffffe, v1
	s_delay_alu instid0(VALU_DEP_1) | instskip(NEXT) | instid1(VALU_DEP_1)
	v_cvt_u32_f32_e32 v1, v1
	v_readfirstlane_b32 s8, v1
	s_wait_alu 0xfffe
	s_mul_i32 s9, s9, s8
	s_wait_alu 0xfffe
	s_mul_hi_u32 s9, s8, s9
	s_wait_alu 0xfffe
	s_add_co_i32 s8, s8, s9
	s_wait_alu 0xfffe
	s_mul_hi_u32 s8, s26, s8
	s_wait_alu 0xfffe
	s_mul_i32 s9, s8, s30
	s_add_co_i32 s10, s8, 1
	s_wait_alu 0xfffe
	s_sub_co_i32 s9, s26, s9
	s_wait_alu 0xfffe
	s_sub_co_i32 s11, s9, s30
	s_cmp_ge_u32 s9, s30
	s_cselect_b32 s8, s10, s8
	s_cselect_b32 s9, s11, s9
	s_wait_alu 0xfffe
	s_add_co_i32 s10, s8, 1
	s_cmp_ge_u32 s9, s30
	s_cselect_b32 s34, s10, s8
.LBB70_10:
	s_delay_alu instid0(SALU_CYCLE_1)
	s_or_b64 s[8:9], s[34:35], s[28:29]
	s_mov_b32 s8, 0
	s_wait_alu 0xfffe
	s_cmp_lg_u64 s[8:9], 0
	s_cbranch_scc0 .LBB70_21
; %bb.11:
	s_ashr_i32 s10, s29, 31
	s_mov_b32 s25, s8
	s_mov_b32 s11, s10
	;; [unrolled: 1-line block ×3, first 2 shown]
	s_add_nc_u64 s[18:19], s[28:29], s[10:11]
	s_delay_alu instid0(SALU_CYCLE_1) | instskip(NEXT) | instid1(SALU_CYCLE_1)
	s_xor_b64 s[18:19], s[18:19], s[10:11]
	s_cvt_f32_u32 s9, s18
	s_cvt_f32_u32 s13, s19
	s_sub_nc_u64 s[22:23], 0, s[18:19]
	s_wait_alu 0xfffe
	s_delay_alu instid0(SALU_CYCLE_1) | instskip(SKIP_1) | instid1(SALU_CYCLE_2)
	s_fmamk_f32 s9, s13, 0x4f800000, s9
	s_wait_alu 0xfffe
	v_s_rcp_f32 s9, s9
	s_delay_alu instid0(TRANS32_DEP_1) | instskip(SKIP_1) | instid1(SALU_CYCLE_2)
	s_mul_f32 s9, s9, 0x5f7ffffc
	s_wait_alu 0xfffe
	s_mul_f32 s13, s9, 0x2f800000
	s_wait_alu 0xfffe
	s_delay_alu instid0(SALU_CYCLE_2) | instskip(SKIP_1) | instid1(SALU_CYCLE_2)
	s_trunc_f32 s13, s13
	s_wait_alu 0xfffe
	s_fmamk_f32 s9, s13, 0xcf800000, s9
	s_cvt_u32_f32 s21, s13
	s_wait_alu 0xfffe
	s_delay_alu instid0(SALU_CYCLE_1) | instskip(NEXT) | instid1(SALU_CYCLE_3)
	s_cvt_u32_f32 s20, s9
	s_mul_u64 s[40:41], s[22:23], s[20:21]
	s_wait_alu 0xfffe
	s_mul_hi_u32 s47, s20, s41
	s_mul_i32 s46, s20, s41
	s_mul_hi_u32 s24, s20, s40
	s_mul_i32 s13, s21, s40
	s_add_nc_u64 s[24:25], s[24:25], s[46:47]
	s_mul_hi_u32 s9, s21, s40
	s_mul_hi_u32 s33, s21, s41
	s_wait_alu 0xfffe
	s_add_co_u32 s13, s24, s13
	s_add_co_ci_u32 s44, s25, s9
	s_mul_i32 s40, s21, s41
	s_add_co_ci_u32 s41, s33, 0
	s_wait_alu 0xfffe
	s_add_nc_u64 s[24:25], s[44:45], s[40:41]
	s_mov_b32 s41, s8
	s_add_co_u32 s20, s20, s24
	s_cselect_b32 s9, -1, 0
	s_wait_alu 0xfffe
	s_cmp_lg_u32 s9, 0
	s_add_co_ci_u32 s21, s21, s25
	s_mov_b32 s25, s8
	s_mul_u64 s[22:23], s[22:23], s[20:21]
	s_delay_alu instid0(SALU_CYCLE_1)
	s_mul_hi_u32 s45, s20, s23
	s_mul_i32 s44, s20, s23
	s_mul_hi_u32 s24, s20, s22
	s_mul_i32 s13, s21, s22
	s_add_nc_u64 s[24:25], s[24:25], s[44:45]
	s_mul_hi_u32 s9, s21, s22
	s_mul_hi_u32 s33, s21, s23
	s_wait_alu 0xfffe
	s_add_co_u32 s13, s24, s13
	s_add_co_ci_u32 s40, s25, s9
	s_mul_i32 s22, s21, s23
	s_add_co_ci_u32 s23, s33, 0
	s_mov_b32 s25, s8
	s_wait_alu 0xfffe
	s_add_nc_u64 s[22:23], s[40:41], s[22:23]
	s_delay_alu instid0(SALU_CYCLE_1)
	s_add_co_u32 s9, s20, s22
	s_cselect_b32 s13, -1, 0
	s_wait_alu 0xfffe
	s_cmp_lg_u32 s13, 0
	s_add_co_ci_u32 s13, s21, s23
	s_ashr_i32 s20, s35, 31
	s_delay_alu instid0(SALU_CYCLE_1) | instskip(NEXT) | instid1(SALU_CYCLE_1)
	s_mov_b32 s21, s20
	s_add_nc_u64 s[22:23], s[34:35], s[20:21]
	s_delay_alu instid0(SALU_CYCLE_1)
	s_xor_b64 s[22:23], s[22:23], s[20:21]
	s_wait_alu 0xfffe
	s_mul_hi_u32 s45, s22, s13
	s_mul_i32 s44, s22, s13
	s_mul_hi_u32 s24, s22, s9
	s_mul_hi_u32 s40, s23, s9
	s_mul_i32 s9, s23, s9
	s_add_nc_u64 s[24:25], s[24:25], s[44:45]
	s_mul_hi_u32 s33, s23, s13
	s_wait_alu 0xfffe
	s_add_co_u32 s9, s24, s9
	s_add_co_ci_u32 s40, s25, s40
	s_mul_i32 s44, s23, s13
	s_add_co_ci_u32 s45, s33, 0
	s_wait_alu 0xfffe
	s_add_nc_u64 s[24:25], s[40:41], s[44:45]
	s_delay_alu instid0(SALU_CYCLE_1)
	s_mul_u64 s[40:41], s[18:19], s[24:25]
	s_add_nc_u64 s[44:45], s[24:25], 1
	s_wait_alu 0xfffe
	s_sub_co_u32 s9, s22, s40
	s_cselect_b32 s13, -1, 0
	s_sub_co_i32 s22, s23, s41
	s_wait_alu 0xfffe
	s_cmp_lg_u32 s13, 0
	s_add_nc_u64 s[46:47], s[24:25], 2
	s_sub_co_ci_u32 s22, s22, s19
	s_sub_co_u32 s33, s9, s18
	s_cselect_b32 s40, -1, 0
	s_wait_alu 0xfffe
	s_cmp_lg_u32 s40, 0
	s_sub_co_ci_u32 s22, s22, 0
	s_delay_alu instid0(SALU_CYCLE_1)
	s_cmp_ge_u32 s22, s19
	s_cselect_b32 s40, -1, 0
	s_cmp_ge_u32 s33, s18
	s_cselect_b32 s33, -1, 0
	s_cmp_eq_u32 s22, s19
	s_wait_alu 0xfffe
	s_cselect_b32 s22, s33, s40
	s_delay_alu instid0(SALU_CYCLE_1)
	s_cmp_lg_u32 s22, 0
	s_cselect_b32 s22, s46, s44
	s_cselect_b32 s33, s47, s45
	s_cmp_lg_u32 s13, 0
	s_sub_co_ci_u32 s13, s23, s41
	s_wait_alu 0xfffe
	s_cmp_ge_u32 s13, s19
	s_cselect_b32 s23, -1, 0
	s_cmp_ge_u32 s9, s18
	s_cselect_b32 s9, -1, 0
	s_cmp_eq_u32 s13, s19
	s_wait_alu 0xfffe
	s_cselect_b32 s9, s9, s23
	s_wait_alu 0xfffe
	s_cmp_lg_u32 s9, 0
	s_cselect_b32 s19, s33, s25
	s_cselect_b32 s18, s22, s24
	s_xor_b64 s[10:11], s[20:21], s[10:11]
	s_delay_alu instid0(SALU_CYCLE_1) | instskip(NEXT) | instid1(SALU_CYCLE_1)
	s_xor_b64 s[18:19], s[18:19], s[10:11]
	s_sub_nc_u64 s[40:41], s[18:19], s[10:11]
	s_load_b128 s[44:47], s[0:1], 0x370
	s_and_not1_b32 vcc_lo, exec_lo, s8
	s_cbranch_vccnz .LBB70_13
.LBB70_12:
	v_cvt_f32_u32_e32 v1, s28
	s_sub_co_i32 s9, 0, s28
	s_mov_b32 s41, 0
	s_delay_alu instid0(VALU_DEP_1) | instskip(NEXT) | instid1(TRANS32_DEP_1)
	v_rcp_iflag_f32_e32 v1, v1
	v_mul_f32_e32 v1, 0x4f7ffffe, v1
	s_delay_alu instid0(VALU_DEP_1) | instskip(NEXT) | instid1(VALU_DEP_1)
	v_cvt_u32_f32_e32 v1, v1
	v_readfirstlane_b32 s8, v1
	s_wait_alu 0xfffe
	s_mul_i32 s9, s9, s8
	s_wait_alu 0xfffe
	s_mul_hi_u32 s9, s8, s9
	s_wait_alu 0xfffe
	s_add_co_i32 s8, s8, s9
	s_wait_alu 0xfffe
	s_mul_hi_u32 s8, s34, s8
	s_wait_alu 0xfffe
	s_mul_i32 s9, s8, s28
	s_add_co_i32 s10, s8, 1
	s_wait_alu 0xfffe
	s_sub_co_i32 s9, s34, s9
	s_wait_alu 0xfffe
	s_sub_co_i32 s11, s9, s28
	s_cmp_ge_u32 s9, s28
	s_cselect_b32 s8, s10, s8
	s_cselect_b32 s9, s11, s9
	s_wait_alu 0xfffe
	s_add_co_i32 s10, s8, 1
	s_cmp_ge_u32 s9, s28
	s_cselect_b32 s40, s10, s8
.LBB70_13:
	s_mov_b32 s8, 0
	s_wait_kmcnt 0x0
	s_mov_b32 s9, s47
	s_wait_alu 0xfffe
	s_cmp_lg_u64 s[8:9], 0
	s_cbranch_scc0 .LBB70_22
; %bb.14:
	s_ashr_i32 s10, s47, 31
	s_mov_b32 s25, s8
	s_mov_b32 s11, s10
	;; [unrolled: 1-line block ×3, first 2 shown]
	s_add_nc_u64 s[18:19], s[46:47], s[10:11]
	s_delay_alu instid0(SALU_CYCLE_1) | instskip(NEXT) | instid1(SALU_CYCLE_1)
	s_xor_b64 s[18:19], s[18:19], s[10:11]
	s_cvt_f32_u32 s9, s18
	s_cvt_f32_u32 s13, s19
	s_sub_nc_u64 s[22:23], 0, s[18:19]
	s_wait_alu 0xfffe
	s_delay_alu instid0(SALU_CYCLE_1) | instskip(SKIP_1) | instid1(SALU_CYCLE_2)
	s_fmamk_f32 s9, s13, 0x4f800000, s9
	s_wait_alu 0xfffe
	v_s_rcp_f32 s9, s9
	s_delay_alu instid0(TRANS32_DEP_1) | instskip(SKIP_1) | instid1(SALU_CYCLE_2)
	s_mul_f32 s9, s9, 0x5f7ffffc
	s_wait_alu 0xfffe
	s_mul_f32 s13, s9, 0x2f800000
	s_wait_alu 0xfffe
	s_delay_alu instid0(SALU_CYCLE_2) | instskip(SKIP_1) | instid1(SALU_CYCLE_2)
	s_trunc_f32 s13, s13
	s_wait_alu 0xfffe
	s_fmamk_f32 s9, s13, 0xcf800000, s9
	s_cvt_u32_f32 s21, s13
	s_wait_alu 0xfffe
	s_delay_alu instid0(SALU_CYCLE_1) | instskip(NEXT) | instid1(SALU_CYCLE_3)
	s_cvt_u32_f32 s20, s9
	s_mul_u64 s[48:49], s[22:23], s[20:21]
	s_delay_alu instid0(SALU_CYCLE_1)
	s_mul_hi_u32 s53, s20, s49
	s_mul_i32 s52, s20, s49
	s_mul_hi_u32 s24, s20, s48
	s_mul_i32 s13, s21, s48
	s_add_nc_u64 s[24:25], s[24:25], s[52:53]
	s_mul_hi_u32 s9, s21, s48
	s_mul_hi_u32 s33, s21, s49
	s_wait_alu 0xfffe
	s_add_co_u32 s13, s24, s13
	s_add_co_ci_u32 s50, s25, s9
	s_mul_i32 s48, s21, s49
	s_add_co_ci_u32 s49, s33, 0
	s_delay_alu instid0(SALU_CYCLE_1)
	s_add_nc_u64 s[24:25], s[50:51], s[48:49]
	s_mov_b32 s49, s8
	s_add_co_u32 s20, s20, s24
	s_cselect_b32 s9, -1, 0
	s_wait_alu 0xfffe
	s_cmp_lg_u32 s9, 0
	s_add_co_ci_u32 s21, s21, s25
	s_mov_b32 s25, s8
	s_mul_u64 s[22:23], s[22:23], s[20:21]
	s_delay_alu instid0(SALU_CYCLE_1)
	s_mul_hi_u32 s51, s20, s23
	s_mul_i32 s50, s20, s23
	s_mul_hi_u32 s24, s20, s22
	s_mul_i32 s13, s21, s22
	s_add_nc_u64 s[24:25], s[24:25], s[50:51]
	s_mul_hi_u32 s9, s21, s22
	s_mul_hi_u32 s33, s21, s23
	s_wait_alu 0xfffe
	s_add_co_u32 s13, s24, s13
	s_add_co_ci_u32 s48, s25, s9
	s_mul_i32 s22, s21, s23
	s_add_co_ci_u32 s23, s33, 0
	s_mov_b32 s25, s8
	s_add_nc_u64 s[22:23], s[48:49], s[22:23]
	s_delay_alu instid0(SALU_CYCLE_1)
	s_add_co_u32 s9, s20, s22
	s_cselect_b32 s13, -1, 0
	s_wait_alu 0xfffe
	s_cmp_lg_u32 s13, 0
	s_add_co_ci_u32 s13, s21, s23
	s_xor_b64 s[2:3], s[2:3], 0
	s_mov_b32 s21, s8
	s_wait_alu 0xfffe
	s_mul_hi_u32 s23, s2, s13
	s_mul_i32 s22, s2, s13
	s_mul_hi_u32 s24, s2, s9
	s_mul_hi_u32 s20, s3, s9
	s_mul_i32 s9, s3, s9
	s_add_nc_u64 s[22:23], s[24:25], s[22:23]
	s_mul_hi_u32 s33, s3, s13
	s_wait_alu 0xfffe
	s_add_co_u32 s9, s22, s9
	s_add_co_ci_u32 s20, s23, s20
	s_mul_i32 s24, s3, s13
	s_add_co_ci_u32 s25, s33, 0
	s_delay_alu instid0(SALU_CYCLE_1) | instskip(NEXT) | instid1(SALU_CYCLE_1)
	s_add_nc_u64 s[20:21], s[20:21], s[24:25]
	s_mul_u64 s[22:23], s[18:19], s[20:21]
	s_add_nc_u64 s[48:49], s[20:21], 2
	s_sub_co_u32 s2, s2, s22
	s_cselect_b32 s9, -1, 0
	s_sub_co_i32 s13, s3, s23
	s_wait_alu 0xfffe
	s_cmp_lg_u32 s9, 0
	s_sub_co_ci_u32 s13, s13, s19
	s_sub_co_u32 s22, s2, s18
	s_cselect_b32 s24, -1, 0
	s_delay_alu instid0(SALU_CYCLE_1)
	s_cmp_lg_u32 s24, 0
	s_add_nc_u64 s[24:25], s[20:21], 1
	s_wait_alu 0xfffe
	s_sub_co_ci_u32 s13, s13, 0
	s_wait_alu 0xfffe
	s_cmp_ge_u32 s13, s19
	s_cselect_b32 s33, -1, 0
	s_cmp_ge_u32 s22, s18
	s_cselect_b32 s22, -1, 0
	s_cmp_eq_u32 s13, s19
	s_cselect_b32 s13, s22, s33
	s_wait_alu 0xfffe
	s_cmp_lg_u32 s13, 0
	s_cselect_b32 s13, s48, s24
	s_cselect_b32 s22, s49, s25
	s_cmp_lg_u32 s9, 0
	s_sub_co_ci_u32 s3, s3, s23
	s_delay_alu instid0(SALU_CYCLE_1)
	s_cmp_ge_u32 s3, s19
	s_cselect_b32 s9, -1, 0
	s_cmp_ge_u32 s2, s18
	s_cselect_b32 s2, -1, 0
	s_cmp_eq_u32 s3, s19
	s_wait_alu 0xfffe
	s_cselect_b32 s2, s2, s9
	s_delay_alu instid0(SALU_CYCLE_1) | instskip(SKIP_3) | instid1(SALU_CYCLE_1)
	s_cmp_lg_u32 s2, 0
	s_cselect_b32 s3, s22, s21
	s_cselect_b32 s2, s13, s20
	s_xor_b64 s[10:11], 0, s[10:11]
	s_xor_b64 s[2:3], s[2:3], s[10:11]
	s_delay_alu instid0(SALU_CYCLE_1)
	s_sub_nc_u64 s[56:57], s[2:3], s[10:11]
	s_and_not1_b32 vcc_lo, exec_lo, s8
	s_cbranch_vccnz .LBB70_16
.LBB70_15:
	v_cvt_f32_u32_e32 v1, s46
	s_sub_co_i32 s3, 0, s46
	s_mov_b32 s57, 0
	s_delay_alu instid0(VALU_DEP_1) | instskip(NEXT) | instid1(TRANS32_DEP_1)
	v_rcp_iflag_f32_e32 v1, v1
	v_mul_f32_e32 v1, 0x4f7ffffe, v1
	s_delay_alu instid0(VALU_DEP_1) | instskip(NEXT) | instid1(VALU_DEP_1)
	v_cvt_u32_f32_e32 v1, v1
	v_readfirstlane_b32 s2, v1
	s_mul_i32 s3, s3, s2
	s_delay_alu instid0(SALU_CYCLE_1) | instskip(NEXT) | instid1(SALU_CYCLE_1)
	s_mul_hi_u32 s3, s2, s3
	s_add_co_i32 s2, s2, s3
	s_delay_alu instid0(SALU_CYCLE_1) | instskip(NEXT) | instid1(SALU_CYCLE_1)
	s_mul_hi_u32 s2, s26, s2
	s_mul_i32 s3, s2, s46
	s_add_co_i32 s8, s2, 1
	s_sub_co_i32 s3, s26, s3
	s_delay_alu instid0(SALU_CYCLE_1)
	s_sub_co_i32 s9, s3, s46
	s_cmp_ge_u32 s3, s46
	s_wait_alu 0xfffe
	s_cselect_b32 s2, s8, s2
	s_cselect_b32 s3, s9, s3
	s_add_co_i32 s8, s2, 1
	s_cmp_ge_u32 s3, s46
	s_wait_alu 0xfffe
	s_cselect_b32 s56, s8, s2
.LBB70_16:
	s_clause 0x1
	s_load_b64 s[18:19], s[0:1], 0xe0
	s_load_b128 s[8:11], s[0:1], 0xd0
	s_or_b64 s[2:3], s[56:57], s[44:45]
	s_mov_b32 s2, 0
	s_delay_alu instid0(SALU_CYCLE_1)
	s_cmp_lg_u64 s[2:3], 0
	s_cbranch_scc0 .LBB70_23
; %bb.17:
	s_ashr_i32 s20, s45, 31
	s_mov_b32 s51, s2
	s_mov_b32 s21, s20
	;; [unrolled: 1-line block ×3, first 2 shown]
	s_add_nc_u64 s[22:23], s[44:45], s[20:21]
	s_delay_alu instid0(SALU_CYCLE_1) | instskip(NEXT) | instid1(SALU_CYCLE_1)
	s_xor_b64 s[22:23], s[22:23], s[20:21]
	s_cvt_f32_u32 s3, s22
	s_cvt_f32_u32 s13, s23
	s_sub_nc_u64 s[48:49], 0, s[22:23]
	s_wait_alu 0xfffe
	s_delay_alu instid0(SALU_CYCLE_1) | instskip(NEXT) | instid1(SALU_CYCLE_3)
	s_fmamk_f32 s3, s13, 0x4f800000, s3
	v_s_rcp_f32 s3, s3
	s_delay_alu instid0(TRANS32_DEP_1) | instskip(SKIP_1) | instid1(SALU_CYCLE_2)
	s_mul_f32 s3, s3, 0x5f7ffffc
	s_wait_alu 0xfffe
	s_mul_f32 s13, s3, 0x2f800000
	s_wait_alu 0xfffe
	s_delay_alu instid0(SALU_CYCLE_2) | instskip(SKIP_1) | instid1(SALU_CYCLE_2)
	s_trunc_f32 s13, s13
	s_wait_alu 0xfffe
	s_fmamk_f32 s3, s13, 0xcf800000, s3
	s_cvt_u32_f32 s25, s13
	s_wait_alu 0xfffe
	s_delay_alu instid0(SALU_CYCLE_1) | instskip(NEXT) | instid1(SALU_CYCLE_3)
	s_cvt_u32_f32 s24, s3
	s_mul_u64 s[52:53], s[48:49], s[24:25]
	s_delay_alu instid0(SALU_CYCLE_1)
	s_mul_hi_u32 s59, s24, s53
	s_mul_i32 s58, s24, s53
	s_mul_hi_u32 s50, s24, s52
	s_mul_i32 s13, s25, s52
	s_add_nc_u64 s[50:51], s[50:51], s[58:59]
	s_mul_hi_u32 s3, s25, s52
	s_mul_hi_u32 s33, s25, s53
	s_wait_alu 0xfffe
	s_add_co_u32 s13, s50, s13
	s_add_co_ci_u32 s54, s51, s3
	s_mul_i32 s52, s25, s53
	s_add_co_ci_u32 s53, s33, 0
	s_delay_alu instid0(SALU_CYCLE_1)
	s_add_nc_u64 s[50:51], s[54:55], s[52:53]
	s_mov_b32 s53, s2
	s_add_co_u32 s24, s24, s50
	s_cselect_b32 s3, -1, 0
	s_wait_alu 0xfffe
	s_cmp_lg_u32 s3, 0
	s_add_co_ci_u32 s25, s25, s51
	s_mov_b32 s51, s2
	s_mul_u64 s[48:49], s[48:49], s[24:25]
	s_delay_alu instid0(SALU_CYCLE_1)
	s_mul_hi_u32 s55, s24, s49
	s_mul_i32 s54, s24, s49
	s_mul_hi_u32 s50, s24, s48
	s_mul_i32 s13, s25, s48
	s_add_nc_u64 s[50:51], s[50:51], s[54:55]
	s_mul_hi_u32 s3, s25, s48
	s_mul_hi_u32 s33, s25, s49
	s_wait_alu 0xfffe
	s_add_co_u32 s13, s50, s13
	s_add_co_ci_u32 s52, s51, s3
	s_mul_i32 s48, s25, s49
	s_add_co_ci_u32 s49, s33, 0
	s_mov_b32 s51, s2
	s_add_nc_u64 s[48:49], s[52:53], s[48:49]
	s_delay_alu instid0(SALU_CYCLE_1)
	s_add_co_u32 s3, s24, s48
	s_cselect_b32 s13, -1, 0
	s_wait_alu 0xfffe
	s_cmp_lg_u32 s13, 0
	s_add_co_ci_u32 s13, s25, s49
	s_ashr_i32 s24, s57, 31
	s_delay_alu instid0(SALU_CYCLE_1) | instskip(NEXT) | instid1(SALU_CYCLE_1)
	s_mov_b32 s25, s24
	s_add_nc_u64 s[48:49], s[56:57], s[24:25]
	s_delay_alu instid0(SALU_CYCLE_1)
	s_xor_b64 s[48:49], s[48:49], s[24:25]
	s_wait_alu 0xfffe
	s_mul_hi_u32 s55, s48, s13
	s_mul_i32 s54, s48, s13
	s_mul_hi_u32 s50, s48, s3
	s_mul_hi_u32 s52, s49, s3
	s_mul_i32 s3, s49, s3
	s_add_nc_u64 s[50:51], s[50:51], s[54:55]
	s_mul_hi_u32 s33, s49, s13
	s_wait_alu 0xfffe
	s_add_co_u32 s3, s50, s3
	s_add_co_ci_u32 s52, s51, s52
	s_mul_i32 s54, s49, s13
	s_add_co_ci_u32 s55, s33, 0
	s_delay_alu instid0(SALU_CYCLE_1) | instskip(NEXT) | instid1(SALU_CYCLE_1)
	s_add_nc_u64 s[50:51], s[52:53], s[54:55]
	s_mul_u64 s[52:53], s[22:23], s[50:51]
	s_add_nc_u64 s[54:55], s[50:51], 1
	s_sub_co_u32 s3, s48, s52
	s_cselect_b32 s13, -1, 0
	s_sub_co_i32 s33, s49, s53
	s_wait_alu 0xfffe
	s_cmp_lg_u32 s13, 0
	s_add_nc_u64 s[58:59], s[50:51], 2
	s_sub_co_ci_u32 s33, s33, s23
	s_sub_co_u32 s48, s3, s22
	s_cselect_b32 s52, -1, 0
	s_delay_alu instid0(SALU_CYCLE_1) | instskip(SKIP_1) | instid1(SALU_CYCLE_1)
	s_cmp_lg_u32 s52, 0
	s_sub_co_ci_u32 s33, s33, 0
	s_cmp_ge_u32 s33, s23
	s_cselect_b32 s52, -1, 0
	s_cmp_ge_u32 s48, s22
	s_cselect_b32 s48, -1, 0
	s_cmp_eq_u32 s33, s23
	s_cselect_b32 s33, s48, s52
	s_delay_alu instid0(SALU_CYCLE_1)
	s_cmp_lg_u32 s33, 0
	s_cselect_b32 s33, s58, s54
	s_cselect_b32 s48, s59, s55
	s_cmp_lg_u32 s13, 0
	s_sub_co_ci_u32 s13, s49, s53
	s_wait_alu 0xfffe
	s_cmp_ge_u32 s13, s23
	s_cselect_b32 s49, -1, 0
	s_cmp_ge_u32 s3, s22
	s_cselect_b32 s3, -1, 0
	s_cmp_eq_u32 s13, s23
	s_wait_alu 0xfffe
	s_cselect_b32 s3, s3, s49
	s_wait_alu 0xfffe
	s_cmp_lg_u32 s3, 0
	s_cselect_b32 s23, s48, s51
	s_cselect_b32 s22, s33, s50
	s_xor_b64 s[20:21], s[24:25], s[20:21]
	s_delay_alu instid0(SALU_CYCLE_1) | instskip(NEXT) | instid1(SALU_CYCLE_1)
	s_xor_b64 s[22:23], s[22:23], s[20:21]
	s_sub_nc_u64 s[62:63], s[22:23], s[20:21]
	s_branch .LBB70_24
.LBB70_18:
                                        ; implicit-def: $sgpr14_sgpr15
	s_branch .LBB70_3
.LBB70_19:
                                        ; implicit-def: $sgpr16_sgpr17
	s_load_b128 s[28:31], s[0:1], 0x1d0
	s_branch .LBB70_6
.LBB70_20:
                                        ; implicit-def: $sgpr34_sgpr35
	s_branch .LBB70_9
.LBB70_21:
                                        ; implicit-def: $sgpr40_sgpr41
	s_load_b128 s[44:47], s[0:1], 0x370
	s_branch .LBB70_12
.LBB70_22:
                                        ; implicit-def: $sgpr56_sgpr57
	s_branch .LBB70_15
.LBB70_23:
	s_mov_b32 s2, -1
                                        ; implicit-def: $sgpr62_sgpr63
.LBB70_24:
	s_load_b64 s[20:21], s[0:1], 0x440
                                        ; implicit-def: $vgpr56 : SGPR spill to VGPR lane
	s_and_not1_b32 vcc_lo, exec_lo, s2
	s_wait_kmcnt 0x0
	v_writelane_b32 v56, s20, 0
	v_writelane_b32 v56, s21, 1
	s_load_b128 s[20:23], s[0:1], 0x430
	s_wait_kmcnt 0x0
	v_writelane_b32 v56, s20, 2
	v_writelane_b32 v56, s21, 3
	;; [unrolled: 1-line block ×4, first 2 shown]
	s_load_b64 s[20:21], s[0:1], 0x2a0
	s_wait_kmcnt 0x0
	v_writelane_b32 v56, s20, 6
	v_writelane_b32 v56, s21, 7
	s_load_b128 s[20:23], s[0:1], 0x290
	s_wait_kmcnt 0x0
	v_writelane_b32 v56, s20, 8
	v_writelane_b32 v56, s21, 9
	;; [unrolled: 1-line block ×4, first 2 shown]
	s_cbranch_vccnz .LBB70_26
; %bb.25:
	v_cvt_f32_u32_e32 v1, s44
	s_sub_co_i32 s3, 0, s44
	s_mov_b32 s63, 0
	s_delay_alu instid0(VALU_DEP_1) | instskip(NEXT) | instid1(TRANS32_DEP_1)
	v_rcp_iflag_f32_e32 v1, v1
	v_mul_f32_e32 v1, 0x4f7ffffe, v1
	s_delay_alu instid0(VALU_DEP_1) | instskip(NEXT) | instid1(VALU_DEP_1)
	v_cvt_u32_f32_e32 v1, v1
	v_readfirstlane_b32 s2, v1
	s_wait_alu 0xfffe
	s_mul_i32 s3, s3, s2
	s_wait_alu 0xfffe
	s_mul_hi_u32 s3, s2, s3
	s_wait_alu 0xfffe
	s_add_co_i32 s2, s2, s3
	s_wait_alu 0xfffe
	s_mul_hi_u32 s2, s56, s2
	s_wait_alu 0xfffe
	s_mul_i32 s3, s2, s44
	s_add_co_i32 s13, s2, 1
	s_wait_alu 0xfffe
	s_sub_co_i32 s3, s56, s3
	s_wait_alu 0xfffe
	s_sub_co_i32 s20, s3, s44
	s_cmp_ge_u32 s3, s44
	s_cselect_b32 s2, s13, s2
	s_wait_alu 0xfffe
	s_cselect_b32 s3, s20, s3
	s_add_co_i32 s13, s2, 1
	s_wait_alu 0xfffe
	s_cmp_ge_u32 s3, s44
	s_cselect_b32 s62, s13, s2
.LBB70_26:
	s_load_b64 s[22:23], s[0:1], 0x0
	v_cmp_eq_u32_e64 s2, 0, v0
	s_add_nc_u64 s[20:21], s[0:1], 0x500
	s_mov_b32 s25, 0
	s_and_saveexec_b32 s3, s2
	s_cbranch_execz .LBB70_28
; %bb.27:
	v_dual_mov_b32 v1, 0 :: v_dual_mov_b32 v4, s37
	s_delay_alu instid0(VALU_DEP_1)
	v_dual_mov_b32 v3, s36 :: v_dual_mov_b32 v2, v1
	ds_store_b32 v1, v1 offset:5136
	ds_store_b128 v1, v[1:4] offset:5120
.LBB70_28:
	s_wait_alu 0xfffe
	s_or_b32 exec_lo, exec_lo, s3
	s_clause 0x1
	s_load_b64 s[48:49], s[0:1], 0x360
	s_load_b64 s[0:1], s[0:1], 0x1c0
	v_lshlrev_b32_e32 v39, 3, v0
	v_mad_co_u64_u32 v[4:5], null, s42, v0, 0
	s_mul_u64 s[4:5], s[16:17], s[4:5]
	s_mul_u64 s[6:7], s[14:15], s[6:7]
	v_or_b32_e32 v10, 6, v39
	s_wait_alu 0xfffe
	s_sub_nc_u64 s[4:5], s[14:15], s[4:5]
	v_mbcnt_lo_u32_b32 v34, -1, 0
	v_cmp_gt_u32_e32 vcc_lo, 32, v0
	v_dual_mov_b32 v3, 0 :: v_dual_lshlrev_b32 v16, 2, v0
	v_mad_co_u64_u32 v[21:22], null, s42, v10, 0
	v_lshlrev_b32_e32 v35, 1, v0
	v_mov_b32_e32 v1, v5
	v_lshlrev_b64_e64 v[8:9], v34, -1
	s_wait_dscnt 0x0
	s_barrier_signal -1
	s_wait_kmcnt 0x0
	v_writelane_b32 v56, s48, 12
	v_add_nc_u32_e32 v36, 0xc00, v35
	v_mad_co_u64_u32 v[1:2], null, s43, v0, v[1:2]
	v_add_nc_u32_e32 v2, 2, v0
	v_writelane_b32 v56, s49, 13
	v_not_b32_e32 v37, v8
	v_not_b32_e32 v8, v0
	s_barrier_wait -1
	global_inv scope:SCOPE_SE
	v_writelane_b32 v56, s0, 14
	v_mov_b32_e32 v5, v1
	v_or_b32_e32 v12, 4, v39
	v_or_b32_e32 v13, 2, v39
	v_cmp_lt_i64_e64 s100, 0x600, s[36:37]
	v_writelane_b32 v56, s1, 15
	s_wait_alu 0xfffe
	s_mul_u64 s[0:1], s[4:5], s[10:11]
	s_mul_u64 s[4:5], s[16:17], s[8:9]
	v_lshlrev_b64_e32 v[6:7], 1, v[4:5]
	s_wait_alu 0xfffe
	s_lshl_b64 s[8:9], s[4:5], 1
	s_sub_nc_u64 s[4:5], s[26:27], s[6:7]
	s_wait_alu 0xfffe
	s_add_nc_u64 s[10:11], s[22:23], s[8:9]
	s_lshl_b64 s[6:7], s[0:1], 1
	s_mul_u64 s[0:1], s[4:5], s[18:19]
	s_wait_alu 0xfffe
	s_add_nc_u64 s[4:5], s[10:11], s[6:7]
	s_lshl_b64 s[10:11], s[0:1], 1
	v_cmp_gt_i32_e64 s0, 4, v34
	s_wait_alu 0xfffe
	s_add_nc_u64 s[72:73], s[4:5], s[10:11]
	s_load_b32 s4, s[20:21], 0xc
	v_mad_co_u64_u32 v[23:24], null, s42, v12, 0
	s_and_b32 s33, vcc_lo, s0
	v_add_co_u32 v14, vcc_lo, s72, v6
	s_delay_alu instid0(VALU_DEP_1)
	v_add_co_ci_u32_e64 v15, null, s73, v7, vcc_lo
	v_cmp_gt_i64_e32 vcc_lo, s[36:37], v[2:3]
	v_mad_co_u64_u32 v[25:26], null, s42, v13, 0
	v_mov_b32_e32 v17, v3
	s_add_nc_u64 s[8:9], s[8:9], s[10:11]
	s_mov_b32 s69, s25
	s_wait_alu 0xfffd
	v_cndmask_b32_e64 v2, v2, s36, vcc_lo
	v_cndmask_b32_e64 v9, 0, s37, vcc_lo
	s_wait_alu 0xfffe
	s_add_nc_u64 s[6:7], s[8:9], s[6:7]
	v_cmp_eq_u32_e64 s1, 0, v34
	s_wait_alu 0xfffe
	s_add_nc_u64 s[78:79], s[22:23], s[6:7]
	v_add_co_u32 v8, vcc_lo, v2, v8
	v_mov_b32_e32 v1, v3
	s_wait_alu 0xfffd
	v_add_co_ci_u32_e64 v9, null, -1, v9, vcc_lo
	s_delay_alu instid0(VALU_DEP_3)
	v_and_b32_e32 v18, -2, v8
	s_wait_kmcnt 0x0
	s_and_b32 s68, s4, 0xffff
	s_bfe_u32 s13, s4, 0xb0005
	s_cmp_gt_u32 s68, 31
	s_movk_i32 s4, 0x3e0
	v_add_co_u32 v20, vcc_lo, v18, v0
	s_wait_alu 0xfffd
	v_add_co_ci_u32_e64 v2, null, 0, v9, vcc_lo
	v_mov_b32_e32 v2, v22
	s_cselect_b32 s101, -1, 0
	s_cmp_lt_u32 ttmp9, s12
	s_wait_alu 0xfffe
	v_and_or_b32 v38, v0, s4, 0xc00
	s_cselect_b32 s24, 12, 18
	v_mad_co_u64_u32 v[10:11], null, s43, v10, v[2:3]
	v_mov_b32_e32 v19, v9
	s_add_co_i32 s5, s13, -1
	s_bfe_u32 s104, s68, 0x30005
	s_wait_alu 0xfffe
	s_and_b32 s5, s5, 0xffff
	v_cmp_lt_u64_e64 s4, 1, v[8:9]
	s_wait_alu 0xfffe
	s_cmp_gt_u32 s5, 6
	v_mov_b32_e32 v22, v10
	v_cmp_ne_u64_e64 s5, v[8:9], v[18:19]
	v_dual_mov_b32 v8, v24 :: v_dual_mov_b32 v9, v26
	v_mov_b32_e32 v28, s38
	s_cselect_b32 vcc_hi, -1, 0
	s_and_b32 s58, s13, 0x7f8
	s_cmp_lg_u32 s104, 0
	v_mad_co_u64_u32 v[11:12], null, s43, v12, v[8:9]
	v_mad_co_u64_u32 v[8:9], null, s43, v13, v[9:10]
	s_cselect_b32 s59, -1, 0
	s_lshl_b64 s[80:81], s[42:43], 1
	v_add_co_u32 v42, s6, s36, v0
	v_mul_lo_u32 v45, 0, s80
	v_add_co_u32 v12, vcc_lo, s78, v6
	v_cmp_gt_i64_e64 s0, s[36:37], v[0:1]
	v_lshlrev_b64_e32 v[26:27], 3, v[4:5]
	v_cmp_gt_u32_e64 s3, 2, v0
	v_dual_mov_b32 v40, v11 :: v_dual_mov_b32 v41, v8
	v_mov_b32_e32 v46, 0x8000
	s_wait_alu 0xf1ff
	v_add_co_ci_u32_e64 v43, null, s37, 0, s6
	v_lshl_or_b32 v44, v34, 3, 0xc00
	s_wait_alu 0xfffd
	v_add_co_ci_u32_e64 v13, null, s79, v7, vcc_lo
	v_dual_mov_b32 v29, s39 :: v_dual_mov_b32 v48, 0
	v_dual_mov_b32 v24, 0 :: v_dual_mov_b32 v47, 0
	s_add_nc_u64 s[74:75], s[68:69], -1
	s_mul_u64 s[6:7], s[42:43], s[68:69]
	s_add_nc_u64 s[76:77], s[74:75], s[36:37]
	s_mov_b32 s102, s42
	s_mov_b32 s103, s43
	s_lshl_b64 s[82:83], s[42:43], 3
	s_wait_alu 0xfffe
	s_lshl_b64 s[70:71], s[6:7], 1
	s_lshl_b32 s60, s68, 1
	s_mov_b32 s64, 14
	s_movk_i32 s61, 0x3f80
	s_add_nc_u64 s[38:39], s[20:21], s[24:25]
	s_mov_b32 s65, 0
	s_mov_b32 s66, 0
                                        ; implicit-def: $sgpr50
                                        ; implicit-def: $sgpr52
                                        ; implicit-def: $sgpr67
                                        ; implicit-def: $sgpr49
                                        ; implicit-def: $sgpr51
                                        ; implicit-def: $sgpr48
	s_branch .LBB70_32
.LBB70_29:                              ;   in Loop: Header=BB70_32 Depth=1
	s_wait_alu 0xfffe
	s_or_b32 exec_lo, exec_lo, s9
	s_delay_alu instid0(SALU_CYCLE_1)
	s_and_b32 s7, s7, exec_lo
	s_and_not1_b32 s22, s22, exec_lo
	s_and_not1_b32 s21, s21, exec_lo
	s_or_not1_b32 s18, s8, exec_lo
.LBB70_30:                              ;   in Loop: Header=BB70_32 Depth=1
	s_wait_alu 0xfffe
	s_or_b32 exec_lo, exec_lo, s6
	s_delay_alu instid0(SALU_CYCLE_1)
	s_and_not1_b32 s6, s48, exec_lo
	s_and_b32 s7, s7, exec_lo
	s_and_not1_b32 s8, s49, exec_lo
	s_wait_alu 0xfffe
	s_or_b32 s48, s6, s7
	s_and_not1_b32 s6, s51, exec_lo
	s_and_b32 s7, s22, exec_lo
	s_and_b32 s9, s21, exec_lo
	s_wait_alu 0xfffe
	s_or_b32 s51, s6, s7
	s_or_b32 s49, s8, s9
	s_or_not1_b32 s18, s18, exec_lo
.LBB70_31:                              ;   in Loop: Header=BB70_32 Depth=1
	s_wait_alu 0xfffe
	s_or_b32 exec_lo, exec_lo, s17
	s_delay_alu instid0(SALU_CYCLE_1)
	s_and_b32 s6, exec_lo, s18
	v_dual_mov_b32 v29, v9 :: v_dual_mov_b32 v28, v8
	s_wait_alu 0xfffe
	s_or_b32 s65, s6, s65
	s_and_not1_b32 s6, s67, exec_lo
	s_and_b32 s7, s48, exec_lo
	s_and_not1_b32 s8, s52, exec_lo
	s_wait_alu 0xfffe
	s_or_b32 s67, s6, s7
	s_and_b32 s6, s51, exec_lo
	s_and_not1_b32 s7, s50, exec_lo
	s_and_b32 s9, s49, exec_lo
	s_wait_alu 0xfffe
	s_or_b32 s52, s8, s6
	s_or_b32 s50, s7, s9
	s_and_not1_b32 exec_lo, exec_lo, s65
	s_cbranch_execz .LBB70_294
.LBB70_32:                              ; =>This Loop Header: Depth=1
                                        ;     Child Loop BB70_37 Depth 2
                                        ;     Child Loop BB70_51 Depth 2
	;; [unrolled: 1-line block ×17, first 2 shown]
	ds_load_b128 v[4:7], v3 offset:5120
	s_wait_dscnt 0x0
	v_readfirstlane_b32 s85, v5
	v_readfirstlane_b32 s84, v4
	s_wait_alu 0xf1ff
	s_delay_alu instid0(VALU_DEP_1)
	v_cmp_gt_i64_e64 s6, s[84:85], 0
	s_and_b32 vcc_lo, exec_lo, s6
	s_wait_alu 0xfffe
	s_cbranch_vccnz .LBB70_64
; %bb.33:                               ;   in Loop: Header=BB70_32 Depth=1
	s_and_b32 vcc_lo, exec_lo, s100
	s_wait_alu 0xfffe
	s_cbranch_vccz .LBB70_45
; %bb.34:                               ;   in Loop: Header=BB70_32 Depth=1
	v_cmp_gt_i64_e32 vcc_lo, 0x601, v[6:7]
	s_mov_b32 s8, 0
	s_mov_b32 s6, 0
	s_cbranch_vccz .LBB70_46
; %bb.35:                               ;   in Loop: Header=BB70_32 Depth=1
	global_load_u16 v2, v3, s[38:39]
	global_load_u16 v8, v[14:15], off
	s_mov_b32 s9, 0
	s_wait_loadcnt 0x1
	v_and_b32_e32 v2, 0xffff, v2
	s_delay_alu instid0(VALU_DEP_1) | instskip(SKIP_3) | instid1(VALU_DEP_3)
	v_add_co_u32 v4, s6, v0, v2
	s_wait_alu 0xf1fe
	v_add_co_ci_u32_e64 v5, null, 0, 0, s6
	v_mul_lo_u32 v6, v2, s81
	v_mul_lo_u32 v10, s81, v4
	v_mul_hi_u32 v11, v2, s80
	s_delay_alu instid0(VALU_DEP_4) | instskip(SKIP_2) | instid1(VALU_DEP_2)
	v_mul_lo_u32 v7, s80, v5
	v_mad_co_u64_u32 v[4:5], null, s80, v4, s[78:79]
	v_add_nc_u32_e32 v6, v6, v45
	v_add3_u32 v5, v10, v5, v7
	s_delay_alu instid0(VALU_DEP_2)
	v_dual_mov_b32 v7, v1 :: v_dual_add_nc_u32 v10, v6, v11
	v_mul_lo_u32 v9, v2, s80
	v_mov_b32_e32 v6, v0
	s_branch .LBB70_37
.LBB70_36:                              ;   in Loop: Header=BB70_37 Depth=2
	s_wait_alu 0xfffe
	s_or_b32 exec_lo, exec_lo, s7
	v_add_co_u32 v4, vcc_lo, v4, v9
	s_wait_alu 0xfffd
	v_add_co_ci_u32_e64 v5, null, v5, v10, vcc_lo
	v_mov_b32_e32 v8, v11
	s_and_not1_b32 exec_lo, exec_lo, s9
	s_cbranch_execz .LBB70_98
.LBB70_37:                              ;   Parent Loop BB70_32 Depth=1
                                        ; =>  This Inner Loop Header: Depth=2
	s_delay_alu instid0(VALU_DEP_1)
	v_add_co_u32 v6, vcc_lo, v6, v2
	s_wait_alu 0xfffd
	v_add_co_ci_u32_e64 v7, null, 0, v7, vcc_lo
	s_wait_dscnt 0x0
	v_dual_mov_b32 v30, 0 :: v_dual_mov_b32 v11, 0
	s_mov_b32 s7, exec_lo
	s_delay_alu instid0(VALU_DEP_2)
	v_cmp_le_i64_e32 vcc_lo, s[36:37], v[6:7]
	v_cmpx_gt_i64_e64 s[36:37], v[6:7]
	s_cbranch_execz .LBB70_39
; %bb.38:                               ;   in Loop: Header=BB70_37 Depth=2
	global_load_u16 v11, v[4:5], off
.LBB70_39:                              ;   in Loop: Header=BB70_37 Depth=2
	s_wait_alu 0xfffe
	s_or_b32 exec_lo, exec_lo, s7
	s_wait_loadcnt 0x0
	v_cmp_lt_i16_e64 s6, -1, v8
	v_and_b32_e32 v31, 0xffff, v8
	v_lshlrev_b32_e32 v33, 16, v8
	s_wait_alu 0xf1ff
	s_delay_alu instid0(VALU_DEP_3) | instskip(NEXT) | instid1(VALU_DEP_2)
	v_cndmask_b32_e64 v32, 0xffff, v46, s6
	v_cmp_o_f32_e64 s6, v33, v33
	s_delay_alu instid0(VALU_DEP_2) | instskip(SKIP_1) | instid1(VALU_DEP_1)
	v_xor_b32_e32 v31, v32, v31
	s_wait_alu 0xf1ff
	v_cndmask_b32_e64 v31, 0xffff, v31, s6
	s_delay_alu instid0(VALU_DEP_1) | instskip(NEXT) | instid1(VALU_DEP_1)
	v_and_b32_e32 v31, v31, v47
	v_cmp_eq_u32_e64 s6, v31, v24
	s_cmp_lg_u32 s6, 0
	s_cselect_b32 s7, -1, 0
	s_wait_alu 0xfffe
	s_and_b32 s7, s1, s7
	s_wait_alu 0xfffe
	s_and_saveexec_b32 s10, s7
	s_cbranch_execz .LBB70_43
; %bb.40:                               ;   in Loop: Header=BB70_37 Depth=2
	s_mov_b32 s13, exec_lo
	s_bcnt1_i32_b32 s11, s6
	s_wait_alu 0xfffe
	v_mbcnt_lo_u32_b32 v30, s13, 0
	s_mov_b32 s12, exec_lo
                                        ; implicit-def: $vgpr31
	s_delay_alu instid0(VALU_DEP_1)
	v_cmpx_eq_u32_e32 0, v30
; %bb.41:                               ;   in Loop: Header=BB70_37 Depth=2
	s_bcnt1_i32_b32 s7, s13
	s_wait_alu 0xfffe
	s_mul_i32 s7, s11, s7
	s_wait_alu 0xfffe
	v_mov_b32_e32 v31, s7
	ds_add_rtn_u32 v31, v3, v31 offset:5136
; %bb.42:                               ;   in Loop: Header=BB70_37 Depth=2
	s_or_b32 exec_lo, exec_lo, s12
	s_wait_dscnt 0x0
	v_readfirstlane_b32 s7, v31
	s_wait_alu 0xf1ff
	s_delay_alu instid0(VALU_DEP_1)
	v_mad_u32_u24 v30, s11, v30, s7
.LBB70_43:                              ;   in Loop: Header=BB70_37 Depth=2
	s_wait_alu 0xfffe
	s_or_b32 exec_lo, exec_lo, s10
	ds_bpermute_b32 v30, v3, v30
	s_and_b32 s7, exec_lo, vcc_lo
	s_wait_alu 0xfffe
	s_or_b32 s9, s7, s9
	s_and_saveexec_b32 s7, s6
	s_cbranch_execz .LBB70_36
; %bb.44:                               ;   in Loop: Header=BB70_37 Depth=2
	v_and_b32_e32 v31, s6, v37
	s_delay_alu instid0(VALU_DEP_1) | instskip(NEXT) | instid1(VALU_DEP_1)
	v_bcnt_u32_b32 v31, v31, 0
	v_lshlrev_b32_e32 v31, 1, v31
	s_wait_dscnt 0x0
	s_delay_alu instid0(VALU_DEP_1)
	v_lshl_add_u32 v30, v30, 1, v31
	ds_store_b16 v30, v8
	s_branch .LBB70_36
.LBB70_45:                              ;   in Loop: Header=BB70_32 Depth=1
	s_mov_b32 s8, -1
	s_mov_b32 s6, 0
.LBB70_46:                              ;   in Loop: Header=BB70_32 Depth=1
	s_wait_alu 0xfffe
	s_and_b32 vcc_lo, exec_lo, s8
	s_wait_alu 0xfffe
	s_cbranch_vccz .LBB70_62
.LBB70_47:                              ;   in Loop: Header=BB70_32 Depth=1
	s_and_saveexec_b32 s7, s0
	s_cbranch_execz .LBB70_59
; %bb.48:                               ;   in Loop: Header=BB70_32 Depth=1
	global_load_u16 v4, v3, s[38:39]
	global_load_u16 v30, v[14:15], off
	v_mov_b32_e32 v6, v0
	s_mov_b32 s12, exec_lo
	s_wait_loadcnt 0x1
	v_and_b32_e32 v2, 0xffff, v4
	v_readfirstlane_b32 s6, v4
	s_delay_alu instid0(VALU_DEP_2) | instskip(NEXT) | instid1(VALU_DEP_1)
	v_add_nc_u32_e32 v2, v2, v0
	v_cmpx_gt_i64_e64 s[36:37], v[2:3]
	s_cbranch_execz .LBB70_58
; %bb.49:                               ;   in Loop: Header=BB70_32 Depth=1
	s_and_b32 s24, s6, 0xffff
	v_dual_mov_b32 v9, v1 :: v_dual_mov_b32 v8, v0
	s_wait_alu 0xfffe
	s_cmp_eq_u32 s24, 1
	v_dual_mov_b32 v5, v3 :: v_dual_mov_b32 v4, v2
	s_cselect_b32 s6, -1, 0
                                        ; implicit-def: $vgpr6_vgpr7
	s_wait_alu 0xfffe
	s_and_b32 s9, s4, s6
	s_mov_b32 s6, -1
	s_wait_alu 0xfffe
	s_and_saveexec_b32 s8, s9
	s_cbranch_execz .LBB70_53
; %bb.50:                               ;   in Loop: Header=BB70_32 Depth=1
	v_add_co_u32 v4, s6, v2, 1
	s_wait_alu 0xf1ff
	v_add_co_ci_u32_e64 v5, null, 0, 0, s6
	s_wait_loadcnt 0x0
	v_dual_mov_b32 v8, v18 :: v_dual_lshlrev_b32 v11, 16, v30
	v_dual_mov_b32 v9, v19 :: v_dual_mov_b32 v10, v35
	s_delay_alu instid0(VALU_DEP_3)
	v_mov_b32_e32 v7, v5
	v_dual_mov_b32 v6, v4 :: v_dual_mov_b32 v5, v3
	v_mov_b32_e32 v4, v2
	s_mov_b32 s9, 0
.LBB70_51:                              ;   Parent Loop BB70_32 Depth=1
                                        ; =>  This Inner Loop Header: Depth=2
	s_delay_alu instid0(VALU_DEP_2) | instskip(NEXT) | instid1(VALU_DEP_2)
	v_mul_lo_u32 v49, v5, s102
	v_mul_lo_u32 v50, v4, s103
	v_mad_co_u64_u32 v[30:31], null, v4, s102, 0
	v_mul_lo_u32 v51, v7, s42
	v_mul_lo_u32 v52, v6, s43
	v_mad_co_u64_u32 v[32:33], null, v6, s42, 0
	s_delay_alu instid0(VALU_DEP_4) | instskip(NEXT) | instid1(VALU_DEP_2)
	v_add3_u32 v31, v31, v50, v49
	v_add3_u32 v33, v33, v52, v51
	s_delay_alu instid0(VALU_DEP_2) | instskip(NEXT) | instid1(VALU_DEP_2)
	v_lshlrev_b64_e32 v[30:31], 1, v[30:31]
	v_lshlrev_b64_e32 v[32:33], 1, v[32:33]
	s_delay_alu instid0(VALU_DEP_2) | instskip(SKIP_1) | instid1(VALU_DEP_3)
	v_add_co_u32 v30, vcc_lo, s72, v30
	s_wait_alu 0xfffd
	v_add_co_ci_u32_e64 v31, null, s73, v31, vcc_lo
	s_delay_alu instid0(VALU_DEP_3)
	v_add_co_u32 v32, vcc_lo, s72, v32
	s_wait_alu 0xfffd
	v_add_co_ci_u32_e64 v33, null, s73, v33, vcc_lo
	s_clause 0x1
	global_load_u16 v31, v[30:31], off
	global_load_u16 v30, v[32:33], off
	v_add_co_u32 v8, vcc_lo, v8, -2
	s_wait_alu 0xfffd
	v_add_co_ci_u32_e64 v9, null, -1, v9, vcc_lo
	v_add_co_u32 v6, vcc_lo, v6, 2
	s_wait_alu 0xfffd
	v_add_co_ci_u32_e64 v7, null, 0, v7, vcc_lo
	s_delay_alu instid0(VALU_DEP_3) | instskip(SKIP_4) | instid1(VALU_DEP_3)
	v_cmp_eq_u64_e64 s6, 0, v[8:9]
	v_add_co_u32 v4, vcc_lo, v4, 2
	s_wait_alu 0xfffd
	v_add_co_ci_u32_e64 v5, null, 0, v5, vcc_lo
	s_wait_alu 0xfffe
	s_or_b32 s9, s6, s9
	s_wait_loadcnt 0x1
	v_alignbit_b32 v11, v31, v11, 16
	s_wait_loadcnt 0x0
	v_perm_b32 v31, v30, v31, 0x5040100
	ds_store_b32 v10, v11
	v_dual_mov_b32 v11, v31 :: v_dual_add_nc_u32 v10, 4, v10
	s_wait_alu 0xfffe
	s_and_not1_b32 exec_lo, exec_lo, s9
	s_cbranch_execnz .LBB70_51
; %bb.52:                               ;   in Loop: Header=BB70_32 Depth=1
	s_or_b32 exec_lo, exec_lo, s9
	v_add_co_u32 v4, vcc_lo, v2, v18
	s_wait_alu 0xfffd
	v_add_co_ci_u32_e64 v5, null, 0, v19, vcc_lo
	v_dual_mov_b32 v8, v20 :: v_dual_mov_b32 v9, v21
	s_delay_alu instid0(VALU_DEP_3)
	v_add_co_u32 v6, vcc_lo, v4, -1
	s_or_not1_b32 s6, s5, exec_lo
	s_wait_alu 0xfffd
	v_add_co_ci_u32_e64 v2, null, -1, v5, vcc_lo
.LBB70_53:                              ;   in Loop: Header=BB70_32 Depth=1
	s_wait_alu 0xfffe
	s_or_b32 exec_lo, exec_lo, s8
	s_and_saveexec_b32 s13, s6
	s_cbranch_execz .LBB70_57
; %bb.54:                               ;   in Loop: Header=BB70_32 Depth=1
	v_mad_co_u64_u32 v[10:11], null, s80, v4, s[78:79]
	v_mul_lo_u32 v2, s80, v5
	v_mul_lo_u32 v6, s81, v4
	s_sub_nc_u64 s[8:9], 0, s[24:25]
	s_mul_u64 s[10:11], s[80:81], s[24:25]
	s_mov_b32 s14, 0
	s_delay_alu instid0(VALU_DEP_1)
	v_add3_u32 v11, v6, v11, v2
.LBB70_55:                              ;   Parent Loop BB70_32 Depth=1
                                        ; =>  This Inner Loop Header: Depth=2
	s_wait_loadcnt 0x0
	v_mov_b32_e32 v2, v30
	global_load_u16 v30, v[10:11], off
	v_dual_mov_b32 v32, v5 :: v_dual_lshlrev_b32 v7, 1, v8
	v_mov_b32_e32 v31, v4
	ds_store_b16 v7, v2
	v_add_co_u32 v4, vcc_lo, v31, s24
	s_wait_alu 0xfffd
	v_add_co_ci_u32_e64 v5, null, 0, v32, vcc_lo
	s_wait_alu 0xfffe
	v_add_co_u32 v10, vcc_lo, v10, s10
	s_wait_alu 0xfffd
	v_add_co_ci_u32_e64 v11, null, s11, v11, vcc_lo
	v_cmp_le_i64_e32 vcc_lo, s[36:37], v[4:5]
	v_add_co_u32 v6, s6, s8, v4
	s_wait_alu 0xf1ff
	v_add_co_ci_u32_e64 v8, null, s9, v5, s6
	v_dual_mov_b32 v8, v31 :: v_dual_mov_b32 v9, v32
	s_or_b32 s14, vcc_lo, s14
	s_wait_alu 0xfffe
	s_and_not1_b32 exec_lo, exec_lo, s14
	s_cbranch_execnz .LBB70_55
; %bb.56:                               ;   in Loop: Header=BB70_32 Depth=1
	s_or_b32 exec_lo, exec_lo, s14
.LBB70_57:                              ;   in Loop: Header=BB70_32 Depth=1
	s_wait_alu 0xfffe
	s_or_b32 exec_lo, exec_lo, s13
.LBB70_58:                              ;   in Loop: Header=BB70_32 Depth=1
	s_wait_alu 0xfffe
	s_or_b32 exec_lo, exec_lo, s12
	v_lshlrev_b32_e32 v2, 1, v6
	s_wait_loadcnt 0x0
	ds_store_b16 v2, v30
.LBB70_59:                              ;   in Loop: Header=BB70_32 Depth=1
	s_wait_alu 0xfffe
	s_or_b32 exec_lo, exec_lo, s7
	s_wait_loadcnt_dscnt 0x0
	s_barrier_signal -1
	s_barrier_wait -1
	global_inv scope:SCOPE_SE
	s_and_saveexec_b32 s6, s2
; %bb.60:                               ;   in Loop: Header=BB70_32 Depth=1
	v_dual_mov_b32 v4, s36 :: v_dual_mov_b32 v5, s37
	ds_store_b64 v3, v[4:5] offset:5120
; %bb.61:                               ;   in Loop: Header=BB70_32 Depth=1
	s_wait_alu 0xfffe
	s_or_b32 exec_lo, exec_lo, s6
	s_mov_b32 s6, -1
	s_wait_loadcnt_dscnt 0x0
	s_barrier_signal -1
	s_barrier_wait -1
.LBB70_62:                              ;   in Loop: Header=BB70_32 Depth=1
	s_wait_alu 0xfffe
	s_and_b32 vcc_lo, exec_lo, s6
	s_wait_alu 0xfffe
	s_cbranch_vccz .LBB70_64
; %bb.63:                               ;   in Loop: Header=BB70_32 Depth=1
	s_wait_loadcnt 0x0
	global_inv scope:SCOPE_SE
	ds_load_b64 v[4:5], v3 offset:5120
	s_wait_dscnt 0x0
	v_readfirstlane_b32 s84, v4
.LBB70_64:                              ;   in Loop: Header=BB70_32 Depth=1
	s_delay_alu instid0(VALU_DEP_1)
	s_cmp_lt_i32 s84, 1
	s_mov_b32 s6, -1
                                        ; implicit-def: $vgpr4_vgpr5
                                        ; implicit-def: $vgpr8_vgpr9
	s_cbranch_scc1 .LBB70_74
; %bb.65:                               ;   in Loop: Header=BB70_32 Depth=1
	s_wait_alu 0xfffe
	s_and_b32 vcc_lo, exec_lo, s6
	s_wait_alu 0xfffe
	s_cbranch_vccnz .LBB70_88
.LBB70_66:                              ;   in Loop: Header=BB70_32 Depth=1
	s_lshl_b32 s6, s66, 7
	s_and_saveexec_b32 s7, s1
	s_cbranch_execz .LBB70_68
.LBB70_67:                              ;   in Loop: Header=BB70_32 Depth=1
	s_wait_alu 0xfffe
	v_lshl_add_u32 v2, s6, 3, v38
	ds_store_b128 v2, v[4:7]
	ds_store_b128 v2, v[8:11] offset:16
.LBB70_68:                              ;   in Loop: Header=BB70_32 Depth=1
	s_wait_alu 0xfffe
	s_or_b32 exec_lo, exec_lo, s7
	s_wait_loadcnt_dscnt 0x0
	s_barrier_signal -1
	s_barrier_wait -1
	global_inv scope:SCOPE_SE
	s_and_saveexec_b32 s7, s33
	s_cbranch_execz .LBB70_105
; %bb.69:                               ;   in Loop: Header=BB70_32 Depth=1
	v_mov_b32_e32 v4, 0
	v_mov_b32_e32 v5, 0
	s_and_not1_b32 vcc_lo, exec_lo, s101
	s_wait_alu 0xfffe
	s_cbranch_vccnz .LBB70_104
; %bb.70:                               ;   in Loop: Header=BB70_32 Depth=1
	v_mov_b32_e32 v4, 0
	v_mov_b32_e32 v5, 0
	s_and_not1_b32 vcc_lo, exec_lo, vcc_hi
	s_wait_alu 0xfffe
	s_cbranch_vccnz .LBB70_101
; %bb.71:                               ;   in Loop: Header=BB70_32 Depth=1
	v_lshl_add_u32 v2, s66, 10, v44
	s_mov_b32 s8, 0
.LBB70_72:                              ;   Parent Loop BB70_32 Depth=1
                                        ; =>  This Inner Loop Header: Depth=2
	ds_load_2addr_b64 v[6:9], v2 offset1:4
	ds_load_2addr_b64 v[30:33], v2 offset0:8 offset1:12
	ds_load_2addr_b64 v[49:52], v2 offset0:16 offset1:20
	s_wait_alu 0xfffe
	s_add_co_i32 s8, s8, 8
	s_wait_alu 0xfffe
	s_cmp_eq_u32 s58, s8
	s_wait_dscnt 0x2
	v_add_co_u32 v4, vcc_lo, v6, v4
	s_wait_alu 0xfffd
	v_add_co_ci_u32_e64 v5, null, v7, v5, vcc_lo
	s_delay_alu instid0(VALU_DEP_2) | instskip(SKIP_1) | instid1(VALU_DEP_2)
	v_add_co_u32 v8, vcc_lo, v8, v4
	s_wait_alu 0xfffd
	v_add_co_ci_u32_e64 v9, null, v9, v5, vcc_lo
	ds_load_2addr_b64 v[4:7], v2 offset0:24 offset1:28
	s_wait_dscnt 0x2
	v_add_co_u32 v8, vcc_lo, v30, v8
	s_wait_alu 0xfffd
	v_add_co_ci_u32_e64 v9, null, v31, v9, vcc_lo
	v_add_nc_u32_e32 v2, 0x100, v2
	s_delay_alu instid0(VALU_DEP_3) | instskip(SKIP_1) | instid1(VALU_DEP_3)
	v_add_co_u32 v8, vcc_lo, v32, v8
	s_wait_alu 0xfffd
	v_add_co_ci_u32_e64 v9, null, v33, v9, vcc_lo
	s_wait_dscnt 0x1
	s_delay_alu instid0(VALU_DEP_2) | instskip(SKIP_1) | instid1(VALU_DEP_2)
	v_add_co_u32 v8, vcc_lo, v49, v8
	s_wait_alu 0xfffd
	v_add_co_ci_u32_e64 v9, null, v50, v9, vcc_lo
	s_delay_alu instid0(VALU_DEP_2) | instskip(SKIP_1) | instid1(VALU_DEP_2)
	v_add_co_u32 v8, vcc_lo, v51, v8
	s_wait_alu 0xfffd
	v_add_co_ci_u32_e64 v9, null, v52, v9, vcc_lo
	s_wait_dscnt 0x0
	s_delay_alu instid0(VALU_DEP_2) | instskip(SKIP_1) | instid1(VALU_DEP_2)
	v_add_co_u32 v4, vcc_lo, v4, v8
	s_wait_alu 0xfffd
	v_add_co_ci_u32_e64 v5, null, v5, v9, vcc_lo
	s_delay_alu instid0(VALU_DEP_2) | instskip(SKIP_1) | instid1(VALU_DEP_2)
	v_add_co_u32 v4, vcc_lo, v6, v4
	s_wait_alu 0xfffd
	v_add_co_ci_u32_e64 v5, null, v7, v5, vcc_lo
	s_cbranch_scc0 .LBB70_72
; %bb.73:                               ;   in Loop: Header=BB70_32 Depth=1
	s_mov_b32 s8, s58
	s_and_not1_b32 vcc_lo, exec_lo, s59
	s_wait_alu 0xfffe
	s_cbranch_vccz .LBB70_102
	s_branch .LBB70_104
.LBB70_74:                              ;   in Loop: Header=BB70_32 Depth=1
	global_load_u16 v2, v3, s[38:39]
	s_mov_b32 s7, s37
	s_wait_loadcnt 0x0
	v_readfirstlane_b32 s6, v2
	s_wait_alu 0xfffe
	s_and_b32 s8, 0xffff, s6
	s_mov_b32 s6, s25
	s_wait_alu 0xfffe
	s_lshl_b32 s86, s8, 2
	s_cmp_lg_u64 s[6:7], 0
	s_cbranch_scc0 .LBB70_97
; %bb.75:                               ;   in Loop: Header=BB70_32 Depth=1
	s_mov_b32 s87, s25
	s_wait_alu 0xfffe
	s_add_nc_u64 s[6:7], s[86:87], 0
	s_wait_alu 0xfffe
	s_xor_b64 s[6:7], s[6:7], 0
	s_wait_alu 0xfffe
	s_cvt_f32_u32 s8, s6
	s_cvt_f32_u32 s9, s7
	s_sub_nc_u64 s[10:11], 0, s[6:7]
	s_wait_alu 0xfffe
	s_delay_alu instid0(SALU_CYCLE_1) | instskip(SKIP_1) | instid1(SALU_CYCLE_2)
	s_fmamk_f32 s8, s9, 0x4f800000, s8
	s_wait_alu 0xfffe
	v_s_rcp_f32 s8, s8
	s_delay_alu instid0(TRANS32_DEP_1) | instskip(SKIP_1) | instid1(SALU_CYCLE_2)
	s_mul_f32 s8, s8, 0x5f7ffffc
	s_wait_alu 0xfffe
	s_mul_f32 s9, s8, 0x2f800000
	s_wait_alu 0xfffe
	s_delay_alu instid0(SALU_CYCLE_2) | instskip(SKIP_1) | instid1(SALU_CYCLE_2)
	s_trunc_f32 s9, s9
	s_wait_alu 0xfffe
	s_fmamk_f32 s8, s9, 0xcf800000, s8
	s_cvt_u32_f32 s9, s9
	s_wait_alu 0xfffe
	s_delay_alu instid0(SALU_CYCLE_1) | instskip(SKIP_1) | instid1(SALU_CYCLE_2)
	s_cvt_u32_f32 s8, s8
	s_wait_alu 0xfffe
	s_mul_u64 s[12:13], s[10:11], s[8:9]
	s_wait_alu 0xfffe
	s_mul_hi_u32 s15, s8, s13
	s_mul_i32 s14, s8, s13
	s_mul_hi_u32 s24, s8, s12
	s_mul_i32 s17, s9, s12
	s_wait_alu 0xfffe
	s_add_nc_u64 s[14:15], s[24:25], s[14:15]
	s_mul_hi_u32 s16, s9, s12
	s_mul_hi_u32 s18, s9, s13
	s_mul_i32 s12, s9, s13
	s_wait_alu 0xfffe
	s_add_co_u32 s13, s14, s17
	s_add_co_ci_u32 s24, s15, s16
	s_add_co_ci_u32 s13, s18, 0
	s_wait_alu 0xfffe
	s_add_nc_u64 s[12:13], s[24:25], s[12:13]
	s_wait_alu 0xfffe
	s_add_co_u32 s8, s8, s12
	s_cselect_b32 s12, -1, 0
	s_wait_alu 0xfffe
	s_cmp_lg_u32 s12, 0
	s_add_co_ci_u32 s9, s9, s13
	s_wait_alu 0xfffe
	s_mul_u64 s[10:11], s[10:11], s[8:9]
	s_wait_alu 0xfffe
	s_mul_hi_u32 s13, s8, s11
	s_mul_i32 s12, s8, s11
	s_mul_hi_u32 s24, s8, s10
	s_mul_i32 s15, s9, s10
	s_wait_alu 0xfffe
	s_add_nc_u64 s[12:13], s[24:25], s[12:13]
	s_mul_hi_u32 s14, s9, s10
	s_mul_hi_u32 s16, s9, s11
	s_mul_i32 s10, s9, s11
	s_wait_alu 0xfffe
	s_add_co_u32 s11, s12, s15
	s_add_co_ci_u32 s24, s13, s14
	s_add_co_ci_u32 s11, s16, 0
	s_wait_alu 0xfffe
	s_add_nc_u64 s[10:11], s[24:25], s[10:11]
	s_wait_alu 0xfffe
	s_add_co_u32 s14, s8, s10
	s_cselect_b32 s8, -1, 0
	s_wait_alu 0xfffe
	s_cmp_lg_u32 s8, 0
	s_add_co_ci_u32 s15, s9, s11
	s_ashr_i32 s8, s37, 31
	s_wait_alu 0xfffe
	s_mov_b32 s9, s8
	s_wait_alu 0xfffe
	s_add_nc_u64 s[10:11], s[36:37], s[8:9]
	s_wait_alu 0xfffe
	s_xor_b64 s[10:11], s[10:11], s[8:9]
	s_wait_alu 0xfffe
	s_mul_hi_u32 s13, s10, s15
	s_mul_i32 s12, s10, s15
	s_mul_hi_u32 s24, s10, s14
	s_mul_i32 s18, s11, s14
	s_wait_alu 0xfffe
	s_add_nc_u64 s[12:13], s[24:25], s[12:13]
	s_mul_hi_u32 s17, s11, s14
	s_mul_hi_u32 s16, s11, s15
	s_wait_alu 0xfffe
	s_add_co_u32 s12, s12, s18
	s_add_co_ci_u32 s24, s13, s17
	s_mul_i32 s14, s11, s15
	s_add_co_ci_u32 s15, s16, 0
	s_wait_alu 0xfffe
	s_add_nc_u64 s[12:13], s[24:25], s[14:15]
	s_wait_alu 0xfffe
	s_mul_u64 s[12:13], s[6:7], s[12:13]
	s_wait_alu 0xfffe
	s_sub_co_u32 s10, s10, s12
	s_cselect_b32 s12, -1, 0
	s_sub_co_i32 s14, s11, s13
	s_wait_alu 0xfffe
	s_cmp_lg_u32 s12, 0
	s_sub_co_ci_u32 s14, s14, s7
	s_sub_co_u32 s15, s10, s6
	s_cselect_b32 s16, -1, 0
	s_wait_alu 0xfffe
	s_cmp_lg_u32 s16, 0
	s_sub_co_ci_u32 s17, s14, 0
	s_wait_alu 0xfffe
	s_cmp_ge_u32 s17, s7
	s_cselect_b32 s18, -1, 0
	s_cmp_ge_u32 s15, s6
	s_cselect_b32 s19, -1, 0
	s_cmp_eq_u32 s17, s7
	s_wait_alu 0xfffe
	s_cselect_b32 s18, s19, s18
	s_cmp_lg_u32 s16, 0
	s_sub_co_ci_u32 s14, s14, s7
	s_sub_co_u32 s16, s15, s6
	s_cselect_b32 s19, -1, 0
	s_wait_alu 0xfffe
	s_cmp_lg_u32 s19, 0
	s_sub_co_ci_u32 s14, s14, 0
	s_cmp_lg_u32 s18, 0
	s_cselect_b32 s15, s16, s15
	s_wait_alu 0xfffe
	s_cselect_b32 s14, s14, s17
	s_cmp_lg_u32 s12, 0
	s_sub_co_ci_u32 s11, s11, s13
	s_wait_alu 0xfffe
	s_cmp_ge_u32 s11, s7
	s_cselect_b32 s12, -1, 0
	s_cmp_ge_u32 s10, s6
	s_cselect_b32 s6, -1, 0
	s_cmp_eq_u32 s11, s7
	s_wait_alu 0xfffe
	s_cselect_b32 s6, s6, s12
	s_wait_alu 0xfffe
	s_cmp_lg_u32 s6, 0
	s_cselect_b32 s7, s14, s11
	s_cselect_b32 s6, s15, s10
	s_wait_alu 0xfffe
	s_xor_b64 s[6:7], s[6:7], s[8:9]
	s_wait_alu 0xfffe
	s_sub_nc_u64 s[88:89], s[6:7], s[8:9]
	s_cbranch_execnz .LBB70_77
.LBB70_76:                              ;   in Loop: Header=BB70_32 Depth=1
	s_wait_alu 0xfffe
	v_cvt_f32_u32_e32 v4, s86
	s_sub_co_i32 s7, 0, s86
	s_delay_alu instid0(VALU_DEP_1) | instskip(NEXT) | instid1(TRANS32_DEP_1)
	v_rcp_iflag_f32_e32 v4, v4
	v_mul_f32_e32 v4, 0x4f7ffffe, v4
	s_delay_alu instid0(VALU_DEP_1) | instskip(NEXT) | instid1(VALU_DEP_1)
	v_cvt_u32_f32_e32 v4, v4
	v_readfirstlane_b32 s6, v4
	s_wait_alu 0xfffe
	s_mul_i32 s7, s7, s6
	s_wait_alu 0xfffe
	s_mul_hi_u32 s7, s6, s7
	s_wait_alu 0xfffe
	s_add_co_i32 s6, s6, s7
	s_wait_alu 0xfffe
	s_mul_hi_u32 s6, s36, s6
	s_wait_alu 0xfffe
	s_mul_i32 s6, s6, s86
	s_wait_alu 0xfffe
	s_sub_co_i32 s6, s36, s6
	s_wait_alu 0xfffe
	s_sub_co_i32 s7, s6, s86
	s_cmp_ge_u32 s6, s86
	s_wait_alu 0xfffe
	s_cselect_b32 s6, s7, s6
	s_wait_alu 0xfffe
	s_sub_co_i32 s7, s6, s86
	s_cmp_ge_u32 s6, s86
	s_wait_alu 0xfffe
	s_cselect_b32 s24, s7, s6
	s_wait_alu 0xfffe
	s_mov_b64 s[88:89], s[24:25]
.LBB70_77:                              ;   in Loop: Header=BB70_32 Depth=1
	v_mov_b32_e32 v4, 0
	v_dual_mov_b32 v8, 0 :: v_dual_mov_b32 v5, 0
	v_dual_mov_b32 v6, 0 :: v_dual_mov_b32 v9, 0
	;; [unrolled: 1-line block ×3, first 2 shown]
	v_dual_mov_b32 v11, 0 :: v_dual_and_b32 v2, 0xffff, v2
	s_wait_alu 0xfffe
	s_sub_nc_u64 s[90:91], s[36:37], s[88:89]
	s_mov_b32 s53, exec_lo
	s_wait_alu 0xfffe
	v_cmpx_gt_i64_e64 s[90:91], v[16:17]
	s_cbranch_execz .LBB70_81
; %bb.78:                               ;   in Loop: Header=BB70_32 Depth=1
	v_mul_lo_u32 v4, v2, s83
	v_mul_lo_u32 v5, 0, s82
	v_mul_hi_u32 v6, v2, s82
	v_mul_lo_u32 v49, v2, s82
	v_dual_mov_b32 v30, s72 :: v_dual_mov_b32 v33, v17
	v_mov_b32_e32 v32, v16
	s_mov_b64 s[92:93], 0
	v_dual_mov_b32 v31, s73 :: v_dual_add_nc_u32 v4, v4, v5
	s_mov_b32 s54, 0
	s_mov_b64 s[94:95], 0
	s_mov_b64 s[96:97], 0
	;; [unrolled: 1-line block ×3, first 2 shown]
	v_add_nc_u32_e32 v50, v4, v6
.LBB70_79:                              ;   Parent Loop BB70_32 Depth=1
                                        ; =>  This Inner Loop Header: Depth=2
	v_add_co_u32 v4, vcc_lo, v30, v26
	s_wait_alu 0xfffd
	v_add_co_ci_u32_e64 v5, null, v31, v27, vcc_lo
	global_load_u16 v6, v[4:5], off
	v_add_co_u32 v4, vcc_lo, v30, v25
	s_wait_alu 0xfffd
	v_add_co_ci_u32_e64 v5, null, v31, v41, vcc_lo
	global_load_u16 v7, v[4:5], off
	;; [unrolled: 4-line block ×4, first 2 shown]
	s_wait_loadcnt 0x3
	v_cmp_lt_i16_e64 s9, -1, v6
	s_wait_loadcnt 0x2
	v_lshlrev_b32_e32 v5, 16, v7
	s_delay_alu instid0(VALU_DEP_1) | instskip(SKIP_2) | instid1(VALU_DEP_1)
	v_cmp_o_f32_e32 vcc_lo, v5, v5
	s_wait_loadcnt 0x1
	v_lshlrev_b32_e32 v5, 16, v8
	v_cmp_o_f32_e64 s6, v5, v5
	s_wait_loadcnt 0x0
	v_lshlrev_b32_e32 v5, 16, v4
	s_delay_alu instid0(VALU_DEP_1) | instskip(SKIP_1) | instid1(VALU_DEP_1)
	v_cmp_o_f32_e64 s7, v5, v5
	v_lshlrev_b32_e32 v5, 16, v6
	v_cmp_o_f32_e64 s8, v5, v5
	v_and_b32_e32 v5, 0xffff, v6
	s_wait_alu 0xf1ff
	v_cndmask_b32_e64 v6, 0xffff, v46, s9
	v_cmp_lt_i16_e64 s9, -1, v7
	s_delay_alu instid0(VALU_DEP_2) | instskip(SKIP_2) | instid1(VALU_DEP_3)
	v_xor_b32_e32 v5, v6, v5
	v_and_b32_e32 v6, 0xffff, v7
	s_wait_alu 0xf1ff
	v_cndmask_b32_e64 v7, 0xffff, v46, s9
	v_cmp_lt_i16_e64 s9, -1, v8
	v_cndmask_b32_e64 v5, 0xffff, v5, s8
	s_delay_alu instid0(VALU_DEP_3)
	v_xor_b32_e32 v6, v7, v6
	v_and_b32_e32 v7, 0xffff, v8
	s_wait_alu 0xf1ff
	v_cndmask_b32_e64 v8, 0xffff, v46, s9
	v_cmp_lt_i16_e64 s9, -1, v4
	v_and_b32_e32 v4, 0xffff, v4
	s_wait_alu 0xfffd
	v_cndmask_b32_e32 v6, 0xffff, v6, vcc_lo
	v_xor_b32_e32 v7, v8, v7
	s_wait_alu 0xf1ff
	v_cndmask_b32_e64 v8, 0xffff, v46, s9
	s_delay_alu instid0(VALU_DEP_2) | instskip(NEXT) | instid1(VALU_DEP_2)
	v_cndmask_b32_e64 v7, 0xffff, v7, s6
	v_xor_b32_e32 v4, v8, v4
	v_and_b32_e32 v8, v5, v47
	v_bfe_u32 v5, v5, s64, 2
	s_delay_alu instid0(VALU_DEP_3) | instskip(NEXT) | instid1(VALU_DEP_3)
	v_cndmask_b32_e64 v4, 0xffff, v4, s7
	v_cmp_eq_u32_e64 s8, v8, v24
	v_and_b32_e32 v8, v6, v47
	s_delay_alu instid0(VALU_DEP_4)
	v_cmp_eq_u32_e64 s9, 0, v5
	v_cmp_eq_u32_e64 s10, 1, v5
	;; [unrolled: 1-line block ×4, first 2 shown]
	v_cmp_eq_u32_e32 vcc_lo, v8, v24
	v_and_b32_e32 v8, v7, v47
	v_bfe_u32 v5, v6, s64, 2
	s_and_b32 s9, s8, s9
	s_and_b32 s10, s8, s10
	;; [unrolled: 1-line block ×3, first 2 shown]
	v_cmp_eq_u32_e64 s6, v8, v24
	v_and_b32_e32 v8, v4, v47
	v_bfe_u32 v4, v4, s64, 2
	v_cmp_eq_u32_e64 s13, 0, v5
	v_cmp_eq_u32_e64 s14, 1, v5
	;; [unrolled: 1-line block ×4, first 2 shown]
	v_bfe_u32 v5, v7, s64, 2
	v_cmp_eq_u32_e64 s21, 0, v4
	v_cmp_eq_u32_e64 s22, 1, v4
	;; [unrolled: 1-line block ×4, first 2 shown]
	s_wait_alu 0xfffe
	v_cndmask_b32_e64 v4, 0, 1, s9
	v_cmp_eq_u32_e64 s17, 0, v5
	s_and_b32 s13, vcc_lo, s13
	v_cmp_eq_u32_e64 s7, v8, v24
	v_cmp_eq_u32_e64 s18, 1, v5
	v_cmp_ne_u32_e64 s9, 0, v4
	s_wait_alu 0xfffe
	v_cndmask_b32_e64 v4, 0, 1, s13
	s_and_b32 s17, s6, s17
	s_and_b32 s21, s7, s21
	s_and_b32 s14, vcc_lo, s14
	s_and_b32 s18, s6, s18
	v_cmp_ne_u32_e64 s13, 0, v4
	s_wait_alu 0xfffe
	v_cndmask_b32_e64 v4, 0, 1, s17
	s_and_b32 s22, s7, s22
	v_cmp_eq_u32_e64 s19, 2, v5
	s_and_b32 s15, vcc_lo, s15
	s_and_b32 s23, s7, s23
	v_cmp_ne_u32_e64 s17, 0, v4
	v_cndmask_b32_e64 v4, 0, 1, s21
	s_and_b32 s19, s6, s19
	s_and_b32 s8, s8, s12
	v_cmp_eq_u32_e64 s20, 3, v5
	s_and_b32 s12, vcc_lo, s16
	v_cmp_ne_u32_e64 s21, 0, v4
	v_cndmask_b32_e64 v4, 0, 1, s10
	s_and_b32 s7, s7, s24
	s_and_b32 s6, s6, s20
	v_add_co_u32 v30, s16, v30, v49
	s_delay_alu instid0(VALU_DEP_2) | instskip(SKIP_4) | instid1(VALU_DEP_2)
	v_cmp_ne_u32_e64 s10, 0, v4
	v_cndmask_b32_e64 v4, 0, 1, s14
	s_bcnt1_i32_b32 s9, s9
	s_bcnt1_i32_b32 s13, s13
	v_add_co_ci_u32_e64 v31, null, v31, v50, s16
	v_cmp_ne_u32_e64 s14, 0, v4
	v_cndmask_b32_e64 v4, 0, 1, s18
	s_bcnt1_i32_b32 s16, s17
	s_bcnt1_i32_b32 s10, s10
	s_wait_alu 0xfffe
	s_add_co_i32 s9, s13, s9
	s_bcnt1_i32_b32 s14, s14
	v_cmp_ne_u32_e64 s18, 0, v4
	v_cndmask_b32_e64 v4, 0, 1, s22
	s_bcnt1_i32_b32 s17, s21
	s_wait_alu 0xfffe
	s_add_co_i32 s10, s14, s10
	s_add_co_i32 s9, s9, s16
	s_bcnt1_i32_b32 s18, s18
	v_cmp_ne_u32_e64 s22, 0, v4
	v_cndmask_b32_e64 v4, 0, 1, s11
	s_wait_alu 0xfffe
	s_add_co_i32 s10, s10, s18
	s_add_co_i32 s24, s9, s17
	s_bcnt1_i32_b32 s20, s22
	v_cmp_ne_u32_e64 s11, 0, v4
	v_cndmask_b32_e64 v4, 0, 1, s15
	s_wait_alu 0xfffe
	s_add_nc_u64 s[98:99], s[98:99], s[24:25]
	s_add_co_i32 s24, s10, s20
	s_bcnt1_i32_b32 s11, s11
	v_cmp_ne_u32_e64 s15, 0, v4
	v_cndmask_b32_e64 v4, 0, 1, s19
	s_wait_alu 0xfffe
	s_add_nc_u64 s[96:97], s[96:97], s[24:25]
	s_wait_alu 0xfffe
	v_mov_b32_e32 v6, s96
	s_bcnt1_i32_b32 s15, s15
	v_cmp_ne_u32_e64 s19, 0, v4
	v_cndmask_b32_e64 v4, 0, 1, s23
	s_wait_alu 0xfffe
	s_add_co_i32 s11, s15, s11
	v_mov_b32_e32 v7, s97
	s_bcnt1_i32_b32 s19, s19
	v_cmp_ne_u32_e64 s23, 0, v4
	v_cndmask_b32_e64 v4, 0, 1, s8
	s_wait_alu 0xfffe
	s_add_co_i32 s11, s11, s19
	s_bcnt1_i32_b32 s21, s23
	s_delay_alu instid0(VALU_DEP_1) | instskip(SKIP_4) | instid1(VALU_DEP_3)
	v_cmp_ne_u32_e64 s8, 0, v4
	v_cndmask_b32_e64 v4, 0, 1, s12
	v_add_co_u32 v32, s12, v32, s86
	s_wait_alu 0xf1ff
	v_add_co_ci_u32_e64 v33, null, 0, v33, s12
	v_cmp_ne_u32_e32 vcc_lo, 0, v4
	v_cndmask_b32_e64 v4, 0, 1, s6
	s_bcnt1_i32_b32 s8, s8
	s_wait_alu 0xfffe
	s_add_co_i32 s24, s11, s21
	v_cmp_le_i64_e64 s12, s[90:91], v[32:33]
	s_bcnt1_i32_b32 s22, vcc_lo
	v_cmp_ne_u32_e64 s6, 0, v4
	v_cndmask_b32_e64 v4, 0, 1, s7
	s_wait_alu 0xfffe
	s_add_co_i32 s8, s22, s8
	s_add_nc_u64 s[94:95], s[94:95], s[24:25]
	s_bcnt1_i32_b32 s6, s6
	v_cmp_ne_u32_e64 s7, 0, v4
	s_wait_alu 0xfffe
	s_add_co_i32 s6, s8, s6
	v_mov_b32_e32 v4, s98
	v_dual_mov_b32 v8, s94 :: v_dual_mov_b32 v5, s99
	s_bcnt1_i32_b32 s7, s7
	v_mov_b32_e32 v9, s95
	s_wait_alu 0xfffe
	s_add_co_i32 s24, s6, s7
	s_or_b32 s54, s12, s54
	s_wait_alu 0xfffe
	s_add_nc_u64 s[92:93], s[92:93], s[24:25]
	s_wait_alu 0xfffe
	v_dual_mov_b32 v10, s92 :: v_dual_mov_b32 v11, s93
	s_and_not1_b32 exec_lo, exec_lo, s54
	s_cbranch_execnz .LBB70_79
; %bb.80:                               ;   in Loop: Header=BB70_32 Depth=1
	s_or_b32 exec_lo, exec_lo, s54
.LBB70_81:                              ;   in Loop: Header=BB70_32 Depth=1
	s_delay_alu instid0(SALU_CYCLE_1)
	s_or_b32 exec_lo, exec_lo, s53
	v_add_co_u32 v30, s6, s90, v0
	s_wait_alu 0xf1ff
	v_add_co_ci_u32_e64 v31, null, s91, 0, s6
	s_mov_b32 s10, exec_lo
	v_cmpx_gt_i64_e64 s[36:37], v[30:31]
	s_cbranch_execz .LBB70_87
; %bb.82:                               ;   in Loop: Header=BB70_32 Depth=1
	v_mul_lo_u32 v49, v31, s42
	v_mul_lo_u32 v50, v30, s43
	v_mad_co_u64_u32 v[32:33], null, v30, s42, 0
	v_mul_hi_u32 v53, v2, s80
	s_mov_b32 s11, 0
	s_delay_alu instid0(VALU_DEP_2) | instskip(SKIP_1) | instid1(VALU_DEP_2)
	v_add3_u32 v33, v33, v50, v49
	v_mul_lo_u32 v49, v2, s81
	v_lshlrev_b64_e32 v[32:33], 1, v[32:33]
	s_delay_alu instid0(VALU_DEP_2) | instskip(SKIP_1) | instid1(VALU_DEP_3)
	v_add_nc_u32_e32 v54, v49, v45
	v_mul_lo_u32 v49, v2, s80
	v_add_co_u32 v32, vcc_lo, s72, v32
	s_wait_alu 0xfffd
	s_delay_alu instid0(VALU_DEP_4) | instskip(SKIP_4) | instid1(VALU_DEP_2)
	v_add_co_ci_u32_e64 v33, null, s73, v33, vcc_lo
	global_load_u16 v52, v[32:33], off
	v_add_co_u32 v32, vcc_lo, v42, v2
	s_wait_alu 0xfffd
	v_add_co_ci_u32_e64 v33, null, 0, v43, vcc_lo
	v_sub_co_u32 v32, vcc_lo, v32, s88
	s_wait_alu 0xfffd
	s_delay_alu instid0(VALU_DEP_2) | instskip(NEXT) | instid1(VALU_DEP_2)
	v_subrev_co_ci_u32_e64 v33, null, s89, v33, vcc_lo
	v_mul_lo_u32 v51, s81, v32
	s_delay_alu instid0(VALU_DEP_2) | instskip(SKIP_1) | instid1(VALU_DEP_1)
	v_mul_lo_u32 v50, s80, v33
	v_mad_co_u64_u32 v[32:33], null, s80, v32, s[78:79]
	v_add3_u32 v33, v51, v33, v50
	v_add_nc_u32_e32 v50, v54, v53
	s_branch .LBB70_84
.LBB70_83:                              ;   in Loop: Header=BB70_84 Depth=2
	s_wait_alu 0xfffe
	s_or_b32 exec_lo, exec_lo, s7
	s_wait_loadcnt 0x0
	v_cmp_lt_i16_e64 s6, -1, v52
	v_and_b32_e32 v53, 0xffff, v52
	v_lshlrev_b32_e32 v52, 16, v52
	s_and_b32 s8, exec_lo, vcc_lo
	s_wait_alu 0xfffe
	s_or_b32 s11, s8, s11
	v_cndmask_b32_e64 v54, 0xffff, v46, s6
	v_cmp_o_f32_e64 s6, v52, v52
	s_delay_alu instid0(VALU_DEP_2) | instskip(SKIP_1) | instid1(VALU_DEP_1)
	v_xor_b32_e32 v53, v54, v53
	s_wait_alu 0xf1ff
	v_cndmask_b32_e64 v52, 0xffff, v53, s6
	s_delay_alu instid0(VALU_DEP_1) | instskip(SKIP_1) | instid1(VALU_DEP_2)
	v_and_b32_e32 v53, v52, v47
	v_bfe_u32 v52, v52, s64, 2
	v_cmp_eq_u32_e64 s6, v53, v24
	s_delay_alu instid0(VALU_DEP_2)
	v_cmp_eq_u32_e64 s7, 0, v52
	v_cmp_eq_u32_e32 vcc_lo, 1, v52
	v_cmp_eq_u32_e64 s8, 2, v52
	s_and_b32 s7, s6, s7
	s_wait_alu 0xfffe
	v_cndmask_b32_e64 v53, 0, 1, s7
	s_and_b32 s7, s6, vcc_lo
	v_cmp_eq_u32_e32 vcc_lo, 3, v52
	s_wait_alu 0xfffe
	v_cndmask_b32_e64 v54, 0, 1, s7
	s_and_b32 s7, s6, s8
	s_wait_alu 0xfffe
	v_cndmask_b32_e64 v55, 0, 1, s7
	v_cmp_ne_u32_e64 s7, 0, v53
	v_cmp_ne_u32_e64 s8, 0, v54
	s_and_b32 s6, s6, vcc_lo
	s_wait_alu 0xfffe
	v_cndmask_b32_e64 v52, 0, 1, s6
	s_bcnt1_i32_b32 s6, s7
	v_cmp_ne_u32_e64 s9, 0, v55
	s_bcnt1_i32_b32 s7, s8
	s_wait_alu 0xfffe
	v_add_co_u32 v4, vcc_lo, v4, s6
	s_wait_alu 0xfffd
	v_add_co_ci_u32_e64 v5, null, 0, v5, vcc_lo
	v_add_co_u32 v6, vcc_lo, v6, s7
	s_wait_alu 0xfffd
	v_add_co_ci_u32_e64 v7, null, 0, v7, vcc_lo
	v_cmp_ne_u32_e32 vcc_lo, 0, v52
	s_bcnt1_i32_b32 s8, s9
	v_mov_b32_e32 v52, v51
	s_wait_alu 0xfffe
	v_add_co_u32 v8, s6, v8, s8
	s_wait_alu 0xf1ff
	v_add_co_ci_u32_e64 v9, null, 0, v9, s6
	s_bcnt1_i32_b32 s6, vcc_lo
	s_wait_alu 0xfffe
	v_add_co_u32 v10, vcc_lo, v10, s6
	s_wait_alu 0xfffd
	v_add_co_ci_u32_e64 v11, null, 0, v11, vcc_lo
	v_add_co_u32 v32, vcc_lo, v32, v49
	s_wait_alu 0xfffd
	v_add_co_ci_u32_e64 v33, null, v33, v50, vcc_lo
	s_and_not1_b32 exec_lo, exec_lo, s11
	s_cbranch_execz .LBB70_86
.LBB70_84:                              ;   Parent Loop BB70_32 Depth=1
                                        ; =>  This Inner Loop Header: Depth=2
	v_add_co_u32 v30, vcc_lo, v30, v2
	s_wait_alu 0xfffd
	v_add_co_ci_u32_e64 v31, null, 0, v31, vcc_lo
	v_mov_b32_e32 v51, 0
	s_mov_b32 s7, exec_lo
	s_delay_alu instid0(VALU_DEP_2)
	v_cmp_le_i64_e32 vcc_lo, s[36:37], v[30:31]
	v_cmpx_gt_i64_e64 s[36:37], v[30:31]
	s_cbranch_execz .LBB70_83
; %bb.85:                               ;   in Loop: Header=BB70_84 Depth=2
	global_load_u16 v51, v[32:33], off
	s_branch .LBB70_83
.LBB70_86:                              ;   in Loop: Header=BB70_32 Depth=1
	s_or_b32 exec_lo, exec_lo, s11
.LBB70_87:                              ;   in Loop: Header=BB70_32 Depth=1
	s_wait_alu 0xfffe
	s_or_b32 exec_lo, exec_lo, s10
	s_branch .LBB70_66
.LBB70_88:                              ;   in Loop: Header=BB70_32 Depth=1
	global_load_u16 v2, v3, s[38:39]
	v_mov_b32_e32 v6, 0
	v_mov_b32_e32 v8, 0
	v_dual_mov_b32 v10, 0 :: v_dual_mov_b32 v9, 0
	v_mov_b32_e32 v11, 0
	s_mov_b32 s85, exec_lo
	v_mov_b32_e32 v7, 0
	s_wait_loadcnt 0x0
	v_readfirstlane_b32 s6, v2
	v_and_b32_e32 v2, 0xffff, v2
	s_and_b32 s53, 0xffff, s6
	s_delay_alu instid0(SALU_CYCLE_1) | instskip(SKIP_4) | instid1(SALU_CYCLE_1)
	s_lshl_b32 s55, s53, 2
	s_wait_alu 0xfffe
	s_cvt_f32_u32 s6, s55
	s_sub_co_i32 s7, 0, s55
	s_wait_alu 0xfffe
	v_rcp_iflag_f32_e32 v4, s6
	s_delay_alu instid0(TRANS32_DEP_1) | instskip(SKIP_2) | instid1(SALU_CYCLE_2)
	v_readfirstlane_b32 s6, v4
	s_mul_f32 s6, s6, 0x4f7ffffe
	s_wait_alu 0xfffe
	s_cvt_u32_f32 s6, s6
	s_wait_alu 0xfffe
	s_delay_alu instid0(SALU_CYCLE_2)
	s_mul_i32 s7, s7, s6
	s_wait_alu 0xfffe
	s_mul_hi_u32 s7, s6, s7
	s_wait_alu 0xfffe
	s_add_co_i32 s6, s6, s7
	s_wait_alu 0xfffe
	s_mul_hi_u32 s6, s84, s6
	s_wait_alu 0xfffe
	s_mul_i32 s7, s6, s55
	s_add_co_i32 s8, s6, 1
	s_wait_alu 0xfffe
	s_sub_co_i32 s7, s84, s7
	s_wait_alu 0xfffe
	s_sub_co_i32 s9, s7, s55
	s_cmp_ge_u32 s7, s55
	s_cselect_b32 s6, s8, s6
	s_wait_alu 0xfffe
	s_cselect_b32 s7, s9, s7
	s_add_co_i32 s8, s6, 1
	s_wait_alu 0xfffe
	s_cmp_ge_u32 s7, s55
	s_cselect_b32 s54, s8, s6
	s_wait_alu 0xfffe
	v_mul_hi_u32 v5, s54, v2
	v_mul_lo_u32 v4, s54, v2
	s_delay_alu instid0(VALU_DEP_1) | instskip(SKIP_2) | instid1(VALU_DEP_3)
	v_lshlrev_b64_e32 v[30:31], 2, v[4:5]
	v_mov_b32_e32 v4, 0
	v_mov_b32_e32 v5, 0
	v_cmpx_gt_u64_e64 v[30:31], v[16:17]
	s_cbranch_execz .LBB70_92
; %bb.89:                               ;   in Loop: Header=BB70_32 Depth=1
	v_mov_b32_e32 v33, v17
	v_dual_mov_b32 v49, v39 :: v_dual_mov_b32 v32, v16
	s_lshl_b32 s90, s53, 3
	s_mov_b64 s[20:21], 0
	s_mov_b32 s91, 0
	s_mov_b64 s[22:23], 0
	s_mov_b64 s[86:87], 0
	;; [unrolled: 1-line block ×3, first 2 shown]
.LBB70_90:                              ;   Parent Loop BB70_32 Depth=1
                                        ; =>  This Inner Loop Header: Depth=2
	ds_load_b64 v[4:5], v49
	v_add_co_u32 v32, s10, v32, s55
	s_wait_alu 0xf1ff
	v_add_co_ci_u32_e64 v33, null, 0, v33, s10
	s_delay_alu instid0(VALU_DEP_1)
	v_cmp_ge_u64_e64 s10, v[32:33], v[30:31]
	s_wait_dscnt 0x0
	v_lshrrev_b32_e32 v6, 16, v4
	v_and_b32_e32 v8, 0xffff, v4
	v_cmp_lt_i16_e32 vcc_lo, -1, v4
	v_lshlrev_b32_e32 v10, 16, v4
	v_and_b32_e32 v4, 0xffff0000, v4
	v_cmp_lt_i16_e64 s6, -1, v5
	v_lshlrev_b32_e32 v9, 16, v5
	v_lshrrev_b32_e32 v7, 16, v5
	v_and_b32_e32 v11, 0xffff0000, v5
	v_cmp_o_f32_e64 s11, v4, v4
	s_wait_alu 0xfffd
	v_cndmask_b32_e32 v4, 0xffff, v46, vcc_lo
	v_cmp_lt_i16_e32 vcc_lo, -1, v6
	v_and_b32_e32 v5, 0xffff, v5
	v_cmp_o_f32_e64 s8, v10, v10
	v_cmp_o_f32_e64 s7, v9, v9
	v_xor_b32_e32 v4, v4, v8
	s_wait_alu 0xf1ff
	v_cndmask_b32_e64 v8, 0xffff, v46, s6
	v_cmp_lt_i16_e64 s6, -1, v7
	v_cmp_o_f32_e64 s9, v11, v11
	v_cndmask_b32_e64 v4, 0xffff, v4, s8
	s_delay_alu instid0(VALU_DEP_4) | instskip(SKIP_2) | instid1(VALU_DEP_2)
	v_xor_b32_e32 v5, v8, v5
	s_wait_alu 0xfffd
	v_cndmask_b32_e32 v8, 0xffff, v46, vcc_lo
	v_cndmask_b32_e64 v5, 0xffff, v5, s7
	s_delay_alu instid0(VALU_DEP_2) | instskip(SKIP_2) | instid1(VALU_DEP_2)
	v_xor_b32_e32 v6, v8, v6
	s_wait_alu 0xf1ff
	v_cndmask_b32_e64 v8, 0xffff, v46, s6
	v_cndmask_b32_e64 v6, 0xffff, v6, s11
	s_delay_alu instid0(VALU_DEP_2) | instskip(SKIP_2) | instid1(VALU_DEP_3)
	v_xor_b32_e32 v7, v8, v7
	v_and_b32_e32 v8, v4, v47
	v_bfe_u32 v4, v4, s64, 2
	v_cndmask_b32_e64 v7, 0xffff, v7, s9
	s_delay_alu instid0(VALU_DEP_3)
	v_cmp_eq_u32_e32 vcc_lo, v8, v24
	v_and_b32_e32 v8, v5, v47
	v_bfe_u32 v5, v5, s64, 2
	v_cmp_eq_u32_e64 s8, 1, v4
	v_cmp_eq_u32_e64 s7, 0, v4
	;; [unrolled: 1-line block ×5, first 2 shown]
	v_and_b32_e32 v8, v6, v47
	v_cmp_eq_u32_e64 s11, 3, v4
	v_and_b32_e32 v4, v7, v47
	v_bfe_u32 v6, v6, s64, 2
	v_bfe_u32 v7, v7, s64, 2
	v_cmp_eq_u32_e64 s13, 1, v5
	v_cmp_eq_u32_e64 s15, 3, v5
	s_and_b32 s92, s6, s12
	s_and_b32 s93, vcc_lo, s8
	v_cmp_eq_u32_e64 s14, 2, v5
	v_cmp_eq_u32_e64 s16, v8, v24
	v_cmp_eq_u32_e64 s17, v4, v24
	v_cmp_eq_u32_e64 s18, 0, v6
	v_cmp_eq_u32_e64 s19, 0, v7
	s_and_b32 s24, vcc_lo, s7
	v_cmp_eq_u32_e64 s7, 1, v6
	v_cmp_eq_u32_e64 s8, 2, v6
	s_and_b32 s95, vcc_lo, s9
	v_cmp_eq_u32_e64 s9, 3, v6
	s_wait_alu 0xfffe
	v_cndmask_b32_e64 v5, 0, 1, s92
	v_cndmask_b32_e64 v6, 0, 1, s93
	;; [unrolled: 1-line block ×4, first 2 shown]
	s_and_b32 s94, s6, s13
	s_and_b32 s11, vcc_lo, s11
	s_and_b32 s15, s6, s15
	v_cmp_eq_u32_e64 s12, 1, v7
	v_cmp_eq_u32_e64 s13, 2, v7
	s_and_b32 s96, s6, s14
	v_cmp_eq_u32_e64 s14, 3, v7
	s_wait_alu 0xfffe
	v_cndmask_b32_e64 v7, 0, 1, s94
	v_cmp_ne_u32_e64 s6, 0, v5
	v_cndmask_b32_e64 v5, 0, 1, s11
	v_cmp_ne_u32_e64 s11, 0, v6
	v_cndmask_b32_e64 v6, 0, 1, s15
	s_and_b32 s15, s16, s18
	s_and_b32 s18, s17, s19
	v_cmp_ne_u32_e32 vcc_lo, 0, v4
	v_cndmask_b32_e64 v4, 0, 1, s96
	s_and_b32 s92, s16, s8
	v_cmp_ne_u32_e64 s8, 0, v8
	s_wait_alu 0xfffe
	v_cndmask_b32_e64 v8, 0, 1, s18
	s_and_b32 s19, s16, s7
	s_and_b32 s16, s16, s9
	v_cmp_ne_u32_e64 s7, 0, v7
	v_cndmask_b32_e64 v7, 0, 1, s15
	v_cmp_ne_u32_e64 s9, 0, v4
	s_wait_alu 0xfffe
	v_cndmask_b32_e64 v4, 0, 1, s19
	v_cmp_ne_u32_e64 s15, 0, v8
	v_cndmask_b32_e64 v8, 0, 1, s16
	s_and_b32 s24, s17, s12
	s_and_b32 s93, s17, s13
	v_cmp_ne_u32_e64 s13, 0, v6
	v_cndmask_b32_e64 v6, 0, 1, s92
	s_and_b32 s17, s17, s14
	v_cmp_ne_u32_e64 s14, 0, v7
	v_cmp_ne_u32_e64 s12, 0, v5
	s_wait_alu 0xfffe
	v_cndmask_b32_e64 v5, 0, 1, s24
	v_cmp_ne_u32_e64 s16, 0, v4
	s_bcnt1_i32_b32 s24, s8
	v_cmp_ne_u32_e64 s8, 0, v8
	v_cndmask_b32_e64 v7, 0, 1, s93
	s_bcnt1_i32_b32 s18, s6
	v_cmp_ne_u32_e64 s6, 0, v6
	v_cndmask_b32_e64 v4, 0, 1, s17
	s_bcnt1_i32_b32 s17, vcc_lo
	s_bcnt1_i32_b32 s14, s14
	v_cmp_ne_u32_e32 vcc_lo, 0, v5
	s_bcnt1_i32_b32 s11, s11
	s_bcnt1_i32_b32 s12, s12
	;; [unrolled: 1-line block ×4, first 2 shown]
	s_wait_alu 0xfffe
	s_add_co_i32 s14, s14, s17
	s_bcnt1_i32_b32 s19, s7
	v_cmp_ne_u32_e64 s7, 0, v7
	s_bcnt1_i32_b32 s15, s15
	s_bcnt1_i32_b32 s6, s6
	s_add_co_i32 s11, s16, s11
	s_add_co_i32 s8, s8, s12
	s_wait_alu 0xfffe
	s_add_co_i32 s12, s14, s18
	s_bcnt1_i32_b32 s92, s9
	v_cmp_ne_u32_e64 s9, 0, v4
	s_bcnt1_i32_b32 s93, vcc_lo
	s_add_co_i32 s6, s6, s24
	s_add_co_i32 s11, s11, s19
	s_wait_alu 0xfffe
	s_add_co_i32 s24, s12, s15
	s_bcnt1_i32_b32 s13, s13
	s_bcnt1_i32_b32 s7, s7
	s_add_co_i32 s6, s6, s92
	s_wait_alu 0xfffe
	s_add_nc_u64 s[88:89], s[88:89], s[24:25]
	s_add_co_i32 s24, s11, s93
	s_bcnt1_i32_b32 s9, s9
	s_add_co_i32 s8, s8, s13
	s_wait_alu 0xfffe
	s_add_nc_u64 s[86:87], s[86:87], s[24:25]
	s_add_co_i32 s24, s6, s7
	s_wait_alu 0xfffe
	v_dual_mov_b32 v6, s86 :: v_dual_add_nc_u32 v49, s90, v49
	s_add_nc_u64 s[22:23], s[22:23], s[24:25]
	s_add_co_i32 s24, s8, s9
	v_mov_b32_e32 v4, s88
	s_wait_alu 0xfffe
	s_add_nc_u64 s[20:21], s[20:21], s[24:25]
	v_mov_b32_e32 v8, s22
	s_wait_alu 0xfffe
	v_dual_mov_b32 v10, s20 :: v_dual_mov_b32 v5, s89
	v_mov_b32_e32 v7, s87
	v_mov_b32_e32 v9, s23
	;; [unrolled: 1-line block ×3, first 2 shown]
	s_or_b32 s91, s10, s91
	s_wait_alu 0xfffe
	s_and_not1_b32 exec_lo, exec_lo, s91
	s_cbranch_execnz .LBB70_90
; %bb.91:                               ;   in Loop: Header=BB70_32 Depth=1
	s_or_b32 exec_lo, exec_lo, s91
.LBB70_92:                              ;   in Loop: Header=BB70_32 Depth=1
	s_delay_alu instid0(SALU_CYCLE_1)
	s_or_b32 exec_lo, exec_lo, s85
	v_add_co_u32 v30, vcc_lo, v30, v0
	s_wait_alu 0xfffd
	v_add_co_ci_u32_e64 v31, null, 0, v31, vcc_lo
	s_and_b32 s24, s84, 0x7fffffff
	s_mov_b32 s11, exec_lo
	s_wait_alu 0xfffe
	v_cmpx_gt_u64_e64 s[24:25], v[30:31]
	s_cbranch_execz .LBB70_96
; %bb.93:                               ;   in Loop: Header=BB70_32 Depth=1
	s_mul_i32 s54, s54, s53
	s_lshl_b32 s13, s53, 1
	s_wait_alu 0xfffe
	v_lshl_add_u32 v32, s54, 3, v35
	s_mov_b32 s12, 0
.LBB70_94:                              ;   Parent Loop BB70_32 Depth=1
                                        ; =>  This Inner Loop Header: Depth=2
	ds_load_u16 v33, v32
	v_add_co_u32 v30, vcc_lo, v30, v2
	s_wait_alu 0xfffd
	v_add_co_ci_u32_e64 v31, null, 0, v31, vcc_lo
	v_add_nc_u32_e32 v32, s13, v32
	s_delay_alu instid0(VALU_DEP_2)
	v_cmp_le_u64_e32 vcc_lo, s[24:25], v[30:31]
	s_wait_dscnt 0x0
	v_cmp_lt_i16_e64 s6, -1, v33
	v_and_b32_e32 v49, 0xffff, v33
	v_lshlrev_b32_e32 v33, 16, v33
	s_wait_alu 0xf1ff
	s_delay_alu instid0(VALU_DEP_3) | instskip(NEXT) | instid1(VALU_DEP_2)
	v_cndmask_b32_e64 v50, 0xffff, v46, s6
	v_cmp_o_f32_e64 s6, v33, v33
	s_delay_alu instid0(VALU_DEP_2) | instskip(SKIP_1) | instid1(VALU_DEP_1)
	v_xor_b32_e32 v49, v50, v49
	s_wait_alu 0xf1ff
	v_cndmask_b32_e64 v33, 0xffff, v49, s6
	s_delay_alu instid0(VALU_DEP_1) | instskip(SKIP_1) | instid1(VALU_DEP_2)
	v_and_b32_e32 v49, v33, v47
	v_bfe_u32 v33, v33, s64, 2
	v_cmp_eq_u32_e64 s6, v49, v24
	s_delay_alu instid0(VALU_DEP_2)
	v_cmp_eq_u32_e64 s7, 0, v33
	v_cmp_eq_u32_e64 s8, 1, v33
	;; [unrolled: 1-line block ×4, first 2 shown]
	s_and_b32 s7, s6, s7
	s_wait_alu 0xfffe
	v_cndmask_b32_e64 v33, 0, 1, s7
	s_and_b32 s7, s6, s8
	s_wait_alu 0xfffe
	v_cndmask_b32_e64 v49, 0, 1, s7
	s_and_b32 s7, s6, s9
	s_and_b32 s6, s6, s10
	s_wait_alu 0xfffe
	v_cndmask_b32_e64 v50, 0, 1, s7
	v_cndmask_b32_e64 v51, 0, 1, s6
	v_cmp_ne_u32_e64 s6, 0, v33
	v_cmp_ne_u32_e64 s7, 0, v49
	s_delay_alu instid0(VALU_DEP_4) | instskip(NEXT) | instid1(VALU_DEP_4)
	v_cmp_ne_u32_e64 s8, 0, v50
	v_cmp_ne_u32_e64 s9, 0, v51
	s_bcnt1_i32_b32 s6, s6
	s_bcnt1_i32_b32 s7, s7
	s_wait_alu 0xfffe
	v_add_co_u32 v4, s6, v4, s6
	s_bcnt1_i32_b32 s8, s8
	v_add_co_ci_u32_e64 v5, null, 0, v5, s6
	v_add_co_u32 v6, s6, v6, s7
	s_bcnt1_i32_b32 s9, s9
	v_add_co_ci_u32_e64 v7, null, 0, v7, s6
	s_wait_alu 0xfffe
	v_add_co_u32 v8, s6, v8, s8
	s_wait_alu 0xf1ff
	v_add_co_ci_u32_e64 v9, null, 0, v9, s6
	v_add_co_u32 v10, s6, v10, s9
	s_wait_alu 0xf1ff
	v_add_co_ci_u32_e64 v11, null, 0, v11, s6
	s_or_b32 s12, vcc_lo, s12
	s_wait_alu 0xfffe
	s_and_not1_b32 exec_lo, exec_lo, s12
	s_cbranch_execnz .LBB70_94
; %bb.95:                               ;   in Loop: Header=BB70_32 Depth=1
	s_or_b32 exec_lo, exec_lo, s12
.LBB70_96:                              ;   in Loop: Header=BB70_32 Depth=1
	s_delay_alu instid0(SALU_CYCLE_1)
	s_or_b32 exec_lo, exec_lo, s11
	s_lshl_b32 s6, s66, 7
	s_and_saveexec_b32 s7, s1
	s_cbranch_execnz .LBB70_67
	s_branch .LBB70_68
.LBB70_97:                              ;   in Loop: Header=BB70_32 Depth=1
                                        ; implicit-def: $sgpr88_sgpr89
	s_branch .LBB70_76
.LBB70_98:                              ;   in Loop: Header=BB70_32 Depth=1
	s_or_b32 exec_lo, exec_lo, s9
	s_wait_dscnt 0x0
	s_barrier_signal -1
	s_barrier_wait -1
	global_inv scope:SCOPE_SE
	s_and_saveexec_b32 s6, s2
	s_cbranch_execz .LBB70_100
; %bb.99:                               ;   in Loop: Header=BB70_32 Depth=1
	ds_load_b32 v4, v3 offset:5136
	s_wait_dscnt 0x0
	v_ashrrev_i32_e32 v5, 31, v4
	ds_store_b64 v3, v[4:5] offset:5120
.LBB70_100:                             ;   in Loop: Header=BB70_32 Depth=1
	s_wait_alu 0xfffe
	s_or_b32 exec_lo, exec_lo, s6
	s_wait_loadcnt_dscnt 0x0
	s_barrier_signal -1
	s_mov_b32 s6, -1
	s_barrier_wait -1
	s_and_b32 vcc_lo, exec_lo, s8
	s_wait_alu 0xfffe
	s_cbranch_vccnz .LBB70_47
	s_branch .LBB70_62
.LBB70_101:                             ;   in Loop: Header=BB70_32 Depth=1
	s_mov_b32 s8, 0
	s_and_not1_b32 vcc_lo, exec_lo, s59
	s_wait_alu 0xfffe
	s_cbranch_vccnz .LBB70_104
.LBB70_102:                             ;   in Loop: Header=BB70_32 Depth=1
	s_lshl_b32 s9, s66, 10
	s_lshl_b32 s8, s8, 5
	s_wait_alu 0xfffe
	v_add3_u32 v2, s9, s8, v44
	s_mov_b32 s8, s104
.LBB70_103:                             ;   Parent Loop BB70_32 Depth=1
                                        ; =>  This Inner Loop Header: Depth=2
	ds_load_b64 v[6:7], v2
	v_add_nc_u32_e32 v2, 32, v2
	s_wait_alu 0xfffe
	s_add_co_i32 s8, s8, -1
	s_wait_alu 0xfffe
	s_cmp_lg_u32 s8, 0
	s_wait_dscnt 0x0
	v_add_co_u32 v4, vcc_lo, v6, v4
	s_wait_alu 0xfffd
	v_add_co_ci_u32_e64 v5, null, v7, v5, vcc_lo
	s_cbranch_scc1 .LBB70_103
.LBB70_104:                             ;   in Loop: Header=BB70_32 Depth=1
	v_add_lshl_u32 v2, s6, v34, 3
	ds_store_b64 v2, v[4:5] offset:3072
.LBB70_105:                             ;   in Loop: Header=BB70_32 Depth=1
	s_wait_alu 0xfffe
	s_or_b32 exec_lo, exec_lo, s7
	s_lshl_b32 s6, s6, 3
	s_wait_loadcnt_dscnt 0x0
	s_wait_alu 0xfffe
	v_mov_b32_e32 v2, s6
	s_barrier_signal -1
	s_barrier_wait -1
	global_inv scope:SCOPE_SE
	v_cmp_eq_u64_e32 vcc_lo, 1, v[28:29]
	ds_load_b128 v[4:7], v2 offset:3072
	ds_load_b128 v[8:11], v2 offset:3088
	s_lshl_b32 s16, 3, s64
	s_mov_b32 s18, -1
	s_wait_alu 0xfffe
	s_not_b32 s20, s16
                                        ; implicit-def: $sgpr22
                                        ; implicit-def: $sgpr21
	s_wait_dscnt 0x1
	v_cmp_eq_u64_e64 s6, 1, v[4:5]
	s_wait_dscnt 0x0
	v_readfirstlane_b32 s10, v8
	v_readfirstlane_b32 s11, v9
	;; [unrolled: 1-line block ×4, first 2 shown]
	s_and_b32 s19, s6, vcc_lo
	s_mov_b32 s6, -1
	s_wait_alu 0xfffe
	s_and_saveexec_b32 s17, s19
	s_cbranch_execz .LBB70_137
; %bb.106:                              ;   in Loop: Header=BB70_32 Depth=1
	ds_load_b64 v[8:9], v3 offset:5120
	s_wait_loadcnt_dscnt 0x0
	s_barrier_signal -1
	s_barrier_wait -1
	global_inv scope:SCOPE_SE
	v_readfirstlane_b32 s12, v8
	v_readfirstlane_b32 s13, v9
	s_and_saveexec_b32 s6, s3
; %bb.107:                              ;   in Loop: Header=BB70_32 Depth=1
	ds_store_b16 v36, v3
; %bb.108:                              ;   in Loop: Header=BB70_32 Depth=1
	s_wait_alu 0xfffe
	s_or_b32 exec_lo, exec_lo, s6
	v_cmp_lt_i64_e64 s6, s[12:13], 1
	v_and_b32_e32 v24, s20, v24
	v_or_b32_e32 v47, s16, v47
	s_mov_b32 s21, -1
	s_mov_b32 s22, 0
	s_mov_b32 s23, 0
	s_and_b32 vcc_lo, exec_lo, s6
	s_mov_b32 s7, -1
	s_wait_loadcnt_dscnt 0x0
	s_barrier_signal -1
	s_barrier_wait -1
	global_inv scope:SCOPE_SE
                                        ; implicit-def: $vgpr48
	s_wait_alu 0xfffe
	s_cbranch_vccz .LBB70_122
; %bb.109:                              ;   in Loop: Header=BB70_32 Depth=1
	s_mov_b32 s6, s25
	s_mov_b32 s7, s77
	s_wait_alu 0xfffe
	s_cmp_lg_u64 s[6:7], 0
	s_cbranch_scc0 .LBB70_163
; %bb.110:                              ;   in Loop: Header=BB70_32 Depth=1
	s_add_nc_u64 s[6:7], s[68:69], 0
	s_wait_alu 0xfffe
	s_xor_b64 s[6:7], s[6:7], 0
	s_wait_alu 0xfffe
	s_cvt_f32_u32 s14, s6
	s_cvt_f32_u32 s15, s7
	s_sub_nc_u64 s[54:55], 0, s[6:7]
	s_wait_alu 0xfffe
	s_delay_alu instid0(SALU_CYCLE_1) | instskip(SKIP_1) | instid1(SALU_CYCLE_2)
	s_fmamk_f32 s14, s15, 0x4f800000, s14
	s_wait_alu 0xfffe
	v_s_rcp_f32 s14, s14
	s_delay_alu instid0(TRANS32_DEP_1) | instskip(SKIP_1) | instid1(SALU_CYCLE_2)
	s_mul_f32 s14, s14, 0x5f7ffffc
	s_wait_alu 0xfffe
	s_mul_f32 s15, s14, 0x2f800000
	s_wait_alu 0xfffe
	s_delay_alu instid0(SALU_CYCLE_2) | instskip(SKIP_1) | instid1(SALU_CYCLE_2)
	s_trunc_f32 s15, s15
	s_wait_alu 0xfffe
	s_fmamk_f32 s14, s15, 0xcf800000, s14
	s_cvt_u32_f32 s15, s15
	s_wait_alu 0xfffe
	s_delay_alu instid0(SALU_CYCLE_1) | instskip(SKIP_1) | instid1(SALU_CYCLE_2)
	s_cvt_u32_f32 s14, s14
	s_wait_alu 0xfffe
	s_mul_u64 s[84:85], s[54:55], s[14:15]
	s_wait_alu 0xfffe
	s_mul_hi_u32 s87, s14, s85
	s_mul_i32 s86, s14, s85
	s_mul_hi_u32 s24, s14, s84
	s_mul_i32 s53, s15, s84
	s_wait_alu 0xfffe
	s_add_nc_u64 s[86:87], s[24:25], s[86:87]
	s_mul_hi_u32 s23, s15, s84
	s_mul_hi_u32 s88, s15, s85
	s_wait_alu 0xfffe
	s_add_co_u32 s24, s86, s53
	s_add_co_ci_u32 s24, s87, s23
	s_mul_i32 s84, s15, s85
	s_add_co_ci_u32 s85, s88, 0
	s_wait_alu 0xfffe
	s_add_nc_u64 s[84:85], s[24:25], s[84:85]
	s_wait_alu 0xfffe
	s_add_co_u32 s14, s14, s84
	s_cselect_b32 s23, -1, 0
	s_wait_alu 0xfffe
	s_cmp_lg_u32 s23, 0
	s_add_co_ci_u32 s15, s15, s85
	s_wait_alu 0xfffe
	s_mul_u64 s[54:55], s[54:55], s[14:15]
	s_wait_alu 0xfffe
	s_mul_hi_u32 s85, s14, s55
	s_mul_i32 s84, s14, s55
	s_mul_hi_u32 s24, s14, s54
	s_mul_i32 s53, s15, s54
	s_wait_alu 0xfffe
	s_add_nc_u64 s[84:85], s[24:25], s[84:85]
	s_mul_hi_u32 s23, s15, s54
	s_mul_hi_u32 s86, s15, s55
	s_wait_alu 0xfffe
	s_add_co_u32 s24, s84, s53
	s_add_co_ci_u32 s24, s85, s23
	s_mul_i32 s54, s15, s55
	s_add_co_ci_u32 s55, s86, 0
	s_wait_alu 0xfffe
	s_add_nc_u64 s[54:55], s[24:25], s[54:55]
	s_wait_alu 0xfffe
	s_add_co_u32 s23, s14, s54
	s_cselect_b32 s14, -1, 0
	s_wait_alu 0xfffe
	s_cmp_lg_u32 s14, 0
	s_add_co_ci_u32 s53, s15, s55
	s_ashr_i32 s14, s77, 31
	s_wait_alu 0xfffe
	s_mov_b32 s15, s14
	s_wait_alu 0xfffe
	s_add_nc_u64 s[54:55], s[76:77], s[14:15]
	s_wait_alu 0xfffe
	s_xor_b64 s[54:55], s[54:55], s[14:15]
	s_wait_alu 0xfffe
	s_mul_hi_u32 s85, s54, s53
	s_mul_i32 s84, s54, s53
	s_mul_hi_u32 s24, s54, s23
	s_mul_hi_u32 s88, s55, s23
	s_mul_i32 s23, s55, s23
	s_wait_alu 0xfffe
	s_add_nc_u64 s[84:85], s[24:25], s[84:85]
	s_mul_hi_u32 s87, s55, s53
	s_wait_alu 0xfffe
	s_add_co_u32 s23, s84, s23
	s_add_co_ci_u32 s24, s85, s88
	s_mul_i32 s86, s55, s53
	s_add_co_ci_u32 s87, s87, 0
	s_wait_alu 0xfffe
	s_add_nc_u64 s[84:85], s[24:25], s[86:87]
	s_wait_alu 0xfffe
	s_mul_u64 s[84:85], s[6:7], s[84:85]
	s_wait_alu 0xfffe
	s_sub_co_u32 s23, s54, s84
	s_cselect_b32 s24, -1, 0
	s_sub_co_i32 s53, s55, s85
	s_wait_alu 0xfffe
	s_cmp_lg_u32 s24, 0
	s_sub_co_ci_u32 s53, s53, s7
	s_sub_co_u32 s54, s23, s6
	s_cselect_b32 s84, -1, 0
	s_wait_alu 0xfffe
	s_cmp_lg_u32 s84, 0
	s_sub_co_ci_u32 s86, s53, 0
	s_wait_alu 0xfffe
	s_cmp_ge_u32 s86, s7
	s_cselect_b32 s87, -1, 0
	s_cmp_ge_u32 s54, s6
	s_cselect_b32 s88, -1, 0
	s_cmp_eq_u32 s86, s7
	s_wait_alu 0xfffe
	s_cselect_b32 s87, s88, s87
	s_cmp_lg_u32 s84, 0
	s_sub_co_ci_u32 s53, s53, s7
	s_sub_co_u32 s84, s54, s6
	s_cselect_b32 s88, -1, 0
	s_wait_alu 0xfffe
	s_cmp_lg_u32 s88, 0
	s_sub_co_ci_u32 s53, s53, 0
	s_cmp_lg_u32 s87, 0
	s_cselect_b32 s54, s84, s54
	s_cselect_b32 s53, s53, s86
	s_cmp_lg_u32 s24, 0
	s_sub_co_ci_u32 s24, s55, s85
	s_wait_alu 0xfffe
	s_cmp_ge_u32 s24, s7
	s_cselect_b32 s55, -1, 0
	s_cmp_ge_u32 s23, s6
	s_cselect_b32 s6, -1, 0
	s_cmp_eq_u32 s24, s7
	s_wait_alu 0xfffe
	s_cselect_b32 s6, s6, s55
	s_wait_alu 0xfffe
	s_cmp_lg_u32 s6, 0
	s_cselect_b32 s7, s53, s24
	s_cselect_b32 s6, s54, s23
	s_wait_alu 0xfffe
	s_xor_b64 s[6:7], s[6:7], s[14:15]
	s_wait_alu 0xfffe
	s_sub_nc_u64 s[6:7], s[6:7], s[14:15]
	s_cbranch_execnz .LBB70_112
.LBB70_111:                             ;   in Loop: Header=BB70_32 Depth=1
	v_cvt_f32_u32_e32 v2, s68
	s_sub_co_i32 s7, 0, s68
	s_delay_alu instid0(VALU_DEP_1) | instskip(NEXT) | instid1(TRANS32_DEP_1)
	v_rcp_iflag_f32_e32 v2, v2
	v_mul_f32_e32 v2, 0x4f7ffffe, v2
	s_delay_alu instid0(VALU_DEP_1) | instskip(NEXT) | instid1(VALU_DEP_1)
	v_cvt_u32_f32_e32 v2, v2
	v_readfirstlane_b32 s6, v2
	s_wait_alu 0xfffe
	s_mul_i32 s7, s7, s6
	s_wait_alu 0xfffe
	s_mul_hi_u32 s7, s6, s7
	s_wait_alu 0xfffe
	s_add_co_i32 s6, s6, s7
	s_wait_alu 0xfffe
	s_mul_hi_u32 s6, s76, s6
	s_wait_alu 0xfffe
	s_mul_i32 s6, s6, s68
	s_wait_alu 0xfffe
	s_sub_co_i32 s6, s76, s6
	s_wait_alu 0xfffe
	s_sub_co_i32 s7, s6, s68
	s_cmp_ge_u32 s6, s68
	s_wait_alu 0xfffe
	s_cselect_b32 s6, s7, s6
	s_wait_alu 0xfffe
	s_sub_co_i32 s7, s6, s68
	s_cmp_ge_u32 s6, s68
	s_wait_alu 0xfffe
	s_cselect_b32 s24, s7, s6
	s_wait_alu 0xfffe
	s_mov_b64 s[6:7], s[24:25]
.LBB70_112:                             ;   in Loop: Header=BB70_32 Depth=1
	s_wait_alu 0xfffe
	s_sub_nc_u64 s[14:15], s[76:77], s[6:7]
	s_mov_b32 s7, 0
	s_mov_b32 s23, 0
	s_mov_b32 s24, exec_lo
                                        ; implicit-def: $vgpr48
	s_wait_alu 0xfffe
	v_cmpx_gt_i64_e64 s[14:15], v[0:1]
	s_cbranch_execz .LBB70_121
; %bb.113:                              ;   in Loop: Header=BB70_32 Depth=1
	v_dual_mov_b32 v8, v12 :: v_dual_mov_b32 v9, v13
	v_dual_mov_b32 v11, v1 :: v_dual_mov_b32 v10, v0
                                        ; implicit-def: $sgpr53
	s_branch .LBB70_116
.LBB70_114:                             ;   in Loop: Header=BB70_116 Depth=2
	s_wait_alu 0xfffe
	s_or_b32 exec_lo, exec_lo, s6
	s_wait_loadcnt_dscnt 0x0
	s_barrier_signal -1
	s_barrier_wait -1
	global_inv scope:SCOPE_SE
	ds_load_b32 v2, v3 offset:3072
	s_mov_b32 s6, -1
	s_mov_b32 s54, -1
	s_wait_loadcnt_dscnt 0x0
	s_barrier_signal -1
	s_barrier_wait -1
	global_inv scope:SCOPE_SE
	v_and_b32_e32 v30, 0x7fff, v2
	s_delay_alu instid0(VALU_DEP_1)
	v_cmp_ne_u32_e32 vcc_lo, 0, v30
	s_cbranch_vccz .LBB70_119
.LBB70_115:                             ;   in Loop: Header=BB70_116 Depth=2
	s_wait_alu 0xfffe
	s_and_b32 s6, exec_lo, s6
	s_wait_alu 0xfffe
	s_or_b32 s23, s6, s23
	s_and_not1_b32 s6, s53, exec_lo
	s_and_b32 s53, s54, exec_lo
	s_wait_alu 0xfffe
	s_or_b32 s53, s6, s53
	s_and_not1_b32 exec_lo, exec_lo, s23
	s_cbranch_execz .LBB70_120
.LBB70_116:                             ;   Parent Loop BB70_32 Depth=1
                                        ; =>  This Inner Loop Header: Depth=2
	s_mov_b32 s6, exec_lo
	s_delay_alu instid0(VALU_DEP_1)
	v_cmpx_gt_i64_e64 s[36:37], v[10:11]
	s_cbranch_execz .LBB70_114
; %bb.117:                              ;   in Loop: Header=BB70_116 Depth=2
	global_load_u16 v2, v[8:9], off
	s_wait_loadcnt 0x0
	v_cmp_lt_i16_e32 vcc_lo, -1, v2
	v_and_b32_e32 v30, 0xffff, v2
	v_lshlrev_b32_e32 v32, 16, v2
	s_wait_alu 0xfffd
	v_cndmask_b32_e32 v31, 0xffff, v46, vcc_lo
	s_delay_alu instid0(VALU_DEP_2) | instskip(NEXT) | instid1(VALU_DEP_2)
	v_cmp_o_f32_e32 vcc_lo, v32, v32
	v_xor_b32_e32 v30, v31, v30
	s_wait_alu 0xfffd
	s_delay_alu instid0(VALU_DEP_1) | instskip(NEXT) | instid1(VALU_DEP_1)
	v_cndmask_b32_e32 v30, 0xffff, v30, vcc_lo
	v_and_b32_e32 v30, v30, v47
	s_delay_alu instid0(VALU_DEP_1)
	v_cmp_eq_u32_e32 vcc_lo, v30, v24
	s_and_b32 exec_lo, exec_lo, vcc_lo
	s_cbranch_execz .LBB70_114
; %bb.118:                              ;   in Loop: Header=BB70_116 Depth=2
	v_perm_b32 v2, v2, s61, 0x5040100
	ds_store_b32 v3, v2 offset:3072
	s_branch .LBB70_114
.LBB70_119:                             ;   in Loop: Header=BB70_116 Depth=2
	v_add_co_u32 v10, vcc_lo, v10, s68
	s_wait_alu 0xfffd
	v_add_co_ci_u32_e64 v11, null, 0, v11, vcc_lo
	v_add_co_u32 v8, s6, v8, s70
	s_wait_alu 0xf1fe
	v_add_co_ci_u32_e64 v9, null, s71, v9, s6
	s_delay_alu instid0(VALU_DEP_3)
	v_cmp_le_i64_e32 vcc_lo, s[14:15], v[10:11]
	s_mov_b32 s54, 0
	s_or_not1_b32 s6, vcc_lo, exec_lo
	s_branch .LBB70_115
.LBB70_120:                             ;   in Loop: Header=BB70_32 Depth=1
	s_or_b32 exec_lo, exec_lo, s23
	v_lshrrev_b32_e32 v48, 16, v2
	s_and_b32 s23, s53, exec_lo
.LBB70_121:                             ;   in Loop: Header=BB70_32 Depth=1
	s_or_b32 exec_lo, exec_lo, s24
.LBB70_122:                             ;   in Loop: Header=BB70_32 Depth=1
	s_delay_alu instid0(SALU_CYCLE_1)
	s_and_b32 vcc_lo, exec_lo, s7
	s_wait_alu 0xfffe
	s_cbranch_vccz .LBB70_136
; %bb.123:                              ;   in Loop: Header=BB70_32 Depth=1
	s_add_nc_u64 s[6:7], s[12:13], s[74:75]
	s_mov_b32 s14, s25
	s_wait_alu 0xfffe
	s_mov_b32 s15, s7
	s_wait_alu 0xfffe
	s_cmp_lg_u64 s[14:15], 0
	s_cbranch_scc0 .LBB70_164
; %bb.124:                              ;   in Loop: Header=BB70_32 Depth=1
	s_add_nc_u64 s[14:15], s[68:69], 0
	s_wait_alu 0xfffe
	s_xor_b64 s[14:15], s[14:15], 0
	s_wait_alu 0xfffe
	s_cvt_f32_u32 s21, s14
	s_cvt_f32_u32 s22, s15
	s_sub_nc_u64 s[84:85], 0, s[14:15]
	s_wait_alu 0xfffe
	s_delay_alu instid0(SALU_CYCLE_1) | instskip(SKIP_1) | instid1(SALU_CYCLE_2)
	s_fmamk_f32 s21, s22, 0x4f800000, s21
	s_wait_alu 0xfffe
	v_s_rcp_f32 s21, s21
	s_delay_alu instid0(TRANS32_DEP_1) | instskip(SKIP_1) | instid1(SALU_CYCLE_2)
	s_mul_f32 s21, s21, 0x5f7ffffc
	s_wait_alu 0xfffe
	s_mul_f32 s22, s21, 0x2f800000
	s_wait_alu 0xfffe
	s_delay_alu instid0(SALU_CYCLE_2) | instskip(SKIP_1) | instid1(SALU_CYCLE_2)
	s_trunc_f32 s22, s22
	s_wait_alu 0xfffe
	s_fmamk_f32 s21, s22, 0xcf800000, s21
	s_cvt_u32_f32 s55, s22
	s_wait_alu 0xfffe
	s_delay_alu instid0(SALU_CYCLE_1) | instskip(SKIP_1) | instid1(SALU_CYCLE_2)
	s_cvt_u32_f32 s54, s21
	s_wait_alu 0xfffe
	s_mul_u64 s[86:87], s[84:85], s[54:55]
	s_wait_alu 0xfffe
	s_mul_hi_u32 s89, s54, s87
	s_mul_i32 s88, s54, s87
	s_mul_hi_u32 s24, s54, s86
	s_mul_i32 s22, s55, s86
	s_wait_alu 0xfffe
	s_add_nc_u64 s[88:89], s[24:25], s[88:89]
	s_mul_hi_u32 s21, s55, s86
	s_mul_hi_u32 s53, s55, s87
	s_wait_alu 0xfffe
	s_add_co_u32 s22, s88, s22
	s_add_co_ci_u32 s24, s89, s21
	s_mul_i32 s86, s55, s87
	s_add_co_ci_u32 s87, s53, 0
	s_wait_alu 0xfffe
	s_add_nc_u64 s[86:87], s[24:25], s[86:87]
	s_wait_alu 0xfffe
	s_add_co_u32 s54, s54, s86
	s_cselect_b32 s21, -1, 0
	s_wait_alu 0xfffe
	s_cmp_lg_u32 s21, 0
	s_add_co_ci_u32 s55, s55, s87
	s_wait_alu 0xfffe
	s_mul_u64 s[84:85], s[84:85], s[54:55]
	s_wait_alu 0xfffe
	s_mul_hi_u32 s87, s54, s85
	s_mul_i32 s86, s54, s85
	s_mul_hi_u32 s24, s54, s84
	s_mul_i32 s22, s55, s84
	s_wait_alu 0xfffe
	s_add_nc_u64 s[86:87], s[24:25], s[86:87]
	s_mul_hi_u32 s21, s55, s84
	s_mul_hi_u32 s53, s55, s85
	s_wait_alu 0xfffe
	s_add_co_u32 s22, s86, s22
	s_add_co_ci_u32 s24, s87, s21
	s_mul_i32 s84, s55, s85
	s_add_co_ci_u32 s85, s53, 0
	s_wait_alu 0xfffe
	s_add_nc_u64 s[84:85], s[24:25], s[84:85]
	s_wait_alu 0xfffe
	s_add_co_u32 s21, s54, s84
	s_cselect_b32 s22, -1, 0
	s_wait_alu 0xfffe
	s_cmp_lg_u32 s22, 0
	s_add_co_ci_u32 s22, s55, s85
	s_ashr_i32 s54, s7, 31
	s_wait_alu 0xfffe
	s_mov_b32 s55, s54
	s_wait_alu 0xfffe
	s_add_nc_u64 s[84:85], s[6:7], s[54:55]
	s_wait_alu 0xfffe
	s_xor_b64 s[84:85], s[84:85], s[54:55]
	s_wait_alu 0xfffe
	s_mul_hi_u32 s87, s84, s22
	s_mul_i32 s86, s84, s22
	s_mul_hi_u32 s24, s84, s21
	s_mul_hi_u32 s89, s85, s21
	s_mul_i32 s21, s85, s21
	s_wait_alu 0xfffe
	s_add_nc_u64 s[86:87], s[24:25], s[86:87]
	s_mul_hi_u32 s53, s85, s22
	s_wait_alu 0xfffe
	s_add_co_u32 s21, s86, s21
	s_add_co_ci_u32 s24, s87, s89
	s_mul_i32 s88, s85, s22
	s_add_co_ci_u32 s89, s53, 0
	s_wait_alu 0xfffe
	s_add_nc_u64 s[86:87], s[24:25], s[88:89]
	s_wait_alu 0xfffe
	s_mul_u64 s[86:87], s[14:15], s[86:87]
	s_wait_alu 0xfffe
	s_sub_co_u32 s21, s84, s86
	s_cselect_b32 s22, -1, 0
	s_sub_co_i32 s24, s85, s87
	s_wait_alu 0xfffe
	s_cmp_lg_u32 s22, 0
	s_sub_co_ci_u32 s24, s24, s15
	s_sub_co_u32 s53, s21, s14
	s_cselect_b32 s84, -1, 0
	s_wait_alu 0xfffe
	s_cmp_lg_u32 s84, 0
	s_sub_co_ci_u32 s86, s24, 0
	s_wait_alu 0xfffe
	s_cmp_ge_u32 s86, s15
	s_cselect_b32 s88, -1, 0
	s_cmp_ge_u32 s53, s14
	s_cselect_b32 s89, -1, 0
	s_cmp_eq_u32 s86, s15
	s_wait_alu 0xfffe
	s_cselect_b32 s88, s89, s88
	s_cmp_lg_u32 s84, 0
	s_sub_co_ci_u32 s24, s24, s15
	s_sub_co_u32 s84, s53, s14
	s_cselect_b32 s89, -1, 0
	s_wait_alu 0xfffe
	s_cmp_lg_u32 s89, 0
	s_sub_co_ci_u32 s24, s24, 0
	s_cmp_lg_u32 s88, 0
	s_cselect_b32 s53, s84, s53
	s_wait_alu 0xfffe
	s_cselect_b32 s24, s24, s86
	s_cmp_lg_u32 s22, 0
	s_sub_co_ci_u32 s22, s85, s87
	s_wait_alu 0xfffe
	s_cmp_ge_u32 s22, s15
	s_cselect_b32 s84, -1, 0
	s_cmp_ge_u32 s21, s14
	s_cselect_b32 s14, -1, 0
	s_cmp_eq_u32 s22, s15
	s_wait_alu 0xfffe
	s_cselect_b32 s14, s14, s84
	s_wait_alu 0xfffe
	s_cmp_lg_u32 s14, 0
	s_cselect_b32 s15, s24, s22
	s_cselect_b32 s14, s53, s21
	s_wait_alu 0xfffe
	s_xor_b64 s[14:15], s[14:15], s[54:55]
	s_wait_alu 0xfffe
	s_sub_nc_u64 s[14:15], s[14:15], s[54:55]
	s_cbranch_execnz .LBB70_126
.LBB70_125:                             ;   in Loop: Header=BB70_32 Depth=1
	v_cvt_f32_u32_e32 v2, s68
	s_sub_co_i32 s15, 0, s68
	s_delay_alu instid0(VALU_DEP_1) | instskip(NEXT) | instid1(TRANS32_DEP_1)
	v_rcp_iflag_f32_e32 v2, v2
	v_mul_f32_e32 v2, 0x4f7ffffe, v2
	s_delay_alu instid0(VALU_DEP_1) | instskip(NEXT) | instid1(VALU_DEP_1)
	v_cvt_u32_f32_e32 v2, v2
	v_readfirstlane_b32 s14, v2
	s_wait_alu 0xfffe
	s_mul_i32 s15, s15, s14
	s_wait_alu 0xfffe
	s_mul_hi_u32 s15, s14, s15
	s_wait_alu 0xfffe
	s_add_co_i32 s14, s14, s15
	s_wait_alu 0xfffe
	s_mul_hi_u32 s14, s6, s14
	s_wait_alu 0xfffe
	s_mul_i32 s14, s14, s68
	s_wait_alu 0xfffe
	s_sub_co_i32 s14, s6, s14
	s_wait_alu 0xfffe
	s_sub_co_i32 s15, s14, s68
	s_cmp_ge_u32 s14, s68
	s_wait_alu 0xfffe
	s_cselect_b32 s14, s15, s14
	s_wait_alu 0xfffe
	s_sub_co_i32 s15, s14, s68
	s_cmp_ge_u32 s14, s68
	s_wait_alu 0xfffe
	s_cselect_b32 s24, s15, s14
	s_wait_alu 0xfffe
	s_mov_b64 s[14:15], s[24:25]
.LBB70_126:                             ;   in Loop: Header=BB70_32 Depth=1
	s_wait_alu 0xfffe
	s_sub_nc_u64 s[6:7], s[6:7], s[14:15]
	s_mov_b32 s14, exec_lo
                                        ; implicit-def: $vgpr48
	s_wait_alu 0xfffe
	v_cmpx_gt_i64_e64 s[6:7], v[0:1]
	s_cbranch_execz .LBB70_135
; %bb.127:                              ;   in Loop: Header=BB70_32 Depth=1
	v_dual_mov_b32 v2, v35 :: v_dual_mov_b32 v9, v1
	v_mov_b32_e32 v8, v0
	s_mov_b32 s15, 0
                                        ; implicit-def: $sgpr21
	s_branch .LBB70_130
.LBB70_128:                             ;   in Loop: Header=BB70_130 Depth=2
	s_wait_alu 0xfffe
	s_or_b32 exec_lo, exec_lo, s22
	s_wait_loadcnt_dscnt 0x0
	s_barrier_signal -1
	s_barrier_wait -1
	global_inv scope:SCOPE_SE
	ds_load_b32 v10, v3 offset:3072
	s_mov_b32 s22, -1
	s_mov_b32 s24, -1
	s_wait_loadcnt_dscnt 0x0
	s_barrier_signal -1
	s_barrier_wait -1
	global_inv scope:SCOPE_SE
	v_and_b32_e32 v11, 0x7fff, v10
	s_delay_alu instid0(VALU_DEP_1)
	v_cmp_ne_u32_e32 vcc_lo, 0, v11
	s_cbranch_vccz .LBB70_133
.LBB70_129:                             ;   in Loop: Header=BB70_130 Depth=2
	s_wait_alu 0xfffe
	s_and_b32 s22, exec_lo, s22
	s_wait_alu 0xfffe
	s_or_b32 s15, s22, s15
	s_and_not1_b32 s21, s21, exec_lo
	s_and_b32 s22, s24, exec_lo
	s_wait_alu 0xfffe
	s_or_b32 s21, s21, s22
	s_and_not1_b32 exec_lo, exec_lo, s15
	s_cbranch_execz .LBB70_134
.LBB70_130:                             ;   Parent Loop BB70_32 Depth=1
                                        ; =>  This Inner Loop Header: Depth=2
	s_mov_b32 s22, exec_lo
	s_delay_alu instid0(VALU_DEP_1)
	v_cmpx_gt_u64_e64 s[12:13], v[8:9]
	s_cbranch_execz .LBB70_128
; %bb.131:                              ;   in Loop: Header=BB70_130 Depth=2
	ds_load_u16 v10, v2
	s_wait_dscnt 0x0
	v_cmp_lt_i16_e32 vcc_lo, -1, v10
	v_and_b32_e32 v11, 0xffff, v10
	v_lshlrev_b32_e32 v31, 16, v10
	s_wait_alu 0xfffd
	v_cndmask_b32_e32 v30, 0xffff, v46, vcc_lo
	s_delay_alu instid0(VALU_DEP_2) | instskip(NEXT) | instid1(VALU_DEP_2)
	v_cmp_o_f32_e32 vcc_lo, v31, v31
	v_xor_b32_e32 v11, v30, v11
	s_wait_alu 0xfffd
	s_delay_alu instid0(VALU_DEP_1) | instskip(NEXT) | instid1(VALU_DEP_1)
	v_cndmask_b32_e32 v11, 0xffff, v11, vcc_lo
	v_and_b32_e32 v11, v11, v47
	s_delay_alu instid0(VALU_DEP_1)
	v_cmp_eq_u32_e32 vcc_lo, v11, v24
	s_and_b32 exec_lo, exec_lo, vcc_lo
	s_cbranch_execz .LBB70_128
; %bb.132:                              ;   in Loop: Header=BB70_130 Depth=2
	v_perm_b32 v10, v10, s61, 0x5040100
	ds_store_b32 v3, v10 offset:3072
	s_branch .LBB70_128
.LBB70_133:                             ;   in Loop: Header=BB70_130 Depth=2
	v_add_co_u32 v8, vcc_lo, v8, s68
	s_wait_alu 0xfffd
	v_add_co_ci_u32_e64 v9, null, 0, v9, vcc_lo
	v_add_nc_u32_e32 v2, s60, v2
	s_mov_b32 s24, 0
	s_delay_alu instid0(VALU_DEP_2)
	v_cmp_le_i64_e32 vcc_lo, s[6:7], v[8:9]
	s_or_not1_b32 s22, vcc_lo, exec_lo
	s_branch .LBB70_129
.LBB70_134:                             ;   in Loop: Header=BB70_32 Depth=1
	s_or_b32 exec_lo, exec_lo, s15
	v_lshrrev_b32_e32 v48, 16, v10
	s_and_not1_b32 s6, s23, exec_lo
	s_wait_alu 0xfffe
	s_and_b32 s7, s21, exec_lo
	s_wait_alu 0xfffe
	s_or_b32 s23, s6, s7
.LBB70_135:                             ;   in Loop: Header=BB70_32 Depth=1
	s_or_b32 exec_lo, exec_lo, s14
	s_mov_b32 s21, 0
	s_mov_b32 s22, -1
.LBB70_136:                             ;   in Loop: Header=BB70_32 Depth=1
	s_wait_alu 0xfffe
	s_or_not1_b32 s6, s23, exec_lo
.LBB70_137:                             ;   in Loop: Header=BB70_32 Depth=1
	s_wait_alu 0xfffe
	s_or_b32 exec_lo, exec_lo, s17
	s_delay_alu instid0(SALU_CYCLE_1)
	s_and_not1_b32 s7, s51, exec_lo
	s_and_b32 s12, s22, exec_lo
	s_and_not1_b32 s13, s49, exec_lo
	s_and_b32 s14, s21, exec_lo
	s_and_not1_b32 s48, s48, exec_lo
	s_wait_alu 0xfffe
	s_or_b32 s51, s7, s12
	s_or_b32 s49, s13, s14
                                        ; implicit-def: $vgpr8_vgpr9
	s_and_saveexec_b32 s17, s6
	s_cbranch_execz .LBB70_31
; %bb.138:                              ;   in Loop: Header=BB70_32 Depth=1
	v_mov_b32_e32 v8, 1
	v_dual_mov_b32 v9, 0 :: v_dual_mov_b32 v2, 1
	s_xor_b32 s12, s19, -1
	s_mov_b32 s7, 0
	s_wait_alu 0xfffe
	s_and_saveexec_b32 s6, s12
	s_cbranch_execz .LBB70_147
; %bb.139:                              ;   in Loop: Header=BB70_32 Depth=1
	s_mov_b32 s7, exec_lo
	v_cmpx_le_i64_e64 v[28:29], v[4:5]
	s_wait_alu 0xfffe
	s_xor_b32 s7, exec_lo, s7
	s_cbranch_execz .LBB70_144
; %bb.140:                              ;   in Loop: Header=BB70_32 Depth=1
	ds_load_b64 v[8:9], v3 offset:5120
	v_and_b32_e32 v24, s20, v24
	v_or_b32_e32 v47, s16, v47
	s_wait_dscnt 0x0
	v_cmp_ne_u64_e32 vcc_lo, 0, v[8:9]
	s_cbranch_vccnz .LBB70_144
; %bb.141:                              ;   in Loop: Header=BB70_32 Depth=1
	s_and_saveexec_b32 s12, s2
; %bb.142:                              ;   in Loop: Header=BB70_32 Depth=1
	ds_store_b64 v3, v[4:5] offset:5128
; %bb.143:                              ;   in Loop: Header=BB70_32 Depth=1
	s_wait_alu 0xfffe
	s_or_b32 exec_lo, exec_lo, s12
	s_wait_loadcnt_dscnt 0x0
	s_barrier_signal -1
	s_barrier_wait -1
	global_inv scope:SCOPE_SE
.LBB70_144:                             ;   in Loop: Header=BB70_32 Depth=1
	s_wait_alu 0xfffe
	s_or_saveexec_b32 s7, s7
	v_mov_b32_e32 v2, 8
	s_mov_b32 s12, 0
	s_wait_alu 0xfffe
	s_xor_b32 exec_lo, exec_lo, s7
; %bb.145:                              ;   in Loop: Header=BB70_32 Depth=1
	v_sub_co_u32 v28, vcc_lo, v28, v4
	s_wait_alu 0xfffd
	v_sub_co_ci_u32_e64 v29, null, v29, v5, vcc_lo
	v_mov_b32_e32 v2, 0
	s_mov_b32 s12, exec_lo
; %bb.146:                              ;   in Loop: Header=BB70_32 Depth=1
	s_or_b32 exec_lo, exec_lo, s7
	s_delay_alu instid0(VALU_DEP_2)
	v_dual_mov_b32 v8, v28 :: v_dual_mov_b32 v9, v29
	s_wait_alu 0xfffe
	s_and_b32 s7, s12, exec_lo
.LBB70_147:                             ;   in Loop: Header=BB70_32 Depth=1
	s_wait_alu 0xfffe
	s_or_b32 exec_lo, exec_lo, s6
	s_mov_b32 s18, -1
	s_mov_b32 s6, -1
                                        ; implicit-def: $sgpr21
                                        ; implicit-def: $sgpr22
	s_and_saveexec_b32 s12, s7
	s_wait_alu 0xfffe
	s_xor_b32 s19, exec_lo, s12
	s_cbranch_execz .LBB70_289
; %bb.148:                              ;   in Loop: Header=BB70_32 Depth=1
	v_cmp_eq_u64_e32 vcc_lo, 1, v[6:7]
	v_cmp_eq_u64_e64 s6, 1, v[8:9]
                                        ; implicit-def: $sgpr22
                                        ; implicit-def: $sgpr21
	s_and_b32 s53, vcc_lo, s6
	s_mov_b32 s6, -1
	s_and_saveexec_b32 s23, s53
	s_cbranch_execz .LBB70_182
; %bb.149:                              ;   in Loop: Header=BB70_32 Depth=1
	ds_load_b64 v[4:5], v3 offset:5120
	s_wait_loadcnt_dscnt 0x0
	s_barrier_signal -1
	s_barrier_wait -1
	global_inv scope:SCOPE_SE
	v_readfirstlane_b32 s12, v4
	v_readfirstlane_b32 s13, v5
	s_and_saveexec_b32 s6, s3
; %bb.150:                              ;   in Loop: Header=BB70_32 Depth=1
	ds_store_b16 v36, v3
; %bb.151:                              ;   in Loop: Header=BB70_32 Depth=1
	s_wait_alu 0xfffe
	s_or_b32 exec_lo, exec_lo, s6
	s_lshl_b32 s6, 1, s64
	v_or_b32_e32 v47, s16, v47
	s_wait_alu 0xfffe
	v_and_or_b32 v24, v24, s20, s6
	v_cmp_gt_i64_e64 s6, s[12:13], 0
	s_mov_b32 s21, -1
	s_mov_b32 s22, 0
	s_mov_b32 s54, 0
	s_mov_b32 s7, -1
	s_wait_loadcnt_dscnt 0x0
	s_and_b32 vcc_lo, exec_lo, s6
	s_barrier_signal -1
	s_barrier_wait -1
	global_inv scope:SCOPE_SE
                                        ; implicit-def: $vgpr48
	s_wait_alu 0xfffe
	s_cbranch_vccnz .LBB70_167
; %bb.152:                              ;   in Loop: Header=BB70_32 Depth=1
	s_mov_b32 s6, s25
	s_mov_b32 s7, s77
	s_wait_alu 0xfffe
	s_cmp_lg_u64 s[6:7], 0
	s_cbranch_scc0 .LBB70_209
; %bb.153:                              ;   in Loop: Header=BB70_32 Depth=1
	s_add_nc_u64 s[6:7], s[68:69], 0
	s_wait_alu 0xfffe
	s_xor_b64 s[6:7], s[6:7], 0
	s_wait_alu 0xfffe
	s_cvt_f32_u32 s14, s6
	s_cvt_f32_u32 s15, s7
	s_sub_nc_u64 s[54:55], 0, s[6:7]
	s_wait_alu 0xfffe
	s_delay_alu instid0(SALU_CYCLE_1) | instskip(SKIP_1) | instid1(SALU_CYCLE_2)
	s_fmamk_f32 s14, s15, 0x4f800000, s14
	s_wait_alu 0xfffe
	v_s_rcp_f32 s14, s14
	s_delay_alu instid0(TRANS32_DEP_1) | instskip(SKIP_1) | instid1(SALU_CYCLE_2)
	s_mul_f32 s14, s14, 0x5f7ffffc
	s_wait_alu 0xfffe
	s_mul_f32 s15, s14, 0x2f800000
	s_wait_alu 0xfffe
	s_delay_alu instid0(SALU_CYCLE_2) | instskip(SKIP_1) | instid1(SALU_CYCLE_2)
	s_trunc_f32 s15, s15
	s_wait_alu 0xfffe
	s_fmamk_f32 s14, s15, 0xcf800000, s14
	s_cvt_u32_f32 s15, s15
	s_wait_alu 0xfffe
	s_delay_alu instid0(SALU_CYCLE_1) | instskip(SKIP_1) | instid1(SALU_CYCLE_2)
	s_cvt_u32_f32 s14, s14
	s_wait_alu 0xfffe
	s_mul_u64 s[84:85], s[54:55], s[14:15]
	s_wait_alu 0xfffe
	s_mul_hi_u32 s87, s14, s85
	s_mul_i32 s86, s14, s85
	s_mul_hi_u32 s24, s14, s84
	s_mul_i32 s89, s15, s84
	s_wait_alu 0xfffe
	s_add_nc_u64 s[86:87], s[24:25], s[86:87]
	s_mul_hi_u32 s88, s15, s84
	s_mul_hi_u32 s90, s15, s85
	s_wait_alu 0xfffe
	s_add_co_u32 s24, s86, s89
	s_add_co_ci_u32 s24, s87, s88
	s_mul_i32 s84, s15, s85
	s_add_co_ci_u32 s85, s90, 0
	s_wait_alu 0xfffe
	s_add_nc_u64 s[84:85], s[24:25], s[84:85]
	s_wait_alu 0xfffe
	s_add_co_u32 s14, s14, s84
	s_cselect_b32 s24, -1, 0
	s_wait_alu 0xfffe
	s_cmp_lg_u32 s24, 0
	s_add_co_ci_u32 s15, s15, s85
	s_wait_alu 0xfffe
	s_mul_u64 s[54:55], s[54:55], s[14:15]
	s_wait_alu 0xfffe
	s_mul_hi_u32 s85, s14, s55
	s_mul_i32 s84, s14, s55
	s_mul_hi_u32 s24, s14, s54
	s_mul_i32 s87, s15, s54
	s_wait_alu 0xfffe
	s_add_nc_u64 s[84:85], s[24:25], s[84:85]
	s_mul_hi_u32 s86, s15, s54
	s_mul_hi_u32 s88, s15, s55
	s_wait_alu 0xfffe
	s_add_co_u32 s24, s84, s87
	s_add_co_ci_u32 s24, s85, s86
	s_mul_i32 s54, s15, s55
	s_add_co_ci_u32 s55, s88, 0
	s_wait_alu 0xfffe
	s_add_nc_u64 s[54:55], s[24:25], s[54:55]
	s_wait_alu 0xfffe
	s_add_co_u32 s86, s14, s54
	s_cselect_b32 s14, -1, 0
	s_wait_alu 0xfffe
	s_cmp_lg_u32 s14, 0
	s_add_co_ci_u32 s87, s15, s55
	s_ashr_i32 s14, s77, 31
	s_wait_alu 0xfffe
	s_mov_b32 s15, s14
	s_wait_alu 0xfffe
	s_add_nc_u64 s[54:55], s[76:77], s[14:15]
	s_wait_alu 0xfffe
	s_xor_b64 s[54:55], s[54:55], s[14:15]
	s_wait_alu 0xfffe
	s_mul_hi_u32 s85, s54, s87
	s_mul_i32 s84, s54, s87
	s_mul_hi_u32 s24, s54, s86
	s_mul_i32 s90, s55, s86
	s_wait_alu 0xfffe
	s_add_nc_u64 s[84:85], s[24:25], s[84:85]
	s_mul_hi_u32 s89, s55, s86
	s_mul_hi_u32 s88, s55, s87
	s_wait_alu 0xfffe
	s_add_co_u32 s24, s84, s90
	s_add_co_ci_u32 s24, s85, s89
	s_mul_i32 s86, s55, s87
	s_add_co_ci_u32 s87, s88, 0
	s_wait_alu 0xfffe
	s_add_nc_u64 s[84:85], s[24:25], s[86:87]
	s_wait_alu 0xfffe
	s_mul_u64 s[84:85], s[6:7], s[84:85]
	s_wait_alu 0xfffe
	s_sub_co_u32 s24, s54, s84
	s_cselect_b32 s54, -1, 0
	s_sub_co_i32 s84, s55, s85
	s_wait_alu 0xfffe
	s_cmp_lg_u32 s54, 0
	s_sub_co_ci_u32 s84, s84, s7
	s_sub_co_u32 s86, s24, s6
	s_cselect_b32 s87, -1, 0
	s_wait_alu 0xfffe
	s_cmp_lg_u32 s87, 0
	s_sub_co_ci_u32 s88, s84, 0
	s_wait_alu 0xfffe
	s_cmp_ge_u32 s88, s7
	s_cselect_b32 s89, -1, 0
	s_cmp_ge_u32 s86, s6
	s_cselect_b32 s90, -1, 0
	s_cmp_eq_u32 s88, s7
	s_wait_alu 0xfffe
	s_cselect_b32 s89, s90, s89
	s_cmp_lg_u32 s87, 0
	s_sub_co_ci_u32 s84, s84, s7
	s_sub_co_u32 s87, s86, s6
	s_cselect_b32 s90, -1, 0
	s_wait_alu 0xfffe
	s_cmp_lg_u32 s90, 0
	s_sub_co_ci_u32 s84, s84, 0
	s_cmp_lg_u32 s89, 0
	s_cselect_b32 s86, s87, s86
	s_wait_alu 0xfffe
	s_cselect_b32 s84, s84, s88
	s_cmp_lg_u32 s54, 0
	s_sub_co_ci_u32 s54, s55, s85
	s_wait_alu 0xfffe
	s_cmp_ge_u32 s54, s7
	s_cselect_b32 s55, -1, 0
	s_cmp_ge_u32 s24, s6
	s_cselect_b32 s6, -1, 0
	s_cmp_eq_u32 s54, s7
	s_wait_alu 0xfffe
	s_cselect_b32 s6, s6, s55
	s_wait_alu 0xfffe
	s_cmp_lg_u32 s6, 0
	s_cselect_b32 s7, s84, s54
	s_cselect_b32 s6, s86, s24
	s_wait_alu 0xfffe
	s_xor_b64 s[6:7], s[6:7], s[14:15]
	s_wait_alu 0xfffe
	s_sub_nc_u64 s[6:7], s[6:7], s[14:15]
	s_cbranch_execnz .LBB70_155
.LBB70_154:                             ;   in Loop: Header=BB70_32 Depth=1
	v_cvt_f32_u32_e32 v4, s68
	s_sub_co_i32 s7, 0, s68
	s_delay_alu instid0(VALU_DEP_1) | instskip(NEXT) | instid1(TRANS32_DEP_1)
	v_rcp_iflag_f32_e32 v4, v4
	v_mul_f32_e32 v4, 0x4f7ffffe, v4
	s_delay_alu instid0(VALU_DEP_1) | instskip(NEXT) | instid1(VALU_DEP_1)
	v_cvt_u32_f32_e32 v4, v4
	v_readfirstlane_b32 s6, v4
	s_wait_alu 0xfffe
	s_mul_i32 s7, s7, s6
	s_wait_alu 0xfffe
	s_mul_hi_u32 s7, s6, s7
	s_wait_alu 0xfffe
	s_add_co_i32 s6, s6, s7
	s_wait_alu 0xfffe
	s_mul_hi_u32 s6, s76, s6
	s_wait_alu 0xfffe
	s_mul_i32 s6, s6, s68
	s_wait_alu 0xfffe
	s_sub_co_i32 s6, s76, s6
	s_wait_alu 0xfffe
	s_sub_co_i32 s7, s6, s68
	s_cmp_ge_u32 s6, s68
	s_wait_alu 0xfffe
	s_cselect_b32 s6, s7, s6
	s_wait_alu 0xfffe
	s_sub_co_i32 s7, s6, s68
	s_cmp_ge_u32 s6, s68
	s_wait_alu 0xfffe
	s_cselect_b32 s24, s7, s6
	s_wait_alu 0xfffe
	s_mov_b64 s[6:7], s[24:25]
.LBB70_155:                             ;   in Loop: Header=BB70_32 Depth=1
	s_wait_alu 0xfffe
	s_sub_nc_u64 s[14:15], s[76:77], s[6:7]
	s_mov_b32 s7, 0
	s_mov_b32 s54, 0
	s_mov_b32 s24, exec_lo
                                        ; implicit-def: $vgpr48
	s_wait_alu 0xfffe
	v_cmpx_gt_i64_e64 s[14:15], v[0:1]
	s_cbranch_execz .LBB70_166
; %bb.156:                              ;   in Loop: Header=BB70_32 Depth=1
	v_dual_mov_b32 v4, v12 :: v_dual_mov_b32 v5, v13
	v_dual_mov_b32 v11, v1 :: v_dual_mov_b32 v10, v0
                                        ; implicit-def: $sgpr55
	s_branch .LBB70_159
.LBB70_157:                             ;   in Loop: Header=BB70_159 Depth=2
	s_wait_alu 0xfffe
	s_or_b32 exec_lo, exec_lo, s6
	s_wait_loadcnt_dscnt 0x0
	s_barrier_signal -1
	s_barrier_wait -1
	global_inv scope:SCOPE_SE
	ds_load_b32 v28, v3 offset:3072
	s_mov_b32 s6, -1
	s_mov_b32 s84, -1
	s_wait_loadcnt_dscnt 0x0
	s_barrier_signal -1
	s_barrier_wait -1
	global_inv scope:SCOPE_SE
	v_and_b32_e32 v29, 0x7fff, v28
	s_delay_alu instid0(VALU_DEP_1)
	v_cmp_ne_u32_e32 vcc_lo, 0, v29
	s_cbranch_vccz .LBB70_162
.LBB70_158:                             ;   in Loop: Header=BB70_159 Depth=2
	s_wait_alu 0xfffe
	s_and_b32 s6, exec_lo, s6
	s_wait_alu 0xfffe
	s_or_b32 s54, s6, s54
	s_and_not1_b32 s6, s55, exec_lo
	s_and_b32 s55, s84, exec_lo
	s_wait_alu 0xfffe
	s_or_b32 s55, s6, s55
	s_and_not1_b32 exec_lo, exec_lo, s54
	s_cbranch_execz .LBB70_165
.LBB70_159:                             ;   Parent Loop BB70_32 Depth=1
                                        ; =>  This Inner Loop Header: Depth=2
	s_mov_b32 s6, exec_lo
	s_delay_alu instid0(VALU_DEP_1)
	v_cmpx_gt_i64_e64 s[36:37], v[10:11]
	s_cbranch_execz .LBB70_157
; %bb.160:                              ;   in Loop: Header=BB70_159 Depth=2
	global_load_u16 v28, v[4:5], off
	s_wait_loadcnt 0x0
	v_cmp_lt_i16_e32 vcc_lo, -1, v28
	v_and_b32_e32 v29, 0xffff, v28
	s_wait_alu 0xfffd
	v_dual_cndmask_b32 v30, 0xffff, v46 :: v_dual_lshlrev_b32 v31, 16, v28
	s_delay_alu instid0(VALU_DEP_1) | instskip(NEXT) | instid1(VALU_DEP_2)
	v_cmp_o_f32_e32 vcc_lo, v31, v31
	v_xor_b32_e32 v29, v30, v29
	s_wait_alu 0xfffd
	s_delay_alu instid0(VALU_DEP_1) | instskip(NEXT) | instid1(VALU_DEP_1)
	v_cndmask_b32_e32 v29, 0xffff, v29, vcc_lo
	v_and_b32_e32 v29, v29, v47
	s_delay_alu instid0(VALU_DEP_1)
	v_cmp_eq_u32_e32 vcc_lo, v29, v24
	s_and_b32 exec_lo, exec_lo, vcc_lo
	s_cbranch_execz .LBB70_157
; %bb.161:                              ;   in Loop: Header=BB70_159 Depth=2
	v_perm_b32 v28, v28, s61, 0x5040100
	ds_store_b32 v3, v28 offset:3072
	s_branch .LBB70_157
.LBB70_162:                             ;   in Loop: Header=BB70_159 Depth=2
	v_add_co_u32 v10, vcc_lo, v10, s68
	s_wait_alu 0xfffd
	v_add_co_ci_u32_e64 v11, null, 0, v11, vcc_lo
	v_add_co_u32 v4, s6, v4, s70
	s_wait_alu 0xf1fe
	v_add_co_ci_u32_e64 v5, null, s71, v5, s6
	s_delay_alu instid0(VALU_DEP_3)
	v_cmp_le_i64_e32 vcc_lo, s[14:15], v[10:11]
	s_mov_b32 s84, 0
	s_or_not1_b32 s6, vcc_lo, exec_lo
	s_branch .LBB70_158
.LBB70_163:                             ;   in Loop: Header=BB70_32 Depth=1
                                        ; implicit-def: $sgpr6_sgpr7
	s_branch .LBB70_111
.LBB70_164:                             ;   in Loop: Header=BB70_32 Depth=1
                                        ; implicit-def: $sgpr14_sgpr15
	s_branch .LBB70_125
.LBB70_165:                             ;   in Loop: Header=BB70_32 Depth=1
	s_or_b32 exec_lo, exec_lo, s54
	v_lshrrev_b32_e32 v48, 16, v28
	s_wait_alu 0xfffe
	s_and_b32 s54, s55, exec_lo
.LBB70_166:                             ;   in Loop: Header=BB70_32 Depth=1
	s_or_b32 exec_lo, exec_lo, s24
.LBB70_167:                             ;   in Loop: Header=BB70_32 Depth=1
	s_delay_alu instid0(SALU_CYCLE_1)
	s_and_b32 vcc_lo, exec_lo, s7
	s_wait_alu 0xfffe
	s_cbranch_vccz .LBB70_181
; %bb.168:                              ;   in Loop: Header=BB70_32 Depth=1
	s_add_nc_u64 s[6:7], s[12:13], s[74:75]
	s_mov_b32 s14, s25
	s_wait_alu 0xfffe
	s_mov_b32 s15, s7
	s_wait_alu 0xfffe
	s_cmp_lg_u64 s[14:15], 0
	s_cbranch_scc0 .LBB70_210
; %bb.169:                              ;   in Loop: Header=BB70_32 Depth=1
	s_add_nc_u64 s[14:15], s[68:69], 0
	s_wait_alu 0xfffe
	s_xor_b64 s[14:15], s[14:15], 0
	s_wait_alu 0xfffe
	s_cvt_f32_u32 s21, s14
	s_cvt_f32_u32 s22, s15
	s_sub_nc_u64 s[86:87], 0, s[14:15]
	s_wait_alu 0xfffe
	s_delay_alu instid0(SALU_CYCLE_1) | instskip(SKIP_1) | instid1(SALU_CYCLE_2)
	s_fmamk_f32 s21, s22, 0x4f800000, s21
	s_wait_alu 0xfffe
	v_s_rcp_f32 s21, s21
	s_delay_alu instid0(TRANS32_DEP_1) | instskip(SKIP_1) | instid1(SALU_CYCLE_2)
	s_mul_f32 s21, s21, 0x5f7ffffc
	s_wait_alu 0xfffe
	s_mul_f32 s22, s21, 0x2f800000
	s_wait_alu 0xfffe
	s_delay_alu instid0(SALU_CYCLE_2) | instskip(SKIP_1) | instid1(SALU_CYCLE_2)
	s_trunc_f32 s22, s22
	s_wait_alu 0xfffe
	s_fmamk_f32 s21, s22, 0xcf800000, s21
	s_cvt_u32_f32 s85, s22
	s_wait_alu 0xfffe
	s_delay_alu instid0(SALU_CYCLE_1) | instskip(SKIP_1) | instid1(SALU_CYCLE_2)
	s_cvt_u32_f32 s84, s21
	s_wait_alu 0xfffe
	s_mul_u64 s[88:89], s[86:87], s[84:85]
	s_wait_alu 0xfffe
	s_mul_hi_u32 s91, s84, s89
	s_mul_i32 s90, s84, s89
	s_mul_hi_u32 s24, s84, s88
	s_mul_i32 s22, s85, s88
	s_wait_alu 0xfffe
	s_add_nc_u64 s[90:91], s[24:25], s[90:91]
	s_mul_hi_u32 s21, s85, s88
	s_mul_hi_u32 s55, s85, s89
	s_wait_alu 0xfffe
	s_add_co_u32 s22, s90, s22
	s_add_co_ci_u32 s24, s91, s21
	s_mul_i32 s88, s85, s89
	s_add_co_ci_u32 s89, s55, 0
	s_wait_alu 0xfffe
	s_add_nc_u64 s[88:89], s[24:25], s[88:89]
	s_wait_alu 0xfffe
	s_add_co_u32 s84, s84, s88
	s_cselect_b32 s21, -1, 0
	s_wait_alu 0xfffe
	s_cmp_lg_u32 s21, 0
	s_add_co_ci_u32 s85, s85, s89
	s_wait_alu 0xfffe
	s_mul_u64 s[86:87], s[86:87], s[84:85]
	s_wait_alu 0xfffe
	s_mul_hi_u32 s89, s84, s87
	s_mul_i32 s88, s84, s87
	s_mul_hi_u32 s24, s84, s86
	s_mul_i32 s22, s85, s86
	s_wait_alu 0xfffe
	s_add_nc_u64 s[88:89], s[24:25], s[88:89]
	s_mul_hi_u32 s21, s85, s86
	s_mul_hi_u32 s55, s85, s87
	s_wait_alu 0xfffe
	s_add_co_u32 s22, s88, s22
	s_add_co_ci_u32 s24, s89, s21
	s_mul_i32 s86, s85, s87
	s_add_co_ci_u32 s87, s55, 0
	s_wait_alu 0xfffe
	s_add_nc_u64 s[86:87], s[24:25], s[86:87]
	s_wait_alu 0xfffe
	s_add_co_u32 s21, s84, s86
	s_cselect_b32 s22, -1, 0
	s_wait_alu 0xfffe
	s_cmp_lg_u32 s22, 0
	s_add_co_ci_u32 s22, s85, s87
	s_ashr_i32 s84, s7, 31
	s_wait_alu 0xfffe
	s_mov_b32 s85, s84
	s_wait_alu 0xfffe
	s_add_nc_u64 s[86:87], s[6:7], s[84:85]
	s_wait_alu 0xfffe
	s_xor_b64 s[86:87], s[86:87], s[84:85]
	s_wait_alu 0xfffe
	s_mul_hi_u32 s89, s86, s22
	s_mul_i32 s88, s86, s22
	s_mul_hi_u32 s24, s86, s21
	s_mul_hi_u32 s91, s87, s21
	s_mul_i32 s21, s87, s21
	s_wait_alu 0xfffe
	s_add_nc_u64 s[88:89], s[24:25], s[88:89]
	s_mul_hi_u32 s55, s87, s22
	s_wait_alu 0xfffe
	s_add_co_u32 s21, s88, s21
	s_add_co_ci_u32 s24, s89, s91
	s_mul_i32 s90, s87, s22
	s_add_co_ci_u32 s91, s55, 0
	s_wait_alu 0xfffe
	s_add_nc_u64 s[88:89], s[24:25], s[90:91]
	s_wait_alu 0xfffe
	s_mul_u64 s[88:89], s[14:15], s[88:89]
	s_wait_alu 0xfffe
	s_sub_co_u32 s21, s86, s88
	s_cselect_b32 s22, -1, 0
	s_sub_co_i32 s24, s87, s89
	s_wait_alu 0xfffe
	s_cmp_lg_u32 s22, 0
	s_sub_co_ci_u32 s24, s24, s15
	s_sub_co_u32 s55, s21, s14
	s_cselect_b32 s86, -1, 0
	s_wait_alu 0xfffe
	s_cmp_lg_u32 s86, 0
	s_sub_co_ci_u32 s88, s24, 0
	s_wait_alu 0xfffe
	s_cmp_ge_u32 s88, s15
	s_cselect_b32 s90, -1, 0
	s_cmp_ge_u32 s55, s14
	s_cselect_b32 s91, -1, 0
	s_cmp_eq_u32 s88, s15
	s_wait_alu 0xfffe
	s_cselect_b32 s90, s91, s90
	s_cmp_lg_u32 s86, 0
	s_sub_co_ci_u32 s24, s24, s15
	s_sub_co_u32 s86, s55, s14
	s_cselect_b32 s91, -1, 0
	s_wait_alu 0xfffe
	s_cmp_lg_u32 s91, 0
	s_sub_co_ci_u32 s24, s24, 0
	s_cmp_lg_u32 s90, 0
	s_cselect_b32 s55, s86, s55
	s_wait_alu 0xfffe
	s_cselect_b32 s24, s24, s88
	s_cmp_lg_u32 s22, 0
	s_sub_co_ci_u32 s22, s87, s89
	s_wait_alu 0xfffe
	s_cmp_ge_u32 s22, s15
	s_cselect_b32 s86, -1, 0
	s_cmp_ge_u32 s21, s14
	s_cselect_b32 s14, -1, 0
	s_cmp_eq_u32 s22, s15
	s_wait_alu 0xfffe
	s_cselect_b32 s14, s14, s86
	s_wait_alu 0xfffe
	s_cmp_lg_u32 s14, 0
	s_cselect_b32 s15, s24, s22
	s_cselect_b32 s14, s55, s21
	s_wait_alu 0xfffe
	s_xor_b64 s[14:15], s[14:15], s[84:85]
	s_wait_alu 0xfffe
	s_sub_nc_u64 s[14:15], s[14:15], s[84:85]
	s_cbranch_execnz .LBB70_171
.LBB70_170:                             ;   in Loop: Header=BB70_32 Depth=1
	v_cvt_f32_u32_e32 v4, s68
	s_sub_co_i32 s15, 0, s68
	s_delay_alu instid0(VALU_DEP_1) | instskip(NEXT) | instid1(TRANS32_DEP_1)
	v_rcp_iflag_f32_e32 v4, v4
	v_mul_f32_e32 v4, 0x4f7ffffe, v4
	s_delay_alu instid0(VALU_DEP_1) | instskip(NEXT) | instid1(VALU_DEP_1)
	v_cvt_u32_f32_e32 v4, v4
	v_readfirstlane_b32 s14, v4
	s_wait_alu 0xfffe
	s_mul_i32 s15, s15, s14
	s_wait_alu 0xfffe
	s_mul_hi_u32 s15, s14, s15
	s_wait_alu 0xfffe
	s_add_co_i32 s14, s14, s15
	s_wait_alu 0xfffe
	s_mul_hi_u32 s14, s6, s14
	s_wait_alu 0xfffe
	s_mul_i32 s14, s14, s68
	s_wait_alu 0xfffe
	s_sub_co_i32 s14, s6, s14
	s_wait_alu 0xfffe
	s_sub_co_i32 s15, s14, s68
	s_cmp_ge_u32 s14, s68
	s_wait_alu 0xfffe
	s_cselect_b32 s14, s15, s14
	s_wait_alu 0xfffe
	s_sub_co_i32 s15, s14, s68
	s_cmp_ge_u32 s14, s68
	s_wait_alu 0xfffe
	s_cselect_b32 s24, s15, s14
	s_wait_alu 0xfffe
	s_mov_b64 s[14:15], s[24:25]
.LBB70_171:                             ;   in Loop: Header=BB70_32 Depth=1
	s_wait_alu 0xfffe
	s_sub_nc_u64 s[6:7], s[6:7], s[14:15]
	s_mov_b32 s14, exec_lo
                                        ; implicit-def: $vgpr48
	s_wait_alu 0xfffe
	v_cmpx_gt_i64_e64 s[6:7], v[0:1]
	s_cbranch_execz .LBB70_180
; %bb.172:                              ;   in Loop: Header=BB70_32 Depth=1
	v_dual_mov_b32 v10, v35 :: v_dual_mov_b32 v5, v1
	v_mov_b32_e32 v4, v0
	s_mov_b32 s15, 0
                                        ; implicit-def: $sgpr21
	s_branch .LBB70_175
.LBB70_173:                             ;   in Loop: Header=BB70_175 Depth=2
	s_wait_alu 0xfffe
	s_or_b32 exec_lo, exec_lo, s22
	s_wait_loadcnt_dscnt 0x0
	s_barrier_signal -1
	s_barrier_wait -1
	global_inv scope:SCOPE_SE
	ds_load_b32 v11, v3 offset:3072
	s_mov_b32 s22, -1
	s_mov_b32 s24, -1
	s_wait_loadcnt_dscnt 0x0
	s_barrier_signal -1
	s_barrier_wait -1
	global_inv scope:SCOPE_SE
	v_and_b32_e32 v28, 0x7fff, v11
	s_delay_alu instid0(VALU_DEP_1)
	v_cmp_eq_u32_e32 vcc_lo, 0, v28
	s_cbranch_vccnz .LBB70_178
.LBB70_174:                             ;   in Loop: Header=BB70_175 Depth=2
	s_wait_alu 0xfffe
	s_and_b32 s22, exec_lo, s22
	s_wait_alu 0xfffe
	s_or_b32 s15, s22, s15
	s_and_not1_b32 s21, s21, exec_lo
	s_and_b32 s22, s24, exec_lo
	s_wait_alu 0xfffe
	s_or_b32 s21, s21, s22
	s_and_not1_b32 exec_lo, exec_lo, s15
	s_cbranch_execz .LBB70_179
.LBB70_175:                             ;   Parent Loop BB70_32 Depth=1
                                        ; =>  This Inner Loop Header: Depth=2
	s_mov_b32 s22, exec_lo
	s_delay_alu instid0(VALU_DEP_1)
	v_cmpx_gt_u64_e64 s[12:13], v[4:5]
	s_cbranch_execz .LBB70_173
; %bb.176:                              ;   in Loop: Header=BB70_175 Depth=2
	ds_load_u16 v11, v10
	s_wait_dscnt 0x0
	v_cmp_lt_i16_e32 vcc_lo, -1, v11
	v_and_b32_e32 v28, 0xffff, v11
	s_wait_alu 0xfffd
	v_dual_cndmask_b32 v29, 0xffff, v46 :: v_dual_lshlrev_b32 v30, 16, v11
	s_delay_alu instid0(VALU_DEP_1) | instskip(NEXT) | instid1(VALU_DEP_2)
	v_cmp_o_f32_e32 vcc_lo, v30, v30
	v_xor_b32_e32 v28, v29, v28
	s_wait_alu 0xfffd
	s_delay_alu instid0(VALU_DEP_1) | instskip(NEXT) | instid1(VALU_DEP_1)
	v_cndmask_b32_e32 v28, 0xffff, v28, vcc_lo
	v_and_b32_e32 v28, v28, v47
	s_delay_alu instid0(VALU_DEP_1)
	v_cmp_eq_u32_e32 vcc_lo, v28, v24
	s_and_b32 exec_lo, exec_lo, vcc_lo
	s_cbranch_execz .LBB70_173
; %bb.177:                              ;   in Loop: Header=BB70_175 Depth=2
	v_perm_b32 v11, v11, s61, 0x5040100
	ds_store_b32 v3, v11 offset:3072
	s_branch .LBB70_173
.LBB70_178:                             ;   in Loop: Header=BB70_175 Depth=2
	v_add_co_u32 v4, vcc_lo, v4, s68
	s_wait_alu 0xfffd
	v_add_co_ci_u32_e64 v5, null, 0, v5, vcc_lo
	v_add_nc_u32_e32 v10, s60, v10
	s_mov_b32 s24, 0
	s_delay_alu instid0(VALU_DEP_2)
	v_cmp_le_i64_e32 vcc_lo, s[6:7], v[4:5]
	s_or_not1_b32 s22, vcc_lo, exec_lo
	s_branch .LBB70_174
.LBB70_179:                             ;   in Loop: Header=BB70_32 Depth=1
	s_or_b32 exec_lo, exec_lo, s15
	v_lshrrev_b32_e32 v48, 16, v11
	s_and_not1_b32 s6, s54, exec_lo
	s_wait_alu 0xfffe
	s_and_b32 s7, s21, exec_lo
	s_wait_alu 0xfffe
	s_or_b32 s54, s6, s7
.LBB70_180:                             ;   in Loop: Header=BB70_32 Depth=1
	s_or_b32 exec_lo, exec_lo, s14
	s_mov_b32 s21, 0
	s_mov_b32 s22, -1
.LBB70_181:                             ;   in Loop: Header=BB70_32 Depth=1
	s_wait_alu 0xfffe
	s_or_not1_b32 s6, s54, exec_lo
.LBB70_182:                             ;   in Loop: Header=BB70_32 Depth=1
	s_wait_alu 0xfffe
	s_or_b32 exec_lo, exec_lo, s23
	s_mov_b32 s7, 0
	s_and_saveexec_b32 s23, s6
	s_cbranch_execz .LBB70_288
; %bb.183:                              ;   in Loop: Header=BB70_32 Depth=1
	v_mov_b32_e32 v4, 1
	v_dual_mov_b32 v5, 0 :: v_dual_mov_b32 v2, 1
	s_xor_b32 s12, s53, -1
	s_wait_alu 0xfffe
	s_and_saveexec_b32 s6, s12
	s_cbranch_execz .LBB70_193
; %bb.184:                              ;   in Loop: Header=BB70_32 Depth=1
	s_mov_b32 s7, exec_lo
	v_cmpx_le_i64_e64 v[8:9], v[6:7]
	s_wait_alu 0xfffe
	s_xor_b32 s7, exec_lo, s7
	s_cbranch_execz .LBB70_190
; %bb.185:                              ;   in Loop: Header=BB70_32 Depth=1
	ds_load_b64 v[4:5], v3 offset:5120
	s_lshl_b32 s12, 1, s64
	v_or_b32_e32 v47, s16, v47
	s_wait_alu 0xfffe
	v_and_or_b32 v24, v24, s20, s12
	s_wait_dscnt 0x0
	v_cmp_ne_u64_e32 vcc_lo, 0, v[4:5]
	s_cbranch_vccnz .LBB70_189
; %bb.186:                              ;   in Loop: Header=BB70_32 Depth=1
	s_and_saveexec_b32 s12, s2
; %bb.187:                              ;   in Loop: Header=BB70_32 Depth=1
	ds_store_b64 v3, v[6:7] offset:5128
; %bb.188:                              ;   in Loop: Header=BB70_32 Depth=1
	s_wait_alu 0xfffe
	s_or_b32 exec_lo, exec_lo, s12
	s_wait_loadcnt_dscnt 0x0
	s_barrier_signal -1
	s_barrier_wait -1
	global_inv scope:SCOPE_SE
.LBB70_189:                             ;   in Loop: Header=BB70_32 Depth=1
                                        ; implicit-def: $vgpr4_vgpr5_vgpr6_vgpr7
.LBB70_190:                             ;   in Loop: Header=BB70_32 Depth=1
	s_wait_alu 0xfffe
	s_or_saveexec_b32 s7, s7
	v_mov_b32_e32 v2, 8
	s_mov_b32 s12, 0
	s_wait_alu 0xfffe
	s_xor_b32 exec_lo, exec_lo, s7
; %bb.191:                              ;   in Loop: Header=BB70_32 Depth=1
	v_sub_co_u32 v8, vcc_lo, v8, v6
	s_wait_alu 0xfffd
	v_sub_co_ci_u32_e64 v9, null, v9, v7, vcc_lo
	v_mov_b32_e32 v2, 0
	s_mov_b32 s12, exec_lo
; %bb.192:                              ;   in Loop: Header=BB70_32 Depth=1
	s_or_b32 exec_lo, exec_lo, s7
	s_delay_alu instid0(VALU_DEP_2)
	v_dual_mov_b32 v4, v8 :: v_dual_mov_b32 v5, v9
	s_wait_alu 0xfffe
	s_and_b32 s7, s12, exec_lo
.LBB70_193:                             ;   in Loop: Header=BB70_32 Depth=1
	s_wait_alu 0xfffe
	s_or_b32 exec_lo, exec_lo, s6
	s_mov_b32 s6, -1
                                        ; implicit-def: $sgpr54
                                        ; implicit-def: $sgpr55
	s_and_saveexec_b32 s53, s7
	s_cbranch_execz .LBB70_287
; %bb.194:                              ;   in Loop: Header=BB70_32 Depth=1
	v_cmp_eq_u64_e32 vcc_lo, 1, v[4:5]
	s_cmp_eq_u64 s[10:11], 1
                                        ; implicit-def: $sgpr55
                                        ; implicit-def: $sgpr54
	s_cselect_b32 s6, -1, 0
	s_wait_alu 0xfffe
	s_and_b32 s84, s6, vcc_lo
	s_mov_b32 s6, -1
	s_wait_alu 0xfffe
	s_and_saveexec_b32 s85, s84
	s_cbranch_execz .LBB70_228
; %bb.195:                              ;   in Loop: Header=BB70_32 Depth=1
	ds_load_b64 v[6:7], v3 offset:5120
	s_wait_loadcnt_dscnt 0x0
	s_barrier_signal -1
	s_barrier_wait -1
	global_inv scope:SCOPE_SE
	v_readfirstlane_b32 s12, v6
	v_readfirstlane_b32 s13, v7
	s_and_saveexec_b32 s6, s3
; %bb.196:                              ;   in Loop: Header=BB70_32 Depth=1
	ds_store_b16 v36, v3
; %bb.197:                              ;   in Loop: Header=BB70_32 Depth=1
	s_wait_alu 0xfffe
	s_or_b32 exec_lo, exec_lo, s6
	s_lshl_b32 s6, 2, s64
	v_or_b32_e32 v47, s16, v47
	s_wait_alu 0xfffe
	v_and_or_b32 v24, v24, s20, s6
	v_cmp_gt_i64_e64 s6, s[12:13], 0
	s_mov_b32 s54, -1
	s_mov_b32 s55, 0
	s_mov_b32 s86, 0
	s_mov_b32 s7, -1
	s_wait_loadcnt_dscnt 0x0
	s_and_b32 vcc_lo, exec_lo, s6
	s_barrier_signal -1
	s_barrier_wait -1
	global_inv scope:SCOPE_SE
                                        ; implicit-def: $vgpr48
	s_wait_alu 0xfffe
	s_cbranch_vccnz .LBB70_213
; %bb.198:                              ;   in Loop: Header=BB70_32 Depth=1
	s_mov_b32 s6, s25
	s_mov_b32 s7, s77
	s_wait_alu 0xfffe
	s_cmp_lg_u64 s[6:7], 0
	s_cbranch_scc0 .LBB70_254
; %bb.199:                              ;   in Loop: Header=BB70_32 Depth=1
	s_add_nc_u64 s[6:7], s[68:69], 0
	s_wait_alu 0xfffe
	s_xor_b64 s[6:7], s[6:7], 0
	s_wait_alu 0xfffe
	s_cvt_f32_u32 s14, s6
	s_cvt_f32_u32 s15, s7
	s_sub_nc_u64 s[86:87], 0, s[6:7]
	s_wait_alu 0xfffe
	s_delay_alu instid0(SALU_CYCLE_1) | instskip(SKIP_1) | instid1(SALU_CYCLE_2)
	s_fmamk_f32 s14, s15, 0x4f800000, s14
	s_wait_alu 0xfffe
	v_s_rcp_f32 s14, s14
	s_delay_alu instid0(TRANS32_DEP_1) | instskip(SKIP_1) | instid1(SALU_CYCLE_2)
	s_mul_f32 s14, s14, 0x5f7ffffc
	s_wait_alu 0xfffe
	s_mul_f32 s15, s14, 0x2f800000
	s_wait_alu 0xfffe
	s_delay_alu instid0(SALU_CYCLE_2) | instskip(SKIP_1) | instid1(SALU_CYCLE_2)
	s_trunc_f32 s15, s15
	s_wait_alu 0xfffe
	s_fmamk_f32 s14, s15, 0xcf800000, s14
	s_cvt_u32_f32 s15, s15
	s_wait_alu 0xfffe
	s_delay_alu instid0(SALU_CYCLE_1) | instskip(SKIP_1) | instid1(SALU_CYCLE_2)
	s_cvt_u32_f32 s14, s14
	s_wait_alu 0xfffe
	s_mul_u64 s[88:89], s[86:87], s[14:15]
	s_wait_alu 0xfffe
	s_mul_hi_u32 s91, s14, s89
	s_mul_i32 s90, s14, s89
	s_mul_hi_u32 s24, s14, s88
	s_mul_i32 s93, s15, s88
	s_wait_alu 0xfffe
	s_add_nc_u64 s[90:91], s[24:25], s[90:91]
	s_mul_hi_u32 s92, s15, s88
	s_mul_hi_u32 s94, s15, s89
	s_wait_alu 0xfffe
	s_add_co_u32 s24, s90, s93
	s_add_co_ci_u32 s24, s91, s92
	s_mul_i32 s88, s15, s89
	s_add_co_ci_u32 s89, s94, 0
	s_wait_alu 0xfffe
	s_add_nc_u64 s[88:89], s[24:25], s[88:89]
	s_wait_alu 0xfffe
	s_add_co_u32 s14, s14, s88
	s_cselect_b32 s24, -1, 0
	s_wait_alu 0xfffe
	s_cmp_lg_u32 s24, 0
	s_add_co_ci_u32 s15, s15, s89
	s_wait_alu 0xfffe
	s_mul_u64 s[86:87], s[86:87], s[14:15]
	s_wait_alu 0xfffe
	s_mul_hi_u32 s89, s14, s87
	s_mul_i32 s88, s14, s87
	s_mul_hi_u32 s24, s14, s86
	s_mul_i32 s91, s15, s86
	s_wait_alu 0xfffe
	s_add_nc_u64 s[88:89], s[24:25], s[88:89]
	s_mul_hi_u32 s90, s15, s86
	s_mul_hi_u32 s92, s15, s87
	s_wait_alu 0xfffe
	s_add_co_u32 s24, s88, s91
	s_add_co_ci_u32 s24, s89, s90
	s_mul_i32 s86, s15, s87
	s_add_co_ci_u32 s87, s92, 0
	s_wait_alu 0xfffe
	s_add_nc_u64 s[86:87], s[24:25], s[86:87]
	s_wait_alu 0xfffe
	s_add_co_u32 s90, s14, s86
	s_cselect_b32 s14, -1, 0
	s_wait_alu 0xfffe
	s_cmp_lg_u32 s14, 0
	s_add_co_ci_u32 s91, s15, s87
	s_ashr_i32 s14, s77, 31
	s_wait_alu 0xfffe
	s_mov_b32 s15, s14
	s_wait_alu 0xfffe
	s_add_nc_u64 s[86:87], s[76:77], s[14:15]
	s_wait_alu 0xfffe
	s_xor_b64 s[86:87], s[86:87], s[14:15]
	s_wait_alu 0xfffe
	s_mul_hi_u32 s89, s86, s91
	s_mul_i32 s88, s86, s91
	s_mul_hi_u32 s24, s86, s90
	s_mul_i32 s94, s87, s90
	s_wait_alu 0xfffe
	s_add_nc_u64 s[88:89], s[24:25], s[88:89]
	s_mul_hi_u32 s93, s87, s90
	s_mul_hi_u32 s92, s87, s91
	s_wait_alu 0xfffe
	s_add_co_u32 s24, s88, s94
	s_add_co_ci_u32 s24, s89, s93
	s_mul_i32 s90, s87, s91
	s_add_co_ci_u32 s91, s92, 0
	s_wait_alu 0xfffe
	s_add_nc_u64 s[88:89], s[24:25], s[90:91]
	s_wait_alu 0xfffe
	s_mul_u64 s[88:89], s[6:7], s[88:89]
	s_wait_alu 0xfffe
	s_sub_co_u32 s24, s86, s88
	s_cselect_b32 s86, -1, 0
	s_sub_co_i32 s88, s87, s89
	s_wait_alu 0xfffe
	s_cmp_lg_u32 s86, 0
	s_sub_co_ci_u32 s88, s88, s7
	s_sub_co_u32 s90, s24, s6
	s_cselect_b32 s91, -1, 0
	s_wait_alu 0xfffe
	s_cmp_lg_u32 s91, 0
	s_sub_co_ci_u32 s92, s88, 0
	s_wait_alu 0xfffe
	s_cmp_ge_u32 s92, s7
	s_cselect_b32 s93, -1, 0
	s_cmp_ge_u32 s90, s6
	s_cselect_b32 s94, -1, 0
	s_cmp_eq_u32 s92, s7
	s_wait_alu 0xfffe
	s_cselect_b32 s93, s94, s93
	s_cmp_lg_u32 s91, 0
	s_sub_co_ci_u32 s88, s88, s7
	s_sub_co_u32 s91, s90, s6
	s_cselect_b32 s94, -1, 0
	s_wait_alu 0xfffe
	s_cmp_lg_u32 s94, 0
	s_sub_co_ci_u32 s88, s88, 0
	s_cmp_lg_u32 s93, 0
	s_cselect_b32 s90, s91, s90
	s_wait_alu 0xfffe
	s_cselect_b32 s88, s88, s92
	s_cmp_lg_u32 s86, 0
	s_sub_co_ci_u32 s86, s87, s89
	s_wait_alu 0xfffe
	s_cmp_ge_u32 s86, s7
	s_cselect_b32 s87, -1, 0
	s_cmp_ge_u32 s24, s6
	s_cselect_b32 s6, -1, 0
	s_cmp_eq_u32 s86, s7
	s_wait_alu 0xfffe
	s_cselect_b32 s6, s6, s87
	s_wait_alu 0xfffe
	s_cmp_lg_u32 s6, 0
	s_cselect_b32 s7, s88, s86
	s_cselect_b32 s6, s90, s24
	s_wait_alu 0xfffe
	s_xor_b64 s[6:7], s[6:7], s[14:15]
	s_wait_alu 0xfffe
	s_sub_nc_u64 s[6:7], s[6:7], s[14:15]
	s_cbranch_execnz .LBB70_201
.LBB70_200:                             ;   in Loop: Header=BB70_32 Depth=1
	v_cvt_f32_u32_e32 v6, s68
	s_sub_co_i32 s7, 0, s68
	s_delay_alu instid0(VALU_DEP_1) | instskip(NEXT) | instid1(TRANS32_DEP_1)
	v_rcp_iflag_f32_e32 v6, v6
	v_mul_f32_e32 v6, 0x4f7ffffe, v6
	s_delay_alu instid0(VALU_DEP_1) | instskip(NEXT) | instid1(VALU_DEP_1)
	v_cvt_u32_f32_e32 v6, v6
	v_readfirstlane_b32 s6, v6
	s_wait_alu 0xfffe
	s_mul_i32 s7, s7, s6
	s_wait_alu 0xfffe
	s_mul_hi_u32 s7, s6, s7
	s_wait_alu 0xfffe
	s_add_co_i32 s6, s6, s7
	s_wait_alu 0xfffe
	s_mul_hi_u32 s6, s76, s6
	s_wait_alu 0xfffe
	s_mul_i32 s6, s6, s68
	s_wait_alu 0xfffe
	s_sub_co_i32 s6, s76, s6
	s_wait_alu 0xfffe
	s_sub_co_i32 s7, s6, s68
	s_cmp_ge_u32 s6, s68
	s_wait_alu 0xfffe
	s_cselect_b32 s6, s7, s6
	s_wait_alu 0xfffe
	s_sub_co_i32 s7, s6, s68
	s_cmp_ge_u32 s6, s68
	s_wait_alu 0xfffe
	s_cselect_b32 s24, s7, s6
	s_wait_alu 0xfffe
	s_mov_b64 s[6:7], s[24:25]
.LBB70_201:                             ;   in Loop: Header=BB70_32 Depth=1
	s_wait_alu 0xfffe
	s_sub_nc_u64 s[14:15], s[76:77], s[6:7]
	s_mov_b32 s7, 0
	s_mov_b32 s86, 0
	s_mov_b32 s24, exec_lo
                                        ; implicit-def: $vgpr48
	s_wait_alu 0xfffe
	v_cmpx_gt_i64_e64 s[14:15], v[0:1]
	s_cbranch_execz .LBB70_212
; %bb.202:                              ;   in Loop: Header=BB70_32 Depth=1
	v_dual_mov_b32 v6, v12 :: v_dual_mov_b32 v7, v13
	v_dual_mov_b32 v9, v1 :: v_dual_mov_b32 v8, v0
                                        ; implicit-def: $sgpr87
	s_branch .LBB70_205
.LBB70_203:                             ;   in Loop: Header=BB70_205 Depth=2
	s_wait_alu 0xfffe
	s_or_b32 exec_lo, exec_lo, s6
	s_wait_loadcnt_dscnt 0x0
	s_barrier_signal -1
	s_barrier_wait -1
	global_inv scope:SCOPE_SE
	ds_load_b32 v10, v3 offset:3072
	s_mov_b32 s6, -1
	s_mov_b32 s88, -1
	s_wait_loadcnt_dscnt 0x0
	s_barrier_signal -1
	s_barrier_wait -1
	global_inv scope:SCOPE_SE
	v_and_b32_e32 v11, 0x7fff, v10
	s_delay_alu instid0(VALU_DEP_1)
	v_cmp_ne_u32_e32 vcc_lo, 0, v11
	s_cbranch_vccz .LBB70_208
.LBB70_204:                             ;   in Loop: Header=BB70_205 Depth=2
	s_wait_alu 0xfffe
	s_and_b32 s6, exec_lo, s6
	s_wait_alu 0xfffe
	s_or_b32 s86, s6, s86
	s_and_not1_b32 s6, s87, exec_lo
	s_and_b32 s87, s88, exec_lo
	s_wait_alu 0xfffe
	s_or_b32 s87, s6, s87
	s_and_not1_b32 exec_lo, exec_lo, s86
	s_cbranch_execz .LBB70_211
.LBB70_205:                             ;   Parent Loop BB70_32 Depth=1
                                        ; =>  This Inner Loop Header: Depth=2
	s_mov_b32 s6, exec_lo
	s_delay_alu instid0(VALU_DEP_1)
	v_cmpx_gt_i64_e64 s[36:37], v[8:9]
	s_cbranch_execz .LBB70_203
; %bb.206:                              ;   in Loop: Header=BB70_205 Depth=2
	global_load_u16 v10, v[6:7], off
	s_wait_loadcnt 0x0
	v_cmp_lt_i16_e32 vcc_lo, -1, v10
	v_and_b32_e32 v11, 0xffff, v10
	v_lshlrev_b32_e32 v29, 16, v10
	s_wait_alu 0xfffd
	v_cndmask_b32_e32 v28, 0xffff, v46, vcc_lo
	s_delay_alu instid0(VALU_DEP_2) | instskip(NEXT) | instid1(VALU_DEP_2)
	v_cmp_o_f32_e32 vcc_lo, v29, v29
	v_xor_b32_e32 v11, v28, v11
	s_wait_alu 0xfffd
	s_delay_alu instid0(VALU_DEP_1) | instskip(NEXT) | instid1(VALU_DEP_1)
	v_cndmask_b32_e32 v11, 0xffff, v11, vcc_lo
	v_and_b32_e32 v11, v11, v47
	s_delay_alu instid0(VALU_DEP_1)
	v_cmp_eq_u32_e32 vcc_lo, v11, v24
	s_and_b32 exec_lo, exec_lo, vcc_lo
	s_cbranch_execz .LBB70_203
; %bb.207:                              ;   in Loop: Header=BB70_205 Depth=2
	v_perm_b32 v10, v10, s61, 0x5040100
	ds_store_b32 v3, v10 offset:3072
	s_branch .LBB70_203
.LBB70_208:                             ;   in Loop: Header=BB70_205 Depth=2
	v_add_co_u32 v8, vcc_lo, v8, s68
	s_wait_alu 0xfffd
	v_add_co_ci_u32_e64 v9, null, 0, v9, vcc_lo
	v_add_co_u32 v6, s6, v6, s70
	s_wait_alu 0xf1fe
	v_add_co_ci_u32_e64 v7, null, s71, v7, s6
	s_delay_alu instid0(VALU_DEP_3)
	v_cmp_le_i64_e32 vcc_lo, s[14:15], v[8:9]
	s_mov_b32 s88, 0
	s_or_not1_b32 s6, vcc_lo, exec_lo
	s_branch .LBB70_204
.LBB70_209:                             ;   in Loop: Header=BB70_32 Depth=1
                                        ; implicit-def: $sgpr6_sgpr7
	s_branch .LBB70_154
.LBB70_210:                             ;   in Loop: Header=BB70_32 Depth=1
                                        ; implicit-def: $sgpr14_sgpr15
	s_branch .LBB70_170
.LBB70_211:                             ;   in Loop: Header=BB70_32 Depth=1
	s_or_b32 exec_lo, exec_lo, s86
	v_lshrrev_b32_e32 v48, 16, v10
	s_wait_alu 0xfffe
	s_and_b32 s86, s87, exec_lo
.LBB70_212:                             ;   in Loop: Header=BB70_32 Depth=1
	s_or_b32 exec_lo, exec_lo, s24
.LBB70_213:                             ;   in Loop: Header=BB70_32 Depth=1
	s_delay_alu instid0(SALU_CYCLE_1)
	s_and_b32 vcc_lo, exec_lo, s7
	s_wait_alu 0xfffe
	s_cbranch_vccz .LBB70_227
; %bb.214:                              ;   in Loop: Header=BB70_32 Depth=1
	s_add_nc_u64 s[6:7], s[12:13], s[74:75]
	s_mov_b32 s14, s25
	s_wait_alu 0xfffe
	s_mov_b32 s15, s7
	s_wait_alu 0xfffe
	s_cmp_lg_u64 s[14:15], 0
	s_cbranch_scc0 .LBB70_255
; %bb.215:                              ;   in Loop: Header=BB70_32 Depth=1
	s_add_nc_u64 s[14:15], s[68:69], 0
	s_wait_alu 0xfffe
	s_xor_b64 s[14:15], s[14:15], 0
	s_wait_alu 0xfffe
	s_cvt_f32_u32 s24, s14
	s_cvt_f32_u32 s54, s15
	s_sub_nc_u64 s[88:89], 0, s[14:15]
	s_wait_alu 0xfffe
	s_delay_alu instid0(SALU_CYCLE_1) | instskip(SKIP_1) | instid1(SALU_CYCLE_2)
	s_fmamk_f32 s24, s54, 0x4f800000, s24
	s_wait_alu 0xfffe
	v_s_rcp_f32 s24, s24
	s_delay_alu instid0(TRANS32_DEP_1) | instskip(SKIP_1) | instid1(SALU_CYCLE_2)
	s_mul_f32 s24, s24, 0x5f7ffffc
	s_wait_alu 0xfffe
	s_mul_f32 s54, s24, 0x2f800000
	s_wait_alu 0xfffe
	s_delay_alu instid0(SALU_CYCLE_2) | instskip(SKIP_1) | instid1(SALU_CYCLE_2)
	s_trunc_f32 s54, s54
	s_wait_alu 0xfffe
	s_fmamk_f32 s24, s54, 0xcf800000, s24
	s_cvt_u32_f32 s55, s54
	s_wait_alu 0xfffe
	s_delay_alu instid0(SALU_CYCLE_1) | instskip(SKIP_1) | instid1(SALU_CYCLE_2)
	s_cvt_u32_f32 s54, s24
	s_wait_alu 0xfffe
	s_mul_u64 s[90:91], s[88:89], s[54:55]
	s_wait_alu 0xfffe
	s_mul_hi_u32 s93, s54, s91
	s_mul_i32 s92, s54, s91
	s_mul_hi_u32 s24, s54, s90
	s_mul_i32 s94, s55, s90
	s_wait_alu 0xfffe
	s_add_nc_u64 s[92:93], s[24:25], s[92:93]
	s_mul_hi_u32 s87, s55, s90
	s_mul_hi_u32 s95, s55, s91
	s_wait_alu 0xfffe
	s_add_co_u32 s24, s92, s94
	s_add_co_ci_u32 s24, s93, s87
	s_mul_i32 s90, s55, s91
	s_add_co_ci_u32 s91, s95, 0
	s_wait_alu 0xfffe
	s_add_nc_u64 s[90:91], s[24:25], s[90:91]
	s_wait_alu 0xfffe
	s_add_co_u32 s54, s54, s90
	s_cselect_b32 s24, -1, 0
	s_wait_alu 0xfffe
	s_cmp_lg_u32 s24, 0
	s_add_co_ci_u32 s55, s55, s91
	s_wait_alu 0xfffe
	s_mul_u64 s[88:89], s[88:89], s[54:55]
	s_wait_alu 0xfffe
	s_mul_hi_u32 s91, s54, s89
	s_mul_i32 s90, s54, s89
	s_mul_hi_u32 s24, s54, s88
	s_mul_i32 s92, s55, s88
	s_wait_alu 0xfffe
	s_add_nc_u64 s[90:91], s[24:25], s[90:91]
	s_mul_hi_u32 s87, s55, s88
	s_mul_hi_u32 s93, s55, s89
	s_wait_alu 0xfffe
	s_add_co_u32 s24, s90, s92
	s_add_co_ci_u32 s24, s91, s87
	s_mul_i32 s88, s55, s89
	s_add_co_ci_u32 s89, s93, 0
	s_wait_alu 0xfffe
	s_add_nc_u64 s[88:89], s[24:25], s[88:89]
	s_wait_alu 0xfffe
	s_add_co_u32 s87, s54, s88
	s_cselect_b32 s24, -1, 0
	s_wait_alu 0xfffe
	s_cmp_lg_u32 s24, 0
	s_add_co_ci_u32 s92, s55, s89
	s_ashr_i32 s54, s7, 31
	s_wait_alu 0xfffe
	s_mov_b32 s55, s54
	s_wait_alu 0xfffe
	s_add_nc_u64 s[88:89], s[6:7], s[54:55]
	s_wait_alu 0xfffe
	s_xor_b64 s[88:89], s[88:89], s[54:55]
	s_wait_alu 0xfffe
	s_mul_hi_u32 s91, s88, s92
	s_mul_i32 s90, s88, s92
	s_mul_hi_u32 s24, s88, s87
	s_mul_hi_u32 s94, s89, s87
	s_mul_i32 s87, s89, s87
	s_wait_alu 0xfffe
	s_add_nc_u64 s[90:91], s[24:25], s[90:91]
	s_mul_hi_u32 s93, s89, s92
	s_wait_alu 0xfffe
	s_add_co_u32 s24, s90, s87
	s_add_co_ci_u32 s24, s91, s94
	s_mul_i32 s92, s89, s92
	s_add_co_ci_u32 s93, s93, 0
	s_wait_alu 0xfffe
	s_add_nc_u64 s[90:91], s[24:25], s[92:93]
	s_wait_alu 0xfffe
	s_mul_u64 s[90:91], s[14:15], s[90:91]
	s_wait_alu 0xfffe
	s_sub_co_u32 s24, s88, s90
	s_cselect_b32 s87, -1, 0
	s_sub_co_i32 s88, s89, s91
	s_wait_alu 0xfffe
	s_cmp_lg_u32 s87, 0
	s_sub_co_ci_u32 s88, s88, s15
	s_sub_co_u32 s90, s24, s14
	s_cselect_b32 s92, -1, 0
	s_wait_alu 0xfffe
	s_cmp_lg_u32 s92, 0
	s_sub_co_ci_u32 s93, s88, 0
	s_wait_alu 0xfffe
	s_cmp_ge_u32 s93, s15
	s_cselect_b32 s94, -1, 0
	s_cmp_ge_u32 s90, s14
	s_cselect_b32 s95, -1, 0
	s_cmp_eq_u32 s93, s15
	s_wait_alu 0xfffe
	s_cselect_b32 s94, s95, s94
	s_cmp_lg_u32 s92, 0
	s_sub_co_ci_u32 s88, s88, s15
	s_sub_co_u32 s92, s90, s14
	s_cselect_b32 s95, -1, 0
	s_wait_alu 0xfffe
	s_cmp_lg_u32 s95, 0
	s_sub_co_ci_u32 s88, s88, 0
	s_cmp_lg_u32 s94, 0
	s_cselect_b32 s90, s92, s90
	s_wait_alu 0xfffe
	s_cselect_b32 s88, s88, s93
	s_cmp_lg_u32 s87, 0
	s_sub_co_ci_u32 s87, s89, s91
	s_wait_alu 0xfffe
	s_cmp_ge_u32 s87, s15
	s_cselect_b32 s89, -1, 0
	s_cmp_ge_u32 s24, s14
	s_cselect_b32 s14, -1, 0
	s_cmp_eq_u32 s87, s15
	s_wait_alu 0xfffe
	s_cselect_b32 s14, s14, s89
	s_wait_alu 0xfffe
	s_cmp_lg_u32 s14, 0
	s_cselect_b32 s15, s88, s87
	s_cselect_b32 s14, s90, s24
	s_wait_alu 0xfffe
	s_xor_b64 s[14:15], s[14:15], s[54:55]
	s_wait_alu 0xfffe
	s_sub_nc_u64 s[14:15], s[14:15], s[54:55]
	s_cbranch_execnz .LBB70_217
.LBB70_216:                             ;   in Loop: Header=BB70_32 Depth=1
	v_cvt_f32_u32_e32 v6, s68
	s_sub_co_i32 s15, 0, s68
	s_delay_alu instid0(VALU_DEP_1) | instskip(NEXT) | instid1(TRANS32_DEP_1)
	v_rcp_iflag_f32_e32 v6, v6
	v_mul_f32_e32 v6, 0x4f7ffffe, v6
	s_delay_alu instid0(VALU_DEP_1) | instskip(NEXT) | instid1(VALU_DEP_1)
	v_cvt_u32_f32_e32 v6, v6
	v_readfirstlane_b32 s14, v6
	s_wait_alu 0xfffe
	s_mul_i32 s15, s15, s14
	s_wait_alu 0xfffe
	s_mul_hi_u32 s15, s14, s15
	s_wait_alu 0xfffe
	s_add_co_i32 s14, s14, s15
	s_wait_alu 0xfffe
	s_mul_hi_u32 s14, s6, s14
	s_wait_alu 0xfffe
	s_mul_i32 s14, s14, s68
	s_wait_alu 0xfffe
	s_sub_co_i32 s14, s6, s14
	s_wait_alu 0xfffe
	s_sub_co_i32 s15, s14, s68
	s_cmp_ge_u32 s14, s68
	s_wait_alu 0xfffe
	s_cselect_b32 s14, s15, s14
	s_wait_alu 0xfffe
	s_sub_co_i32 s15, s14, s68
	s_cmp_ge_u32 s14, s68
	s_wait_alu 0xfffe
	s_cselect_b32 s24, s15, s14
	s_wait_alu 0xfffe
	s_mov_b64 s[14:15], s[24:25]
.LBB70_217:                             ;   in Loop: Header=BB70_32 Depth=1
	s_wait_alu 0xfffe
	s_sub_nc_u64 s[6:7], s[6:7], s[14:15]
	s_mov_b32 s14, exec_lo
                                        ; implicit-def: $vgpr48
	s_wait_alu 0xfffe
	v_cmpx_gt_i64_e64 s[6:7], v[0:1]
	s_cbranch_execz .LBB70_226
; %bb.218:                              ;   in Loop: Header=BB70_32 Depth=1
	v_dual_mov_b32 v8, v35 :: v_dual_mov_b32 v7, v1
	v_mov_b32_e32 v6, v0
	s_mov_b32 s15, 0
                                        ; implicit-def: $sgpr24
	s_branch .LBB70_221
.LBB70_219:                             ;   in Loop: Header=BB70_221 Depth=2
	s_wait_alu 0xfffe
	s_or_b32 exec_lo, exec_lo, s54
	s_wait_loadcnt_dscnt 0x0
	s_barrier_signal -1
	s_barrier_wait -1
	global_inv scope:SCOPE_SE
	ds_load_b32 v9, v3 offset:3072
	s_mov_b32 s54, -1
	s_mov_b32 s55, -1
	s_wait_loadcnt_dscnt 0x0
	s_barrier_signal -1
	s_barrier_wait -1
	global_inv scope:SCOPE_SE
	v_and_b32_e32 v10, 0x7fff, v9
	s_delay_alu instid0(VALU_DEP_1)
	v_cmp_eq_u32_e32 vcc_lo, 0, v10
	s_cbranch_vccnz .LBB70_224
.LBB70_220:                             ;   in Loop: Header=BB70_221 Depth=2
	s_wait_alu 0xfffe
	s_and_b32 s54, exec_lo, s54
	s_wait_alu 0xfffe
	s_or_b32 s15, s54, s15
	s_and_not1_b32 s24, s24, exec_lo
	s_and_b32 s54, s55, exec_lo
	s_wait_alu 0xfffe
	s_or_b32 s24, s24, s54
	s_and_not1_b32 exec_lo, exec_lo, s15
	s_cbranch_execz .LBB70_225
.LBB70_221:                             ;   Parent Loop BB70_32 Depth=1
                                        ; =>  This Inner Loop Header: Depth=2
	s_mov_b32 s54, exec_lo
	s_delay_alu instid0(VALU_DEP_1)
	v_cmpx_gt_u64_e64 s[12:13], v[6:7]
	s_cbranch_execz .LBB70_219
; %bb.222:                              ;   in Loop: Header=BB70_221 Depth=2
	ds_load_u16 v9, v8
	s_wait_dscnt 0x0
	v_cmp_lt_i16_e32 vcc_lo, -1, v9
	v_and_b32_e32 v10, 0xffff, v9
	s_wait_alu 0xfffd
	v_dual_cndmask_b32 v11, 0xffff, v46 :: v_dual_lshlrev_b32 v28, 16, v9
	s_delay_alu instid0(VALU_DEP_1) | instskip(NEXT) | instid1(VALU_DEP_2)
	v_cmp_o_f32_e32 vcc_lo, v28, v28
	v_xor_b32_e32 v10, v11, v10
	s_wait_alu 0xfffd
	s_delay_alu instid0(VALU_DEP_1) | instskip(NEXT) | instid1(VALU_DEP_1)
	v_cndmask_b32_e32 v10, 0xffff, v10, vcc_lo
	v_and_b32_e32 v10, v10, v47
	s_delay_alu instid0(VALU_DEP_1)
	v_cmp_eq_u32_e32 vcc_lo, v10, v24
	s_and_b32 exec_lo, exec_lo, vcc_lo
	s_cbranch_execz .LBB70_219
; %bb.223:                              ;   in Loop: Header=BB70_221 Depth=2
	v_perm_b32 v9, v9, s61, 0x5040100
	ds_store_b32 v3, v9 offset:3072
	s_branch .LBB70_219
.LBB70_224:                             ;   in Loop: Header=BB70_221 Depth=2
	v_add_co_u32 v6, vcc_lo, v6, s68
	s_wait_alu 0xfffd
	v_add_co_ci_u32_e64 v7, null, 0, v7, vcc_lo
	v_add_nc_u32_e32 v8, s60, v8
	s_mov_b32 s55, 0
	s_delay_alu instid0(VALU_DEP_2)
	v_cmp_le_i64_e32 vcc_lo, s[6:7], v[6:7]
	s_or_not1_b32 s54, vcc_lo, exec_lo
	s_branch .LBB70_220
.LBB70_225:                             ;   in Loop: Header=BB70_32 Depth=1
	s_or_b32 exec_lo, exec_lo, s15
	v_lshrrev_b32_e32 v48, 16, v9
	s_and_not1_b32 s6, s86, exec_lo
	s_wait_alu 0xfffe
	s_and_b32 s7, s24, exec_lo
	s_wait_alu 0xfffe
	s_or_b32 s86, s6, s7
.LBB70_226:                             ;   in Loop: Header=BB70_32 Depth=1
	s_or_b32 exec_lo, exec_lo, s14
	s_mov_b32 s54, 0
	s_mov_b32 s55, -1
.LBB70_227:                             ;   in Loop: Header=BB70_32 Depth=1
	s_wait_alu 0xfffe
	s_or_not1_b32 s6, s86, exec_lo
.LBB70_228:                             ;   in Loop: Header=BB70_32 Depth=1
	s_wait_alu 0xfffe
	s_or_b32 exec_lo, exec_lo, s85
	s_mov_b32 s7, 0
	s_and_saveexec_b32 s14, s6
	s_cbranch_execz .LBB70_286
; %bb.229:                              ;   in Loop: Header=BB70_32 Depth=1
	v_mov_b32_e32 v6, 1
	v_dual_mov_b32 v7, 0 :: v_dual_mov_b32 v2, 1
	s_xor_b32 s12, s84, -1
	s_wait_alu 0xfffe
	s_and_saveexec_b32 s6, s12
	s_cbranch_execz .LBB70_238
; %bb.230:                              ;   in Loop: Header=BB70_32 Depth=1
	s_mov_b32 s7, exec_lo
	v_cmpx_ge_i64_e64 s[10:11], v[4:5]
	s_wait_alu 0xfffe
	s_xor_b32 s7, exec_lo, s7
	s_cbranch_execz .LBB70_235
; %bb.231:                              ;   in Loop: Header=BB70_32 Depth=1
	ds_load_b64 v[6:7], v3 offset:5120
	s_lshl_b32 s12, 2, s64
	v_or_b32_e32 v47, s16, v47
	s_wait_alu 0xfffe
	v_and_or_b32 v24, v24, s20, s12
	s_wait_dscnt 0x0
	v_cmp_ne_u64_e32 vcc_lo, 0, v[6:7]
	s_cbranch_vccnz .LBB70_235
; %bb.232:                              ;   in Loop: Header=BB70_32 Depth=1
	s_and_saveexec_b32 s12, s2
; %bb.233:                              ;   in Loop: Header=BB70_32 Depth=1
	v_dual_mov_b32 v6, s10 :: v_dual_mov_b32 v7, s11
	ds_store_b64 v3, v[6:7] offset:5128
; %bb.234:                              ;   in Loop: Header=BB70_32 Depth=1
	s_wait_alu 0xfffe
	s_or_b32 exec_lo, exec_lo, s12
	s_wait_loadcnt_dscnt 0x0
	s_barrier_signal -1
	s_barrier_wait -1
	global_inv scope:SCOPE_SE
.LBB70_235:                             ;   in Loop: Header=BB70_32 Depth=1
	s_wait_alu 0xfffe
	s_or_saveexec_b32 s7, s7
	v_mov_b32_e32 v2, 8
	s_mov_b32 s12, 0
	s_wait_alu 0xfffe
	s_xor_b32 exec_lo, exec_lo, s7
; %bb.236:                              ;   in Loop: Header=BB70_32 Depth=1
	v_sub_co_u32 v4, vcc_lo, v4, s10
	s_wait_alu 0xfffd
	v_subrev_co_ci_u32_e64 v5, null, s11, v5, vcc_lo
	v_mov_b32_e32 v2, 0
	s_mov_b32 s12, exec_lo
; %bb.237:                              ;   in Loop: Header=BB70_32 Depth=1
	s_or_b32 exec_lo, exec_lo, s7
	s_delay_alu instid0(VALU_DEP_2)
	v_dual_mov_b32 v7, v5 :: v_dual_mov_b32 v6, v4
	s_wait_alu 0xfffe
	s_and_b32 s7, s12, exec_lo
.LBB70_238:                             ;   in Loop: Header=BB70_32 Depth=1
	s_wait_alu 0xfffe
	s_or_b32 exec_lo, exec_lo, s6
	s_mov_b32 s6, -1
                                        ; implicit-def: $sgpr86
                                        ; implicit-def: $sgpr85
	s_and_saveexec_b32 s15, s7
	s_cbranch_execz .LBB70_285
; %bb.239:                              ;   in Loop: Header=BB70_32 Depth=1
	v_cmp_eq_u64_e32 vcc_lo, 1, v[6:7]
	s_cmp_eq_u64 s[8:9], 1
	s_mov_b32 s7, -1
	s_cselect_b32 s6, -1, 0
                                        ; implicit-def: $sgpr86
                                        ; implicit-def: $sgpr85
	s_wait_alu 0xfffe
	s_and_b32 s20, s6, vcc_lo
	s_wait_alu 0xfffe
	s_and_saveexec_b32 s84, s20
	s_cbranch_execz .LBB70_273
; %bb.240:                              ;   in Loop: Header=BB70_32 Depth=1
	ds_load_b64 v[4:5], v3 offset:5120
	s_wait_loadcnt_dscnt 0x0
	s_barrier_signal -1
	s_barrier_wait -1
	global_inv scope:SCOPE_SE
	v_readfirstlane_b32 s10, v4
	v_readfirstlane_b32 s11, v5
	s_and_saveexec_b32 s6, s3
; %bb.241:                              ;   in Loop: Header=BB70_32 Depth=1
	ds_store_b16 v36, v3
; %bb.242:                              ;   in Loop: Header=BB70_32 Depth=1
	s_wait_alu 0xfffe
	s_or_b32 exec_lo, exec_lo, s6
	v_cmp_gt_i64_e64 s6, s[10:11], 0
	v_or_b32_e32 v24, s16, v24
	v_or_b32_e32 v47, s16, v47
	s_mov_b32 s85, -1
	s_mov_b32 s86, 0
	s_mov_b32 s87, 0
	s_and_b32 vcc_lo, exec_lo, s6
	s_wait_loadcnt_dscnt 0x0
	s_barrier_signal -1
	s_barrier_wait -1
	global_inv scope:SCOPE_SE
                                        ; implicit-def: $vgpr48
	s_wait_alu 0xfffe
	s_cbranch_vccnz .LBB70_258
; %bb.243:                              ;   in Loop: Header=BB70_32 Depth=1
	s_mov_b32 s6, s25
	s_mov_b32 s7, s77
	s_wait_alu 0xfffe
	s_cmp_lg_u64 s[6:7], 0
	s_cbranch_scc0 .LBB70_292
; %bb.244:                              ;   in Loop: Header=BB70_32 Depth=1
	s_add_nc_u64 s[6:7], s[68:69], 0
	s_wait_alu 0xfffe
	s_xor_b64 s[6:7], s[6:7], 0
	s_wait_alu 0xfffe
	s_cvt_f32_u32 s12, s6
	s_cvt_f32_u32 s13, s7
	s_sub_nc_u64 s[88:89], 0, s[6:7]
	s_wait_alu 0xfffe
	s_delay_alu instid0(SALU_CYCLE_1) | instskip(SKIP_1) | instid1(SALU_CYCLE_2)
	s_fmamk_f32 s12, s13, 0x4f800000, s12
	s_wait_alu 0xfffe
	v_s_rcp_f32 s12, s12
	s_delay_alu instid0(TRANS32_DEP_1) | instskip(SKIP_1) | instid1(SALU_CYCLE_2)
	s_mul_f32 s12, s12, 0x5f7ffffc
	s_wait_alu 0xfffe
	s_mul_f32 s13, s12, 0x2f800000
	s_wait_alu 0xfffe
	s_delay_alu instid0(SALU_CYCLE_2) | instskip(SKIP_1) | instid1(SALU_CYCLE_2)
	s_trunc_f32 s13, s13
	s_wait_alu 0xfffe
	s_fmamk_f32 s12, s13, 0xcf800000, s12
	s_cvt_u32_f32 s13, s13
	s_wait_alu 0xfffe
	s_delay_alu instid0(SALU_CYCLE_1) | instskip(SKIP_1) | instid1(SALU_CYCLE_2)
	s_cvt_u32_f32 s12, s12
	s_wait_alu 0xfffe
	s_mul_u64 s[90:91], s[88:89], s[12:13]
	s_wait_alu 0xfffe
	s_mul_hi_u32 s93, s12, s91
	s_mul_i32 s92, s12, s91
	s_mul_hi_u32 s24, s12, s90
	s_mul_i32 s94, s13, s90
	s_wait_alu 0xfffe
	s_add_nc_u64 s[92:93], s[24:25], s[92:93]
	s_mul_hi_u32 s87, s13, s90
	s_mul_hi_u32 s95, s13, s91
	s_wait_alu 0xfffe
	s_add_co_u32 s24, s92, s94
	s_add_co_ci_u32 s24, s93, s87
	s_mul_i32 s90, s13, s91
	s_add_co_ci_u32 s91, s95, 0
	s_wait_alu 0xfffe
	s_add_nc_u64 s[90:91], s[24:25], s[90:91]
	s_wait_alu 0xfffe
	s_add_co_u32 s12, s12, s90
	s_cselect_b32 s24, -1, 0
	s_wait_alu 0xfffe
	s_cmp_lg_u32 s24, 0
	s_add_co_ci_u32 s13, s13, s91
	s_wait_alu 0xfffe
	s_mul_u64 s[88:89], s[88:89], s[12:13]
	s_wait_alu 0xfffe
	s_mul_hi_u32 s91, s12, s89
	s_mul_i32 s90, s12, s89
	s_mul_hi_u32 s24, s12, s88
	s_mul_i32 s92, s13, s88
	s_wait_alu 0xfffe
	s_add_nc_u64 s[90:91], s[24:25], s[90:91]
	s_mul_hi_u32 s87, s13, s88
	s_mul_hi_u32 s93, s13, s89
	s_wait_alu 0xfffe
	s_add_co_u32 s24, s90, s92
	s_add_co_ci_u32 s24, s91, s87
	s_mul_i32 s88, s13, s89
	s_add_co_ci_u32 s89, s93, 0
	s_wait_alu 0xfffe
	s_add_nc_u64 s[88:89], s[24:25], s[88:89]
	s_wait_alu 0xfffe
	s_add_co_u32 s87, s12, s88
	s_cselect_b32 s12, -1, 0
	s_wait_alu 0xfffe
	s_cmp_lg_u32 s12, 0
	s_add_co_ci_u32 s92, s13, s89
	s_ashr_i32 s12, s77, 31
	s_wait_alu 0xfffe
	s_mov_b32 s13, s12
	s_wait_alu 0xfffe
	s_add_nc_u64 s[88:89], s[76:77], s[12:13]
	s_wait_alu 0xfffe
	s_xor_b64 s[88:89], s[88:89], s[12:13]
	s_wait_alu 0xfffe
	s_mul_hi_u32 s91, s88, s92
	s_mul_i32 s90, s88, s92
	s_mul_hi_u32 s24, s88, s87
	s_mul_hi_u32 s94, s89, s87
	s_mul_i32 s87, s89, s87
	s_wait_alu 0xfffe
	s_add_nc_u64 s[90:91], s[24:25], s[90:91]
	s_mul_hi_u32 s93, s89, s92
	s_wait_alu 0xfffe
	s_add_co_u32 s24, s90, s87
	s_add_co_ci_u32 s24, s91, s94
	s_mul_i32 s92, s89, s92
	s_add_co_ci_u32 s93, s93, 0
	s_wait_alu 0xfffe
	s_add_nc_u64 s[90:91], s[24:25], s[92:93]
	s_wait_alu 0xfffe
	s_mul_u64 s[90:91], s[6:7], s[90:91]
	s_wait_alu 0xfffe
	s_sub_co_u32 s24, s88, s90
	s_cselect_b32 s87, -1, 0
	s_sub_co_i32 s88, s89, s91
	s_wait_alu 0xfffe
	s_cmp_lg_u32 s87, 0
	s_sub_co_ci_u32 s88, s88, s7
	s_sub_co_u32 s90, s24, s6
	s_cselect_b32 s92, -1, 0
	s_wait_alu 0xfffe
	s_cmp_lg_u32 s92, 0
	s_sub_co_ci_u32 s93, s88, 0
	s_wait_alu 0xfffe
	s_cmp_ge_u32 s93, s7
	s_cselect_b32 s94, -1, 0
	s_cmp_ge_u32 s90, s6
	s_cselect_b32 s95, -1, 0
	s_cmp_eq_u32 s93, s7
	s_wait_alu 0xfffe
	s_cselect_b32 s94, s95, s94
	s_cmp_lg_u32 s92, 0
	s_sub_co_ci_u32 s88, s88, s7
	s_sub_co_u32 s92, s90, s6
	s_cselect_b32 s95, -1, 0
	s_wait_alu 0xfffe
	s_cmp_lg_u32 s95, 0
	s_sub_co_ci_u32 s88, s88, 0
	s_cmp_lg_u32 s94, 0
	s_cselect_b32 s90, s92, s90
	s_wait_alu 0xfffe
	s_cselect_b32 s88, s88, s93
	s_cmp_lg_u32 s87, 0
	s_sub_co_ci_u32 s87, s89, s91
	s_wait_alu 0xfffe
	s_cmp_ge_u32 s87, s7
	s_cselect_b32 s89, -1, 0
	s_cmp_ge_u32 s24, s6
	s_cselect_b32 s6, -1, 0
	s_cmp_eq_u32 s87, s7
	s_wait_alu 0xfffe
	s_cselect_b32 s6, s6, s89
	s_wait_alu 0xfffe
	s_cmp_lg_u32 s6, 0
	s_cselect_b32 s7, s88, s87
	s_cselect_b32 s6, s90, s24
	s_wait_alu 0xfffe
	s_xor_b64 s[6:7], s[6:7], s[12:13]
	s_wait_alu 0xfffe
	s_sub_nc_u64 s[6:7], s[6:7], s[12:13]
	s_cbranch_execnz .LBB70_246
.LBB70_245:                             ;   in Loop: Header=BB70_32 Depth=1
	v_cvt_f32_u32_e32 v4, s68
	s_sub_co_i32 s7, 0, s68
	s_delay_alu instid0(VALU_DEP_1) | instskip(NEXT) | instid1(TRANS32_DEP_1)
	v_rcp_iflag_f32_e32 v4, v4
	v_mul_f32_e32 v4, 0x4f7ffffe, v4
	s_delay_alu instid0(VALU_DEP_1) | instskip(NEXT) | instid1(VALU_DEP_1)
	v_cvt_u32_f32_e32 v4, v4
	v_readfirstlane_b32 s6, v4
	s_wait_alu 0xfffe
	s_mul_i32 s7, s7, s6
	s_wait_alu 0xfffe
	s_mul_hi_u32 s7, s6, s7
	s_wait_alu 0xfffe
	s_add_co_i32 s6, s6, s7
	s_wait_alu 0xfffe
	s_mul_hi_u32 s6, s76, s6
	s_wait_alu 0xfffe
	s_mul_i32 s6, s6, s68
	s_wait_alu 0xfffe
	s_sub_co_i32 s6, s76, s6
	s_wait_alu 0xfffe
	s_sub_co_i32 s7, s6, s68
	s_cmp_ge_u32 s6, s68
	s_wait_alu 0xfffe
	s_cselect_b32 s6, s7, s6
	s_wait_alu 0xfffe
	s_sub_co_i32 s7, s6, s68
	s_cmp_ge_u32 s6, s68
	s_wait_alu 0xfffe
	s_cselect_b32 s24, s7, s6
	s_wait_alu 0xfffe
	s_mov_b64 s[6:7], s[24:25]
.LBB70_246:                             ;   in Loop: Header=BB70_32 Depth=1
	s_wait_alu 0xfffe
	s_sub_nc_u64 s[12:13], s[76:77], s[6:7]
	s_mov_b32 s7, 0
	s_mov_b32 s87, 0
	s_mov_b32 s24, exec_lo
                                        ; implicit-def: $vgpr48
	s_wait_alu 0xfffe
	v_cmpx_gt_i64_e64 s[12:13], v[0:1]
	s_cbranch_execz .LBB70_257
; %bb.247:                              ;   in Loop: Header=BB70_32 Depth=1
	v_dual_mov_b32 v4, v12 :: v_dual_mov_b32 v5, v13
	v_dual_mov_b32 v9, v1 :: v_dual_mov_b32 v8, v0
                                        ; implicit-def: $sgpr88
	s_branch .LBB70_250
.LBB70_248:                             ;   in Loop: Header=BB70_250 Depth=2
	s_wait_alu 0xfffe
	s_or_b32 exec_lo, exec_lo, s6
	s_wait_loadcnt_dscnt 0x0
	s_barrier_signal -1
	s_barrier_wait -1
	global_inv scope:SCOPE_SE
	ds_load_b32 v10, v3 offset:3072
	s_mov_b32 s6, -1
	s_mov_b32 s89, -1
	s_wait_loadcnt_dscnt 0x0
	s_barrier_signal -1
	s_barrier_wait -1
	global_inv scope:SCOPE_SE
	v_and_b32_e32 v11, 0x7fff, v10
	s_delay_alu instid0(VALU_DEP_1)
	v_cmp_ne_u32_e32 vcc_lo, 0, v11
	s_cbranch_vccz .LBB70_253
.LBB70_249:                             ;   in Loop: Header=BB70_250 Depth=2
	s_wait_alu 0xfffe
	s_and_b32 s6, exec_lo, s6
	s_wait_alu 0xfffe
	s_or_b32 s87, s6, s87
	s_and_not1_b32 s6, s88, exec_lo
	s_and_b32 s88, s89, exec_lo
	s_wait_alu 0xfffe
	s_or_b32 s88, s6, s88
	s_and_not1_b32 exec_lo, exec_lo, s87
	s_cbranch_execz .LBB70_256
.LBB70_250:                             ;   Parent Loop BB70_32 Depth=1
                                        ; =>  This Inner Loop Header: Depth=2
	s_mov_b32 s6, exec_lo
	s_delay_alu instid0(VALU_DEP_1)
	v_cmpx_gt_i64_e64 s[36:37], v[8:9]
	s_cbranch_execz .LBB70_248
; %bb.251:                              ;   in Loop: Header=BB70_250 Depth=2
	global_load_u16 v10, v[4:5], off
	s_wait_loadcnt 0x0
	v_cmp_lt_i16_e32 vcc_lo, -1, v10
	v_and_b32_e32 v11, 0xffff, v10
	v_lshlrev_b32_e32 v29, 16, v10
	s_wait_alu 0xfffd
	v_cndmask_b32_e32 v28, 0xffff, v46, vcc_lo
	s_delay_alu instid0(VALU_DEP_2) | instskip(NEXT) | instid1(VALU_DEP_2)
	v_cmp_o_f32_e32 vcc_lo, v29, v29
	v_xor_b32_e32 v11, v28, v11
	s_wait_alu 0xfffd
	s_delay_alu instid0(VALU_DEP_1) | instskip(NEXT) | instid1(VALU_DEP_1)
	v_cndmask_b32_e32 v11, 0xffff, v11, vcc_lo
	v_and_b32_e32 v11, v11, v47
	s_delay_alu instid0(VALU_DEP_1)
	v_cmp_eq_u32_e32 vcc_lo, v11, v24
	s_and_b32 exec_lo, exec_lo, vcc_lo
	s_cbranch_execz .LBB70_248
; %bb.252:                              ;   in Loop: Header=BB70_250 Depth=2
	v_perm_b32 v10, v10, s61, 0x5040100
	ds_store_b32 v3, v10 offset:3072
	s_branch .LBB70_248
.LBB70_253:                             ;   in Loop: Header=BB70_250 Depth=2
	v_add_co_u32 v8, vcc_lo, v8, s68
	s_wait_alu 0xfffd
	v_add_co_ci_u32_e64 v9, null, 0, v9, vcc_lo
	v_add_co_u32 v4, s6, v4, s70
	s_wait_alu 0xf1fe
	v_add_co_ci_u32_e64 v5, null, s71, v5, s6
	s_delay_alu instid0(VALU_DEP_3)
	v_cmp_le_i64_e32 vcc_lo, s[12:13], v[8:9]
	s_mov_b32 s89, 0
	s_or_not1_b32 s6, vcc_lo, exec_lo
	s_branch .LBB70_249
.LBB70_254:                             ;   in Loop: Header=BB70_32 Depth=1
                                        ; implicit-def: $sgpr6_sgpr7
	s_branch .LBB70_200
.LBB70_255:                             ;   in Loop: Header=BB70_32 Depth=1
                                        ; implicit-def: $sgpr14_sgpr15
	s_branch .LBB70_216
.LBB70_256:                             ;   in Loop: Header=BB70_32 Depth=1
	s_or_b32 exec_lo, exec_lo, s87
	v_lshrrev_b32_e32 v48, 16, v10
	s_wait_alu 0xfffe
	s_and_b32 s87, s88, exec_lo
.LBB70_257:                             ;   in Loop: Header=BB70_32 Depth=1
	s_or_b32 exec_lo, exec_lo, s24
.LBB70_258:                             ;   in Loop: Header=BB70_32 Depth=1
	s_delay_alu instid0(SALU_CYCLE_1)
	s_and_b32 vcc_lo, exec_lo, s7
	s_wait_alu 0xfffe
	s_cbranch_vccz .LBB70_272
; %bb.259:                              ;   in Loop: Header=BB70_32 Depth=1
	s_add_nc_u64 s[6:7], s[10:11], s[74:75]
	s_mov_b32 s12, s25
	s_wait_alu 0xfffe
	s_mov_b32 s13, s7
	s_wait_alu 0xfffe
	s_cmp_lg_u64 s[12:13], 0
	s_cbranch_scc0 .LBB70_293
; %bb.260:                              ;   in Loop: Header=BB70_32 Depth=1
	s_add_nc_u64 s[12:13], s[68:69], 0
	s_wait_alu 0xfffe
	s_xor_b64 s[12:13], s[12:13], 0
	s_wait_alu 0xfffe
	s_cvt_f32_u32 s24, s12
	s_cvt_f32_u32 s85, s13
	s_sub_nc_u64 s[90:91], 0, s[12:13]
	s_wait_alu 0xfffe
	s_delay_alu instid0(SALU_CYCLE_1) | instskip(SKIP_1) | instid1(SALU_CYCLE_2)
	s_fmamk_f32 s24, s85, 0x4f800000, s24
	s_wait_alu 0xfffe
	v_s_rcp_f32 s24, s24
	s_delay_alu instid0(TRANS32_DEP_1) | instskip(SKIP_1) | instid1(SALU_CYCLE_2)
	s_mul_f32 s24, s24, 0x5f7ffffc
	s_wait_alu 0xfffe
	s_mul_f32 s85, s24, 0x2f800000
	s_wait_alu 0xfffe
	s_delay_alu instid0(SALU_CYCLE_2) | instskip(SKIP_1) | instid1(SALU_CYCLE_2)
	s_trunc_f32 s85, s85
	s_wait_alu 0xfffe
	s_fmamk_f32 s24, s85, 0xcf800000, s24
	s_cvt_u32_f32 s89, s85
	s_wait_alu 0xfffe
	s_delay_alu instid0(SALU_CYCLE_1) | instskip(SKIP_1) | instid1(SALU_CYCLE_2)
	s_cvt_u32_f32 s88, s24
	s_wait_alu 0xfffe
	s_mul_u64 s[92:93], s[90:91], s[88:89]
	s_wait_alu 0xfffe
	s_mul_hi_u32 s95, s88, s93
	s_mul_i32 s94, s88, s93
	s_mul_hi_u32 s24, s88, s92
	s_mul_i32 s86, s89, s92
	s_wait_alu 0xfffe
	s_add_nc_u64 s[94:95], s[24:25], s[94:95]
	s_mul_hi_u32 s85, s89, s92
	s_mul_hi_u32 s96, s89, s93
	s_wait_alu 0xfffe
	s_add_co_u32 s24, s94, s86
	s_add_co_ci_u32 s24, s95, s85
	s_mul_i32 s92, s89, s93
	s_add_co_ci_u32 s93, s96, 0
	s_wait_alu 0xfffe
	s_add_nc_u64 s[92:93], s[24:25], s[92:93]
	s_wait_alu 0xfffe
	s_add_co_u32 s88, s88, s92
	s_cselect_b32 s24, -1, 0
	s_wait_alu 0xfffe
	s_cmp_lg_u32 s24, 0
	s_add_co_ci_u32 s89, s89, s93
	s_wait_alu 0xfffe
	s_mul_u64 s[90:91], s[90:91], s[88:89]
	s_wait_alu 0xfffe
	s_mul_hi_u32 s93, s88, s91
	s_mul_i32 s92, s88, s91
	s_mul_hi_u32 s24, s88, s90
	s_mul_i32 s86, s89, s90
	s_wait_alu 0xfffe
	s_add_nc_u64 s[92:93], s[24:25], s[92:93]
	s_mul_hi_u32 s85, s89, s90
	s_mul_hi_u32 s94, s89, s91
	s_wait_alu 0xfffe
	s_add_co_u32 s24, s92, s86
	s_add_co_ci_u32 s24, s93, s85
	s_mul_i32 s90, s89, s91
	s_add_co_ci_u32 s91, s94, 0
	s_wait_alu 0xfffe
	s_add_nc_u64 s[90:91], s[24:25], s[90:91]
	s_wait_alu 0xfffe
	s_add_co_u32 s85, s88, s90
	s_cselect_b32 s24, -1, 0
	s_wait_alu 0xfffe
	s_cmp_lg_u32 s24, 0
	s_add_co_ci_u32 s86, s89, s91
	s_ashr_i32 s88, s7, 31
	s_wait_alu 0xfffe
	s_mov_b32 s89, s88
	s_wait_alu 0xfffe
	s_add_nc_u64 s[90:91], s[6:7], s[88:89]
	s_wait_alu 0xfffe
	s_xor_b64 s[90:91], s[90:91], s[88:89]
	s_wait_alu 0xfffe
	s_mul_hi_u32 s93, s90, s86
	s_mul_i32 s92, s90, s86
	s_mul_hi_u32 s24, s90, s85
	s_mul_hi_u32 s96, s91, s85
	s_mul_i32 s85, s91, s85
	s_wait_alu 0xfffe
	s_add_nc_u64 s[92:93], s[24:25], s[92:93]
	s_mul_hi_u32 s95, s91, s86
	s_wait_alu 0xfffe
	s_add_co_u32 s24, s92, s85
	s_add_co_ci_u32 s24, s93, s96
	s_mul_i32 s94, s91, s86
	s_add_co_ci_u32 s95, s95, 0
	s_wait_alu 0xfffe
	s_add_nc_u64 s[92:93], s[24:25], s[94:95]
	s_wait_alu 0xfffe
	s_mul_u64 s[92:93], s[12:13], s[92:93]
	s_wait_alu 0xfffe
	s_sub_co_u32 s24, s90, s92
	s_cselect_b32 s85, -1, 0
	s_sub_co_i32 s86, s91, s93
	s_wait_alu 0xfffe
	s_cmp_lg_u32 s85, 0
	s_sub_co_ci_u32 s86, s86, s13
	s_sub_co_u32 s90, s24, s12
	s_cselect_b32 s92, -1, 0
	s_wait_alu 0xfffe
	s_cmp_lg_u32 s92, 0
	s_sub_co_ci_u32 s94, s86, 0
	s_wait_alu 0xfffe
	s_cmp_ge_u32 s94, s13
	s_cselect_b32 s95, -1, 0
	s_cmp_ge_u32 s90, s12
	s_cselect_b32 s96, -1, 0
	s_cmp_eq_u32 s94, s13
	s_wait_alu 0xfffe
	s_cselect_b32 s95, s96, s95
	s_cmp_lg_u32 s92, 0
	s_sub_co_ci_u32 s86, s86, s13
	s_sub_co_u32 s92, s90, s12
	s_cselect_b32 s96, -1, 0
	s_wait_alu 0xfffe
	s_cmp_lg_u32 s96, 0
	s_sub_co_ci_u32 s86, s86, 0
	s_cmp_lg_u32 s95, 0
	s_cselect_b32 s90, s92, s90
	s_wait_alu 0xfffe
	s_cselect_b32 s86, s86, s94
	s_cmp_lg_u32 s85, 0
	s_sub_co_ci_u32 s85, s91, s93
	s_wait_alu 0xfffe
	s_cmp_ge_u32 s85, s13
	s_cselect_b32 s91, -1, 0
	s_cmp_ge_u32 s24, s12
	s_cselect_b32 s12, -1, 0
	s_cmp_eq_u32 s85, s13
	s_wait_alu 0xfffe
	s_cselect_b32 s12, s12, s91
	s_wait_alu 0xfffe
	s_cmp_lg_u32 s12, 0
	s_cselect_b32 s13, s86, s85
	s_cselect_b32 s12, s90, s24
	s_wait_alu 0xfffe
	s_xor_b64 s[12:13], s[12:13], s[88:89]
	s_wait_alu 0xfffe
	s_sub_nc_u64 s[12:13], s[12:13], s[88:89]
	s_cbranch_execnz .LBB70_262
.LBB70_261:                             ;   in Loop: Header=BB70_32 Depth=1
	v_cvt_f32_u32_e32 v4, s68
	s_sub_co_i32 s13, 0, s68
	s_delay_alu instid0(VALU_DEP_1) | instskip(NEXT) | instid1(TRANS32_DEP_1)
	v_rcp_iflag_f32_e32 v4, v4
	v_mul_f32_e32 v4, 0x4f7ffffe, v4
	s_delay_alu instid0(VALU_DEP_1) | instskip(NEXT) | instid1(VALU_DEP_1)
	v_cvt_u32_f32_e32 v4, v4
	v_readfirstlane_b32 s12, v4
	s_wait_alu 0xfffe
	s_mul_i32 s13, s13, s12
	s_wait_alu 0xfffe
	s_mul_hi_u32 s13, s12, s13
	s_wait_alu 0xfffe
	s_add_co_i32 s12, s12, s13
	s_wait_alu 0xfffe
	s_mul_hi_u32 s12, s6, s12
	s_wait_alu 0xfffe
	s_mul_i32 s12, s12, s68
	s_wait_alu 0xfffe
	s_sub_co_i32 s12, s6, s12
	s_wait_alu 0xfffe
	s_sub_co_i32 s13, s12, s68
	s_cmp_ge_u32 s12, s68
	s_wait_alu 0xfffe
	s_cselect_b32 s12, s13, s12
	s_wait_alu 0xfffe
	s_sub_co_i32 s13, s12, s68
	s_cmp_ge_u32 s12, s68
	s_wait_alu 0xfffe
	s_cselect_b32 s24, s13, s12
	s_wait_alu 0xfffe
	s_mov_b64 s[12:13], s[24:25]
.LBB70_262:                             ;   in Loop: Header=BB70_32 Depth=1
	s_wait_alu 0xfffe
	s_sub_nc_u64 s[6:7], s[6:7], s[12:13]
	s_mov_b32 s12, exec_lo
                                        ; implicit-def: $vgpr48
	s_wait_alu 0xfffe
	v_cmpx_gt_i64_e64 s[6:7], v[0:1]
	s_cbranch_execz .LBB70_271
; %bb.263:                              ;   in Loop: Header=BB70_32 Depth=1
	v_dual_mov_b32 v8, v35 :: v_dual_mov_b32 v5, v1
	v_mov_b32_e32 v4, v0
	s_mov_b32 s13, 0
                                        ; implicit-def: $sgpr24
	s_branch .LBB70_266
.LBB70_264:                             ;   in Loop: Header=BB70_266 Depth=2
	s_wait_alu 0xfffe
	s_or_b32 exec_lo, exec_lo, s85
	s_wait_loadcnt_dscnt 0x0
	s_barrier_signal -1
	s_barrier_wait -1
	global_inv scope:SCOPE_SE
	ds_load_b32 v9, v3 offset:3072
	s_mov_b32 s85, -1
	s_mov_b32 s86, -1
	s_wait_loadcnt_dscnt 0x0
	s_barrier_signal -1
	s_barrier_wait -1
	global_inv scope:SCOPE_SE
	v_and_b32_e32 v10, 0x7fff, v9
	s_delay_alu instid0(VALU_DEP_1)
	v_cmp_eq_u32_e32 vcc_lo, 0, v10
	s_cbranch_vccnz .LBB70_269
.LBB70_265:                             ;   in Loop: Header=BB70_266 Depth=2
	s_wait_alu 0xfffe
	s_and_b32 s85, exec_lo, s85
	s_wait_alu 0xfffe
	s_or_b32 s13, s85, s13
	s_and_not1_b32 s24, s24, exec_lo
	s_and_b32 s85, s86, exec_lo
	s_wait_alu 0xfffe
	s_or_b32 s24, s24, s85
	s_and_not1_b32 exec_lo, exec_lo, s13
	s_cbranch_execz .LBB70_270
.LBB70_266:                             ;   Parent Loop BB70_32 Depth=1
                                        ; =>  This Inner Loop Header: Depth=2
	s_mov_b32 s85, exec_lo
	s_delay_alu instid0(VALU_DEP_1)
	v_cmpx_gt_u64_e64 s[10:11], v[4:5]
	s_cbranch_execz .LBB70_264
; %bb.267:                              ;   in Loop: Header=BB70_266 Depth=2
	ds_load_u16 v9, v8
	s_wait_dscnt 0x0
	v_cmp_lt_i16_e32 vcc_lo, -1, v9
	v_and_b32_e32 v10, 0xffff, v9
	s_wait_alu 0xfffd
	v_dual_cndmask_b32 v11, 0xffff, v46 :: v_dual_lshlrev_b32 v28, 16, v9
	s_delay_alu instid0(VALU_DEP_1) | instskip(NEXT) | instid1(VALU_DEP_2)
	v_cmp_o_f32_e32 vcc_lo, v28, v28
	v_xor_b32_e32 v10, v11, v10
	s_wait_alu 0xfffd
	s_delay_alu instid0(VALU_DEP_1) | instskip(NEXT) | instid1(VALU_DEP_1)
	v_cndmask_b32_e32 v10, 0xffff, v10, vcc_lo
	v_and_b32_e32 v10, v10, v47
	s_delay_alu instid0(VALU_DEP_1)
	v_cmp_eq_u32_e32 vcc_lo, v10, v24
	s_and_b32 exec_lo, exec_lo, vcc_lo
	s_cbranch_execz .LBB70_264
; %bb.268:                              ;   in Loop: Header=BB70_266 Depth=2
	v_perm_b32 v9, v9, s61, 0x5040100
	ds_store_b32 v3, v9 offset:3072
	s_branch .LBB70_264
.LBB70_269:                             ;   in Loop: Header=BB70_266 Depth=2
	v_add_co_u32 v4, vcc_lo, v4, s68
	s_wait_alu 0xfffd
	v_add_co_ci_u32_e64 v5, null, 0, v5, vcc_lo
	v_add_nc_u32_e32 v8, s60, v8
	s_mov_b32 s86, 0
	s_delay_alu instid0(VALU_DEP_2)
	v_cmp_le_i64_e32 vcc_lo, s[6:7], v[4:5]
	s_or_not1_b32 s85, vcc_lo, exec_lo
	s_branch .LBB70_265
.LBB70_270:                             ;   in Loop: Header=BB70_32 Depth=1
	s_or_b32 exec_lo, exec_lo, s13
	v_lshrrev_b32_e32 v48, 16, v9
	s_and_not1_b32 s6, s87, exec_lo
	s_wait_alu 0xfffe
	s_and_b32 s7, s24, exec_lo
	s_wait_alu 0xfffe
	s_or_b32 s87, s6, s7
.LBB70_271:                             ;   in Loop: Header=BB70_32 Depth=1
	s_or_b32 exec_lo, exec_lo, s12
	s_mov_b32 s85, 0
	s_mov_b32 s86, -1
.LBB70_272:                             ;   in Loop: Header=BB70_32 Depth=1
	s_wait_alu 0xfffe
	s_or_not1_b32 s7, s87, exec_lo
.LBB70_273:                             ;   in Loop: Header=BB70_32 Depth=1
	s_wait_alu 0xfffe
	s_or_b32 exec_lo, exec_lo, s84
	s_mov_b32 s10, 0
	s_and_saveexec_b32 s6, s7
	s_cbranch_execz .LBB70_284
; %bb.274:                              ;   in Loop: Header=BB70_32 Depth=1
	v_mov_b32_e32 v4, 1
	v_dual_mov_b32 v5, 0 :: v_dual_mov_b32 v2, 1
	s_xor_b32 s10, s20, -1
	s_wait_alu 0xfffe
	s_and_saveexec_b32 s7, s10
	s_cbranch_execz .LBB70_283
; %bb.275:                              ;   in Loop: Header=BB70_32 Depth=1
	s_mov_b32 s10, exec_lo
	v_cmpx_ge_i64_e64 s[8:9], v[6:7]
	s_wait_alu 0xfffe
	s_xor_b32 s10, exec_lo, s10
	s_cbranch_execz .LBB70_280
; %bb.276:                              ;   in Loop: Header=BB70_32 Depth=1
	ds_load_b64 v[4:5], v3 offset:5120
	v_or_b32_e32 v24, s16, v24
	v_or_b32_e32 v47, s16, v47
	s_wait_dscnt 0x0
	v_cmp_ne_u64_e32 vcc_lo, 0, v[4:5]
	s_cbranch_vccnz .LBB70_280
; %bb.277:                              ;   in Loop: Header=BB70_32 Depth=1
	s_and_saveexec_b32 s11, s2
; %bb.278:                              ;   in Loop: Header=BB70_32 Depth=1
	v_dual_mov_b32 v4, s8 :: v_dual_mov_b32 v5, s9
	ds_store_b64 v3, v[4:5] offset:5128
; %bb.279:                              ;   in Loop: Header=BB70_32 Depth=1
	s_wait_alu 0xfffe
	s_or_b32 exec_lo, exec_lo, s11
	s_wait_loadcnt_dscnt 0x0
	s_barrier_signal -1
	s_barrier_wait -1
	global_inv scope:SCOPE_SE
.LBB70_280:                             ;   in Loop: Header=BB70_32 Depth=1
	s_wait_alu 0xfffe
	s_and_not1_saveexec_b32 s10, s10
; %bb.281:                              ;   in Loop: Header=BB70_32 Depth=1
	v_sub_co_u32 v6, vcc_lo, v6, s8
	s_wait_alu 0xfffd
	v_subrev_co_ci_u32_e64 v7, null, s9, v7, vcc_lo
; %bb.282:                              ;   in Loop: Header=BB70_32 Depth=1
	s_wait_alu 0xfffe
	s_or_b32 exec_lo, exec_lo, s10
	v_mov_b32_e32 v4, v6
	s_delay_alu instid0(VALU_DEP_2)
	v_dual_mov_b32 v2, 8 :: v_dual_mov_b32 v5, v7
.LBB70_283:                             ;   in Loop: Header=BB70_32 Depth=1
	s_wait_alu 0xfffe
	s_or_b32 exec_lo, exec_lo, s7
	s_delay_alu instid0(VALU_DEP_1)
	v_dual_mov_b32 v7, v5 :: v_dual_mov_b32 v6, v4
	s_mov_b32 s10, exec_lo
.LBB70_284:                             ;   in Loop: Header=BB70_32 Depth=1
	s_wait_alu 0xfffe
	s_or_b32 exec_lo, exec_lo, s6
	s_delay_alu instid0(SALU_CYCLE_1)
	s_or_not1_b32 s6, s10, exec_lo
.LBB70_285:                             ;   in Loop: Header=BB70_32 Depth=1
	s_wait_alu 0xfffe
	s_or_b32 exec_lo, exec_lo, s15
	v_dual_mov_b32 v4, v6 :: v_dual_mov_b32 v5, v7
	s_and_not1_b32 s7, s55, exec_lo
	s_and_b32 s8, s86, exec_lo
	s_and_not1_b32 s9, s54, exec_lo
	s_and_b32 s10, s85, exec_lo
	s_wait_alu 0xfffe
	s_or_b32 s55, s7, s8
	s_or_b32 s54, s9, s10
	s_and_b32 s7, s6, exec_lo
.LBB70_286:                             ;   in Loop: Header=BB70_32 Depth=1
	s_wait_alu 0xfffe
	s_or_b32 exec_lo, exec_lo, s14
	s_delay_alu instid0(SALU_CYCLE_1)
	s_or_not1_b32 s6, s7, exec_lo
.LBB70_287:                             ;   in Loop: Header=BB70_32 Depth=1
	s_or_b32 exec_lo, exec_lo, s53
	v_dual_mov_b32 v9, v5 :: v_dual_mov_b32 v8, v4
	s_and_not1_b32 s7, s22, exec_lo
	s_and_b32 s8, s55, exec_lo
	s_and_not1_b32 s9, s21, exec_lo
	s_and_b32 s10, s54, exec_lo
	s_wait_alu 0xfffe
	s_or_b32 s22, s7, s8
	s_or_b32 s21, s9, s10
	s_and_b32 s7, s6, exec_lo
.LBB70_288:                             ;   in Loop: Header=BB70_32 Depth=1
	s_wait_alu 0xfffe
	s_or_b32 exec_lo, exec_lo, s23
	s_delay_alu instid0(SALU_CYCLE_1)
	s_or_not1_b32 s6, s7, exec_lo
.LBB70_289:                             ;   in Loop: Header=BB70_32 Depth=1
	s_wait_alu 0xfffe
	s_or_b32 exec_lo, exec_lo, s19
	s_mov_b32 s7, 0
	s_and_saveexec_b32 s8, s6
	s_wait_alu 0xfffe
	s_xor_b32 s6, exec_lo, s8
	s_cbranch_execz .LBB70_30
; %bb.290:                              ;   in Loop: Header=BB70_32 Depth=1
	v_and_b32_e32 v2, 7, v2
	s_mov_b32 s8, -1
	s_mov_b32 s7, -1
	s_mov_b32 s9, exec_lo
	s_delay_alu instid0(VALU_DEP_1)
	v_cmpx_eq_u32_e32 0, v2
	s_cbranch_execz .LBB70_29
; %bb.291:                              ;   in Loop: Header=BB70_32 Depth=1
	s_xor_b32 s66, s66, 1
	s_add_co_i32 s10, s64, -2
	s_cmp_eq_u32 s64, 0
	s_wait_alu 0xfffe
	s_mov_b32 s64, s10
	s_cselect_b32 s8, -1, 0
	s_xor_b32 s7, exec_lo, -1
	s_wait_alu 0xfffe
	s_or_not1_b32 s8, s8, exec_lo
	s_branch .LBB70_29
.LBB70_292:                             ;   in Loop: Header=BB70_32 Depth=1
                                        ; implicit-def: $sgpr6_sgpr7
	s_branch .LBB70_245
.LBB70_293:                             ;   in Loop: Header=BB70_32 Depth=1
                                        ; implicit-def: $sgpr12_sgpr13
	s_branch .LBB70_261
.LBB70_294:
	s_or_b32 exec_lo, exec_lo, s65
	s_xor_b32 s5, s52, -1
	s_xor_b32 s1, s50, -1
	;; [unrolled: 1-line block ×3, first 2 shown]
	s_mov_b32 s3, 0
	s_wait_alu 0xfffe
	s_and_saveexec_b32 s6, s1
	s_wait_alu 0xfffe
	s_xor_b32 s1, exec_lo, s6
	s_cbranch_execnz .LBB70_299
; %bb.295:
	s_wait_alu 0xfffe
	s_and_not1_saveexec_b32 s0, s1
	s_cbranch_execnz .LBB70_321
.LBB70_296:
	s_wait_alu 0xfffe
	s_or_b32 exec_lo, exec_lo, s0
	s_and_saveexec_b32 s0, s3
.LBB70_297:
	; divergent unreachable
.LBB70_298:
	s_endpgm
.LBB70_299:
	s_and_saveexec_b32 s3, s5
	s_wait_alu 0xfffe
	s_xor_b32 s3, exec_lo, s3
	s_cbranch_execz .LBB70_319
; %bb.300:
	s_and_saveexec_b32 s5, s4
	s_wait_alu 0xfffe
	s_xor_b32 s4, exec_lo, s5
; %bb.301:
	v_and_b32_e32 v2, 0x8000, v24
	v_mov_b32_e32 v3, 0xffff
	s_delay_alu instid0(VALU_DEP_2) | instskip(SKIP_1) | instid1(VALU_DEP_2)
	v_cmp_eq_u32_e32 vcc_lo, 0, v2
	s_wait_alu 0xfffd
	v_cndmask_b32_e32 v2, 0x8000, v3, vcc_lo
	s_delay_alu instid0(VALU_DEP_1)
	v_xor_b32_e32 v48, v2, v24
; %bb.302:
	s_wait_alu 0xfffe
	s_or_b32 exec_lo, exec_lo, s4
	s_and_saveexec_b32 s4, s2
; %bb.303:
	v_dual_mov_b32 v2, 0 :: v_dual_mov_b32 v3, s36
	ds_store_b32 v2, v3 offset:5140
; %bb.304:
	s_wait_alu 0xfffe
	s_or_b32 exec_lo, exec_lo, s4
	s_wait_loadcnt_dscnt 0x0
	s_barrier_signal -1
	s_barrier_wait -1
	global_inv scope:SCOPE_SE
	s_and_saveexec_b32 s4, s0
	s_cbranch_execz .LBB70_316
; %bb.305:
	v_mov_b32_e32 v2, 0
	v_lshlrev_b32_e32 v6, 16, v48
	s_mov_b32 s5, 0
                                        ; implicit-def: $sgpr7
                                        ; implicit-def: $sgpr8
                                        ; implicit-def: $sgpr9
	ds_load_b32 v4, v2 offset:5140
	v_cmp_u_f32_e32 vcc_lo, v6, v6
	s_xor_b32 s6, vcc_lo, -1
	s_wait_dscnt 0x0
	v_ashrrev_i32_e32 v5, 31, v4
	s_branch .LBB70_308
.LBB70_306:                             ;   in Loop: Header=BB70_308 Depth=1
	s_wait_alu 0xfffe
	s_or_b32 exec_lo, exec_lo, s13
	s_delay_alu instid0(SALU_CYCLE_1)
	s_and_not1_b32 s0, s9, exec_lo
	s_and_b32 s9, s11, exec_lo
	s_and_not1_b32 s8, s8, exec_lo
	s_and_b32 s11, s12, exec_lo
	s_wait_alu 0xfffe
	s_or_b32 s9, s0, s9
	s_or_b32 s8, s8, s11
.LBB70_307:                             ;   in Loop: Header=BB70_308 Depth=1
	s_wait_alu 0xfffe
	s_or_b32 exec_lo, exec_lo, s10
	s_delay_alu instid0(SALU_CYCLE_1)
	s_and_b32 s0, exec_lo, s8
	s_wait_alu 0xfffe
	s_or_b32 s5, s0, s5
	s_and_not1_b32 s0, s7, exec_lo
	s_and_b32 s7, s9, exec_lo
	s_wait_alu 0xfffe
	s_or_b32 s7, s0, s7
	s_and_not1_b32 exec_lo, exec_lo, s5
	s_cbranch_execz .LBB70_311
.LBB70_308:                             ; =>This Inner Loop Header: Depth=1
	v_dual_mov_b32 v3, v1 :: v_dual_mov_b32 v2, v0
	s_or_b32 s9, s9, exec_lo
	s_or_b32 s8, s8, exec_lo
	s_mov_b32 s10, exec_lo
                                        ; implicit-def: $vgpr0_vgpr1
	s_delay_alu instid0(VALU_DEP_1)
	v_cmpx_lt_i64_e64 v[2:3], v[4:5]
	s_cbranch_execz .LBB70_307
; %bb.309:                              ;   in Loop: Header=BB70_308 Depth=1
	global_load_u16 v0, v[12:13], off
	s_mov_b32 s12, -1
	s_wait_loadcnt 0x0
	v_lshlrev_b32_e32 v0, 16, v0
	s_delay_alu instid0(VALU_DEP_1)
	v_cmp_o_f32_e32 vcc_lo, v0, v0
	v_cmp_neq_f32_e64 s0, v0, v6
                                        ; implicit-def: $vgpr0_vgpr1
	s_wait_alu 0xfffe
	s_or_b32 s11, s6, vcc_lo
	s_wait_alu 0xfffe
	s_and_b32 s0, s0, s11
	s_mov_b32 s11, 0
	s_wait_alu 0xfffe
	s_and_saveexec_b32 s13, s0
	s_cbranch_execz .LBB70_306
; %bb.310:                              ;   in Loop: Header=BB70_308 Depth=1
	v_add_co_u32 v0, vcc_lo, v2, s68
	s_wait_alu 0xfffd
	v_add_co_ci_u32_e64 v1, null, 0, v3, vcc_lo
	v_add_co_u32 v12, s0, v12, s70
	s_wait_alu 0xf1ff
	v_add_co_ci_u32_e64 v13, null, s71, v13, s0
	s_delay_alu instid0(VALU_DEP_3)
	v_cmp_le_i64_e32 vcc_lo, s[36:37], v[0:1]
	s_mov_b32 s11, exec_lo
	s_or_not1_b32 s12, vcc_lo, exec_lo
	s_branch .LBB70_306
.LBB70_311:
	s_or_b32 exec_lo, exec_lo, s5
	s_wait_alu 0xfffe
	s_xor_b32 s0, s7, -1
	s_wait_alu 0xfffe
	s_and_saveexec_b32 s5, s0
	s_wait_alu 0xfffe
	s_xor_b32 s5, exec_lo, s5
	s_cbranch_execz .LBB70_316
; %bb.312:
	s_mov_b32 s5, exec_lo
	s_brev_b32 s0, -2
.LBB70_313:                             ; =>This Inner Loop Header: Depth=1
	s_wait_alu 0xfffe
	s_ctz_i32_b32 s6, s5
	s_wait_alu 0xfffe
	v_readlane_b32 s7, v2, s6
	s_lshl_b32 s6, 1, s6
	s_wait_alu 0xfffe
	s_and_not1_b32 s5, s5, s6
	s_min_i32 s0, s0, s7
	s_wait_alu 0xfffe
	s_cmp_lg_u32 s5, 0
	s_cbranch_scc1 .LBB70_313
; %bb.314:
	v_mbcnt_lo_u32_b32 v0, exec_lo, 0
	s_mov_b32 s5, exec_lo
	s_delay_alu instid0(VALU_DEP_1)
	v_cmpx_eq_u32_e32 0, v0
	s_wait_alu 0xfffe
	s_xor_b32 s5, exec_lo, s5
; %bb.315:
	v_dual_mov_b32 v0, 0 :: v_dual_mov_b32 v1, s0
	ds_min_i32 v0, v1 offset:5140
.LBB70_316:
	s_wait_alu 0xfffe
	s_or_b32 exec_lo, exec_lo, s4
	s_wait_loadcnt_dscnt 0x0
	s_barrier_signal -1
	s_barrier_wait -1
	global_inv scope:SCOPE_SE
	s_and_saveexec_b32 s0, s2
	s_cbranch_execz .LBB70_318
; %bb.317:
	v_readlane_b32 s16, v56, 2
	v_readlane_b32 s17, v56, 3
	v_mov_b32_e32 v2, 0
	s_mul_u64 s[4:5], s[56:57], s[46:47]
	v_readlane_b32 s20, v56, 8
	s_wait_alu 0xfffe
	s_sub_nc_u64 s[4:5], s[26:27], s[4:5]
	s_mul_u64 s[14:15], s[62:63], s[16:17]
	v_readlane_b32 s16, v56, 0
	v_readlane_b32 s17, v56, 1
	ds_load_b32 v0, v2 offset:5140
	s_mul_u64 s[10:11], s[34:35], s[30:31]
	v_readlane_b32 s21, v56, 9
	s_wait_alu 0xfffe
	s_sub_nc_u64 s[10:11], s[26:27], s[10:11]
	s_mul_u64 s[4:5], s[4:5], s[16:17]
	v_readlane_b32 s16, v56, 6
	v_readlane_b32 s17, v56, 7
	s_mul_u64 s[8:9], s[40:41], s[20:21]
	v_readlane_b32 s18, v56, 4
	s_wait_alu 0xfffe
	s_lshl_b64 s[8:9], s[8:9], 1
	v_readlane_b32 s19, v56, 5
	s_mul_u64 s[10:11], s[10:11], s[16:17]
	v_readlane_b32 s16, v56, 14
	v_readlane_b32 s17, v56, 15
	;; [unrolled: 1-line block ×4, first 2 shown]
	s_mul_u64 s[12:13], s[62:63], s[44:45]
	s_mul_u64 s[6:7], s[40:41], s[28:29]
	s_wait_alu 0xfffe
	s_add_nc_u64 s[8:9], s[16:17], s[8:9]
	v_readlane_b32 s16, v56, 12
	v_readlane_b32 s17, v56, 13
	s_sub_nc_u64 s[12:13], s[56:57], s[12:13]
	s_sub_nc_u64 s[6:7], s[34:35], s[6:7]
	s_lshl_b64 s[14:15], s[14:15], 3
	s_wait_alu 0xfffe
	s_mul_u64 s[12:13], s[12:13], s[18:19]
	s_mul_u64 s[6:7], s[6:7], s[22:23]
	s_add_nc_u64 s[14:15], s[16:17], s[14:15]
	s_wait_alu 0xfffe
	s_lshl_b64 s[12:13], s[12:13], 3
	s_lshl_b64 s[6:7], s[6:7], 1
	s_wait_dscnt 0x0
	v_ashrrev_i32_e32 v1, 31, v0
	s_lshl_b64 s[4:5], s[4:5], 3
	s_wait_alu 0xfffe
	s_add_nc_u64 s[12:13], s[14:15], s[12:13]
	s_lshl_b64 s[10:11], s[10:11], 1
	s_add_nc_u64 s[6:7], s[8:9], s[6:7]
	s_wait_alu 0xfffe
	s_add_nc_u64 s[4:5], s[12:13], s[4:5]
	s_add_nc_u64 s[6:7], s[6:7], s[10:11]
	s_clause 0x1
	global_store_b64 v2, v[0:1], s[4:5]
	global_store_b16 v2, v48, s[6:7]
.LBB70_318:
	s_wait_alu 0xfffe
	s_or_b32 exec_lo, exec_lo, s0
.LBB70_319:
	s_wait_alu 0xfffe
	s_or_saveexec_b32 s0, s3
	s_mov_b32 s2, 0
	s_wait_alu 0xfffe
	s_xor_b32 exec_lo, exec_lo, s0
	s_cbranch_execnz .LBB70_322
.LBB70_320:
	s_or_b32 exec_lo, exec_lo, s0
	s_wait_alu 0xfffe
	s_and_b32 s3, s2, exec_lo
	s_and_not1_saveexec_b32 s0, s1
	s_cbranch_execz .LBB70_296
.LBB70_321:
	s_wait_alu 0xfffe
	s_or_b32 s3, s3, exec_lo
	s_trap 2
	s_or_b32 exec_lo, exec_lo, s0
	s_wait_alu 0xfffe
	s_and_saveexec_b32 s0, s3
	s_cbranch_execnz .LBB70_297
	s_branch .LBB70_298
.LBB70_322:
	s_mov_b32 s2, exec_lo
	s_trap 2
	s_branch .LBB70_320
	.section	.rodata,"a",@progbits
	.p2align	6, 0x0
	.amdhsa_kernel _ZN2at6native12_GLOBAL__N_114gatherKthValueIN3c108BFloat16ElLi3EEEvNS_4cuda6detail10TensorInfoIKT_T0_EESA_SA_SA_SA_NS7_IS8_SA_EENS7_IlSA_EE
		.amdhsa_group_segment_fixed_size 5144
		.amdhsa_private_segment_fixed_size 0
		.amdhsa_kernarg_size 1536
		.amdhsa_user_sgpr_count 2
		.amdhsa_user_sgpr_dispatch_ptr 0
		.amdhsa_user_sgpr_queue_ptr 0
		.amdhsa_user_sgpr_kernarg_segment_ptr 1
		.amdhsa_user_sgpr_dispatch_id 0
		.amdhsa_user_sgpr_private_segment_size 0
		.amdhsa_wavefront_size32 1
		.amdhsa_uses_dynamic_stack 0
		.amdhsa_enable_private_segment 0
		.amdhsa_system_sgpr_workgroup_id_x 1
		.amdhsa_system_sgpr_workgroup_id_y 1
		.amdhsa_system_sgpr_workgroup_id_z 1
		.amdhsa_system_sgpr_workgroup_info 0
		.amdhsa_system_vgpr_workitem_id 0
		.amdhsa_next_free_vgpr 57
		.amdhsa_next_free_sgpr 105
		.amdhsa_reserve_vcc 1
		.amdhsa_float_round_mode_32 0
		.amdhsa_float_round_mode_16_64 0
		.amdhsa_float_denorm_mode_32 3
		.amdhsa_float_denorm_mode_16_64 3
		.amdhsa_fp16_overflow 0
		.amdhsa_workgroup_processor_mode 1
		.amdhsa_memory_ordered 1
		.amdhsa_forward_progress 1
		.amdhsa_inst_pref_size 197
		.amdhsa_round_robin_scheduling 0
		.amdhsa_exception_fp_ieee_invalid_op 0
		.amdhsa_exception_fp_denorm_src 0
		.amdhsa_exception_fp_ieee_div_zero 0
		.amdhsa_exception_fp_ieee_overflow 0
		.amdhsa_exception_fp_ieee_underflow 0
		.amdhsa_exception_fp_ieee_inexact 0
		.amdhsa_exception_int_div_zero 0
	.end_amdhsa_kernel
	.section	.text._ZN2at6native12_GLOBAL__N_114gatherKthValueIN3c108BFloat16ElLi3EEEvNS_4cuda6detail10TensorInfoIKT_T0_EESA_SA_SA_SA_NS7_IS8_SA_EENS7_IlSA_EE,"axG",@progbits,_ZN2at6native12_GLOBAL__N_114gatherKthValueIN3c108BFloat16ElLi3EEEvNS_4cuda6detail10TensorInfoIKT_T0_EESA_SA_SA_SA_NS7_IS8_SA_EENS7_IlSA_EE,comdat
.Lfunc_end70:
	.size	_ZN2at6native12_GLOBAL__N_114gatherKthValueIN3c108BFloat16ElLi3EEEvNS_4cuda6detail10TensorInfoIKT_T0_EESA_SA_SA_SA_NS7_IS8_SA_EENS7_IlSA_EE, .Lfunc_end70-_ZN2at6native12_GLOBAL__N_114gatherKthValueIN3c108BFloat16ElLi3EEEvNS_4cuda6detail10TensorInfoIKT_T0_EESA_SA_SA_SA_NS7_IS8_SA_EENS7_IlSA_EE
                                        ; -- End function
	.set _ZN2at6native12_GLOBAL__N_114gatherKthValueIN3c108BFloat16ElLi3EEEvNS_4cuda6detail10TensorInfoIKT_T0_EESA_SA_SA_SA_NS7_IS8_SA_EENS7_IlSA_EE.num_vgpr, 57
	.set _ZN2at6native12_GLOBAL__N_114gatherKthValueIN3c108BFloat16ElLi3EEEvNS_4cuda6detail10TensorInfoIKT_T0_EESA_SA_SA_SA_NS7_IS8_SA_EENS7_IlSA_EE.num_agpr, 0
	.set _ZN2at6native12_GLOBAL__N_114gatherKthValueIN3c108BFloat16ElLi3EEEvNS_4cuda6detail10TensorInfoIKT_T0_EESA_SA_SA_SA_NS7_IS8_SA_EENS7_IlSA_EE.numbered_sgpr, 105
	.set _ZN2at6native12_GLOBAL__N_114gatherKthValueIN3c108BFloat16ElLi3EEEvNS_4cuda6detail10TensorInfoIKT_T0_EESA_SA_SA_SA_NS7_IS8_SA_EENS7_IlSA_EE.num_named_barrier, 0
	.set _ZN2at6native12_GLOBAL__N_114gatherKthValueIN3c108BFloat16ElLi3EEEvNS_4cuda6detail10TensorInfoIKT_T0_EESA_SA_SA_SA_NS7_IS8_SA_EENS7_IlSA_EE.private_seg_size, 0
	.set _ZN2at6native12_GLOBAL__N_114gatherKthValueIN3c108BFloat16ElLi3EEEvNS_4cuda6detail10TensorInfoIKT_T0_EESA_SA_SA_SA_NS7_IS8_SA_EENS7_IlSA_EE.uses_vcc, 1
	.set _ZN2at6native12_GLOBAL__N_114gatherKthValueIN3c108BFloat16ElLi3EEEvNS_4cuda6detail10TensorInfoIKT_T0_EESA_SA_SA_SA_NS7_IS8_SA_EENS7_IlSA_EE.uses_flat_scratch, 0
	.set _ZN2at6native12_GLOBAL__N_114gatherKthValueIN3c108BFloat16ElLi3EEEvNS_4cuda6detail10TensorInfoIKT_T0_EESA_SA_SA_SA_NS7_IS8_SA_EENS7_IlSA_EE.has_dyn_sized_stack, 0
	.set _ZN2at6native12_GLOBAL__N_114gatherKthValueIN3c108BFloat16ElLi3EEEvNS_4cuda6detail10TensorInfoIKT_T0_EESA_SA_SA_SA_NS7_IS8_SA_EENS7_IlSA_EE.has_recursion, 0
	.set _ZN2at6native12_GLOBAL__N_114gatherKthValueIN3c108BFloat16ElLi3EEEvNS_4cuda6detail10TensorInfoIKT_T0_EESA_SA_SA_SA_NS7_IS8_SA_EENS7_IlSA_EE.has_indirect_call, 0
	.section	.AMDGPU.csdata,"",@progbits
; Kernel info:
; codeLenInByte = 25112
; TotalNumSgprs: 107
; NumVgprs: 57
; ScratchSize: 0
; MemoryBound: 0
; FloatMode: 240
; IeeeMode: 1
; LDSByteSize: 5144 bytes/workgroup (compile time only)
; SGPRBlocks: 0
; VGPRBlocks: 7
; NumSGPRsForWavesPerEU: 107
; NumVGPRsForWavesPerEU: 57
; Occupancy: 16
; WaveLimiterHint : 1
; COMPUTE_PGM_RSRC2:SCRATCH_EN: 0
; COMPUTE_PGM_RSRC2:USER_SGPR: 2
; COMPUTE_PGM_RSRC2:TRAP_HANDLER: 0
; COMPUTE_PGM_RSRC2:TGID_X_EN: 1
; COMPUTE_PGM_RSRC2:TGID_Y_EN: 1
; COMPUTE_PGM_RSRC2:TGID_Z_EN: 1
; COMPUTE_PGM_RSRC2:TIDIG_COMP_CNT: 0
	.section	.text._ZN2at6native12_GLOBAL__N_114gatherKthValueIN3c108BFloat16ElLin1EEEvNS_4cuda6detail10TensorInfoIKT_T0_EESA_SA_SA_SA_NS7_IS8_SA_EENS7_IlSA_EE,"axG",@progbits,_ZN2at6native12_GLOBAL__N_114gatherKthValueIN3c108BFloat16ElLin1EEEvNS_4cuda6detail10TensorInfoIKT_T0_EESA_SA_SA_SA_NS7_IS8_SA_EENS7_IlSA_EE,comdat
	.globl	_ZN2at6native12_GLOBAL__N_114gatherKthValueIN3c108BFloat16ElLin1EEEvNS_4cuda6detail10TensorInfoIKT_T0_EESA_SA_SA_SA_NS7_IS8_SA_EENS7_IlSA_EE ; -- Begin function _ZN2at6native12_GLOBAL__N_114gatherKthValueIN3c108BFloat16ElLin1EEEvNS_4cuda6detail10TensorInfoIKT_T0_EESA_SA_SA_SA_NS7_IS8_SA_EENS7_IlSA_EE
	.p2align	8
	.type	_ZN2at6native12_GLOBAL__N_114gatherKthValueIN3c108BFloat16ElLin1EEEvNS_4cuda6detail10TensorInfoIKT_T0_EESA_SA_SA_SA_NS7_IS8_SA_EENS7_IlSA_EE,@function
_ZN2at6native12_GLOBAL__N_114gatherKthValueIN3c108BFloat16ElLin1EEEvNS_4cuda6detail10TensorInfoIKT_T0_EESA_SA_SA_SA_NS7_IS8_SA_EENS7_IlSA_EE: ; @_ZN2at6native12_GLOBAL__N_114gatherKthValueIN3c108BFloat16ElLin1EEEvNS_4cuda6detail10TensorInfoIKT_T0_EESA_SA_SA_SA_NS7_IS8_SA_EENS7_IlSA_EE
; %bb.0:
	s_clause 0x1
	s_load_b64 s[4:5], s[0:1], 0x500
	s_load_b256 s[36:43], s[0:1], 0x1a0
	s_lshr_b32 s2, ttmp7, 16
	s_and_b32 s3, ttmp7, 0xffff
	s_wait_kmcnt 0x0
	s_mul_i32 s2, s5, s2
	s_delay_alu instid0(SALU_CYCLE_1) | instskip(SKIP_2) | instid1(SALU_CYCLE_1)
	s_add_co_i32 s2, s2, s3
	s_mov_b32 s3, 0
	s_mul_i32 s2, s2, s4
	s_add_co_i32 s2, s2, ttmp9
	s_delay_alu instid0(SALU_CYCLE_1)
	v_cmp_le_i64_e64 s5, s[40:41], s[2:3]
	s_and_b32 vcc_lo, exec_lo, s5
	s_cbranch_vccnz .LBB71_298
; %bb.1:
	s_load_b32 s5, s[0:1], 0x198
	s_mov_b64 s[6:7], 0
	s_mov_b64 s[10:11], s[2:3]
	s_wait_kmcnt 0x0
	s_cmp_lt_i32 s5, 2
	s_cbranch_scc1 .LBB71_9
; %bb.2:
	s_mov_b32 s8, 0
	s_add_co_i32 s6, s5, -1
	s_mov_b32 s7, s8
	s_add_co_i32 s5, s5, 1
	s_lshl_b64 s[6:7], s[6:7], 3
	s_mov_b64 s[14:15], s[2:3]
	s_add_nc_u64 s[10:11], s[0:1], s[6:7]
	s_mov_b64 s[6:7], 0
	s_add_nc_u64 s[12:13], s[10:11], 8
.LBB71_3:                               ; =>This Inner Loop Header: Depth=1
	s_load_b64 s[16:17], s[12:13], 0x0
	s_wait_kmcnt 0x0
	s_or_b64 s[10:11], s[14:15], s[16:17]
	s_delay_alu instid0(SALU_CYCLE_1)
	s_mov_b32 s9, s11
                                        ; implicit-def: $sgpr10_sgpr11
	s_wait_alu 0xfffe
	s_cmp_lg_u64 s[8:9], 0
	s_mov_b32 s9, -1
	s_cbranch_scc0 .LBB71_5
; %bb.4:                                ;   in Loop: Header=BB71_3 Depth=1
	s_ashr_i32 s10, s17, 31
	s_mov_b32 s25, s8
	s_mov_b32 s11, s10
	;; [unrolled: 1-line block ×3, first 2 shown]
	s_add_nc_u64 s[18:19], s[16:17], s[10:11]
	s_delay_alu instid0(SALU_CYCLE_1) | instskip(NEXT) | instid1(SALU_CYCLE_1)
	s_xor_b64 s[18:19], s[18:19], s[10:11]
	s_cvt_f32_u32 s9, s18
	s_cvt_f32_u32 s20, s19
	s_sub_nc_u64 s[22:23], 0, s[18:19]
	s_wait_alu 0xfffe
	s_delay_alu instid0(SALU_CYCLE_1) | instskip(SKIP_1) | instid1(SALU_CYCLE_2)
	s_fmamk_f32 s9, s20, 0x4f800000, s9
	s_wait_alu 0xfffe
	v_s_rcp_f32 s9, s9
	s_delay_alu instid0(TRANS32_DEP_1) | instskip(SKIP_1) | instid1(SALU_CYCLE_2)
	s_mul_f32 s9, s9, 0x5f7ffffc
	s_wait_alu 0xfffe
	s_mul_f32 s20, s9, 0x2f800000
	s_delay_alu instid0(SALU_CYCLE_3) | instskip(NEXT) | instid1(SALU_CYCLE_3)
	s_trunc_f32 s20, s20
	s_fmamk_f32 s9, s20, 0xcf800000, s9
	s_cvt_u32_f32 s21, s20
	s_wait_alu 0xfffe
	s_delay_alu instid0(SALU_CYCLE_1) | instskip(NEXT) | instid1(SALU_CYCLE_3)
	s_cvt_u32_f32 s20, s9
	s_mul_u64 s[26:27], s[22:23], s[20:21]
	s_delay_alu instid0(SALU_CYCLE_1)
	s_mul_hi_u32 s31, s20, s27
	s_mul_i32 s30, s20, s27
	s_mul_hi_u32 s24, s20, s26
	s_mul_i32 s28, s21, s26
	s_add_nc_u64 s[24:25], s[24:25], s[30:31]
	s_mul_hi_u32 s9, s21, s26
	s_mul_hi_u32 s33, s21, s27
	s_add_co_u32 s24, s24, s28
	s_wait_alu 0xfffe
	s_add_co_ci_u32 s28, s25, s9
	s_mul_i32 s26, s21, s27
	s_add_co_ci_u32 s27, s33, 0
	s_delay_alu instid0(SALU_CYCLE_1)
	s_add_nc_u64 s[24:25], s[28:29], s[26:27]
	s_mov_b32 s27, s8
	s_add_co_u32 s20, s20, s24
	s_cselect_b32 s9, -1, 0
	s_wait_alu 0xfffe
	s_cmp_lg_u32 s9, 0
	s_add_co_ci_u32 s21, s21, s25
	s_mov_b32 s25, s8
	s_mul_u64 s[22:23], s[22:23], s[20:21]
	s_delay_alu instid0(SALU_CYCLE_1)
	s_mul_hi_u32 s29, s20, s23
	s_mul_i32 s28, s20, s23
	s_mul_hi_u32 s24, s20, s22
	s_mul_i32 s26, s21, s22
	s_add_nc_u64 s[24:25], s[24:25], s[28:29]
	s_mul_hi_u32 s9, s21, s22
	s_mul_hi_u32 s30, s21, s23
	s_mul_i32 s22, s21, s23
	s_add_co_u32 s23, s24, s26
	s_wait_alu 0xfffe
	s_add_co_ci_u32 s26, s25, s9
	s_add_co_ci_u32 s23, s30, 0
	s_mov_b32 s25, s8
	s_add_nc_u64 s[22:23], s[26:27], s[22:23]
	s_delay_alu instid0(SALU_CYCLE_1) | instskip(SKIP_1) | instid1(SALU_CYCLE_1)
	s_add_co_u32 s9, s20, s22
	s_cselect_b32 s20, -1, 0
	s_cmp_lg_u32 s20, 0
	s_add_co_ci_u32 s26, s21, s23
	s_ashr_i32 s20, s15, 31
	s_delay_alu instid0(SALU_CYCLE_1) | instskip(NEXT) | instid1(SALU_CYCLE_1)
	s_mov_b32 s21, s20
	s_add_nc_u64 s[22:23], s[14:15], s[20:21]
	s_delay_alu instid0(SALU_CYCLE_1) | instskip(NEXT) | instid1(SALU_CYCLE_1)
	s_xor_b64 s[22:23], s[22:23], s[20:21]
	s_mul_hi_u32 s29, s22, s26
	s_mul_i32 s28, s22, s26
	s_wait_alu 0xfffe
	s_mul_hi_u32 s24, s22, s9
	s_mul_hi_u32 s31, s23, s9
	s_mul_i32 s9, s23, s9
	s_add_nc_u64 s[24:25], s[24:25], s[28:29]
	s_mul_hi_u32 s30, s23, s26
	s_wait_alu 0xfffe
	s_add_co_u32 s9, s24, s9
	s_mul_i32 s28, s23, s26
	s_add_co_ci_u32 s26, s25, s31
	s_add_co_ci_u32 s29, s30, 0
	s_delay_alu instid0(SALU_CYCLE_1) | instskip(NEXT) | instid1(SALU_CYCLE_1)
	s_add_nc_u64 s[24:25], s[26:27], s[28:29]
	s_mul_u64 s[26:27], s[18:19], s[24:25]
	s_delay_alu instid0(SALU_CYCLE_1)
	s_sub_co_u32 s9, s22, s26
	s_cselect_b32 s22, -1, 0
	s_sub_co_i32 s26, s23, s27
	s_cmp_lg_u32 s22, 0
	s_sub_co_ci_u32 s26, s26, s19
	s_wait_alu 0xfffe
	s_sub_co_u32 s28, s9, s18
	s_cselect_b32 s29, -1, 0
	s_delay_alu instid0(SALU_CYCLE_1) | instskip(SKIP_1) | instid1(SALU_CYCLE_1)
	s_cmp_lg_u32 s29, 0
	s_sub_co_ci_u32 s26, s26, 0
	s_cmp_ge_u32 s26, s19
	s_cselect_b32 s30, -1, 0
	s_cmp_ge_u32 s28, s18
	s_add_nc_u64 s[28:29], s[24:25], 1
	s_cselect_b32 s31, -1, 0
	s_cmp_eq_u32 s26, s19
	s_cselect_b32 s26, s31, s30
	s_add_nc_u64 s[30:31], s[24:25], 2
	s_cmp_lg_u32 s26, 0
	s_cselect_b32 s26, s30, s28
	s_cselect_b32 s28, s31, s29
	s_cmp_lg_u32 s22, 0
	s_sub_co_ci_u32 s22, s23, s27
	s_delay_alu instid0(SALU_CYCLE_1)
	s_cmp_ge_u32 s22, s19
	s_cselect_b32 s23, -1, 0
	s_cmp_ge_u32 s9, s18
	s_cselect_b32 s9, -1, 0
	s_cmp_eq_u32 s22, s19
	s_wait_alu 0xfffe
	s_cselect_b32 s9, s9, s23
	s_wait_alu 0xfffe
	s_cmp_lg_u32 s9, 0
	s_mov_b32 s9, 0
	s_cselect_b32 s19, s28, s25
	s_cselect_b32 s18, s26, s24
	s_xor_b64 s[10:11], s[20:21], s[10:11]
	s_delay_alu instid0(SALU_CYCLE_1) | instskip(NEXT) | instid1(SALU_CYCLE_1)
	s_xor_b64 s[18:19], s[18:19], s[10:11]
	s_sub_nc_u64 s[10:11], s[18:19], s[10:11]
.LBB71_5:                               ;   in Loop: Header=BB71_3 Depth=1
	s_wait_alu 0xfffe
	s_and_not1_b32 vcc_lo, exec_lo, s9
	s_cbranch_vccnz .LBB71_7
; %bb.6:                                ;   in Loop: Header=BB71_3 Depth=1
	v_cvt_f32_u32_e32 v1, s16
	s_sub_co_i32 s10, 0, s16
	s_delay_alu instid0(VALU_DEP_1) | instskip(NEXT) | instid1(TRANS32_DEP_1)
	v_rcp_iflag_f32_e32 v1, v1
	v_mul_f32_e32 v1, 0x4f7ffffe, v1
	s_delay_alu instid0(VALU_DEP_1) | instskip(NEXT) | instid1(VALU_DEP_1)
	v_cvt_u32_f32_e32 v1, v1
	v_readfirstlane_b32 s9, v1
	s_mul_i32 s10, s10, s9
	s_delay_alu instid0(SALU_CYCLE_1) | instskip(NEXT) | instid1(SALU_CYCLE_1)
	s_mul_hi_u32 s10, s9, s10
	s_add_co_i32 s9, s9, s10
	s_wait_alu 0xfffe
	s_mul_hi_u32 s9, s14, s9
	s_wait_alu 0xfffe
	s_mul_i32 s10, s9, s16
	s_add_co_i32 s11, s9, 1
	s_sub_co_i32 s10, s14, s10
	s_delay_alu instid0(SALU_CYCLE_1)
	s_sub_co_i32 s18, s10, s16
	s_cmp_ge_u32 s10, s16
	s_cselect_b32 s9, s11, s9
	s_cselect_b32 s10, s18, s10
	s_wait_alu 0xfffe
	s_add_co_i32 s11, s9, 1
	s_cmp_ge_u32 s10, s16
	s_cselect_b32 s10, s11, s9
	s_mov_b32 s11, s8
.LBB71_7:                               ;   in Loop: Header=BB71_3 Depth=1
	s_load_b64 s[18:19], s[12:13], 0xc8
	s_mul_u64 s[16:17], s[10:11], s[16:17]
	s_add_co_i32 s5, s5, -1
	s_wait_alu 0xfffe
	s_sub_nc_u64 s[14:15], s[14:15], s[16:17]
	s_cmp_gt_u32 s5, 2
	s_add_nc_u64 s[12:13], s[12:13], -8
	s_wait_kmcnt 0x0
	s_mul_u64 s[14:15], s[18:19], s[14:15]
	s_delay_alu instid0(SALU_CYCLE_1)
	s_add_nc_u64 s[6:7], s[14:15], s[6:7]
	s_cbranch_scc0 .LBB71_9
; %bb.8:                                ;   in Loop: Header=BB71_3 Depth=1
	s_mov_b64 s[14:15], s[10:11]
	s_branch .LBB71_3
.LBB71_9:
	s_load_b32 s5, s[0:1], 0x358
	s_add_nc_u64 s[8:9], s[0:1], 0x500
	s_add_nc_u64 s[12:13], s[0:1], 0x1c0
	s_mov_b64 s[26:27], 0
	s_mov_b64 s[28:29], s[2:3]
	s_wait_kmcnt 0x0
	s_cmp_lt_i32 s5, 2
	s_cbranch_scc1 .LBB71_17
; %bb.10:
	s_mov_b32 s14, 0
	s_add_co_i32 s16, s5, -1
	s_mov_b32 s17, s14
	s_add_co_i32 s5, s5, 1
	s_wait_alu 0xfffe
	s_lshl_b64 s[16:17], s[16:17], 3
	s_mov_b64 s[18:19], s[2:3]
	s_wait_alu 0xfffe
	s_add_nc_u64 s[16:17], s[12:13], s[16:17]
	s_wait_alu 0xfffe
	s_add_nc_u64 s[16:17], s[16:17], 8
.LBB71_11:                              ; =>This Inner Loop Header: Depth=1
	s_load_b64 s[20:21], s[16:17], 0x0
                                        ; implicit-def: $sgpr28_sgpr29
	s_wait_kmcnt 0x0
	s_or_b64 s[22:23], s[18:19], s[20:21]
	s_delay_alu instid0(SALU_CYCLE_1)
	s_mov_b32 s15, s23
	s_wait_alu 0xfffe
	s_cmp_lg_u64 s[14:15], 0
	s_mov_b32 s15, -1
	s_cbranch_scc0 .LBB71_13
; %bb.12:                               ;   in Loop: Header=BB71_11 Depth=1
	s_ashr_i32 s22, s21, 31
	s_mov_b32 s35, s14
	s_mov_b32 s23, s22
	;; [unrolled: 1-line block ×3, first 2 shown]
	s_add_nc_u64 s[24:25], s[20:21], s[22:23]
	s_delay_alu instid0(SALU_CYCLE_1) | instskip(NEXT) | instid1(SALU_CYCLE_1)
	s_xor_b64 s[24:25], s[24:25], s[22:23]
	s_cvt_f32_u32 s15, s24
	s_cvt_f32_u32 s28, s25
	s_sub_nc_u64 s[30:31], 0, s[24:25]
	s_wait_alu 0xfffe
	s_delay_alu instid0(SALU_CYCLE_1) | instskip(SKIP_1) | instid1(SALU_CYCLE_2)
	s_fmamk_f32 s15, s28, 0x4f800000, s15
	s_wait_alu 0xfffe
	v_s_rcp_f32 s15, s15
	s_delay_alu instid0(TRANS32_DEP_1) | instskip(SKIP_1) | instid1(SALU_CYCLE_2)
	s_mul_f32 s15, s15, 0x5f7ffffc
	s_wait_alu 0xfffe
	s_mul_f32 s28, s15, 0x2f800000
	s_delay_alu instid0(SALU_CYCLE_3) | instskip(NEXT) | instid1(SALU_CYCLE_3)
	s_trunc_f32 s28, s28
	s_fmamk_f32 s15, s28, 0xcf800000, s15
	s_cvt_u32_f32 s29, s28
	s_wait_alu 0xfffe
	s_delay_alu instid0(SALU_CYCLE_1) | instskip(NEXT) | instid1(SALU_CYCLE_3)
	s_cvt_u32_f32 s28, s15
	s_mul_u64 s[40:41], s[30:31], s[28:29]
	s_wait_alu 0xfffe
	s_mul_hi_u32 s47, s28, s41
	s_mul_i32 s46, s28, s41
	s_mul_hi_u32 s34, s28, s40
	s_mul_i32 s33, s29, s40
	s_add_nc_u64 s[34:35], s[34:35], s[46:47]
	s_mul_hi_u32 s15, s29, s40
	s_mul_hi_u32 s48, s29, s41
	s_add_co_u32 s33, s34, s33
	s_wait_alu 0xfffe
	s_add_co_ci_u32 s44, s35, s15
	s_mul_i32 s40, s29, s41
	s_add_co_ci_u32 s41, s48, 0
	s_wait_alu 0xfffe
	s_add_nc_u64 s[34:35], s[44:45], s[40:41]
	s_mov_b32 s41, s14
	s_add_co_u32 s28, s28, s34
	s_cselect_b32 s15, -1, 0
	s_wait_alu 0xfffe
	s_cmp_lg_u32 s15, 0
	s_add_co_ci_u32 s29, s29, s35
	s_mov_b32 s35, s14
	s_mul_u64 s[30:31], s[30:31], s[28:29]
	s_delay_alu instid0(SALU_CYCLE_1)
	s_mul_hi_u32 s45, s28, s31
	s_mul_i32 s44, s28, s31
	s_mul_hi_u32 s34, s28, s30
	s_mul_i32 s33, s29, s30
	s_add_nc_u64 s[34:35], s[34:35], s[44:45]
	s_mul_hi_u32 s15, s29, s30
	s_mul_hi_u32 s46, s29, s31
	s_mul_i32 s30, s29, s31
	s_add_co_u32 s31, s34, s33
	s_wait_alu 0xfffe
	s_add_co_ci_u32 s40, s35, s15
	s_add_co_ci_u32 s31, s46, 0
	s_mov_b32 s35, s14
	s_wait_alu 0xfffe
	s_add_nc_u64 s[30:31], s[40:41], s[30:31]
	s_delay_alu instid0(SALU_CYCLE_1) | instskip(SKIP_1) | instid1(SALU_CYCLE_1)
	s_add_co_u32 s15, s28, s30
	s_cselect_b32 s28, -1, 0
	s_cmp_lg_u32 s28, 0
	s_add_co_ci_u32 s33, s29, s31
	s_ashr_i32 s28, s19, 31
	s_delay_alu instid0(SALU_CYCLE_1) | instskip(NEXT) | instid1(SALU_CYCLE_1)
	s_mov_b32 s29, s28
	s_add_nc_u64 s[30:31], s[18:19], s[28:29]
	s_delay_alu instid0(SALU_CYCLE_1) | instskip(NEXT) | instid1(SALU_CYCLE_1)
	s_xor_b64 s[30:31], s[30:31], s[28:29]
	s_mul_hi_u32 s45, s30, s33
	s_mul_i32 s44, s30, s33
	s_wait_alu 0xfffe
	s_mul_hi_u32 s34, s30, s15
	s_mul_hi_u32 s40, s31, s15
	s_mul_i32 s15, s31, s15
	s_add_nc_u64 s[34:35], s[34:35], s[44:45]
	s_mul_hi_u32 s46, s31, s33
	s_wait_alu 0xfffe
	s_add_co_u32 s15, s34, s15
	s_add_co_ci_u32 s40, s35, s40
	s_mul_i32 s44, s31, s33
	s_add_co_ci_u32 s45, s46, 0
	s_wait_alu 0xfffe
	s_add_nc_u64 s[34:35], s[40:41], s[44:45]
	s_delay_alu instid0(SALU_CYCLE_1)
	s_mul_u64 s[40:41], s[24:25], s[34:35]
	s_wait_alu 0xfffe
	s_sub_co_u32 s15, s30, s40
	s_cselect_b32 s30, -1, 0
	s_sub_co_i32 s33, s31, s41
	s_cmp_lg_u32 s30, 0
	s_sub_co_ci_u32 s33, s33, s25
	s_wait_alu 0xfffe
	s_sub_co_u32 s40, s15, s24
	s_cselect_b32 s44, -1, 0
	s_delay_alu instid0(SALU_CYCLE_1) | instskip(SKIP_2) | instid1(SALU_CYCLE_1)
	s_cmp_lg_u32 s44, 0
	s_add_nc_u64 s[44:45], s[34:35], 1
	s_sub_co_ci_u32 s33, s33, 0
	s_cmp_ge_u32 s33, s25
	s_cselect_b32 s46, -1, 0
	s_wait_alu 0xfffe
	s_cmp_ge_u32 s40, s24
	s_cselect_b32 s40, -1, 0
	s_cmp_eq_u32 s33, s25
	s_wait_alu 0xfffe
	s_cselect_b32 s33, s40, s46
	s_add_nc_u64 s[46:47], s[34:35], 2
	s_cmp_lg_u32 s33, 0
	s_cselect_b32 s33, s46, s44
	s_cselect_b32 s40, s47, s45
	s_cmp_lg_u32 s30, 0
	s_sub_co_ci_u32 s30, s31, s41
	s_delay_alu instid0(SALU_CYCLE_1)
	s_cmp_ge_u32 s30, s25
	s_cselect_b32 s31, -1, 0
	s_cmp_ge_u32 s15, s24
	s_cselect_b32 s15, -1, 0
	s_cmp_eq_u32 s30, s25
	s_wait_alu 0xfffe
	s_cselect_b32 s15, s15, s31
	s_wait_alu 0xfffe
	s_cmp_lg_u32 s15, 0
	s_mov_b32 s15, 0
	s_cselect_b32 s25, s40, s35
	s_cselect_b32 s24, s33, s34
	s_xor_b64 s[22:23], s[28:29], s[22:23]
	s_delay_alu instid0(SALU_CYCLE_1) | instskip(NEXT) | instid1(SALU_CYCLE_1)
	s_xor_b64 s[24:25], s[24:25], s[22:23]
	s_sub_nc_u64 s[28:29], s[24:25], s[22:23]
.LBB71_13:                              ;   in Loop: Header=BB71_11 Depth=1
	s_wait_alu 0xfffe
	s_and_not1_b32 vcc_lo, exec_lo, s15
	s_cbranch_vccnz .LBB71_15
; %bb.14:                               ;   in Loop: Header=BB71_11 Depth=1
	v_cvt_f32_u32_e32 v1, s20
	s_sub_co_i32 s22, 0, s20
	s_mov_b32 s29, s14
	s_delay_alu instid0(VALU_DEP_1) | instskip(NEXT) | instid1(TRANS32_DEP_1)
	v_rcp_iflag_f32_e32 v1, v1
	v_mul_f32_e32 v1, 0x4f7ffffe, v1
	s_delay_alu instid0(VALU_DEP_1) | instskip(NEXT) | instid1(VALU_DEP_1)
	v_cvt_u32_f32_e32 v1, v1
	v_readfirstlane_b32 s15, v1
	s_mul_i32 s22, s22, s15
	s_delay_alu instid0(SALU_CYCLE_1) | instskip(NEXT) | instid1(SALU_CYCLE_1)
	s_mul_hi_u32 s22, s15, s22
	s_add_co_i32 s15, s15, s22
	s_wait_alu 0xfffe
	s_mul_hi_u32 s15, s18, s15
	s_wait_alu 0xfffe
	s_mul_i32 s22, s15, s20
	s_add_co_i32 s23, s15, 1
	s_sub_co_i32 s22, s18, s22
	s_delay_alu instid0(SALU_CYCLE_1)
	s_sub_co_i32 s24, s22, s20
	s_cmp_ge_u32 s22, s20
	s_cselect_b32 s15, s23, s15
	s_cselect_b32 s22, s24, s22
	s_wait_alu 0xfffe
	s_add_co_i32 s23, s15, 1
	s_cmp_ge_u32 s22, s20
	s_cselect_b32 s28, s23, s15
.LBB71_15:                              ;   in Loop: Header=BB71_11 Depth=1
	s_load_b64 s[22:23], s[16:17], 0xc8
	s_mul_u64 s[20:21], s[28:29], s[20:21]
	s_add_co_i32 s5, s5, -1
	s_wait_alu 0xfffe
	s_sub_nc_u64 s[18:19], s[18:19], s[20:21]
	s_cmp_gt_u32 s5, 2
	s_add_nc_u64 s[16:17], s[16:17], -8
	s_wait_kmcnt 0x0
	s_mul_u64 s[18:19], s[22:23], s[18:19]
	s_delay_alu instid0(SALU_CYCLE_1)
	s_add_nc_u64 s[26:27], s[18:19], s[26:27]
	s_cbranch_scc0 .LBB71_17
; %bb.16:                               ;   in Loop: Header=BB71_11 Depth=1
	s_mov_b64 s[18:19], s[28:29]
	s_branch .LBB71_11
.LBB71_17:
	s_clause 0x1
	s_load_b64 s[14:15], s[0:1], 0xd0
	s_load_b32 s5, s[0:1], 0x4f8
	s_mov_b64 s[30:31], 0
	s_wait_kmcnt 0x0
	s_cmp_lt_i32 s5, 2
	s_cbranch_scc1 .LBB71_25
; %bb.18:
	s_mov_b32 s16, 0
	s_add_co_i32 s18, s5, -1
	s_wait_alu 0xfffe
	s_mov_b32 s19, s16
	s_add_nc_u64 s[20:21], s[0:1], 0x360
	s_lshl_b64 s[18:19], s[18:19], 3
	s_add_co_i32 s5, s5, 1
	s_wait_alu 0xfffe
	s_add_nc_u64 s[18:19], s[20:21], s[18:19]
	s_delay_alu instid0(SALU_CYCLE_1)
	s_add_nc_u64 s[18:19], s[18:19], 8
.LBB71_19:                              ; =>This Inner Loop Header: Depth=1
	s_load_b64 s[20:21], s[18:19], 0x0
                                        ; implicit-def: $sgpr34_sgpr35
	s_wait_kmcnt 0x0
	s_or_b64 s[22:23], s[2:3], s[20:21]
	s_delay_alu instid0(SALU_CYCLE_1)
	s_mov_b32 s17, s23
	s_wait_alu 0xfffe
	s_cmp_lg_u64 s[16:17], 0
	s_mov_b32 s17, -1
	s_cbranch_scc0 .LBB71_21
; %bb.20:                               ;   in Loop: Header=BB71_19 Depth=1
	s_ashr_i32 s22, s21, 31
	s_mov_b32 s45, s16
	s_mov_b32 s23, s22
	;; [unrolled: 1-line block ×3, first 2 shown]
	s_add_nc_u64 s[24:25], s[20:21], s[22:23]
	s_delay_alu instid0(SALU_CYCLE_1) | instskip(NEXT) | instid1(SALU_CYCLE_1)
	s_xor_b64 s[24:25], s[24:25], s[22:23]
	s_cvt_f32_u32 s17, s24
	s_cvt_f32_u32 s33, s25
	s_sub_nc_u64 s[40:41], 0, s[24:25]
	s_wait_alu 0xfffe
	s_delay_alu instid0(SALU_CYCLE_1) | instskip(SKIP_1) | instid1(SALU_CYCLE_2)
	s_fmamk_f32 s17, s33, 0x4f800000, s17
	s_wait_alu 0xfffe
	v_s_rcp_f32 s17, s17
	s_delay_alu instid0(TRANS32_DEP_1) | instskip(SKIP_1) | instid1(SALU_CYCLE_2)
	s_mul_f32 s17, s17, 0x5f7ffffc
	s_wait_alu 0xfffe
	s_mul_f32 s33, s17, 0x2f800000
	s_delay_alu instid0(SALU_CYCLE_3) | instskip(NEXT) | instid1(SALU_CYCLE_3)
	s_trunc_f32 s33, s33
	s_fmamk_f32 s17, s33, 0xcf800000, s17
	s_cvt_u32_f32 s35, s33
	s_wait_alu 0xfffe
	s_delay_alu instid0(SALU_CYCLE_1) | instskip(NEXT) | instid1(SALU_CYCLE_3)
	s_cvt_u32_f32 s34, s17
	s_mul_u64 s[46:47], s[40:41], s[34:35]
	s_delay_alu instid0(SALU_CYCLE_1)
	s_mul_hi_u32 s51, s34, s47
	s_mul_i32 s50, s34, s47
	s_mul_hi_u32 s44, s34, s46
	s_mul_i32 s33, s35, s46
	s_add_nc_u64 s[44:45], s[44:45], s[50:51]
	s_mul_hi_u32 s17, s35, s46
	s_mul_hi_u32 s52, s35, s47
	s_add_co_u32 s33, s44, s33
	s_wait_alu 0xfffe
	s_add_co_ci_u32 s48, s45, s17
	s_mul_i32 s46, s35, s47
	s_add_co_ci_u32 s47, s52, 0
	s_delay_alu instid0(SALU_CYCLE_1)
	s_add_nc_u64 s[44:45], s[48:49], s[46:47]
	s_mov_b32 s47, s16
	s_add_co_u32 s34, s34, s44
	s_cselect_b32 s17, -1, 0
	s_wait_alu 0xfffe
	s_cmp_lg_u32 s17, 0
	s_add_co_ci_u32 s35, s35, s45
	s_mov_b32 s45, s16
	s_mul_u64 s[40:41], s[40:41], s[34:35]
	s_wait_alu 0xfffe
	s_mul_hi_u32 s49, s34, s41
	s_mul_i32 s48, s34, s41
	s_mul_hi_u32 s44, s34, s40
	s_mul_i32 s33, s35, s40
	s_add_nc_u64 s[44:45], s[44:45], s[48:49]
	s_mul_hi_u32 s17, s35, s40
	s_mul_hi_u32 s50, s35, s41
	s_add_co_u32 s33, s44, s33
	s_wait_alu 0xfffe
	s_add_co_ci_u32 s46, s45, s17
	s_mul_i32 s40, s35, s41
	s_add_co_ci_u32 s41, s50, 0
	s_mov_b32 s45, s16
	s_wait_alu 0xfffe
	s_add_nc_u64 s[40:41], s[46:47], s[40:41]
	s_wait_alu 0xfffe
	s_add_co_u32 s17, s34, s40
	s_cselect_b32 s33, -1, 0
	s_delay_alu instid0(SALU_CYCLE_1) | instskip(SKIP_2) | instid1(SALU_CYCLE_1)
	s_cmp_lg_u32 s33, 0
	s_add_co_ci_u32 s33, s35, s41
	s_ashr_i32 s34, s3, 31
	s_mov_b32 s35, s34
	s_delay_alu instid0(SALU_CYCLE_1)
	s_add_nc_u64 s[40:41], s[2:3], s[34:35]
	s_wait_alu 0xfffe
	s_xor_b64 s[40:41], s[40:41], s[34:35]
	s_wait_alu 0xfffe
	s_mul_hi_u32 s49, s40, s33
	s_mul_i32 s48, s40, s33
	s_mul_hi_u32 s44, s40, s17
	s_mul_hi_u32 s46, s41, s17
	s_mul_i32 s17, s41, s17
	s_add_nc_u64 s[44:45], s[44:45], s[48:49]
	s_mul_hi_u32 s50, s41, s33
	s_wait_alu 0xfffe
	s_add_co_u32 s17, s44, s17
	s_add_co_ci_u32 s46, s45, s46
	s_mul_i32 s48, s41, s33
	s_add_co_ci_u32 s49, s50, 0
	s_delay_alu instid0(SALU_CYCLE_1) | instskip(NEXT) | instid1(SALU_CYCLE_1)
	s_add_nc_u64 s[44:45], s[46:47], s[48:49]
	s_mul_u64 s[46:47], s[24:25], s[44:45]
	s_delay_alu instid0(SALU_CYCLE_1)
	s_sub_co_u32 s17, s40, s46
	s_cselect_b32 s33, -1, 0
	s_sub_co_i32 s40, s41, s47
	s_cmp_lg_u32 s33, 0
	s_wait_alu 0xfffe
	s_sub_co_ci_u32 s40, s40, s25
	s_sub_co_u32 s46, s17, s24
	s_cselect_b32 s48, -1, 0
	s_delay_alu instid0(SALU_CYCLE_1)
	s_cmp_lg_u32 s48, 0
	s_add_nc_u64 s[48:49], s[44:45], 1
	s_wait_alu 0xfffe
	s_sub_co_ci_u32 s40, s40, 0
	s_wait_alu 0xfffe
	s_cmp_ge_u32 s40, s25
	s_cselect_b32 s50, -1, 0
	s_cmp_ge_u32 s46, s24
	s_cselect_b32 s46, -1, 0
	s_cmp_eq_u32 s40, s25
	s_cselect_b32 s40, s46, s50
	s_add_nc_u64 s[50:51], s[44:45], 2
	s_wait_alu 0xfffe
	s_cmp_lg_u32 s40, 0
	s_cselect_b32 s40, s50, s48
	s_cselect_b32 s46, s51, s49
	s_cmp_lg_u32 s33, 0
	s_sub_co_ci_u32 s33, s41, s47
	s_delay_alu instid0(SALU_CYCLE_1)
	s_cmp_ge_u32 s33, s25
	s_cselect_b32 s41, -1, 0
	s_cmp_ge_u32 s17, s24
	s_cselect_b32 s17, -1, 0
	s_cmp_eq_u32 s33, s25
	s_wait_alu 0xfffe
	s_cselect_b32 s17, s17, s41
	s_wait_alu 0xfffe
	s_cmp_lg_u32 s17, 0
	s_mov_b32 s17, 0
	s_cselect_b32 s25, s46, s45
	s_cselect_b32 s24, s40, s44
	s_xor_b64 s[22:23], s[34:35], s[22:23]
	s_delay_alu instid0(SALU_CYCLE_1) | instskip(NEXT) | instid1(SALU_CYCLE_1)
	s_xor_b64 s[24:25], s[24:25], s[22:23]
	s_sub_nc_u64 s[34:35], s[24:25], s[22:23]
.LBB71_21:                              ;   in Loop: Header=BB71_19 Depth=1
	s_wait_alu 0xfffe
	s_and_not1_b32 vcc_lo, exec_lo, s17
	s_cbranch_vccnz .LBB71_23
; %bb.22:                               ;   in Loop: Header=BB71_19 Depth=1
	v_cvt_f32_u32_e32 v1, s20
	s_sub_co_i32 s22, 0, s20
	s_mov_b32 s35, s16
	s_delay_alu instid0(VALU_DEP_1) | instskip(NEXT) | instid1(TRANS32_DEP_1)
	v_rcp_iflag_f32_e32 v1, v1
	v_mul_f32_e32 v1, 0x4f7ffffe, v1
	s_delay_alu instid0(VALU_DEP_1) | instskip(NEXT) | instid1(VALU_DEP_1)
	v_cvt_u32_f32_e32 v1, v1
	v_readfirstlane_b32 s17, v1
	s_mul_i32 s22, s22, s17
	s_delay_alu instid0(SALU_CYCLE_1) | instskip(NEXT) | instid1(SALU_CYCLE_1)
	s_mul_hi_u32 s22, s17, s22
	s_add_co_i32 s17, s17, s22
	s_wait_alu 0xfffe
	s_mul_hi_u32 s17, s2, s17
	s_wait_alu 0xfffe
	s_mul_i32 s22, s17, s20
	s_add_co_i32 s23, s17, 1
	s_sub_co_i32 s22, s2, s22
	s_delay_alu instid0(SALU_CYCLE_1)
	s_sub_co_i32 s24, s22, s20
	s_cmp_ge_u32 s22, s20
	s_cselect_b32 s17, s23, s17
	s_cselect_b32 s22, s24, s22
	s_wait_alu 0xfffe
	s_add_co_i32 s23, s17, 1
	s_cmp_ge_u32 s22, s20
	s_cselect_b32 s34, s23, s17
.LBB71_23:                              ;   in Loop: Header=BB71_19 Depth=1
	s_load_b64 s[22:23], s[18:19], 0xc8
	s_mul_u64 s[20:21], s[34:35], s[20:21]
	s_add_co_i32 s5, s5, -1
	s_wait_alu 0xfffe
	s_sub_nc_u64 s[2:3], s[2:3], s[20:21]
	s_cmp_gt_u32 s5, 2
	s_add_nc_u64 s[18:19], s[18:19], -8
	s_wait_kmcnt 0x0
	s_wait_alu 0xfffe
	s_mul_u64 s[2:3], s[22:23], s[2:3]
	s_wait_alu 0xfffe
	s_add_nc_u64 s[30:31], s[2:3], s[30:31]
	s_cbranch_scc0 .LBB71_26
; %bb.24:                               ;   in Loop: Header=BB71_19 Depth=1
	s_mov_b64 s[2:3], s[34:35]
	s_branch .LBB71_19
.LBB71_25:
	s_mov_b64 s[34:35], s[2:3]
.LBB71_26:
	s_clause 0x1
	s_load_b64 s[40:41], s[12:13], 0xd0
	s_load_b64 s[12:13], s[0:1], 0x0
	v_cmp_eq_u32_e64 s2, 0, v0
	s_mov_b32 s53, 0
	s_and_saveexec_b32 s3, s2
	s_cbranch_execz .LBB71_28
; %bb.27:
	v_dual_mov_b32 v1, 0 :: v_dual_mov_b32 v4, s37
	s_delay_alu instid0(VALU_DEP_1)
	v_dual_mov_b32 v3, s36 :: v_dual_mov_b32 v2, v1
	ds_store_b32 v1, v1 offset:5136
	ds_store_b128 v1, v[1:4] offset:5120
.LBB71_28:
	s_wait_alu 0xfffe
	s_or_b32 exec_lo, exec_lo, s3
	v_mad_co_u64_u32 v[4:5], null, s42, v0, 0
	v_mbcnt_lo_u32_b32 v41, -1, 0
	s_mul_u64 s[10:11], s[14:15], s[10:11]
	s_clause 0x2
	s_load_b64 s[48:49], s[0:1], 0x430
	s_load_b64 s[44:45], s[0:1], 0x1c0
	;; [unrolled: 1-line block ×3, first 2 shown]
	s_lshl_b64 s[10:11], s[10:11], 1
	v_cmp_gt_u32_e32 vcc_lo, 32, v0
	v_cmp_gt_i32_e64 s0, 4, v41
	v_dual_mov_b32 v1, v5 :: v_dual_lshlrev_b32 v42, 1, v0
	s_wait_kmcnt 0x0
	s_add_nc_u64 s[14:15], s[12:13], s[10:11]
	s_lshl_b64 s[56:57], s[6:7], 1
	v_dual_mov_b32 v3, 0 :: v_dual_lshlrev_b32 v16, 2, v0
	v_mad_co_u64_u32 v[1:2], null, s43, v0, v[1:2]
	s_wait_alu 0xfffe
	s_add_nc_u64 s[58:59], s[14:15], s[56:57]
	s_and_b32 s33, vcc_lo, s0
	v_lshlrev_b64_e64 v[8:9], v41, -1
	s_wait_dscnt 0x0
	s_barrier_signal -1
	s_delay_alu instid0(VALU_DEP_2)
	v_dual_mov_b32 v5, v1 :: v_dual_add_nc_u32 v2, 2, v0
	s_barrier_wait -1
	global_inv scope:SCOPE_SE
	s_load_b32 s5, s[8:9], 0xc
	v_dual_mov_b32 v17, v3 :: v_dual_lshlrev_b32 v46, 3, v0
	v_lshlrev_b64_e32 v[6:7], 1, v[4:5]
	v_not_b32_e32 v44, v8
	v_not_b32_e32 v8, v0
	v_lshlrev_b64_e32 v[4:5], 3, v[4:5]
	v_or_b32_e32 v10, 6, v46
	v_or_b32_e32 v12, 4, v46
	v_add_co_u32 v14, vcc_lo, s58, v6
	s_delay_alu instid0(VALU_DEP_1)
	v_add_co_ci_u32_e64 v15, null, s59, v7, vcc_lo
	v_cmp_gt_i64_e32 vcc_lo, s[36:37], v[2:3]
	v_mad_co_u64_u32 v[21:22], null, s42, v10, s[14:15]
	v_or_b32_e32 v13, 2, v46
	v_add_nc_u32_e32 v43, 0xc00, v42
	v_mad_co_u64_u32 v[23:24], null, s42, v12, s[14:15]
	s_wait_alu 0xfffd
	v_cndmask_b32_e64 v2, v2, s36, vcc_lo
	v_cndmask_b32_e64 v9, 0, s37, vcc_lo
	s_wait_kmcnt 0x0
	s_and_b32 s50, s5, 0xffff
	s_bfe_u32 s6, s5, 0xb0005
	s_cmp_gt_u32 s50, 31
	v_add_co_u32 v8, vcc_lo, v2, v8
	v_mov_b32_e32 v1, v3
	s_wait_alu 0xfffd
	v_add_co_ci_u32_e64 v9, null, -1, v9, vcc_lo
	s_delay_alu instid0(VALU_DEP_3)
	v_and_b32_e32 v18, -2, v8
	v_mad_co_u64_u32 v[25:26], null, s42, v13, s[14:15]
	s_cselect_b32 s87, -1, 0
	s_movk_i32 s5, 0x3e0
	v_add_co_u32 v20, vcc_lo, v18, v0
	s_wait_alu 0xfffd
	v_add_co_ci_u32_e64 v2, null, 0, v9, vcc_lo
	v_mov_b32_e32 v2, v22
	s_cmp_lt_u32 ttmp9, s4
	v_mov_b32_e32 v19, v9
	v_and_or_b32 v45, v0, s5, 0xc00
	s_cselect_b32 s52, 12, 18
	s_add_co_i32 s5, s6, -1
	v_mad_co_u64_u32 v[10:11], null, s43, v10, v[2:3]
	s_wait_alu 0xfffe
	s_and_b32 s5, s5, 0xffff
	s_bfe_u32 s90, s50, 0x30005
	v_cmp_lt_u64_e64 s4, 1, v[8:9]
	s_wait_alu 0xfffe
	s_cmp_gt_u32 s5, 6
	v_cmp_ne_u64_e64 s5, v[8:9], v[18:19]
	v_dual_mov_b32 v8, v24 :: v_dual_mov_b32 v9, v26
	v_mov_b32_e32 v22, v10
	s_cselect_b32 s91, -1, 0
	s_and_b32 s92, s6, 0x7f8
	s_add_nc_u64 s[6:7], s[10:11], s[56:57]
	v_mad_co_u64_u32 v[11:12], null, s43, v12, v[8:9]
	v_mad_co_u64_u32 v[8:9], null, s43, v13, v[9:10]
	s_add_nc_u64 s[64:65], s[12:13], s[6:7]
	v_add_co_u32 v48, s6, s36, v0
	s_cmp_lg_u32 s90, 0
	v_add_co_ci_u32_e64 v49, null, s37, 0, s6
	s_add_nc_u64 s[6:7], s[12:13], s[56:57]
	s_cselect_b32 s93, -1, 0
	s_lshl_b64 s[66:67], s[42:43], 1
	v_add_co_u32 v27, vcc_lo, s14, v4
	s_wait_alu 0xfffe
	s_add_nc_u64 s[6:7], s[6:7], s[10:11]
	v_mul_lo_u32 v51, 0, s66
	s_wait_alu 0xfffd
	v_add_co_ci_u32_e64 v28, null, s15, v5, vcc_lo
	s_wait_alu 0xfffe
	v_add_co_u32 v12, vcc_lo, s6, v6
	v_cmp_lt_i64_e64 s86, 0x600, s[36:37]
	v_cmp_gt_i64_e64 s0, s[36:37], v[0:1]
	s_mov_b32 s51, s53
	v_dual_mov_b32 v24, v11 :: v_dual_mov_b32 v29, s38
	v_cmp_eq_u32_e64 s1, 0, v41
	v_cmp_gt_u32_e64 s3, 2, v0
	v_dual_mov_b32 v26, v8 :: v_dual_mov_b32 v47, 0
	v_lshl_or_b32 v50, v41, 3, 0xc00
	s_wait_alu 0xfffd
	v_add_co_ci_u32_e64 v13, null, s7, v7, vcc_lo
	v_dual_mov_b32 v30, s39 :: v_dual_mov_b32 v53, 0
	v_mov_b32_e32 v52, 0x8000
	v_mov_b32_e32 v54, 0
	s_add_nc_u64 s[60:61], s[50:51], -1
	s_mul_u64 s[10:11], s[42:43], s[50:51]
	s_add_nc_u64 s[62:63], s[60:61], s[36:37]
	s_mov_b32 s88, s42
	s_mov_b32 s89, s43
	s_lshl_b64 s[68:69], s[42:43], 3
	s_lshl_b64 s[54:55], s[10:11], 1
	s_lshl_b32 s94, s50, 1
	s_mov_b32 s96, 14
	s_movk_i32 s95, 0x3f80
	s_add_nc_u64 s[38:39], s[8:9], s[52:53]
	s_mov_b32 s97, 0
	s_mov_b32 s98, 0
                                        ; implicit-def: $sgpr102
                                        ; implicit-def: $sgpr104
                                        ; implicit-def: $sgpr99
                                        ; implicit-def: $sgpr101
                                        ; implicit-def: $sgpr103
                                        ; implicit-def: $sgpr100
	s_branch .LBB71_32
.LBB71_29:                              ;   in Loop: Header=BB71_32 Depth=1
	s_wait_alu 0xfffe
	s_or_b32 exec_lo, exec_lo, s9
	s_delay_alu instid0(SALU_CYCLE_1)
	s_and_b32 s7, s7, exec_lo
	s_and_not1_b32 s22, s22, exec_lo
	s_and_not1_b32 s21, s21, exec_lo
	s_or_not1_b32 s18, s8, exec_lo
.LBB71_30:                              ;   in Loop: Header=BB71_32 Depth=1
	s_wait_alu 0xfffe
	s_or_b32 exec_lo, exec_lo, s6
	s_delay_alu instid0(SALU_CYCLE_1)
	s_and_not1_b32 s6, s100, exec_lo
	s_and_b32 s7, s7, exec_lo
	s_and_not1_b32 s8, s101, exec_lo
	s_wait_alu 0xfffe
	s_or_b32 s100, s6, s7
	s_and_not1_b32 s6, s103, exec_lo
	s_and_b32 s7, s22, exec_lo
	s_and_b32 s9, s21, exec_lo
	s_wait_alu 0xfffe
	s_or_b32 s103, s6, s7
	s_or_b32 s101, s8, s9
	s_or_not1_b32 s18, s18, exec_lo
.LBB71_31:                              ;   in Loop: Header=BB71_32 Depth=1
	s_wait_alu 0xfffe
	s_or_b32 exec_lo, exec_lo, s17
	s_delay_alu instid0(SALU_CYCLE_1)
	s_and_b32 s6, exec_lo, s18
	v_dual_mov_b32 v30, v9 :: v_dual_mov_b32 v29, v8
	s_wait_alu 0xfffe
	s_or_b32 s97, s6, s97
	s_and_not1_b32 s6, s99, exec_lo
	s_and_b32 s7, s100, exec_lo
	s_and_not1_b32 s8, s104, exec_lo
	s_wait_alu 0xfffe
	s_or_b32 s99, s6, s7
	s_and_b32 s6, s103, exec_lo
	s_and_not1_b32 s7, s102, exec_lo
	s_and_b32 s9, s101, exec_lo
	s_wait_alu 0xfffe
	s_or_b32 s104, s8, s6
	s_or_b32 s102, s7, s9
	s_and_not1_b32 exec_lo, exec_lo, s97
	s_cbranch_execz .LBB71_294
.LBB71_32:                              ; =>This Loop Header: Depth=1
                                        ;     Child Loop BB71_37 Depth 2
                                        ;     Child Loop BB71_51 Depth 2
	;; [unrolled: 1-line block ×17, first 2 shown]
	ds_load_b128 v[4:7], v3 offset:5120
	s_wait_dscnt 0x0
	v_readfirstlane_b32 s71, v5
	v_readfirstlane_b32 s70, v4
	s_wait_alu 0xf1ff
	s_delay_alu instid0(VALU_DEP_1)
	v_cmp_gt_i64_e64 s6, s[70:71], 0
	s_and_b32 vcc_lo, exec_lo, s6
	s_wait_alu 0xfffe
	s_cbranch_vccnz .LBB71_64
; %bb.33:                               ;   in Loop: Header=BB71_32 Depth=1
	s_and_b32 vcc_lo, exec_lo, s86
	s_wait_alu 0xfffe
	s_cbranch_vccz .LBB71_45
; %bb.34:                               ;   in Loop: Header=BB71_32 Depth=1
	v_cmp_gt_i64_e32 vcc_lo, 0x601, v[6:7]
	s_mov_b32 s8, 0
	s_mov_b32 s6, 0
	s_cbranch_vccz .LBB71_46
; %bb.35:                               ;   in Loop: Header=BB71_32 Depth=1
	global_load_u16 v2, v3, s[38:39]
	global_load_u16 v8, v[14:15], off
	s_mov_b32 s9, 0
	s_wait_loadcnt 0x1
	v_and_b32_e32 v2, 0xffff, v2
	s_delay_alu instid0(VALU_DEP_1) | instskip(SKIP_3) | instid1(VALU_DEP_3)
	v_add_co_u32 v4, s6, v0, v2
	s_wait_alu 0xf1fe
	v_add_co_ci_u32_e64 v5, null, 0, 0, s6
	v_mul_lo_u32 v6, v2, s67
	v_mul_lo_u32 v10, s67, v4
	v_mul_hi_u32 v11, v2, s66
	s_delay_alu instid0(VALU_DEP_4) | instskip(SKIP_2) | instid1(VALU_DEP_2)
	v_mul_lo_u32 v7, s66, v5
	v_mad_co_u64_u32 v[4:5], null, s66, v4, s[64:65]
	v_add_nc_u32_e32 v6, v6, v51
	v_add3_u32 v5, v10, v5, v7
	s_delay_alu instid0(VALU_DEP_2)
	v_dual_mov_b32 v7, v1 :: v_dual_add_nc_u32 v10, v6, v11
	v_mul_lo_u32 v9, v2, s66
	v_mov_b32_e32 v6, v0
	s_branch .LBB71_37
.LBB71_36:                              ;   in Loop: Header=BB71_37 Depth=2
	s_wait_alu 0xfffe
	s_or_b32 exec_lo, exec_lo, s7
	v_add_co_u32 v4, vcc_lo, v4, v9
	s_wait_alu 0xfffd
	v_add_co_ci_u32_e64 v5, null, v5, v10, vcc_lo
	v_mov_b32_e32 v8, v11
	s_and_not1_b32 exec_lo, exec_lo, s9
	s_cbranch_execz .LBB71_98
.LBB71_37:                              ;   Parent Loop BB71_32 Depth=1
                                        ; =>  This Inner Loop Header: Depth=2
	s_delay_alu instid0(VALU_DEP_1)
	v_add_co_u32 v6, vcc_lo, v6, v2
	s_wait_alu 0xfffd
	v_add_co_ci_u32_e64 v7, null, 0, v7, vcc_lo
	s_wait_dscnt 0x0
	v_mov_b32_e32 v31, 0
	v_mov_b32_e32 v11, 0
	s_mov_b32 s7, exec_lo
	v_cmp_le_i64_e32 vcc_lo, s[36:37], v[6:7]
	v_cmpx_gt_i64_e64 s[36:37], v[6:7]
	s_cbranch_execz .LBB71_39
; %bb.38:                               ;   in Loop: Header=BB71_37 Depth=2
	global_load_u16 v11, v[4:5], off
.LBB71_39:                              ;   in Loop: Header=BB71_37 Depth=2
	s_wait_alu 0xfffe
	s_or_b32 exec_lo, exec_lo, s7
	s_wait_loadcnt 0x0
	v_cmp_lt_i16_e64 s6, -1, v8
	v_and_b32_e32 v32, 0xffff, v8
	v_lshlrev_b32_e32 v34, 16, v8
	s_wait_alu 0xf1ff
	s_delay_alu instid0(VALU_DEP_3) | instskip(NEXT) | instid1(VALU_DEP_2)
	v_cndmask_b32_e64 v33, 0xffff, v52, s6
	v_cmp_o_f32_e64 s6, v34, v34
	s_delay_alu instid0(VALU_DEP_2) | instskip(SKIP_1) | instid1(VALU_DEP_1)
	v_xor_b32_e32 v32, v33, v32
	s_wait_alu 0xf1ff
	v_cndmask_b32_e64 v32, 0xffff, v32, s6
	s_delay_alu instid0(VALU_DEP_1) | instskip(NEXT) | instid1(VALU_DEP_1)
	v_and_b32_e32 v32, v32, v53
	v_cmp_eq_u32_e64 s6, v32, v47
	s_cmp_lg_u32 s6, 0
	s_cselect_b32 s7, -1, 0
	s_wait_alu 0xfffe
	s_and_b32 s7, s1, s7
	s_wait_alu 0xfffe
	s_and_saveexec_b32 s10, s7
	s_cbranch_execz .LBB71_43
; %bb.40:                               ;   in Loop: Header=BB71_37 Depth=2
	s_mov_b32 s13, exec_lo
	s_bcnt1_i32_b32 s11, s6
	s_wait_alu 0xfffe
	v_mbcnt_lo_u32_b32 v31, s13, 0
	s_mov_b32 s12, exec_lo
                                        ; implicit-def: $vgpr32
	s_delay_alu instid0(VALU_DEP_1)
	v_cmpx_eq_u32_e32 0, v31
; %bb.41:                               ;   in Loop: Header=BB71_37 Depth=2
	s_bcnt1_i32_b32 s7, s13
	s_wait_alu 0xfffe
	s_mul_i32 s7, s11, s7
	s_wait_alu 0xfffe
	v_mov_b32_e32 v32, s7
	ds_add_rtn_u32 v32, v3, v32 offset:5136
; %bb.42:                               ;   in Loop: Header=BB71_37 Depth=2
	s_or_b32 exec_lo, exec_lo, s12
	s_wait_dscnt 0x0
	v_readfirstlane_b32 s7, v32
	s_wait_alu 0xf1ff
	s_delay_alu instid0(VALU_DEP_1)
	v_mad_u32_u24 v31, s11, v31, s7
.LBB71_43:                              ;   in Loop: Header=BB71_37 Depth=2
	s_wait_alu 0xfffe
	s_or_b32 exec_lo, exec_lo, s10
	ds_bpermute_b32 v31, v3, v31
	s_and_b32 s7, exec_lo, vcc_lo
	s_wait_alu 0xfffe
	s_or_b32 s9, s7, s9
	s_and_saveexec_b32 s7, s6
	s_cbranch_execz .LBB71_36
; %bb.44:                               ;   in Loop: Header=BB71_37 Depth=2
	v_and_b32_e32 v32, s6, v44
	s_delay_alu instid0(VALU_DEP_1) | instskip(NEXT) | instid1(VALU_DEP_1)
	v_bcnt_u32_b32 v32, v32, 0
	v_lshlrev_b32_e32 v32, 1, v32
	s_wait_dscnt 0x0
	s_delay_alu instid0(VALU_DEP_1)
	v_lshl_add_u32 v31, v31, 1, v32
	ds_store_b16 v31, v8
	s_branch .LBB71_36
.LBB71_45:                              ;   in Loop: Header=BB71_32 Depth=1
	s_mov_b32 s8, -1
	s_mov_b32 s6, 0
.LBB71_46:                              ;   in Loop: Header=BB71_32 Depth=1
	s_wait_alu 0xfffe
	s_and_b32 vcc_lo, exec_lo, s8
	s_wait_alu 0xfffe
	s_cbranch_vccz .LBB71_62
.LBB71_47:                              ;   in Loop: Header=BB71_32 Depth=1
	s_and_saveexec_b32 s7, s0
	s_cbranch_execz .LBB71_59
; %bb.48:                               ;   in Loop: Header=BB71_32 Depth=1
	global_load_u16 v4, v3, s[38:39]
	global_load_u16 v31, v[14:15], off
	v_mov_b32_e32 v6, v0
	s_mov_b32 s12, exec_lo
	s_wait_loadcnt 0x1
	v_and_b32_e32 v2, 0xffff, v4
	v_readfirstlane_b32 s6, v4
	s_delay_alu instid0(VALU_DEP_2) | instskip(NEXT) | instid1(VALU_DEP_1)
	v_add_nc_u32_e32 v2, v2, v0
	v_cmpx_gt_i64_e64 s[36:37], v[2:3]
	s_cbranch_execz .LBB71_58
; %bb.49:                               ;   in Loop: Header=BB71_32 Depth=1
	s_and_b32 s52, s6, 0xffff
	v_dual_mov_b32 v9, v1 :: v_dual_mov_b32 v8, v0
	s_wait_alu 0xfffe
	s_cmp_eq_u32 s52, 1
	v_dual_mov_b32 v5, v3 :: v_dual_mov_b32 v4, v2
	s_cselect_b32 s6, -1, 0
                                        ; implicit-def: $vgpr6_vgpr7
	s_wait_alu 0xfffe
	s_and_b32 s9, s4, s6
	s_mov_b32 s6, -1
	s_wait_alu 0xfffe
	s_and_saveexec_b32 s8, s9
	s_cbranch_execz .LBB71_53
; %bb.50:                               ;   in Loop: Header=BB71_32 Depth=1
	v_add_co_u32 v4, s6, v2, 1
	s_wait_alu 0xf1ff
	v_add_co_ci_u32_e64 v5, null, 0, 0, s6
	s_wait_loadcnt 0x0
	v_dual_mov_b32 v8, v18 :: v_dual_lshlrev_b32 v11, 16, v31
	v_dual_mov_b32 v9, v19 :: v_dual_mov_b32 v10, v42
	s_delay_alu instid0(VALU_DEP_3)
	v_mov_b32_e32 v7, v5
	v_dual_mov_b32 v6, v4 :: v_dual_mov_b32 v5, v3
	v_mov_b32_e32 v4, v2
	s_mov_b32 s9, 0
.LBB71_51:                              ;   Parent Loop BB71_32 Depth=1
                                        ; =>  This Inner Loop Header: Depth=2
	s_delay_alu instid0(VALU_DEP_2) | instskip(NEXT) | instid1(VALU_DEP_2)
	v_mul_lo_u32 v35, v5, s88
	v_mul_lo_u32 v36, v4, s89
	v_mad_co_u64_u32 v[31:32], null, v4, s88, 0
	v_mul_lo_u32 v37, v7, s42
	v_mul_lo_u32 v38, v6, s43
	v_mad_co_u64_u32 v[33:34], null, v6, s42, 0
	s_delay_alu instid0(VALU_DEP_4) | instskip(NEXT) | instid1(VALU_DEP_2)
	v_add3_u32 v32, v32, v36, v35
	v_add3_u32 v34, v34, v38, v37
	s_delay_alu instid0(VALU_DEP_2) | instskip(NEXT) | instid1(VALU_DEP_2)
	v_lshlrev_b64_e32 v[31:32], 1, v[31:32]
	v_lshlrev_b64_e32 v[33:34], 1, v[33:34]
	s_delay_alu instid0(VALU_DEP_2) | instskip(SKIP_1) | instid1(VALU_DEP_3)
	v_add_co_u32 v31, vcc_lo, s58, v31
	s_wait_alu 0xfffd
	v_add_co_ci_u32_e64 v32, null, s59, v32, vcc_lo
	s_delay_alu instid0(VALU_DEP_3)
	v_add_co_u32 v33, vcc_lo, s58, v33
	s_wait_alu 0xfffd
	v_add_co_ci_u32_e64 v34, null, s59, v34, vcc_lo
	s_clause 0x1
	global_load_u16 v32, v[31:32], off
	global_load_u16 v31, v[33:34], off
	v_add_co_u32 v8, vcc_lo, v8, -2
	s_wait_alu 0xfffd
	v_add_co_ci_u32_e64 v9, null, -1, v9, vcc_lo
	v_add_co_u32 v6, vcc_lo, v6, 2
	s_wait_alu 0xfffd
	v_add_co_ci_u32_e64 v7, null, 0, v7, vcc_lo
	s_delay_alu instid0(VALU_DEP_3) | instskip(SKIP_4) | instid1(VALU_DEP_3)
	v_cmp_eq_u64_e64 s6, 0, v[8:9]
	v_add_co_u32 v4, vcc_lo, v4, 2
	s_wait_alu 0xfffd
	v_add_co_ci_u32_e64 v5, null, 0, v5, vcc_lo
	s_wait_alu 0xfffe
	s_or_b32 s9, s6, s9
	s_wait_loadcnt 0x1
	v_alignbit_b32 v11, v32, v11, 16
	s_wait_loadcnt 0x0
	v_perm_b32 v32, v31, v32, 0x5040100
	ds_store_b32 v10, v11
	v_dual_mov_b32 v11, v32 :: v_dual_add_nc_u32 v10, 4, v10
	s_wait_alu 0xfffe
	s_and_not1_b32 exec_lo, exec_lo, s9
	s_cbranch_execnz .LBB71_51
; %bb.52:                               ;   in Loop: Header=BB71_32 Depth=1
	s_or_b32 exec_lo, exec_lo, s9
	v_add_co_u32 v4, vcc_lo, v2, v18
	s_wait_alu 0xfffd
	v_add_co_ci_u32_e64 v5, null, 0, v19, vcc_lo
	v_dual_mov_b32 v8, v20 :: v_dual_mov_b32 v9, v21
	s_delay_alu instid0(VALU_DEP_3)
	v_add_co_u32 v6, vcc_lo, v4, -1
	s_or_not1_b32 s6, s5, exec_lo
	s_wait_alu 0xfffd
	v_add_co_ci_u32_e64 v2, null, -1, v5, vcc_lo
.LBB71_53:                              ;   in Loop: Header=BB71_32 Depth=1
	s_wait_alu 0xfffe
	s_or_b32 exec_lo, exec_lo, s8
	s_and_saveexec_b32 s13, s6
	s_cbranch_execz .LBB71_57
; %bb.54:                               ;   in Loop: Header=BB71_32 Depth=1
	v_mad_co_u64_u32 v[10:11], null, s66, v4, s[64:65]
	v_mul_lo_u32 v2, s66, v5
	v_mul_lo_u32 v6, s67, v4
	s_sub_nc_u64 s[8:9], 0, s[52:53]
	s_mul_u64 s[10:11], s[66:67], s[52:53]
	s_mov_b32 s14, 0
	s_delay_alu instid0(VALU_DEP_1)
	v_add3_u32 v11, v6, v11, v2
.LBB71_55:                              ;   Parent Loop BB71_32 Depth=1
                                        ; =>  This Inner Loop Header: Depth=2
	s_wait_loadcnt 0x0
	v_dual_mov_b32 v2, v31 :: v_dual_mov_b32 v33, v5
	global_load_u16 v31, v[10:11], off
	v_dual_mov_b32 v32, v4 :: v_dual_lshlrev_b32 v7, 1, v8
	s_delay_alu instid0(VALU_DEP_1)
	v_add_co_u32 v4, vcc_lo, v32, s52
	s_wait_alu 0xfffd
	v_add_co_ci_u32_e64 v5, null, 0, v33, vcc_lo
	s_wait_alu 0xfffe
	v_add_co_u32 v10, vcc_lo, v10, s10
	s_wait_alu 0xfffd
	v_add_co_ci_u32_e64 v11, null, s11, v11, vcc_lo
	v_cmp_le_i64_e32 vcc_lo, s[36:37], v[4:5]
	v_add_co_u32 v6, s6, s8, v4
	s_wait_alu 0xf1ff
	v_add_co_ci_u32_e64 v8, null, s9, v5, s6
	v_dual_mov_b32 v8, v32 :: v_dual_mov_b32 v9, v33
	s_or_b32 s14, vcc_lo, s14
	ds_store_b16 v7, v2
	s_wait_alu 0xfffe
	s_and_not1_b32 exec_lo, exec_lo, s14
	s_cbranch_execnz .LBB71_55
; %bb.56:                               ;   in Loop: Header=BB71_32 Depth=1
	s_or_b32 exec_lo, exec_lo, s14
.LBB71_57:                              ;   in Loop: Header=BB71_32 Depth=1
	s_wait_alu 0xfffe
	s_or_b32 exec_lo, exec_lo, s13
.LBB71_58:                              ;   in Loop: Header=BB71_32 Depth=1
	s_wait_alu 0xfffe
	s_or_b32 exec_lo, exec_lo, s12
	v_lshlrev_b32_e32 v2, 1, v6
	s_wait_loadcnt 0x0
	ds_store_b16 v2, v31
.LBB71_59:                              ;   in Loop: Header=BB71_32 Depth=1
	s_wait_alu 0xfffe
	s_or_b32 exec_lo, exec_lo, s7
	s_wait_loadcnt_dscnt 0x0
	s_barrier_signal -1
	s_barrier_wait -1
	global_inv scope:SCOPE_SE
	s_and_saveexec_b32 s6, s2
; %bb.60:                               ;   in Loop: Header=BB71_32 Depth=1
	v_dual_mov_b32 v4, s36 :: v_dual_mov_b32 v5, s37
	ds_store_b64 v3, v[4:5] offset:5120
; %bb.61:                               ;   in Loop: Header=BB71_32 Depth=1
	s_wait_alu 0xfffe
	s_or_b32 exec_lo, exec_lo, s6
	s_wait_loadcnt_dscnt 0x0
	s_barrier_signal -1
	s_mov_b32 s6, -1
	s_barrier_wait -1
.LBB71_62:                              ;   in Loop: Header=BB71_32 Depth=1
	s_wait_alu 0xfffe
	s_and_b32 vcc_lo, exec_lo, s6
	s_wait_alu 0xfffe
	s_cbranch_vccz .LBB71_64
; %bb.63:                               ;   in Loop: Header=BB71_32 Depth=1
	s_wait_loadcnt 0x0
	global_inv scope:SCOPE_SE
	ds_load_b64 v[4:5], v3 offset:5120
	s_wait_dscnt 0x0
	v_readfirstlane_b32 s70, v4
.LBB71_64:                              ;   in Loop: Header=BB71_32 Depth=1
	s_delay_alu instid0(VALU_DEP_1)
	s_cmp_lt_i32 s70, 1
	s_mov_b32 s6, -1
                                        ; implicit-def: $vgpr4_vgpr5
                                        ; implicit-def: $vgpr8_vgpr9
	s_cbranch_scc1 .LBB71_74
; %bb.65:                               ;   in Loop: Header=BB71_32 Depth=1
	s_wait_alu 0xfffe
	s_and_b32 vcc_lo, exec_lo, s6
	s_wait_alu 0xfffe
	s_cbranch_vccnz .LBB71_88
.LBB71_66:                              ;   in Loop: Header=BB71_32 Depth=1
	s_lshl_b32 s6, s98, 7
	s_and_saveexec_b32 s7, s1
	s_cbranch_execz .LBB71_68
.LBB71_67:                              ;   in Loop: Header=BB71_32 Depth=1
	s_wait_alu 0xfffe
	v_lshl_add_u32 v2, s6, 3, v45
	ds_store_b128 v2, v[4:7]
	ds_store_b128 v2, v[8:11] offset:16
.LBB71_68:                              ;   in Loop: Header=BB71_32 Depth=1
	s_wait_alu 0xfffe
	s_or_b32 exec_lo, exec_lo, s7
	s_wait_loadcnt_dscnt 0x0
	s_barrier_signal -1
	s_barrier_wait -1
	global_inv scope:SCOPE_SE
	s_and_saveexec_b32 s7, s33
	s_cbranch_execz .LBB71_105
; %bb.69:                               ;   in Loop: Header=BB71_32 Depth=1
	v_mov_b32_e32 v4, 0
	v_mov_b32_e32 v5, 0
	s_and_not1_b32 vcc_lo, exec_lo, s87
	s_wait_alu 0xfffe
	s_cbranch_vccnz .LBB71_104
; %bb.70:                               ;   in Loop: Header=BB71_32 Depth=1
	v_mov_b32_e32 v4, 0
	v_mov_b32_e32 v5, 0
	s_and_not1_b32 vcc_lo, exec_lo, s91
	s_wait_alu 0xfffe
	s_cbranch_vccnz .LBB71_101
; %bb.71:                               ;   in Loop: Header=BB71_32 Depth=1
	v_lshl_add_u32 v2, s98, 10, v50
	s_mov_b32 s8, 0
.LBB71_72:                              ;   Parent Loop BB71_32 Depth=1
                                        ; =>  This Inner Loop Header: Depth=2
	ds_load_2addr_b64 v[6:9], v2 offset1:4
	ds_load_2addr_b64 v[31:34], v2 offset0:8 offset1:12
	ds_load_2addr_b64 v[35:38], v2 offset0:16 offset1:20
	s_wait_alu 0xfffe
	s_add_co_i32 s8, s8, 8
	s_wait_alu 0xfffe
	s_cmp_eq_u32 s92, s8
	s_wait_dscnt 0x2
	v_add_co_u32 v4, vcc_lo, v6, v4
	s_wait_alu 0xfffd
	v_add_co_ci_u32_e64 v5, null, v7, v5, vcc_lo
	s_delay_alu instid0(VALU_DEP_2) | instskip(SKIP_1) | instid1(VALU_DEP_2)
	v_add_co_u32 v8, vcc_lo, v8, v4
	s_wait_alu 0xfffd
	v_add_co_ci_u32_e64 v9, null, v9, v5, vcc_lo
	ds_load_2addr_b64 v[4:7], v2 offset0:24 offset1:28
	s_wait_dscnt 0x2
	v_add_co_u32 v8, vcc_lo, v31, v8
	s_wait_alu 0xfffd
	v_add_co_ci_u32_e64 v9, null, v32, v9, vcc_lo
	v_add_nc_u32_e32 v2, 0x100, v2
	s_delay_alu instid0(VALU_DEP_3) | instskip(SKIP_1) | instid1(VALU_DEP_3)
	v_add_co_u32 v8, vcc_lo, v33, v8
	s_wait_alu 0xfffd
	v_add_co_ci_u32_e64 v9, null, v34, v9, vcc_lo
	s_wait_dscnt 0x1
	s_delay_alu instid0(VALU_DEP_2) | instskip(SKIP_1) | instid1(VALU_DEP_2)
	v_add_co_u32 v8, vcc_lo, v35, v8
	s_wait_alu 0xfffd
	v_add_co_ci_u32_e64 v9, null, v36, v9, vcc_lo
	s_delay_alu instid0(VALU_DEP_2) | instskip(SKIP_1) | instid1(VALU_DEP_2)
	v_add_co_u32 v8, vcc_lo, v37, v8
	s_wait_alu 0xfffd
	v_add_co_ci_u32_e64 v9, null, v38, v9, vcc_lo
	s_wait_dscnt 0x0
	s_delay_alu instid0(VALU_DEP_2) | instskip(SKIP_1) | instid1(VALU_DEP_2)
	v_add_co_u32 v4, vcc_lo, v4, v8
	s_wait_alu 0xfffd
	v_add_co_ci_u32_e64 v5, null, v5, v9, vcc_lo
	s_delay_alu instid0(VALU_DEP_2) | instskip(SKIP_1) | instid1(VALU_DEP_2)
	v_add_co_u32 v4, vcc_lo, v6, v4
	s_wait_alu 0xfffd
	v_add_co_ci_u32_e64 v5, null, v7, v5, vcc_lo
	s_cbranch_scc0 .LBB71_72
; %bb.73:                               ;   in Loop: Header=BB71_32 Depth=1
	s_mov_b32 s8, s92
	s_and_not1_b32 vcc_lo, exec_lo, s93
	s_wait_alu 0xfffe
	s_cbranch_vccz .LBB71_102
	s_branch .LBB71_104
.LBB71_74:                              ;   in Loop: Header=BB71_32 Depth=1
	global_load_u16 v2, v3, s[38:39]
	s_mov_b32 s7, s37
	s_wait_loadcnt 0x0
	v_readfirstlane_b32 s6, v2
	s_wait_alu 0xfffe
	s_and_b32 s8, 0xffff, s6
	s_mov_b32 s6, s53
	s_wait_alu 0xfffe
	s_lshl_b32 s72, s8, 2
	s_cmp_lg_u64 s[6:7], 0
	s_cbranch_scc0 .LBB71_97
; %bb.75:                               ;   in Loop: Header=BB71_32 Depth=1
	s_mov_b32 s73, s53
	s_wait_alu 0xfffe
	s_add_nc_u64 s[6:7], s[72:73], 0
	s_wait_alu 0xfffe
	s_xor_b64 s[6:7], s[6:7], 0
	s_wait_alu 0xfffe
	s_cvt_f32_u32 s8, s6
	s_cvt_f32_u32 s9, s7
	s_sub_nc_u64 s[10:11], 0, s[6:7]
	s_wait_alu 0xfffe
	s_delay_alu instid0(SALU_CYCLE_1) | instskip(SKIP_1) | instid1(SALU_CYCLE_2)
	s_fmamk_f32 s8, s9, 0x4f800000, s8
	s_wait_alu 0xfffe
	v_s_rcp_f32 s8, s8
	s_delay_alu instid0(TRANS32_DEP_1) | instskip(SKIP_1) | instid1(SALU_CYCLE_2)
	s_mul_f32 s8, s8, 0x5f7ffffc
	s_wait_alu 0xfffe
	s_mul_f32 s9, s8, 0x2f800000
	s_wait_alu 0xfffe
	s_delay_alu instid0(SALU_CYCLE_2) | instskip(SKIP_1) | instid1(SALU_CYCLE_2)
	s_trunc_f32 s9, s9
	s_wait_alu 0xfffe
	s_fmamk_f32 s8, s9, 0xcf800000, s8
	s_cvt_u32_f32 s9, s9
	s_wait_alu 0xfffe
	s_delay_alu instid0(SALU_CYCLE_1) | instskip(SKIP_1) | instid1(SALU_CYCLE_2)
	s_cvt_u32_f32 s8, s8
	s_wait_alu 0xfffe
	s_mul_u64 s[12:13], s[10:11], s[8:9]
	s_wait_alu 0xfffe
	s_mul_hi_u32 s15, s8, s13
	s_mul_i32 s14, s8, s13
	s_mul_hi_u32 s52, s8, s12
	s_mul_i32 s17, s9, s12
	s_wait_alu 0xfffe
	s_add_nc_u64 s[14:15], s[52:53], s[14:15]
	s_mul_hi_u32 s16, s9, s12
	s_mul_hi_u32 s18, s9, s13
	s_mul_i32 s12, s9, s13
	s_wait_alu 0xfffe
	s_add_co_u32 s13, s14, s17
	s_add_co_ci_u32 s52, s15, s16
	s_add_co_ci_u32 s13, s18, 0
	s_wait_alu 0xfffe
	s_add_nc_u64 s[12:13], s[52:53], s[12:13]
	s_wait_alu 0xfffe
	s_add_co_u32 s8, s8, s12
	s_cselect_b32 s12, -1, 0
	s_wait_alu 0xfffe
	s_cmp_lg_u32 s12, 0
	s_add_co_ci_u32 s9, s9, s13
	s_wait_alu 0xfffe
	s_mul_u64 s[10:11], s[10:11], s[8:9]
	s_wait_alu 0xfffe
	s_mul_hi_u32 s13, s8, s11
	s_mul_i32 s12, s8, s11
	s_mul_hi_u32 s52, s8, s10
	s_mul_i32 s15, s9, s10
	s_wait_alu 0xfffe
	s_add_nc_u64 s[12:13], s[52:53], s[12:13]
	s_mul_hi_u32 s14, s9, s10
	s_mul_hi_u32 s16, s9, s11
	s_mul_i32 s10, s9, s11
	s_wait_alu 0xfffe
	s_add_co_u32 s11, s12, s15
	s_add_co_ci_u32 s52, s13, s14
	s_add_co_ci_u32 s11, s16, 0
	s_wait_alu 0xfffe
	s_add_nc_u64 s[10:11], s[52:53], s[10:11]
	s_wait_alu 0xfffe
	s_add_co_u32 s14, s8, s10
	s_cselect_b32 s8, -1, 0
	s_wait_alu 0xfffe
	s_cmp_lg_u32 s8, 0
	s_add_co_ci_u32 s15, s9, s11
	s_ashr_i32 s8, s37, 31
	s_wait_alu 0xfffe
	s_mov_b32 s9, s8
	s_wait_alu 0xfffe
	s_add_nc_u64 s[10:11], s[36:37], s[8:9]
	s_wait_alu 0xfffe
	s_xor_b64 s[10:11], s[10:11], s[8:9]
	s_wait_alu 0xfffe
	s_mul_hi_u32 s13, s10, s15
	s_mul_i32 s12, s10, s15
	s_mul_hi_u32 s52, s10, s14
	s_mul_i32 s18, s11, s14
	s_wait_alu 0xfffe
	s_add_nc_u64 s[12:13], s[52:53], s[12:13]
	s_mul_hi_u32 s17, s11, s14
	s_mul_hi_u32 s16, s11, s15
	s_wait_alu 0xfffe
	s_add_co_u32 s12, s12, s18
	s_add_co_ci_u32 s52, s13, s17
	s_mul_i32 s14, s11, s15
	s_add_co_ci_u32 s15, s16, 0
	s_wait_alu 0xfffe
	s_add_nc_u64 s[12:13], s[52:53], s[14:15]
	s_wait_alu 0xfffe
	s_mul_u64 s[12:13], s[6:7], s[12:13]
	s_wait_alu 0xfffe
	s_sub_co_u32 s10, s10, s12
	s_cselect_b32 s12, -1, 0
	s_sub_co_i32 s14, s11, s13
	s_wait_alu 0xfffe
	s_cmp_lg_u32 s12, 0
	s_sub_co_ci_u32 s14, s14, s7
	s_sub_co_u32 s15, s10, s6
	s_cselect_b32 s16, -1, 0
	s_wait_alu 0xfffe
	s_cmp_lg_u32 s16, 0
	s_sub_co_ci_u32 s17, s14, 0
	s_wait_alu 0xfffe
	s_cmp_ge_u32 s17, s7
	s_cselect_b32 s18, -1, 0
	s_cmp_ge_u32 s15, s6
	s_cselect_b32 s19, -1, 0
	s_cmp_eq_u32 s17, s7
	s_cselect_b32 s18, s19, s18
	s_cmp_lg_u32 s16, 0
	s_sub_co_ci_u32 s14, s14, s7
	s_sub_co_u32 s16, s15, s6
	s_cselect_b32 s19, -1, 0
	s_delay_alu instid0(SALU_CYCLE_1)
	s_cmp_lg_u32 s19, 0
	s_wait_alu 0xfffe
	s_sub_co_ci_u32 s14, s14, 0
	s_cmp_lg_u32 s18, 0
	s_cselect_b32 s15, s16, s15
	s_wait_alu 0xfffe
	s_cselect_b32 s14, s14, s17
	s_cmp_lg_u32 s12, 0
	s_sub_co_ci_u32 s11, s11, s13
	s_wait_alu 0xfffe
	s_cmp_ge_u32 s11, s7
	s_cselect_b32 s12, -1, 0
	s_cmp_ge_u32 s10, s6
	s_cselect_b32 s6, -1, 0
	s_cmp_eq_u32 s11, s7
	s_wait_alu 0xfffe
	s_cselect_b32 s6, s6, s12
	s_wait_alu 0xfffe
	s_cmp_lg_u32 s6, 0
	s_cselect_b32 s7, s14, s11
	s_cselect_b32 s6, s15, s10
	s_wait_alu 0xfffe
	s_xor_b64 s[6:7], s[6:7], s[8:9]
	s_wait_alu 0xfffe
	s_sub_nc_u64 s[74:75], s[6:7], s[8:9]
	s_cbranch_execnz .LBB71_77
.LBB71_76:                              ;   in Loop: Header=BB71_32 Depth=1
	s_wait_alu 0xfffe
	v_cvt_f32_u32_e32 v4, s72
	s_sub_co_i32 s7, 0, s72
	s_delay_alu instid0(VALU_DEP_1) | instskip(NEXT) | instid1(TRANS32_DEP_1)
	v_rcp_iflag_f32_e32 v4, v4
	v_mul_f32_e32 v4, 0x4f7ffffe, v4
	s_delay_alu instid0(VALU_DEP_1) | instskip(NEXT) | instid1(VALU_DEP_1)
	v_cvt_u32_f32_e32 v4, v4
	v_readfirstlane_b32 s6, v4
	s_wait_alu 0xfffe
	s_mul_i32 s7, s7, s6
	s_wait_alu 0xfffe
	s_mul_hi_u32 s7, s6, s7
	s_wait_alu 0xfffe
	s_add_co_i32 s6, s6, s7
	s_wait_alu 0xfffe
	s_mul_hi_u32 s6, s36, s6
	s_wait_alu 0xfffe
	s_mul_i32 s6, s6, s72
	s_wait_alu 0xfffe
	s_sub_co_i32 s6, s36, s6
	s_wait_alu 0xfffe
	s_sub_co_i32 s7, s6, s72
	s_cmp_ge_u32 s6, s72
	s_wait_alu 0xfffe
	s_cselect_b32 s6, s7, s6
	s_wait_alu 0xfffe
	s_sub_co_i32 s7, s6, s72
	s_cmp_ge_u32 s6, s72
	s_wait_alu 0xfffe
	s_cselect_b32 s52, s7, s6
	s_wait_alu 0xfffe
	s_mov_b64 s[74:75], s[52:53]
.LBB71_77:                              ;   in Loop: Header=BB71_32 Depth=1
	v_mov_b32_e32 v4, 0
	v_dual_mov_b32 v8, 0 :: v_dual_mov_b32 v5, 0
	v_dual_mov_b32 v6, 0 :: v_dual_mov_b32 v9, 0
	;; [unrolled: 1-line block ×3, first 2 shown]
	v_dual_mov_b32 v11, 0 :: v_dual_and_b32 v2, 0xffff, v2
	s_wait_alu 0xfffe
	s_sub_nc_u64 s[76:77], s[36:37], s[74:75]
	s_mov_b32 s71, exec_lo
	s_wait_alu 0xfffe
	v_cmpx_gt_i64_e64 s[76:77], v[16:17]
	s_cbranch_execz .LBB71_81
; %bb.78:                               ;   in Loop: Header=BB71_32 Depth=1
	v_mul_lo_u32 v4, v2, s69
	v_mul_lo_u32 v5, 0, s68
	v_mul_hi_u32 v6, v2, s68
	v_mul_lo_u32 v55, v2, s68
	v_mov_b32_e32 v32, v28
	v_mov_b32_e32 v34, v26
	;; [unrolled: 1-line block ×5, first 2 shown]
	v_dual_mov_b32 v31, v27 :: v_dual_add_nc_u32 v4, v4, v5
	v_mov_b32_e32 v33, v25
	v_mov_b32_e32 v35, v23
	s_delay_alu instid0(VALU_DEP_3)
	v_dual_mov_b32 v37, v21 :: v_dual_add_nc_u32 v56, v4, v6
	v_mov_b32_e32 v39, v16
	s_mov_b64 s[78:79], 0
	s_mov_b32 s73, 0
	s_mov_b64 s[80:81], 0
	s_mov_b64 s[82:83], 0
	;; [unrolled: 1-line block ×3, first 2 shown]
.LBB71_79:                              ;   Parent Loop BB71_32 Depth=1
                                        ; =>  This Inner Loop Header: Depth=2
	v_add_co_u32 v4, vcc_lo, v31, s56
	s_wait_alu 0xfffd
	v_add_co_ci_u32_e64 v5, null, s57, v32, vcc_lo
	v_add_co_u32 v6, vcc_lo, v33, s56
	s_wait_alu 0xfffd
	v_add_co_ci_u32_e64 v7, null, s57, v34, vcc_lo
	;; [unrolled: 3-line block ×4, first 2 shown]
	global_load_u16 v4, v[4:5], off
	global_load_u16 v5, v[6:7], off
	;; [unrolled: 1-line block ×4, first 2 shown]
	v_add_co_u32 v39, vcc_lo, v39, s72
	s_wait_alu 0xfffd
	v_add_co_ci_u32_e64 v40, null, 0, v40, vcc_lo
	v_add_co_u32 v37, vcc_lo, v37, v55
	s_wait_alu 0xfffd
	v_add_co_ci_u32_e64 v38, null, v38, v56, vcc_lo
	;; [unrolled: 3-line block ×5, first 2 shown]
	v_cmp_le_i64_e32 vcc_lo, s[76:77], v[39:40]
	s_wait_loadcnt 0x3
	v_cmp_lt_i16_e64 s6, -1, v4
	v_and_b32_e32 v8, 0xffff, v4
	v_lshlrev_b32_e32 v4, 16, v4
	s_wait_loadcnt 0x2
	v_and_b32_e32 v10, 0xffff, v5
	s_wait_loadcnt 0x1
	v_and_b32_e32 v57, 0xffff, v6
	s_wait_alu 0xf1ff
	v_cndmask_b32_e64 v9, 0xffff, v52, s6
	v_cmp_lt_i16_e64 s6, -1, v5
	v_lshlrev_b32_e32 v5, 16, v5
	v_cmp_o_f32_e64 s9, v4, v4
	s_wait_loadcnt 0x0
	v_and_b32_e32 v59, 0xffff, v7
	v_xor_b32_e32 v8, v9, v8
	s_wait_alu 0xf1ff
	v_cndmask_b32_e64 v11, 0xffff, v52, s6
	v_cmp_lt_i16_e64 s6, -1, v6
	v_lshlrev_b32_e32 v6, 16, v6
	v_cndmask_b32_e64 v4, 0xffff, v8, s9
	s_delay_alu instid0(VALU_DEP_4)
	v_xor_b32_e32 v9, v11, v10
	s_wait_alu 0xf1ff
	v_cndmask_b32_e64 v58, 0xffff, v52, s6
	v_cmp_lt_i16_e64 s6, -1, v7
	v_lshlrev_b32_e32 v7, 16, v7
	v_cmp_o_f32_e64 s7, v6, v6
	v_and_b32_e32 v8, v4, v53
	v_bfe_u32 v4, v4, s96, 2
	s_wait_alu 0xf1ff
	v_cndmask_b32_e64 v60, 0xffff, v52, s6
	v_cmp_o_f32_e64 s6, v5, v5
	v_xor_b32_e32 v5, v58, v57
	v_cmp_o_f32_e64 s8, v7, v7
	v_cmp_eq_u32_e64 s10, 0, v4
	v_xor_b32_e32 v6, v60, v59
	s_wait_alu 0xf1ff
	v_cndmask_b32_e64 v7, 0xffff, v9, s6
	v_cndmask_b32_e64 v5, 0xffff, v5, s7
	v_cmp_eq_u32_e64 s6, v8, v47
	v_cmp_eq_u32_e64 s14, 1, v4
	v_cndmask_b32_e64 v6, 0xffff, v6, s8
	v_and_b32_e32 v9, v7, v53
	v_bfe_u32 v7, v7, s96, 2
	v_and_b32_e32 v10, v5, v53
	v_bfe_u32 v5, v5, s96, 2
	;; [unrolled: 2-line block ×3, first 2 shown]
	v_cmp_eq_u32_e64 s7, v9, v47
	v_cmp_eq_u32_e64 s11, 0, v7
	;; [unrolled: 1-line block ×4, first 2 shown]
	s_and_b32 s10, s6, s10
	v_cmp_eq_u32_e64 s9, v11, v47
	v_cmp_eq_u32_e64 s13, 0, v6
	;; [unrolled: 1-line block ×4, first 2 shown]
	s_wait_alu 0xfffe
	v_cndmask_b32_e64 v4, 0, 1, s10
	s_and_b32 s10, s7, s11
	v_cmp_eq_u32_e64 s16, 1, v5
	v_cmp_eq_u32_e64 s20, 2, v5
	;; [unrolled: 1-line block ×3, first 2 shown]
	s_wait_alu 0xfffe
	v_cndmask_b32_e64 v5, 0, 1, s10
	s_and_b32 s10, s8, s12
	v_cmp_eq_u32_e64 s15, 1, v7
	v_cmp_eq_u32_e64 s17, 1, v6
	v_cmp_eq_u32_e64 s21, 2, v6
	v_cmp_eq_u32_e64 s25, 3, v6
	s_wait_alu 0xfffe
	v_cndmask_b32_e64 v6, 0, 1, s10
	s_and_b32 s10, s9, s13
	v_cmp_eq_u32_e64 s19, 2, v7
	v_cmp_eq_u32_e64 s23, 3, v7
	s_wait_alu 0xfffe
	v_cndmask_b32_e64 v7, 0, 1, s10
	s_and_b32 s10, s6, s14
	s_wait_alu 0xfffe
	v_cndmask_b32_e64 v8, 0, 1, s10
	s_and_b32 s10, s7, s15
	s_wait_alu 0xfffe
	v_cndmask_b32_e64 v9, 0, 1, s10
	s_and_b32 s10, s8, s16
	s_wait_alu 0xfffe
	v_cndmask_b32_e64 v10, 0, 1, s10
	s_and_b32 s10, s9, s17
	v_cmp_ne_u32_e64 s11, 0, v9
	s_wait_alu 0xfffe
	v_cndmask_b32_e64 v11, 0, 1, s10
	s_and_b32 s10, s6, s18
	s_and_b32 s6, s6, s22
	s_wait_alu 0xfffe
	v_cndmask_b32_e64 v57, 0, 1, s10
	v_cndmask_b32_e64 v61, 0, 1, s6
	s_and_b32 s6, s7, s23
	s_and_b32 s10, s7, s19
	s_wait_alu 0xfffe
	v_cndmask_b32_e64 v62, 0, 1, s6
	s_and_b32 s6, s8, s24
	v_cndmask_b32_e64 v58, 0, 1, s10
	s_and_b32 s10, s8, s20
	s_wait_alu 0xfffe
	v_cndmask_b32_e64 v63, 0, 1, s6
	s_and_b32 s6, s9, s25
	v_cndmask_b32_e64 v59, 0, 1, s10
	s_and_b32 s10, s9, s21
	s_wait_alu 0xfffe
	v_cndmask_b32_e64 v64, 0, 1, s6
	v_cmp_ne_u32_e64 s6, 0, v4
	v_cmp_ne_u32_e64 s7, 0, v5
	v_cndmask_b32_e64 v60, 0, 1, s10
	v_cmp_ne_u32_e64 s8, 0, v6
	v_cmp_ne_u32_e64 s10, 0, v8
	;; [unrolled: 1-line block ×6, first 2 shown]
	s_bcnt1_i32_b32 s6, s6
	s_bcnt1_i32_b32 s7, s7
	v_cmp_ne_u32_e64 s13, 0, v11
	v_cmp_ne_u32_e64 s16, 0, v59
	;; [unrolled: 1-line block ×4, first 2 shown]
	s_bcnt1_i32_b32 s8, s8
	s_bcnt1_i32_b32 s10, s10
	s_bcnt1_i32_b32 s11, s11
	s_wait_alu 0xfffe
	s_add_co_i32 s6, s7, s6
	v_cmp_ne_u32_e64 s17, 0, v60
	v_cmp_ne_u32_e64 s20, 0, v63
	s_bcnt1_i32_b32 s9, s9
	s_bcnt1_i32_b32 s12, s12
	;; [unrolled: 1-line block ×4, first 2 shown]
	s_add_co_i32 s7, s11, s10
	s_wait_alu 0xfffe
	s_add_co_i32 s6, s6, s8
	v_cmp_ne_u32_e64 s21, 0, v64
	s_bcnt1_i32_b32 s13, s13
	s_bcnt1_i32_b32 s16, s16
	;; [unrolled: 1-line block ×4, first 2 shown]
	s_add_co_i32 s10, s15, s14
	s_add_co_i32 s7, s7, s12
	s_wait_alu 0xfffe
	s_add_co_i32 s52, s6, s9
	s_bcnt1_i32_b32 s17, s17
	s_bcnt1_i32_b32 s20, s20
	s_add_co_i32 s11, s19, s18
	s_add_co_i32 s8, s10, s16
	s_wait_alu 0xfffe
	s_add_nc_u64 s[84:85], s[84:85], s[52:53]
	s_add_co_i32 s52, s7, s13
	s_bcnt1_i32_b32 s21, s21
	s_add_co_i32 s10, s11, s20
	s_wait_alu 0xfffe
	s_add_nc_u64 s[82:83], s[82:83], s[52:53]
	s_add_co_i32 s52, s8, s17
	v_mov_b32_e32 v4, s84
	s_wait_alu 0xfffe
	s_add_nc_u64 s[80:81], s[80:81], s[52:53]
	s_add_co_i32 s52, s10, s21
	v_mov_b32_e32 v6, s82
	s_wait_alu 0xfffe
	s_add_nc_u64 s[78:79], s[78:79], s[52:53]
	v_mov_b32_e32 v8, s80
	s_wait_alu 0xfffe
	v_dual_mov_b32 v10, s78 :: v_dual_mov_b32 v5, s85
	v_mov_b32_e32 v7, s83
	v_mov_b32_e32 v9, s81
	;; [unrolled: 1-line block ×3, first 2 shown]
	s_or_b32 s73, vcc_lo, s73
	s_wait_alu 0xfffe
	s_and_not1_b32 exec_lo, exec_lo, s73
	s_cbranch_execnz .LBB71_79
; %bb.80:                               ;   in Loop: Header=BB71_32 Depth=1
	s_or_b32 exec_lo, exec_lo, s73
.LBB71_81:                              ;   in Loop: Header=BB71_32 Depth=1
	s_wait_alu 0xfffe
	s_or_b32 exec_lo, exec_lo, s71
	v_add_co_u32 v31, s6, s76, v0
	s_wait_alu 0xf1ff
	v_add_co_ci_u32_e64 v32, null, s77, 0, s6
	s_mov_b32 s10, exec_lo
	v_cmpx_gt_i64_e64 s[36:37], v[31:32]
	s_cbranch_execz .LBB71_87
; %bb.82:                               ;   in Loop: Header=BB71_32 Depth=1
	v_mul_lo_u32 v35, v32, s42
	v_mul_lo_u32 v36, v31, s43
	v_mad_co_u64_u32 v[33:34], null, v31, s42, 0
	v_mul_hi_u32 v39, v2, s66
	s_mov_b32 s11, 0
	s_delay_alu instid0(VALU_DEP_2) | instskip(SKIP_1) | instid1(VALU_DEP_2)
	v_add3_u32 v34, v34, v36, v35
	v_mul_lo_u32 v35, v2, s67
	v_lshlrev_b64_e32 v[33:34], 1, v[33:34]
	s_delay_alu instid0(VALU_DEP_2) | instskip(SKIP_1) | instid1(VALU_DEP_3)
	v_add_nc_u32_e32 v40, v35, v51
	v_mul_lo_u32 v35, v2, s66
	v_add_co_u32 v33, vcc_lo, s58, v33
	s_wait_alu 0xfffd
	s_delay_alu instid0(VALU_DEP_4) | instskip(SKIP_4) | instid1(VALU_DEP_2)
	v_add_co_ci_u32_e64 v34, null, s59, v34, vcc_lo
	global_load_u16 v38, v[33:34], off
	v_add_co_u32 v33, vcc_lo, v48, v2
	s_wait_alu 0xfffd
	v_add_co_ci_u32_e64 v34, null, 0, v49, vcc_lo
	v_sub_co_u32 v33, vcc_lo, v33, s74
	s_wait_alu 0xfffd
	s_delay_alu instid0(VALU_DEP_2) | instskip(NEXT) | instid1(VALU_DEP_2)
	v_subrev_co_ci_u32_e64 v34, null, s75, v34, vcc_lo
	v_mul_lo_u32 v37, s67, v33
	s_delay_alu instid0(VALU_DEP_2) | instskip(SKIP_1) | instid1(VALU_DEP_1)
	v_mul_lo_u32 v36, s66, v34
	v_mad_co_u64_u32 v[33:34], null, s66, v33, s[64:65]
	v_add3_u32 v34, v37, v34, v36
	v_add_nc_u32_e32 v36, v40, v39
	s_branch .LBB71_84
.LBB71_83:                              ;   in Loop: Header=BB71_84 Depth=2
	s_wait_alu 0xfffe
	s_or_b32 exec_lo, exec_lo, s7
	s_wait_loadcnt 0x0
	v_cmp_lt_i16_e64 s6, -1, v38
	v_and_b32_e32 v39, 0xffff, v38
	v_lshlrev_b32_e32 v38, 16, v38
	s_and_b32 s8, exec_lo, vcc_lo
	s_wait_alu 0xfffe
	s_or_b32 s11, s8, s11
	v_cndmask_b32_e64 v40, 0xffff, v52, s6
	v_cmp_o_f32_e64 s6, v38, v38
	s_delay_alu instid0(VALU_DEP_2) | instskip(SKIP_1) | instid1(VALU_DEP_1)
	v_xor_b32_e32 v39, v40, v39
	s_wait_alu 0xf1ff
	v_cndmask_b32_e64 v38, 0xffff, v39, s6
	s_delay_alu instid0(VALU_DEP_1) | instskip(SKIP_1) | instid1(VALU_DEP_2)
	v_and_b32_e32 v39, v38, v53
	v_bfe_u32 v38, v38, s96, 2
	v_cmp_eq_u32_e64 s6, v39, v47
	s_delay_alu instid0(VALU_DEP_2)
	v_cmp_eq_u32_e64 s7, 0, v38
	v_cmp_eq_u32_e32 vcc_lo, 1, v38
	v_cmp_eq_u32_e64 s8, 2, v38
	s_and_b32 s7, s6, s7
	s_wait_alu 0xfffe
	v_cndmask_b32_e64 v39, 0, 1, s7
	s_and_b32 s7, s6, vcc_lo
	v_cmp_eq_u32_e32 vcc_lo, 3, v38
	s_wait_alu 0xfffe
	v_cndmask_b32_e64 v40, 0, 1, s7
	s_and_b32 s7, s6, s8
	s_wait_alu 0xfffe
	v_cndmask_b32_e64 v55, 0, 1, s7
	v_cmp_ne_u32_e64 s7, 0, v39
	v_cmp_ne_u32_e64 s8, 0, v40
	s_and_b32 s6, s6, vcc_lo
	s_wait_alu 0xfffe
	v_cndmask_b32_e64 v38, 0, 1, s6
	s_bcnt1_i32_b32 s6, s7
	v_cmp_ne_u32_e64 s9, 0, v55
	s_bcnt1_i32_b32 s7, s8
	s_wait_alu 0xfffe
	v_add_co_u32 v4, vcc_lo, v4, s6
	s_wait_alu 0xfffd
	v_add_co_ci_u32_e64 v5, null, 0, v5, vcc_lo
	v_add_co_u32 v6, vcc_lo, v6, s7
	s_wait_alu 0xfffd
	v_add_co_ci_u32_e64 v7, null, 0, v7, vcc_lo
	v_cmp_ne_u32_e32 vcc_lo, 0, v38
	s_bcnt1_i32_b32 s8, s9
	v_mov_b32_e32 v38, v37
	s_wait_alu 0xfffe
	v_add_co_u32 v8, s6, v8, s8
	s_wait_alu 0xf1ff
	v_add_co_ci_u32_e64 v9, null, 0, v9, s6
	s_bcnt1_i32_b32 s6, vcc_lo
	s_wait_alu 0xfffe
	v_add_co_u32 v10, vcc_lo, v10, s6
	s_wait_alu 0xfffd
	v_add_co_ci_u32_e64 v11, null, 0, v11, vcc_lo
	v_add_co_u32 v33, vcc_lo, v33, v35
	s_wait_alu 0xfffd
	v_add_co_ci_u32_e64 v34, null, v34, v36, vcc_lo
	s_and_not1_b32 exec_lo, exec_lo, s11
	s_cbranch_execz .LBB71_86
.LBB71_84:                              ;   Parent Loop BB71_32 Depth=1
                                        ; =>  This Inner Loop Header: Depth=2
	v_add_co_u32 v31, vcc_lo, v31, v2
	s_wait_alu 0xfffd
	v_add_co_ci_u32_e64 v32, null, 0, v32, vcc_lo
	v_mov_b32_e32 v37, 0
	s_mov_b32 s7, exec_lo
	s_delay_alu instid0(VALU_DEP_2)
	v_cmp_le_i64_e32 vcc_lo, s[36:37], v[31:32]
	v_cmpx_gt_i64_e64 s[36:37], v[31:32]
	s_cbranch_execz .LBB71_83
; %bb.85:                               ;   in Loop: Header=BB71_84 Depth=2
	global_load_u16 v37, v[33:34], off
	s_branch .LBB71_83
.LBB71_86:                              ;   in Loop: Header=BB71_32 Depth=1
	s_or_b32 exec_lo, exec_lo, s11
.LBB71_87:                              ;   in Loop: Header=BB71_32 Depth=1
	s_wait_alu 0xfffe
	s_or_b32 exec_lo, exec_lo, s10
	s_branch .LBB71_66
.LBB71_88:                              ;   in Loop: Header=BB71_32 Depth=1
	global_load_u16 v2, v3, s[38:39]
	v_mov_b32_e32 v6, 0
	v_mov_b32_e32 v8, 0
	v_dual_mov_b32 v10, 0 :: v_dual_mov_b32 v9, 0
	v_mov_b32_e32 v11, 0
	s_mov_b32 s76, exec_lo
	v_mov_b32_e32 v7, 0
	s_wait_loadcnt 0x0
	v_readfirstlane_b32 s6, v2
	v_and_b32_e32 v2, 0xffff, v2
	s_and_b32 s71, 0xffff, s6
	s_wait_alu 0xfffe
	s_lshl_b32 s75, s71, 2
	s_wait_alu 0xfffe
	s_cvt_f32_u32 s6, s75
	s_sub_co_i32 s7, 0, s75
	s_wait_alu 0xfffe
	s_delay_alu instid0(SALU_CYCLE_1) | instskip(NEXT) | instid1(TRANS32_DEP_1)
	v_rcp_iflag_f32_e32 v4, s6
	v_readfirstlane_b32 s6, v4
	s_mul_f32 s6, s6, 0x4f7ffffe
	s_wait_alu 0xfffe
	s_delay_alu instid0(SALU_CYCLE_2) | instskip(SKIP_1) | instid1(SALU_CYCLE_2)
	s_cvt_u32_f32 s6, s6
	s_wait_alu 0xfffe
	s_mul_i32 s7, s7, s6
	s_wait_alu 0xfffe
	s_mul_hi_u32 s7, s6, s7
	s_wait_alu 0xfffe
	s_add_co_i32 s6, s6, s7
	s_wait_alu 0xfffe
	s_mul_hi_u32 s6, s70, s6
	s_wait_alu 0xfffe
	s_mul_i32 s7, s6, s75
	s_add_co_i32 s8, s6, 1
	s_wait_alu 0xfffe
	s_sub_co_i32 s7, s70, s7
	s_wait_alu 0xfffe
	s_sub_co_i32 s9, s7, s75
	s_cmp_ge_u32 s7, s75
	s_cselect_b32 s6, s8, s6
	s_wait_alu 0xfffe
	s_cselect_b32 s7, s9, s7
	s_add_co_i32 s8, s6, 1
	s_wait_alu 0xfffe
	s_cmp_ge_u32 s7, s75
	s_cselect_b32 s74, s8, s6
	s_wait_alu 0xfffe
	v_mul_hi_u32 v5, s74, v2
	v_mul_lo_u32 v4, s74, v2
	s_delay_alu instid0(VALU_DEP_1) | instskip(SKIP_2) | instid1(VALU_DEP_3)
	v_lshlrev_b64_e32 v[31:32], 2, v[4:5]
	v_mov_b32_e32 v4, 0
	v_mov_b32_e32 v5, 0
	v_cmpx_gt_u64_e64 v[31:32], v[16:17]
	s_cbranch_execz .LBB71_92
; %bb.89:                               ;   in Loop: Header=BB71_32 Depth=1
	v_dual_mov_b32 v35, v46 :: v_dual_mov_b32 v34, v17
	v_mov_b32_e32 v33, v16
	s_lshl_b32 s77, s71, 3
	s_mov_b64 s[20:21], 0
	s_mov_b32 s78, 0
	s_mov_b64 s[22:23], 0
	s_mov_b64 s[24:25], 0
	s_mov_b64 s[72:73], 0
.LBB71_90:                              ;   Parent Loop BB71_32 Depth=1
                                        ; =>  This Inner Loop Header: Depth=2
	ds_load_b64 v[4:5], v35
	v_add_co_u32 v33, vcc_lo, v33, s75
	s_wait_alu 0xfffd
	v_add_co_ci_u32_e64 v34, null, 0, v34, vcc_lo
	s_delay_alu instid0(VALU_DEP_1)
	v_cmp_ge_u64_e32 vcc_lo, v[33:34], v[31:32]
	s_wait_dscnt 0x0
	v_cmp_lt_i16_e64 s6, -1, v4
	v_lshrrev_b32_e32 v7, 16, v5
	v_lshrrev_b32_e32 v6, 16, v4
	v_and_b32_e32 v8, 0xffff, v4
	v_lshlrev_b32_e32 v10, 16, v4
	s_wait_alu 0xf1ff
	v_cndmask_b32_e64 v9, 0xffff, v52, s6
	v_cmp_lt_i16_e64 s6, -1, v5
	v_and_b32_e32 v11, 0xffff, v5
	v_cmp_lt_i16_e64 s7, -1, v7
	v_lshlrev_b32_e32 v37, 16, v5
	v_xor_b32_e32 v8, v9, v8
	s_wait_alu 0xf1ff
	v_cndmask_b32_e64 v36, 0xffff, v52, s6
	v_cmp_lt_i16_e64 s6, -1, v6
	v_and_b32_e32 v4, 0xffff0000, v4
	v_and_b32_e32 v5, 0xffff0000, v5
	s_delay_alu instid0(VALU_DEP_4)
	v_xor_b32_e32 v11, v36, v11
	v_cndmask_b32_e64 v36, 0xffff, v52, s7
	v_cmp_o_f32_e64 s7, v10, v10
	s_wait_alu 0xf1ff
	v_cndmask_b32_e64 v9, 0xffff, v52, s6
	v_cmp_o_f32_e64 s6, v37, v37
	v_xor_b32_e32 v7, v36, v7
	v_cndmask_b32_e64 v8, 0xffff, v8, s7
	s_delay_alu instid0(VALU_DEP_4)
	v_xor_b32_e32 v6, v9, v6
	s_wait_alu 0xf1ff
	v_cndmask_b32_e64 v9, 0xffff, v11, s6
	v_cmp_o_f32_e64 s6, v5, v5
	v_cmp_o_f32_e64 s7, v4, v4
	v_and_b32_e32 v5, v8, v53
	v_bfe_u32 v8, v8, s96, 2
	s_wait_alu 0xf1ff
	s_delay_alu instid0(VALU_DEP_3)
	v_cndmask_b32_e64 v4, 0xffff, v6, s7
	v_cndmask_b32_e64 v6, 0xffff, v7, s6
	v_and_b32_e32 v7, v9, v53
	v_bfe_u32 v9, v9, s96, 2
	v_cmp_eq_u32_e64 s6, v5, v47
	v_cmp_eq_u32_e64 s8, 0, v8
	v_and_b32_e32 v5, v4, v53
	v_cmp_eq_u32_e64 s7, v7, v47
	v_bfe_u32 v4, v4, s96, 2
	v_cmp_eq_u32_e64 s9, 0, v9
	v_cmp_eq_u32_e64 s10, 1, v8
	;; [unrolled: 1-line block ×3, first 2 shown]
	v_and_b32_e32 v7, v6, v53
	v_bfe_u32 v6, v6, s96, 2
	v_cmp_eq_u32_e64 s11, 1, v9
	v_cmp_eq_u32_e64 s13, 2, v9
	v_cmp_eq_u32_e64 s14, 3, v8
	s_and_b32 s8, s6, s8
	v_cmp_eq_u32_e64 s15, 3, v9
	v_cmp_eq_u32_e64 s16, v5, v47
	;; [unrolled: 1-line block ×3, first 2 shown]
	s_wait_alu 0xfffe
	v_cndmask_b32_e64 v5, 0, 1, s8
	s_and_b32 s8, s7, s9
	s_and_b32 s10, s6, s10
	;; [unrolled: 1-line block ×3, first 2 shown]
	v_cmp_eq_u32_e64 s17, v7, v47
	v_cmp_eq_u32_e64 s19, 0, v6
	s_wait_alu 0xfffe
	v_cndmask_b32_e64 v7, 0, 1, s8
	v_cmp_eq_u32_e64 s8, 1, v4
	v_cndmask_b32_e64 v8, 0, 1, s10
	s_and_b32 s10, s7, s11
	v_cndmask_b32_e64 v10, 0, 1, s12
	s_and_b32 s12, s7, s13
	s_and_b32 s6, s6, s14
	v_cmp_eq_u32_e64 s9, 1, v6
	s_wait_alu 0xfffe
	v_cndmask_b32_e64 v9, 0, 1, s10
	v_cmp_eq_u32_e64 s10, 2, v4
	v_cmp_eq_u32_e64 s11, 2, v6
	v_cndmask_b32_e64 v11, 0, 1, s12
	v_cmp_eq_u32_e64 s12, 3, v4
	v_cndmask_b32_e64 v4, 0, 1, s6
	s_and_b32 s6, s7, s15
	s_and_b32 s7, s16, s18
	v_cmp_eq_u32_e64 s13, 3, v6
	s_wait_alu 0xfffe
	v_cndmask_b32_e64 v6, 0, 1, s6
	v_cmp_ne_u32_e64 s6, 0, v5
	v_cndmask_b32_e64 v5, 0, 1, s7
	s_and_b32 s14, s17, s19
	s_and_b32 s8, s16, s8
	v_cmp_ne_u32_e64 s7, 0, v7
	s_wait_alu 0xfffe
	v_cndmask_b32_e64 v7, 0, 1, s14
	v_cmp_ne_u32_e64 s14, 0, v8
	v_cndmask_b32_e64 v8, 0, 1, s8
	s_and_b32 s9, s17, s9
	s_and_b32 s10, s16, s10
	;; [unrolled: 1-line block ×4, first 2 shown]
	v_cmp_ne_u32_e64 s8, 0, v9
	s_wait_alu 0xfffe
	v_cndmask_b32_e64 v9, 0, 1, s9
	v_cmp_ne_u32_e64 s9, 0, v10
	v_cndmask_b32_e64 v10, 0, 1, s10
	v_cmp_ne_u32_e64 s10, 0, v11
	;; [unrolled: 2-line block ×3, first 2 shown]
	v_cndmask_b32_e64 v4, 0, 1, s12
	s_and_b32 s13, s17, s13
	s_bcnt1_i32_b32 s15, s6
	v_cmp_ne_u32_e64 s6, 0, v5
	v_cmp_ne_u32_e64 s12, 0, v6
	s_wait_alu 0xfffe
	v_cndmask_b32_e64 v6, 0, 1, s13
	v_cmp_ne_u32_e64 s13, 0, v8
	s_bcnt1_i32_b32 s16, s7
	v_cmp_ne_u32_e64 s7, 0, v7
	s_bcnt1_i32_b32 s18, s9
	;; [unrolled: 2-line block ×4, first 2 shown]
	s_bcnt1_i32_b32 s17, s8
	v_cmp_ne_u32_e64 s8, 0, v9
	s_bcnt1_i32_b32 s14, s14
	s_bcnt1_i32_b32 s13, s13
	s_wait_alu 0xfffe
	s_add_co_i32 s6, s6, s15
	s_bcnt1_i32_b32 s19, s10
	v_cmp_ne_u32_e64 s10, 0, v11
	s_bcnt1_i32_b32 s7, s7
	s_bcnt1_i32_b32 s9, s9
	;; [unrolled: 1-line block ×3, first 2 shown]
	s_add_co_i32 s13, s13, s14
	s_wait_alu 0xfffe
	s_add_co_i32 s6, s6, s16
	s_bcnt1_i32_b32 s79, s12
	v_cmp_ne_u32_e64 s12, 0, v6
	s_bcnt1_i32_b32 s8, s8
	s_add_co_i32 s9, s9, s18
	s_add_co_i32 s11, s11, s52
	;; [unrolled: 1-line block ×3, first 2 shown]
	s_wait_alu 0xfffe
	s_add_co_i32 s52, s6, s7
	s_bcnt1_i32_b32 s10, s10
	s_add_co_i32 s9, s9, s19
	s_wait_alu 0xfffe
	s_add_nc_u64 s[72:73], s[72:73], s[52:53]
	s_add_co_i32 s52, s13, s8
	s_bcnt1_i32_b32 s12, s12
	s_add_co_i32 s11, s11, s79
	s_wait_alu 0xfffe
	s_add_nc_u64 s[24:25], s[24:25], s[52:53]
	s_add_co_i32 s52, s9, s10
	v_dual_mov_b32 v4, s72 :: v_dual_add_nc_u32 v35, s77, v35
	s_wait_alu 0xfffe
	s_add_nc_u64 s[22:23], s[22:23], s[52:53]
	s_add_co_i32 s52, s11, s12
	v_mov_b32_e32 v6, s24
	s_wait_alu 0xfffe
	s_add_nc_u64 s[20:21], s[20:21], s[52:53]
	v_mov_b32_e32 v8, s22
	s_wait_alu 0xfffe
	v_dual_mov_b32 v10, s20 :: v_dual_mov_b32 v5, s73
	v_mov_b32_e32 v7, s25
	v_mov_b32_e32 v9, s23
	;; [unrolled: 1-line block ×3, first 2 shown]
	s_or_b32 s78, vcc_lo, s78
	s_wait_alu 0xfffe
	s_and_not1_b32 exec_lo, exec_lo, s78
	s_cbranch_execnz .LBB71_90
; %bb.91:                               ;   in Loop: Header=BB71_32 Depth=1
	s_or_b32 exec_lo, exec_lo, s78
.LBB71_92:                              ;   in Loop: Header=BB71_32 Depth=1
	s_delay_alu instid0(SALU_CYCLE_1)
	s_or_b32 exec_lo, exec_lo, s76
	v_add_co_u32 v31, vcc_lo, v31, v0
	s_wait_alu 0xfffd
	v_add_co_ci_u32_e64 v32, null, 0, v32, vcc_lo
	s_and_b32 s52, s70, 0x7fffffff
	s_mov_b32 s11, exec_lo
	s_wait_alu 0xfffe
	v_cmpx_gt_u64_e64 s[52:53], v[31:32]
	s_cbranch_execz .LBB71_96
; %bb.93:                               ;   in Loop: Header=BB71_32 Depth=1
	s_mul_i32 s74, s74, s71
	s_lshl_b32 s13, s71, 1
	s_wait_alu 0xfffe
	v_lshl_add_u32 v33, s74, 3, v42
	s_mov_b32 s12, 0
.LBB71_94:                              ;   Parent Loop BB71_32 Depth=1
                                        ; =>  This Inner Loop Header: Depth=2
	ds_load_u16 v34, v33
	v_add_co_u32 v31, vcc_lo, v31, v2
	s_wait_alu 0xfffd
	v_add_co_ci_u32_e64 v32, null, 0, v32, vcc_lo
	v_add_nc_u32_e32 v33, s13, v33
	s_delay_alu instid0(VALU_DEP_2)
	v_cmp_le_u64_e32 vcc_lo, s[52:53], v[31:32]
	s_wait_dscnt 0x0
	v_cmp_lt_i16_e64 s6, -1, v34
	v_and_b32_e32 v35, 0xffff, v34
	v_lshlrev_b32_e32 v34, 16, v34
	s_wait_alu 0xf1ff
	s_delay_alu instid0(VALU_DEP_3) | instskip(NEXT) | instid1(VALU_DEP_2)
	v_cndmask_b32_e64 v36, 0xffff, v52, s6
	v_cmp_o_f32_e64 s6, v34, v34
	s_delay_alu instid0(VALU_DEP_2) | instskip(SKIP_1) | instid1(VALU_DEP_1)
	v_xor_b32_e32 v35, v36, v35
	s_wait_alu 0xf1ff
	v_cndmask_b32_e64 v34, 0xffff, v35, s6
	s_delay_alu instid0(VALU_DEP_1) | instskip(SKIP_1) | instid1(VALU_DEP_2)
	v_and_b32_e32 v35, v34, v53
	v_bfe_u32 v34, v34, s96, 2
	v_cmp_eq_u32_e64 s6, v35, v47
	s_delay_alu instid0(VALU_DEP_2)
	v_cmp_eq_u32_e64 s7, 0, v34
	v_cmp_eq_u32_e64 s8, 1, v34
	;; [unrolled: 1-line block ×4, first 2 shown]
	s_and_b32 s7, s6, s7
	s_wait_alu 0xfffe
	v_cndmask_b32_e64 v34, 0, 1, s7
	s_and_b32 s7, s6, s8
	s_wait_alu 0xfffe
	v_cndmask_b32_e64 v35, 0, 1, s7
	s_and_b32 s7, s6, s9
	s_and_b32 s6, s6, s10
	s_wait_alu 0xfffe
	v_cndmask_b32_e64 v36, 0, 1, s7
	v_cndmask_b32_e64 v37, 0, 1, s6
	v_cmp_ne_u32_e64 s6, 0, v34
	v_cmp_ne_u32_e64 s7, 0, v35
	s_delay_alu instid0(VALU_DEP_4) | instskip(NEXT) | instid1(VALU_DEP_4)
	v_cmp_ne_u32_e64 s8, 0, v36
	v_cmp_ne_u32_e64 s9, 0, v37
	s_bcnt1_i32_b32 s6, s6
	s_bcnt1_i32_b32 s7, s7
	s_wait_alu 0xfffe
	v_add_co_u32 v4, s6, v4, s6
	s_bcnt1_i32_b32 s8, s8
	v_add_co_ci_u32_e64 v5, null, 0, v5, s6
	v_add_co_u32 v6, s6, v6, s7
	s_bcnt1_i32_b32 s9, s9
	v_add_co_ci_u32_e64 v7, null, 0, v7, s6
	s_wait_alu 0xfffe
	v_add_co_u32 v8, s6, v8, s8
	s_wait_alu 0xf1ff
	v_add_co_ci_u32_e64 v9, null, 0, v9, s6
	v_add_co_u32 v10, s6, v10, s9
	s_wait_alu 0xf1ff
	v_add_co_ci_u32_e64 v11, null, 0, v11, s6
	s_or_b32 s12, vcc_lo, s12
	s_wait_alu 0xfffe
	s_and_not1_b32 exec_lo, exec_lo, s12
	s_cbranch_execnz .LBB71_94
; %bb.95:                               ;   in Loop: Header=BB71_32 Depth=1
	s_or_b32 exec_lo, exec_lo, s12
.LBB71_96:                              ;   in Loop: Header=BB71_32 Depth=1
	s_delay_alu instid0(SALU_CYCLE_1)
	s_or_b32 exec_lo, exec_lo, s11
	s_lshl_b32 s6, s98, 7
	s_and_saveexec_b32 s7, s1
	s_cbranch_execnz .LBB71_67
	s_branch .LBB71_68
.LBB71_97:                              ;   in Loop: Header=BB71_32 Depth=1
                                        ; implicit-def: $sgpr74_sgpr75
	s_branch .LBB71_76
.LBB71_98:                              ;   in Loop: Header=BB71_32 Depth=1
	s_or_b32 exec_lo, exec_lo, s9
	s_wait_dscnt 0x0
	s_barrier_signal -1
	s_barrier_wait -1
	global_inv scope:SCOPE_SE
	s_and_saveexec_b32 s6, s2
	s_cbranch_execz .LBB71_100
; %bb.99:                               ;   in Loop: Header=BB71_32 Depth=1
	ds_load_b32 v4, v3 offset:5136
	s_wait_dscnt 0x0
	v_ashrrev_i32_e32 v5, 31, v4
	ds_store_b64 v3, v[4:5] offset:5120
.LBB71_100:                             ;   in Loop: Header=BB71_32 Depth=1
	s_wait_alu 0xfffe
	s_or_b32 exec_lo, exec_lo, s6
	s_wait_loadcnt_dscnt 0x0
	s_barrier_signal -1
	s_mov_b32 s6, -1
	s_barrier_wait -1
	s_and_b32 vcc_lo, exec_lo, s8
	s_wait_alu 0xfffe
	s_cbranch_vccnz .LBB71_47
	s_branch .LBB71_62
.LBB71_101:                             ;   in Loop: Header=BB71_32 Depth=1
	s_mov_b32 s8, 0
	s_and_not1_b32 vcc_lo, exec_lo, s93
	s_wait_alu 0xfffe
	s_cbranch_vccnz .LBB71_104
.LBB71_102:                             ;   in Loop: Header=BB71_32 Depth=1
	s_lshl_b32 s9, s98, 10
	s_lshl_b32 s8, s8, 5
	s_wait_alu 0xfffe
	v_add3_u32 v2, s9, s8, v50
	s_mov_b32 s8, s90
.LBB71_103:                             ;   Parent Loop BB71_32 Depth=1
                                        ; =>  This Inner Loop Header: Depth=2
	ds_load_b64 v[6:7], v2
	v_add_nc_u32_e32 v2, 32, v2
	s_wait_alu 0xfffe
	s_add_co_i32 s8, s8, -1
	s_wait_alu 0xfffe
	s_cmp_lg_u32 s8, 0
	s_wait_dscnt 0x0
	v_add_co_u32 v4, vcc_lo, v6, v4
	s_wait_alu 0xfffd
	v_add_co_ci_u32_e64 v5, null, v7, v5, vcc_lo
	s_cbranch_scc1 .LBB71_103
.LBB71_104:                             ;   in Loop: Header=BB71_32 Depth=1
	v_add_lshl_u32 v2, s6, v41, 3
	ds_store_b64 v2, v[4:5] offset:3072
.LBB71_105:                             ;   in Loop: Header=BB71_32 Depth=1
	s_wait_alu 0xfffe
	s_or_b32 exec_lo, exec_lo, s7
	s_lshl_b32 s6, s6, 3
	s_wait_loadcnt_dscnt 0x0
	s_wait_alu 0xfffe
	v_mov_b32_e32 v2, s6
	s_barrier_signal -1
	s_barrier_wait -1
	global_inv scope:SCOPE_SE
	v_cmp_eq_u64_e32 vcc_lo, 1, v[29:30]
	ds_load_b128 v[4:7], v2 offset:3072
	ds_load_b128 v[8:11], v2 offset:3088
	s_lshl_b32 s16, 3, s96
	s_mov_b32 s18, -1
	s_wait_alu 0xfffe
	s_not_b32 s20, s16
                                        ; implicit-def: $sgpr22
                                        ; implicit-def: $sgpr21
	s_wait_dscnt 0x1
	v_cmp_eq_u64_e64 s6, 1, v[4:5]
	s_wait_dscnt 0x0
	v_readfirstlane_b32 s10, v8
	v_readfirstlane_b32 s11, v9
	;; [unrolled: 1-line block ×4, first 2 shown]
	s_and_b32 s19, s6, vcc_lo
	s_mov_b32 s6, -1
	s_and_saveexec_b32 s17, s19
	s_cbranch_execz .LBB71_137
; %bb.106:                              ;   in Loop: Header=BB71_32 Depth=1
	ds_load_b64 v[8:9], v3 offset:5120
	s_wait_loadcnt_dscnt 0x0
	s_barrier_signal -1
	s_barrier_wait -1
	global_inv scope:SCOPE_SE
	v_readfirstlane_b32 s12, v8
	v_readfirstlane_b32 s13, v9
	s_and_saveexec_b32 s6, s3
; %bb.107:                              ;   in Loop: Header=BB71_32 Depth=1
	ds_store_b16 v43, v3
; %bb.108:                              ;   in Loop: Header=BB71_32 Depth=1
	s_wait_alu 0xfffe
	s_or_b32 exec_lo, exec_lo, s6
	v_cmp_lt_i64_e64 s6, s[12:13], 1
	v_and_b32_e32 v47, s20, v47
	v_or_b32_e32 v53, s16, v53
	s_mov_b32 s21, -1
	s_mov_b32 s22, 0
	s_mov_b32 s23, 0
	s_and_b32 vcc_lo, exec_lo, s6
	s_mov_b32 s7, -1
	s_wait_loadcnt_dscnt 0x0
	s_barrier_signal -1
	s_barrier_wait -1
	global_inv scope:SCOPE_SE
                                        ; implicit-def: $vgpr54
	s_wait_alu 0xfffe
	s_cbranch_vccz .LBB71_122
; %bb.109:                              ;   in Loop: Header=BB71_32 Depth=1
	s_mov_b32 s6, s53
	s_mov_b32 s7, s63
	s_wait_alu 0xfffe
	s_cmp_lg_u64 s[6:7], 0
	s_cbranch_scc0 .LBB71_163
; %bb.110:                              ;   in Loop: Header=BB71_32 Depth=1
	s_add_nc_u64 s[6:7], s[50:51], 0
	s_wait_alu 0xfffe
	s_xor_b64 s[6:7], s[6:7], 0
	s_wait_alu 0xfffe
	s_cvt_f32_u32 s14, s6
	s_cvt_f32_u32 s15, s7
	s_sub_nc_u64 s[24:25], 0, s[6:7]
	s_wait_alu 0xfffe
	s_delay_alu instid0(SALU_CYCLE_1) | instskip(SKIP_1) | instid1(SALU_CYCLE_2)
	s_fmamk_f32 s14, s15, 0x4f800000, s14
	s_wait_alu 0xfffe
	v_s_rcp_f32 s14, s14
	s_delay_alu instid0(TRANS32_DEP_1) | instskip(SKIP_1) | instid1(SALU_CYCLE_2)
	s_mul_f32 s14, s14, 0x5f7ffffc
	s_wait_alu 0xfffe
	s_mul_f32 s15, s14, 0x2f800000
	s_wait_alu 0xfffe
	s_delay_alu instid0(SALU_CYCLE_2) | instskip(SKIP_1) | instid1(SALU_CYCLE_2)
	s_trunc_f32 s15, s15
	s_wait_alu 0xfffe
	s_fmamk_f32 s14, s15, 0xcf800000, s14
	s_cvt_u32_f32 s15, s15
	s_wait_alu 0xfffe
	s_delay_alu instid0(SALU_CYCLE_1) | instskip(SKIP_1) | instid1(SALU_CYCLE_2)
	s_cvt_u32_f32 s14, s14
	s_wait_alu 0xfffe
	s_mul_u64 s[70:71], s[24:25], s[14:15]
	s_wait_alu 0xfffe
	s_mul_hi_u32 s73, s14, s71
	s_mul_i32 s72, s14, s71
	s_mul_hi_u32 s52, s14, s70
	s_mul_i32 s74, s15, s70
	s_wait_alu 0xfffe
	s_add_nc_u64 s[72:73], s[52:53], s[72:73]
	s_mul_hi_u32 s23, s15, s70
	s_mul_hi_u32 s75, s15, s71
	s_wait_alu 0xfffe
	s_add_co_u32 s52, s72, s74
	s_add_co_ci_u32 s52, s73, s23
	s_mul_i32 s70, s15, s71
	s_add_co_ci_u32 s71, s75, 0
	s_wait_alu 0xfffe
	s_add_nc_u64 s[70:71], s[52:53], s[70:71]
	s_wait_alu 0xfffe
	s_add_co_u32 s14, s14, s70
	s_cselect_b32 s23, -1, 0
	s_wait_alu 0xfffe
	s_cmp_lg_u32 s23, 0
	s_add_co_ci_u32 s15, s15, s71
	s_wait_alu 0xfffe
	s_mul_u64 s[24:25], s[24:25], s[14:15]
	s_wait_alu 0xfffe
	s_mul_hi_u32 s71, s14, s25
	s_mul_i32 s70, s14, s25
	s_mul_hi_u32 s52, s14, s24
	s_mul_i32 s72, s15, s24
	s_wait_alu 0xfffe
	s_add_nc_u64 s[70:71], s[52:53], s[70:71]
	s_mul_hi_u32 s23, s15, s24
	s_mul_hi_u32 s73, s15, s25
	s_mul_i32 s24, s15, s25
	s_wait_alu 0xfffe
	s_add_co_u32 s25, s70, s72
	s_add_co_ci_u32 s52, s71, s23
	s_add_co_ci_u32 s25, s73, 0
	s_wait_alu 0xfffe
	s_add_nc_u64 s[24:25], s[52:53], s[24:25]
	s_wait_alu 0xfffe
	s_add_co_u32 s23, s14, s24
	s_cselect_b32 s14, -1, 0
	s_wait_alu 0xfffe
	s_cmp_lg_u32 s14, 0
	s_add_co_ci_u32 s72, s15, s25
	s_ashr_i32 s14, s63, 31
	s_wait_alu 0xfffe
	s_mov_b32 s15, s14
	s_wait_alu 0xfffe
	s_add_nc_u64 s[24:25], s[62:63], s[14:15]
	s_wait_alu 0xfffe
	s_xor_b64 s[24:25], s[24:25], s[14:15]
	s_wait_alu 0xfffe
	s_mul_hi_u32 s71, s24, s72
	s_mul_i32 s70, s24, s72
	s_mul_hi_u32 s52, s24, s23
	s_mul_hi_u32 s74, s25, s23
	s_mul_i32 s23, s25, s23
	s_wait_alu 0xfffe
	s_add_nc_u64 s[70:71], s[52:53], s[70:71]
	s_mul_hi_u32 s73, s25, s72
	s_wait_alu 0xfffe
	s_add_co_u32 s23, s70, s23
	s_add_co_ci_u32 s52, s71, s74
	s_mul_i32 s72, s25, s72
	s_add_co_ci_u32 s73, s73, 0
	s_wait_alu 0xfffe
	s_add_nc_u64 s[70:71], s[52:53], s[72:73]
	s_wait_alu 0xfffe
	s_mul_u64 s[70:71], s[6:7], s[70:71]
	s_wait_alu 0xfffe
	s_sub_co_u32 s23, s24, s70
	s_cselect_b32 s24, -1, 0
	s_sub_co_i32 s52, s25, s71
	s_wait_alu 0xfffe
	s_cmp_lg_u32 s24, 0
	s_sub_co_ci_u32 s52, s52, s7
	s_sub_co_u32 s70, s23, s6
	s_cselect_b32 s72, -1, 0
	s_wait_alu 0xfffe
	s_cmp_lg_u32 s72, 0
	s_sub_co_ci_u32 s73, s52, 0
	s_wait_alu 0xfffe
	s_cmp_ge_u32 s73, s7
	s_cselect_b32 s74, -1, 0
	s_cmp_ge_u32 s70, s6
	s_cselect_b32 s75, -1, 0
	s_cmp_eq_u32 s73, s7
	s_wait_alu 0xfffe
	s_cselect_b32 s74, s75, s74
	s_cmp_lg_u32 s72, 0
	s_sub_co_ci_u32 s52, s52, s7
	s_sub_co_u32 s72, s70, s6
	s_cselect_b32 s75, -1, 0
	s_wait_alu 0xfffe
	s_cmp_lg_u32 s75, 0
	s_sub_co_ci_u32 s52, s52, 0
	s_cmp_lg_u32 s74, 0
	s_cselect_b32 s70, s72, s70
	s_wait_alu 0xfffe
	s_cselect_b32 s52, s52, s73
	s_cmp_lg_u32 s24, 0
	s_sub_co_ci_u32 s24, s25, s71
	s_wait_alu 0xfffe
	s_cmp_ge_u32 s24, s7
	s_cselect_b32 s25, -1, 0
	s_cmp_ge_u32 s23, s6
	s_cselect_b32 s6, -1, 0
	s_cmp_eq_u32 s24, s7
	s_wait_alu 0xfffe
	s_cselect_b32 s6, s6, s25
	s_wait_alu 0xfffe
	s_cmp_lg_u32 s6, 0
	s_cselect_b32 s7, s52, s24
	s_cselect_b32 s6, s70, s23
	s_wait_alu 0xfffe
	s_xor_b64 s[6:7], s[6:7], s[14:15]
	s_wait_alu 0xfffe
	s_sub_nc_u64 s[6:7], s[6:7], s[14:15]
	s_cbranch_execnz .LBB71_112
.LBB71_111:                             ;   in Loop: Header=BB71_32 Depth=1
	v_cvt_f32_u32_e32 v2, s50
	s_sub_co_i32 s7, 0, s50
	s_delay_alu instid0(VALU_DEP_1) | instskip(NEXT) | instid1(TRANS32_DEP_1)
	v_rcp_iflag_f32_e32 v2, v2
	v_mul_f32_e32 v2, 0x4f7ffffe, v2
	s_delay_alu instid0(VALU_DEP_1) | instskip(NEXT) | instid1(VALU_DEP_1)
	v_cvt_u32_f32_e32 v2, v2
	v_readfirstlane_b32 s6, v2
	s_wait_alu 0xfffe
	s_mul_i32 s7, s7, s6
	s_wait_alu 0xfffe
	s_mul_hi_u32 s7, s6, s7
	s_wait_alu 0xfffe
	s_add_co_i32 s6, s6, s7
	s_wait_alu 0xfffe
	s_mul_hi_u32 s6, s62, s6
	s_wait_alu 0xfffe
	s_mul_i32 s6, s6, s50
	s_wait_alu 0xfffe
	s_sub_co_i32 s6, s62, s6
	s_wait_alu 0xfffe
	s_sub_co_i32 s7, s6, s50
	s_cmp_ge_u32 s6, s50
	s_wait_alu 0xfffe
	s_cselect_b32 s6, s7, s6
	s_wait_alu 0xfffe
	s_sub_co_i32 s7, s6, s50
	s_cmp_ge_u32 s6, s50
	s_wait_alu 0xfffe
	s_cselect_b32 s52, s7, s6
	s_wait_alu 0xfffe
	s_mov_b64 s[6:7], s[52:53]
.LBB71_112:                             ;   in Loop: Header=BB71_32 Depth=1
	s_wait_alu 0xfffe
	s_sub_nc_u64 s[14:15], s[62:63], s[6:7]
	s_mov_b32 s7, 0
	s_mov_b32 s23, 0
	s_mov_b32 s24, exec_lo
                                        ; implicit-def: $vgpr54
	s_wait_alu 0xfffe
	v_cmpx_gt_i64_e64 s[14:15], v[0:1]
	s_cbranch_execz .LBB71_121
; %bb.113:                              ;   in Loop: Header=BB71_32 Depth=1
	v_dual_mov_b32 v8, v12 :: v_dual_mov_b32 v9, v13
	v_dual_mov_b32 v11, v1 :: v_dual_mov_b32 v10, v0
                                        ; implicit-def: $sgpr25
	s_branch .LBB71_116
.LBB71_114:                             ;   in Loop: Header=BB71_116 Depth=2
	s_wait_alu 0xfffe
	s_or_b32 exec_lo, exec_lo, s6
	s_wait_loadcnt_dscnt 0x0
	s_barrier_signal -1
	s_barrier_wait -1
	global_inv scope:SCOPE_SE
	ds_load_b32 v2, v3 offset:3072
	s_mov_b32 s6, -1
	s_mov_b32 s52, -1
	s_wait_loadcnt_dscnt 0x0
	s_barrier_signal -1
	s_barrier_wait -1
	global_inv scope:SCOPE_SE
	v_and_b32_e32 v31, 0x7fff, v2
	s_delay_alu instid0(VALU_DEP_1)
	v_cmp_ne_u32_e32 vcc_lo, 0, v31
	s_cbranch_vccz .LBB71_119
.LBB71_115:                             ;   in Loop: Header=BB71_116 Depth=2
	s_wait_alu 0xfffe
	s_and_b32 s6, exec_lo, s6
	s_wait_alu 0xfffe
	s_or_b32 s23, s6, s23
	s_and_not1_b32 s6, s25, exec_lo
	s_and_b32 s25, s52, exec_lo
	s_wait_alu 0xfffe
	s_or_b32 s25, s6, s25
	s_and_not1_b32 exec_lo, exec_lo, s23
	s_cbranch_execz .LBB71_120
.LBB71_116:                             ;   Parent Loop BB71_32 Depth=1
                                        ; =>  This Inner Loop Header: Depth=2
	s_mov_b32 s6, exec_lo
	s_delay_alu instid0(VALU_DEP_1)
	v_cmpx_gt_i64_e64 s[36:37], v[10:11]
	s_cbranch_execz .LBB71_114
; %bb.117:                              ;   in Loop: Header=BB71_116 Depth=2
	global_load_u16 v2, v[8:9], off
	s_wait_loadcnt 0x0
	v_cmp_lt_i16_e32 vcc_lo, -1, v2
	v_and_b32_e32 v31, 0xffff, v2
	s_wait_alu 0xfffd
	v_dual_cndmask_b32 v32, 0xffff, v52 :: v_dual_lshlrev_b32 v33, 16, v2
	s_delay_alu instid0(VALU_DEP_1) | instskip(NEXT) | instid1(VALU_DEP_2)
	v_cmp_o_f32_e32 vcc_lo, v33, v33
	v_xor_b32_e32 v31, v32, v31
	s_wait_alu 0xfffd
	s_delay_alu instid0(VALU_DEP_1) | instskip(NEXT) | instid1(VALU_DEP_1)
	v_cndmask_b32_e32 v31, 0xffff, v31, vcc_lo
	v_and_b32_e32 v31, v31, v53
	s_delay_alu instid0(VALU_DEP_1)
	v_cmp_eq_u32_e32 vcc_lo, v31, v47
	s_and_b32 exec_lo, exec_lo, vcc_lo
	s_cbranch_execz .LBB71_114
; %bb.118:                              ;   in Loop: Header=BB71_116 Depth=2
	v_perm_b32 v2, v2, s95, 0x5040100
	ds_store_b32 v3, v2 offset:3072
	s_branch .LBB71_114
.LBB71_119:                             ;   in Loop: Header=BB71_116 Depth=2
	v_add_co_u32 v10, vcc_lo, v10, s50
	s_wait_alu 0xfffd
	v_add_co_ci_u32_e64 v11, null, 0, v11, vcc_lo
	v_add_co_u32 v8, s6, v8, s54
	s_wait_alu 0xf1fe
	v_add_co_ci_u32_e64 v9, null, s55, v9, s6
	s_delay_alu instid0(VALU_DEP_3)
	v_cmp_le_i64_e32 vcc_lo, s[14:15], v[10:11]
	s_mov_b32 s52, 0
	s_or_not1_b32 s6, vcc_lo, exec_lo
	s_branch .LBB71_115
.LBB71_120:                             ;   in Loop: Header=BB71_32 Depth=1
	s_or_b32 exec_lo, exec_lo, s23
	v_lshrrev_b32_e32 v54, 16, v2
	s_wait_alu 0xfffe
	s_and_b32 s23, s25, exec_lo
.LBB71_121:                             ;   in Loop: Header=BB71_32 Depth=1
	s_or_b32 exec_lo, exec_lo, s24
.LBB71_122:                             ;   in Loop: Header=BB71_32 Depth=1
	s_delay_alu instid0(SALU_CYCLE_1)
	s_and_b32 vcc_lo, exec_lo, s7
	s_wait_alu 0xfffe
	s_cbranch_vccz .LBB71_136
; %bb.123:                              ;   in Loop: Header=BB71_32 Depth=1
	s_add_nc_u64 s[6:7], s[12:13], s[60:61]
	s_mov_b32 s14, s53
	s_wait_alu 0xfffe
	s_mov_b32 s15, s7
	s_wait_alu 0xfffe
	s_cmp_lg_u64 s[14:15], 0
	s_cbranch_scc0 .LBB71_164
; %bb.124:                              ;   in Loop: Header=BB71_32 Depth=1
	s_add_nc_u64 s[14:15], s[50:51], 0
	s_wait_alu 0xfffe
	s_xor_b64 s[14:15], s[14:15], 0
	s_wait_alu 0xfffe
	s_cvt_f32_u32 s21, s14
	s_cvt_f32_u32 s22, s15
	s_sub_nc_u64 s[70:71], 0, s[14:15]
	s_wait_alu 0xfffe
	s_delay_alu instid0(SALU_CYCLE_1) | instskip(SKIP_1) | instid1(SALU_CYCLE_2)
	s_fmamk_f32 s21, s22, 0x4f800000, s21
	s_wait_alu 0xfffe
	v_s_rcp_f32 s21, s21
	s_delay_alu instid0(TRANS32_DEP_1) | instskip(SKIP_1) | instid1(SALU_CYCLE_2)
	s_mul_f32 s21, s21, 0x5f7ffffc
	s_wait_alu 0xfffe
	s_mul_f32 s22, s21, 0x2f800000
	s_wait_alu 0xfffe
	s_delay_alu instid0(SALU_CYCLE_2) | instskip(SKIP_1) | instid1(SALU_CYCLE_2)
	s_trunc_f32 s22, s22
	s_wait_alu 0xfffe
	s_fmamk_f32 s21, s22, 0xcf800000, s21
	s_cvt_u32_f32 s25, s22
	s_wait_alu 0xfffe
	s_delay_alu instid0(SALU_CYCLE_1) | instskip(SKIP_1) | instid1(SALU_CYCLE_2)
	s_cvt_u32_f32 s24, s21
	s_wait_alu 0xfffe
	s_mul_u64 s[72:73], s[70:71], s[24:25]
	s_wait_alu 0xfffe
	s_mul_hi_u32 s75, s24, s73
	s_mul_i32 s74, s24, s73
	s_mul_hi_u32 s52, s24, s72
	s_mul_i32 s22, s25, s72
	s_wait_alu 0xfffe
	s_add_nc_u64 s[74:75], s[52:53], s[74:75]
	s_mul_hi_u32 s21, s25, s72
	s_mul_hi_u32 s76, s25, s73
	s_wait_alu 0xfffe
	s_add_co_u32 s22, s74, s22
	s_add_co_ci_u32 s52, s75, s21
	s_mul_i32 s72, s25, s73
	s_add_co_ci_u32 s73, s76, 0
	s_wait_alu 0xfffe
	s_add_nc_u64 s[72:73], s[52:53], s[72:73]
	s_wait_alu 0xfffe
	s_add_co_u32 s24, s24, s72
	s_cselect_b32 s21, -1, 0
	s_wait_alu 0xfffe
	s_cmp_lg_u32 s21, 0
	s_add_co_ci_u32 s25, s25, s73
	s_wait_alu 0xfffe
	s_mul_u64 s[70:71], s[70:71], s[24:25]
	s_wait_alu 0xfffe
	s_mul_hi_u32 s73, s24, s71
	s_mul_i32 s72, s24, s71
	s_mul_hi_u32 s52, s24, s70
	s_mul_i32 s22, s25, s70
	s_wait_alu 0xfffe
	s_add_nc_u64 s[72:73], s[52:53], s[72:73]
	s_mul_hi_u32 s21, s25, s70
	s_mul_hi_u32 s74, s25, s71
	s_wait_alu 0xfffe
	s_add_co_u32 s22, s72, s22
	s_add_co_ci_u32 s52, s73, s21
	s_mul_i32 s70, s25, s71
	s_add_co_ci_u32 s71, s74, 0
	s_wait_alu 0xfffe
	s_add_nc_u64 s[70:71], s[52:53], s[70:71]
	s_wait_alu 0xfffe
	s_add_co_u32 s21, s24, s70
	s_cselect_b32 s22, -1, 0
	s_wait_alu 0xfffe
	s_cmp_lg_u32 s22, 0
	s_add_co_ci_u32 s22, s25, s71
	s_ashr_i32 s24, s7, 31
	s_wait_alu 0xfffe
	s_mov_b32 s25, s24
	s_wait_alu 0xfffe
	s_add_nc_u64 s[70:71], s[6:7], s[24:25]
	s_wait_alu 0xfffe
	s_xor_b64 s[70:71], s[70:71], s[24:25]
	s_wait_alu 0xfffe
	s_mul_hi_u32 s73, s70, s22
	s_mul_i32 s72, s70, s22
	s_mul_hi_u32 s52, s70, s21
	s_mul_hi_u32 s76, s71, s21
	s_mul_i32 s21, s71, s21
	s_wait_alu 0xfffe
	s_add_nc_u64 s[72:73], s[52:53], s[72:73]
	s_mul_hi_u32 s75, s71, s22
	s_wait_alu 0xfffe
	s_add_co_u32 s21, s72, s21
	s_add_co_ci_u32 s52, s73, s76
	s_mul_i32 s74, s71, s22
	s_add_co_ci_u32 s75, s75, 0
	s_wait_alu 0xfffe
	s_add_nc_u64 s[72:73], s[52:53], s[74:75]
	s_wait_alu 0xfffe
	s_mul_u64 s[72:73], s[14:15], s[72:73]
	s_wait_alu 0xfffe
	s_sub_co_u32 s21, s70, s72
	s_cselect_b32 s22, -1, 0
	s_sub_co_i32 s52, s71, s73
	s_wait_alu 0xfffe
	s_cmp_lg_u32 s22, 0
	s_sub_co_ci_u32 s52, s52, s15
	s_sub_co_u32 s70, s21, s14
	s_cselect_b32 s72, -1, 0
	s_wait_alu 0xfffe
	s_cmp_lg_u32 s72, 0
	s_sub_co_ci_u32 s74, s52, 0
	s_wait_alu 0xfffe
	s_cmp_ge_u32 s74, s15
	s_cselect_b32 s75, -1, 0
	s_cmp_ge_u32 s70, s14
	s_cselect_b32 s76, -1, 0
	s_cmp_eq_u32 s74, s15
	s_wait_alu 0xfffe
	s_cselect_b32 s75, s76, s75
	s_cmp_lg_u32 s72, 0
	s_sub_co_ci_u32 s52, s52, s15
	s_sub_co_u32 s72, s70, s14
	s_cselect_b32 s76, -1, 0
	s_wait_alu 0xfffe
	s_cmp_lg_u32 s76, 0
	s_sub_co_ci_u32 s52, s52, 0
	s_cmp_lg_u32 s75, 0
	s_cselect_b32 s70, s72, s70
	s_wait_alu 0xfffe
	s_cselect_b32 s52, s52, s74
	s_cmp_lg_u32 s22, 0
	s_sub_co_ci_u32 s22, s71, s73
	s_wait_alu 0xfffe
	s_cmp_ge_u32 s22, s15
	s_cselect_b32 s71, -1, 0
	s_cmp_ge_u32 s21, s14
	s_cselect_b32 s14, -1, 0
	s_cmp_eq_u32 s22, s15
	s_wait_alu 0xfffe
	s_cselect_b32 s14, s14, s71
	s_wait_alu 0xfffe
	s_cmp_lg_u32 s14, 0
	s_cselect_b32 s15, s52, s22
	s_cselect_b32 s14, s70, s21
	s_wait_alu 0xfffe
	s_xor_b64 s[14:15], s[14:15], s[24:25]
	s_wait_alu 0xfffe
	s_sub_nc_u64 s[14:15], s[14:15], s[24:25]
	s_cbranch_execnz .LBB71_126
.LBB71_125:                             ;   in Loop: Header=BB71_32 Depth=1
	v_cvt_f32_u32_e32 v2, s50
	s_sub_co_i32 s15, 0, s50
	s_delay_alu instid0(VALU_DEP_1) | instskip(NEXT) | instid1(TRANS32_DEP_1)
	v_rcp_iflag_f32_e32 v2, v2
	v_mul_f32_e32 v2, 0x4f7ffffe, v2
	s_delay_alu instid0(VALU_DEP_1) | instskip(NEXT) | instid1(VALU_DEP_1)
	v_cvt_u32_f32_e32 v2, v2
	v_readfirstlane_b32 s14, v2
	s_wait_alu 0xfffe
	s_mul_i32 s15, s15, s14
	s_wait_alu 0xfffe
	s_mul_hi_u32 s15, s14, s15
	s_wait_alu 0xfffe
	s_add_co_i32 s14, s14, s15
	s_wait_alu 0xfffe
	s_mul_hi_u32 s14, s6, s14
	s_wait_alu 0xfffe
	s_mul_i32 s14, s14, s50
	s_wait_alu 0xfffe
	s_sub_co_i32 s14, s6, s14
	s_wait_alu 0xfffe
	s_sub_co_i32 s15, s14, s50
	s_cmp_ge_u32 s14, s50
	s_wait_alu 0xfffe
	s_cselect_b32 s14, s15, s14
	s_wait_alu 0xfffe
	s_sub_co_i32 s15, s14, s50
	s_cmp_ge_u32 s14, s50
	s_wait_alu 0xfffe
	s_cselect_b32 s52, s15, s14
	s_wait_alu 0xfffe
	s_mov_b64 s[14:15], s[52:53]
.LBB71_126:                             ;   in Loop: Header=BB71_32 Depth=1
	s_wait_alu 0xfffe
	s_sub_nc_u64 s[6:7], s[6:7], s[14:15]
	s_mov_b32 s14, exec_lo
                                        ; implicit-def: $vgpr54
	s_wait_alu 0xfffe
	v_cmpx_gt_i64_e64 s[6:7], v[0:1]
	s_cbranch_execz .LBB71_135
; %bb.127:                              ;   in Loop: Header=BB71_32 Depth=1
	v_dual_mov_b32 v2, v42 :: v_dual_mov_b32 v9, v1
	v_mov_b32_e32 v8, v0
	s_mov_b32 s15, 0
                                        ; implicit-def: $sgpr21
	s_branch .LBB71_130
.LBB71_128:                             ;   in Loop: Header=BB71_130 Depth=2
	s_wait_alu 0xfffe
	s_or_b32 exec_lo, exec_lo, s22
	s_wait_loadcnt_dscnt 0x0
	s_barrier_signal -1
	s_barrier_wait -1
	global_inv scope:SCOPE_SE
	ds_load_b32 v10, v3 offset:3072
	s_mov_b32 s22, -1
	s_mov_b32 s24, -1
	s_wait_loadcnt_dscnt 0x0
	s_barrier_signal -1
	s_barrier_wait -1
	global_inv scope:SCOPE_SE
	v_and_b32_e32 v11, 0x7fff, v10
	s_delay_alu instid0(VALU_DEP_1)
	v_cmp_ne_u32_e32 vcc_lo, 0, v11
	s_cbranch_vccz .LBB71_133
.LBB71_129:                             ;   in Loop: Header=BB71_130 Depth=2
	s_wait_alu 0xfffe
	s_and_b32 s22, exec_lo, s22
	s_wait_alu 0xfffe
	s_or_b32 s15, s22, s15
	s_and_not1_b32 s21, s21, exec_lo
	s_and_b32 s22, s24, exec_lo
	s_wait_alu 0xfffe
	s_or_b32 s21, s21, s22
	s_and_not1_b32 exec_lo, exec_lo, s15
	s_cbranch_execz .LBB71_134
.LBB71_130:                             ;   Parent Loop BB71_32 Depth=1
                                        ; =>  This Inner Loop Header: Depth=2
	s_mov_b32 s22, exec_lo
	s_delay_alu instid0(VALU_DEP_1)
	v_cmpx_gt_u64_e64 s[12:13], v[8:9]
	s_cbranch_execz .LBB71_128
; %bb.131:                              ;   in Loop: Header=BB71_130 Depth=2
	ds_load_u16 v10, v2
	s_wait_dscnt 0x0
	v_cmp_lt_i16_e32 vcc_lo, -1, v10
	v_and_b32_e32 v11, 0xffff, v10
	s_wait_alu 0xfffd
	v_dual_cndmask_b32 v31, 0xffff, v52 :: v_dual_lshlrev_b32 v32, 16, v10
	s_delay_alu instid0(VALU_DEP_1) | instskip(NEXT) | instid1(VALU_DEP_2)
	v_cmp_o_f32_e32 vcc_lo, v32, v32
	v_xor_b32_e32 v11, v31, v11
	s_wait_alu 0xfffd
	s_delay_alu instid0(VALU_DEP_1) | instskip(NEXT) | instid1(VALU_DEP_1)
	v_cndmask_b32_e32 v11, 0xffff, v11, vcc_lo
	v_and_b32_e32 v11, v11, v53
	s_delay_alu instid0(VALU_DEP_1)
	v_cmp_eq_u32_e32 vcc_lo, v11, v47
	s_and_b32 exec_lo, exec_lo, vcc_lo
	s_cbranch_execz .LBB71_128
; %bb.132:                              ;   in Loop: Header=BB71_130 Depth=2
	v_perm_b32 v10, v10, s95, 0x5040100
	ds_store_b32 v3, v10 offset:3072
	s_branch .LBB71_128
.LBB71_133:                             ;   in Loop: Header=BB71_130 Depth=2
	v_add_co_u32 v8, vcc_lo, v8, s50
	s_wait_alu 0xfffd
	v_add_co_ci_u32_e64 v9, null, 0, v9, vcc_lo
	v_add_nc_u32_e32 v2, s94, v2
	s_mov_b32 s24, 0
	s_delay_alu instid0(VALU_DEP_2)
	v_cmp_le_i64_e32 vcc_lo, s[6:7], v[8:9]
	s_or_not1_b32 s22, vcc_lo, exec_lo
	s_branch .LBB71_129
.LBB71_134:                             ;   in Loop: Header=BB71_32 Depth=1
	s_or_b32 exec_lo, exec_lo, s15
	v_lshrrev_b32_e32 v54, 16, v10
	s_and_not1_b32 s6, s23, exec_lo
	s_wait_alu 0xfffe
	s_and_b32 s7, s21, exec_lo
	s_wait_alu 0xfffe
	s_or_b32 s23, s6, s7
.LBB71_135:                             ;   in Loop: Header=BB71_32 Depth=1
	s_or_b32 exec_lo, exec_lo, s14
	s_mov_b32 s21, 0
	s_mov_b32 s22, -1
.LBB71_136:                             ;   in Loop: Header=BB71_32 Depth=1
	s_wait_alu 0xfffe
	s_or_not1_b32 s6, s23, exec_lo
.LBB71_137:                             ;   in Loop: Header=BB71_32 Depth=1
	s_wait_alu 0xfffe
	s_or_b32 exec_lo, exec_lo, s17
	s_delay_alu instid0(SALU_CYCLE_1)
	s_and_not1_b32 s7, s103, exec_lo
	s_and_b32 s12, s22, exec_lo
	s_and_not1_b32 s13, s101, exec_lo
	s_and_b32 s14, s21, exec_lo
	s_and_not1_b32 s100, s100, exec_lo
	s_wait_alu 0xfffe
	s_or_b32 s103, s7, s12
	s_or_b32 s101, s13, s14
                                        ; implicit-def: $vgpr8_vgpr9
	s_and_saveexec_b32 s17, s6
	s_cbranch_execz .LBB71_31
; %bb.138:                              ;   in Loop: Header=BB71_32 Depth=1
	v_mov_b32_e32 v8, 1
	v_dual_mov_b32 v9, 0 :: v_dual_mov_b32 v2, 1
	s_xor_b32 s12, s19, -1
	s_mov_b32 s7, 0
	s_wait_alu 0xfffe
	s_and_saveexec_b32 s6, s12
	s_cbranch_execz .LBB71_147
; %bb.139:                              ;   in Loop: Header=BB71_32 Depth=1
	s_mov_b32 s7, exec_lo
	v_cmpx_le_i64_e64 v[29:30], v[4:5]
	s_wait_alu 0xfffe
	s_xor_b32 s7, exec_lo, s7
	s_cbranch_execz .LBB71_144
; %bb.140:                              ;   in Loop: Header=BB71_32 Depth=1
	ds_load_b64 v[8:9], v3 offset:5120
	v_and_b32_e32 v47, s20, v47
	v_or_b32_e32 v53, s16, v53
	s_wait_dscnt 0x0
	v_cmp_ne_u64_e32 vcc_lo, 0, v[8:9]
	s_cbranch_vccnz .LBB71_144
; %bb.141:                              ;   in Loop: Header=BB71_32 Depth=1
	s_and_saveexec_b32 s12, s2
; %bb.142:                              ;   in Loop: Header=BB71_32 Depth=1
	ds_store_b64 v3, v[4:5] offset:5128
; %bb.143:                              ;   in Loop: Header=BB71_32 Depth=1
	s_wait_alu 0xfffe
	s_or_b32 exec_lo, exec_lo, s12
	s_wait_loadcnt_dscnt 0x0
	s_barrier_signal -1
	s_barrier_wait -1
	global_inv scope:SCOPE_SE
.LBB71_144:                             ;   in Loop: Header=BB71_32 Depth=1
	s_wait_alu 0xfffe
	s_or_saveexec_b32 s7, s7
	v_mov_b32_e32 v2, 8
	s_mov_b32 s12, 0
	s_wait_alu 0xfffe
	s_xor_b32 exec_lo, exec_lo, s7
; %bb.145:                              ;   in Loop: Header=BB71_32 Depth=1
	v_sub_co_u32 v29, vcc_lo, v29, v4
	s_wait_alu 0xfffd
	v_sub_co_ci_u32_e64 v30, null, v30, v5, vcc_lo
	v_mov_b32_e32 v2, 0
	s_mov_b32 s12, exec_lo
; %bb.146:                              ;   in Loop: Header=BB71_32 Depth=1
	s_or_b32 exec_lo, exec_lo, s7
	s_delay_alu instid0(VALU_DEP_2)
	v_dual_mov_b32 v8, v29 :: v_dual_mov_b32 v9, v30
	s_wait_alu 0xfffe
	s_and_b32 s7, s12, exec_lo
.LBB71_147:                             ;   in Loop: Header=BB71_32 Depth=1
	s_wait_alu 0xfffe
	s_or_b32 exec_lo, exec_lo, s6
	s_mov_b32 s18, -1
	s_mov_b32 s6, -1
                                        ; implicit-def: $sgpr21
                                        ; implicit-def: $sgpr22
	s_and_saveexec_b32 s12, s7
	s_wait_alu 0xfffe
	s_xor_b32 s19, exec_lo, s12
	s_cbranch_execz .LBB71_289
; %bb.148:                              ;   in Loop: Header=BB71_32 Depth=1
	v_cmp_eq_u64_e32 vcc_lo, 1, v[6:7]
	v_cmp_eq_u64_e64 s6, 1, v[8:9]
                                        ; implicit-def: $sgpr22
                                        ; implicit-def: $sgpr21
	s_and_b32 s24, vcc_lo, s6
	s_mov_b32 s6, -1
	s_wait_alu 0xfffe
	s_and_saveexec_b32 s23, s24
	s_cbranch_execz .LBB71_182
; %bb.149:                              ;   in Loop: Header=BB71_32 Depth=1
	ds_load_b64 v[4:5], v3 offset:5120
	s_wait_loadcnt_dscnt 0x0
	s_barrier_signal -1
	s_barrier_wait -1
	global_inv scope:SCOPE_SE
	v_readfirstlane_b32 s12, v4
	v_readfirstlane_b32 s13, v5
	s_and_saveexec_b32 s6, s3
; %bb.150:                              ;   in Loop: Header=BB71_32 Depth=1
	ds_store_b16 v43, v3
; %bb.151:                              ;   in Loop: Header=BB71_32 Depth=1
	s_wait_alu 0xfffe
	s_or_b32 exec_lo, exec_lo, s6
	s_lshl_b32 s6, 1, s96
	v_or_b32_e32 v53, s16, v53
	s_wait_alu 0xfffe
	v_and_or_b32 v47, v47, s20, s6
	v_cmp_gt_i64_e64 s6, s[12:13], 0
	s_mov_b32 s21, -1
	s_mov_b32 s22, 0
	s_mov_b32 s25, 0
	s_mov_b32 s7, -1
	s_wait_loadcnt_dscnt 0x0
	s_and_b32 vcc_lo, exec_lo, s6
	s_barrier_signal -1
	s_barrier_wait -1
	global_inv scope:SCOPE_SE
                                        ; implicit-def: $vgpr54
	s_wait_alu 0xfffe
	s_cbranch_vccnz .LBB71_167
; %bb.152:                              ;   in Loop: Header=BB71_32 Depth=1
	s_mov_b32 s6, s53
	s_mov_b32 s7, s63
	s_wait_alu 0xfffe
	s_cmp_lg_u64 s[6:7], 0
	s_cbranch_scc0 .LBB71_209
; %bb.153:                              ;   in Loop: Header=BB71_32 Depth=1
	s_add_nc_u64 s[6:7], s[50:51], 0
	s_wait_alu 0xfffe
	s_xor_b64 s[6:7], s[6:7], 0
	s_wait_alu 0xfffe
	s_cvt_f32_u32 s14, s6
	s_cvt_f32_u32 s15, s7
	s_sub_nc_u64 s[70:71], 0, s[6:7]
	s_wait_alu 0xfffe
	s_delay_alu instid0(SALU_CYCLE_1) | instskip(SKIP_1) | instid1(SALU_CYCLE_2)
	s_fmamk_f32 s14, s15, 0x4f800000, s14
	s_wait_alu 0xfffe
	v_s_rcp_f32 s14, s14
	s_delay_alu instid0(TRANS32_DEP_1) | instskip(SKIP_1) | instid1(SALU_CYCLE_2)
	s_mul_f32 s14, s14, 0x5f7ffffc
	s_wait_alu 0xfffe
	s_mul_f32 s15, s14, 0x2f800000
	s_wait_alu 0xfffe
	s_delay_alu instid0(SALU_CYCLE_2) | instskip(SKIP_1) | instid1(SALU_CYCLE_2)
	s_trunc_f32 s15, s15
	s_wait_alu 0xfffe
	s_fmamk_f32 s14, s15, 0xcf800000, s14
	s_cvt_u32_f32 s15, s15
	s_wait_alu 0xfffe
	s_delay_alu instid0(SALU_CYCLE_1) | instskip(SKIP_1) | instid1(SALU_CYCLE_2)
	s_cvt_u32_f32 s14, s14
	s_wait_alu 0xfffe
	s_mul_u64 s[72:73], s[70:71], s[14:15]
	s_wait_alu 0xfffe
	s_mul_hi_u32 s75, s14, s73
	s_mul_i32 s74, s14, s73
	s_mul_hi_u32 s52, s14, s72
	s_mul_i32 s76, s15, s72
	s_wait_alu 0xfffe
	s_add_nc_u64 s[74:75], s[52:53], s[74:75]
	s_mul_hi_u32 s25, s15, s72
	s_mul_hi_u32 s77, s15, s73
	s_wait_alu 0xfffe
	s_add_co_u32 s52, s74, s76
	s_add_co_ci_u32 s52, s75, s25
	s_mul_i32 s72, s15, s73
	s_add_co_ci_u32 s73, s77, 0
	s_wait_alu 0xfffe
	s_add_nc_u64 s[72:73], s[52:53], s[72:73]
	s_wait_alu 0xfffe
	s_add_co_u32 s14, s14, s72
	s_cselect_b32 s25, -1, 0
	s_wait_alu 0xfffe
	s_cmp_lg_u32 s25, 0
	s_add_co_ci_u32 s15, s15, s73
	s_wait_alu 0xfffe
	s_mul_u64 s[70:71], s[70:71], s[14:15]
	s_wait_alu 0xfffe
	s_mul_hi_u32 s73, s14, s71
	s_mul_i32 s72, s14, s71
	s_mul_hi_u32 s52, s14, s70
	s_mul_i32 s74, s15, s70
	s_wait_alu 0xfffe
	s_add_nc_u64 s[72:73], s[52:53], s[72:73]
	s_mul_hi_u32 s25, s15, s70
	s_mul_hi_u32 s75, s15, s71
	s_wait_alu 0xfffe
	s_add_co_u32 s52, s72, s74
	s_add_co_ci_u32 s52, s73, s25
	s_mul_i32 s70, s15, s71
	s_add_co_ci_u32 s71, s75, 0
	s_wait_alu 0xfffe
	s_add_nc_u64 s[70:71], s[52:53], s[70:71]
	s_wait_alu 0xfffe
	s_add_co_u32 s25, s14, s70
	s_cselect_b32 s14, -1, 0
	s_wait_alu 0xfffe
	s_cmp_lg_u32 s14, 0
	s_add_co_ci_u32 s74, s15, s71
	s_ashr_i32 s14, s63, 31
	s_wait_alu 0xfffe
	s_mov_b32 s15, s14
	s_wait_alu 0xfffe
	s_add_nc_u64 s[70:71], s[62:63], s[14:15]
	s_wait_alu 0xfffe
	s_xor_b64 s[70:71], s[70:71], s[14:15]
	s_wait_alu 0xfffe
	s_mul_hi_u32 s73, s70, s74
	s_mul_i32 s72, s70, s74
	s_mul_hi_u32 s52, s70, s25
	s_mul_hi_u32 s76, s71, s25
	s_mul_i32 s25, s71, s25
	s_wait_alu 0xfffe
	s_add_nc_u64 s[72:73], s[52:53], s[72:73]
	s_mul_hi_u32 s75, s71, s74
	s_wait_alu 0xfffe
	s_add_co_u32 s25, s72, s25
	s_add_co_ci_u32 s52, s73, s76
	s_mul_i32 s74, s71, s74
	s_add_co_ci_u32 s75, s75, 0
	s_wait_alu 0xfffe
	s_add_nc_u64 s[72:73], s[52:53], s[74:75]
	s_wait_alu 0xfffe
	s_mul_u64 s[72:73], s[6:7], s[72:73]
	s_wait_alu 0xfffe
	s_sub_co_u32 s25, s70, s72
	s_cselect_b32 s52, -1, 0
	s_sub_co_i32 s70, s71, s73
	s_wait_alu 0xfffe
	s_cmp_lg_u32 s52, 0
	s_sub_co_ci_u32 s70, s70, s7
	s_sub_co_u32 s72, s25, s6
	s_cselect_b32 s74, -1, 0
	s_wait_alu 0xfffe
	s_cmp_lg_u32 s74, 0
	s_sub_co_ci_u32 s75, s70, 0
	s_wait_alu 0xfffe
	s_cmp_ge_u32 s75, s7
	s_cselect_b32 s76, -1, 0
	s_cmp_ge_u32 s72, s6
	s_cselect_b32 s77, -1, 0
	s_cmp_eq_u32 s75, s7
	s_wait_alu 0xfffe
	s_cselect_b32 s76, s77, s76
	s_cmp_lg_u32 s74, 0
	s_sub_co_ci_u32 s70, s70, s7
	s_sub_co_u32 s74, s72, s6
	s_cselect_b32 s77, -1, 0
	s_wait_alu 0xfffe
	s_cmp_lg_u32 s77, 0
	s_sub_co_ci_u32 s70, s70, 0
	s_cmp_lg_u32 s76, 0
	s_cselect_b32 s72, s74, s72
	s_wait_alu 0xfffe
	s_cselect_b32 s70, s70, s75
	s_cmp_lg_u32 s52, 0
	s_sub_co_ci_u32 s52, s71, s73
	s_wait_alu 0xfffe
	s_cmp_ge_u32 s52, s7
	s_cselect_b32 s71, -1, 0
	s_cmp_ge_u32 s25, s6
	s_cselect_b32 s6, -1, 0
	s_cmp_eq_u32 s52, s7
	s_wait_alu 0xfffe
	s_cselect_b32 s6, s6, s71
	s_wait_alu 0xfffe
	s_cmp_lg_u32 s6, 0
	s_cselect_b32 s7, s70, s52
	s_cselect_b32 s6, s72, s25
	s_wait_alu 0xfffe
	s_xor_b64 s[6:7], s[6:7], s[14:15]
	s_wait_alu 0xfffe
	s_sub_nc_u64 s[6:7], s[6:7], s[14:15]
	s_cbranch_execnz .LBB71_155
.LBB71_154:                             ;   in Loop: Header=BB71_32 Depth=1
	v_cvt_f32_u32_e32 v4, s50
	s_sub_co_i32 s7, 0, s50
	s_delay_alu instid0(VALU_DEP_1) | instskip(NEXT) | instid1(TRANS32_DEP_1)
	v_rcp_iflag_f32_e32 v4, v4
	v_mul_f32_e32 v4, 0x4f7ffffe, v4
	s_delay_alu instid0(VALU_DEP_1) | instskip(NEXT) | instid1(VALU_DEP_1)
	v_cvt_u32_f32_e32 v4, v4
	v_readfirstlane_b32 s6, v4
	s_wait_alu 0xfffe
	s_mul_i32 s7, s7, s6
	s_wait_alu 0xfffe
	s_mul_hi_u32 s7, s6, s7
	s_wait_alu 0xfffe
	s_add_co_i32 s6, s6, s7
	s_wait_alu 0xfffe
	s_mul_hi_u32 s6, s62, s6
	s_wait_alu 0xfffe
	s_mul_i32 s6, s6, s50
	s_wait_alu 0xfffe
	s_sub_co_i32 s6, s62, s6
	s_wait_alu 0xfffe
	s_sub_co_i32 s7, s6, s50
	s_cmp_ge_u32 s6, s50
	s_wait_alu 0xfffe
	s_cselect_b32 s6, s7, s6
	s_wait_alu 0xfffe
	s_sub_co_i32 s7, s6, s50
	s_cmp_ge_u32 s6, s50
	s_wait_alu 0xfffe
	s_cselect_b32 s52, s7, s6
	s_wait_alu 0xfffe
	s_mov_b64 s[6:7], s[52:53]
.LBB71_155:                             ;   in Loop: Header=BB71_32 Depth=1
	s_wait_alu 0xfffe
	s_sub_nc_u64 s[14:15], s[62:63], s[6:7]
	s_mov_b32 s7, 0
	s_mov_b32 s25, 0
	s_mov_b32 s52, exec_lo
                                        ; implicit-def: $vgpr54
	s_wait_alu 0xfffe
	v_cmpx_gt_i64_e64 s[14:15], v[0:1]
	s_cbranch_execz .LBB71_166
; %bb.156:                              ;   in Loop: Header=BB71_32 Depth=1
	v_dual_mov_b32 v4, v12 :: v_dual_mov_b32 v5, v13
	v_dual_mov_b32 v11, v1 :: v_dual_mov_b32 v10, v0
                                        ; implicit-def: $sgpr70
	s_branch .LBB71_159
.LBB71_157:                             ;   in Loop: Header=BB71_159 Depth=2
	s_wait_alu 0xfffe
	s_or_b32 exec_lo, exec_lo, s6
	s_wait_loadcnt_dscnt 0x0
	s_barrier_signal -1
	s_barrier_wait -1
	global_inv scope:SCOPE_SE
	ds_load_b32 v29, v3 offset:3072
	s_mov_b32 s6, -1
	s_mov_b32 s71, -1
	s_wait_loadcnt_dscnt 0x0
	s_barrier_signal -1
	s_barrier_wait -1
	global_inv scope:SCOPE_SE
	v_and_b32_e32 v30, 0x7fff, v29
	s_delay_alu instid0(VALU_DEP_1)
	v_cmp_ne_u32_e32 vcc_lo, 0, v30
	s_cbranch_vccz .LBB71_162
.LBB71_158:                             ;   in Loop: Header=BB71_159 Depth=2
	s_wait_alu 0xfffe
	s_and_b32 s6, exec_lo, s6
	s_wait_alu 0xfffe
	s_or_b32 s25, s6, s25
	s_and_not1_b32 s6, s70, exec_lo
	s_and_b32 s70, s71, exec_lo
	s_wait_alu 0xfffe
	s_or_b32 s70, s6, s70
	s_and_not1_b32 exec_lo, exec_lo, s25
	s_cbranch_execz .LBB71_165
.LBB71_159:                             ;   Parent Loop BB71_32 Depth=1
                                        ; =>  This Inner Loop Header: Depth=2
	s_mov_b32 s6, exec_lo
	s_delay_alu instid0(VALU_DEP_1)
	v_cmpx_gt_i64_e64 s[36:37], v[10:11]
	s_cbranch_execz .LBB71_157
; %bb.160:                              ;   in Loop: Header=BB71_159 Depth=2
	global_load_u16 v29, v[4:5], off
	s_wait_loadcnt 0x0
	v_cmp_lt_i16_e32 vcc_lo, -1, v29
	v_and_b32_e32 v30, 0xffff, v29
	s_wait_alu 0xfffd
	v_dual_cndmask_b32 v31, 0xffff, v52 :: v_dual_lshlrev_b32 v32, 16, v29
	s_delay_alu instid0(VALU_DEP_1) | instskip(NEXT) | instid1(VALU_DEP_2)
	v_cmp_o_f32_e32 vcc_lo, v32, v32
	v_xor_b32_e32 v30, v31, v30
	s_wait_alu 0xfffd
	s_delay_alu instid0(VALU_DEP_1) | instskip(NEXT) | instid1(VALU_DEP_1)
	v_cndmask_b32_e32 v30, 0xffff, v30, vcc_lo
	v_and_b32_e32 v30, v30, v53
	s_delay_alu instid0(VALU_DEP_1)
	v_cmp_eq_u32_e32 vcc_lo, v30, v47
	s_and_b32 exec_lo, exec_lo, vcc_lo
	s_cbranch_execz .LBB71_157
; %bb.161:                              ;   in Loop: Header=BB71_159 Depth=2
	v_perm_b32 v29, v29, s95, 0x5040100
	ds_store_b32 v3, v29 offset:3072
	s_branch .LBB71_157
.LBB71_162:                             ;   in Loop: Header=BB71_159 Depth=2
	v_add_co_u32 v10, vcc_lo, v10, s50
	s_wait_alu 0xfffd
	v_add_co_ci_u32_e64 v11, null, 0, v11, vcc_lo
	v_add_co_u32 v4, s6, v4, s54
	s_wait_alu 0xf1fe
	v_add_co_ci_u32_e64 v5, null, s55, v5, s6
	s_delay_alu instid0(VALU_DEP_3)
	v_cmp_le_i64_e32 vcc_lo, s[14:15], v[10:11]
	s_mov_b32 s71, 0
	s_or_not1_b32 s6, vcc_lo, exec_lo
	s_branch .LBB71_158
.LBB71_163:                             ;   in Loop: Header=BB71_32 Depth=1
                                        ; implicit-def: $sgpr6_sgpr7
	s_branch .LBB71_111
.LBB71_164:                             ;   in Loop: Header=BB71_32 Depth=1
                                        ; implicit-def: $sgpr14_sgpr15
	s_branch .LBB71_125
.LBB71_165:                             ;   in Loop: Header=BB71_32 Depth=1
	s_or_b32 exec_lo, exec_lo, s25
	v_lshrrev_b32_e32 v54, 16, v29
	s_wait_alu 0xfffe
	s_and_b32 s25, s70, exec_lo
.LBB71_166:                             ;   in Loop: Header=BB71_32 Depth=1
	s_or_b32 exec_lo, exec_lo, s52
.LBB71_167:                             ;   in Loop: Header=BB71_32 Depth=1
	s_delay_alu instid0(SALU_CYCLE_1)
	s_and_b32 vcc_lo, exec_lo, s7
	s_wait_alu 0xfffe
	s_cbranch_vccz .LBB71_181
; %bb.168:                              ;   in Loop: Header=BB71_32 Depth=1
	s_add_nc_u64 s[6:7], s[12:13], s[60:61]
	s_mov_b32 s14, s53
	s_wait_alu 0xfffe
	s_mov_b32 s15, s7
	s_wait_alu 0xfffe
	s_cmp_lg_u64 s[14:15], 0
	s_cbranch_scc0 .LBB71_210
; %bb.169:                              ;   in Loop: Header=BB71_32 Depth=1
	s_add_nc_u64 s[14:15], s[50:51], 0
	s_wait_alu 0xfffe
	s_xor_b64 s[14:15], s[14:15], 0
	s_wait_alu 0xfffe
	s_cvt_f32_u32 s21, s14
	s_cvt_f32_u32 s22, s15
	s_sub_nc_u64 s[72:73], 0, s[14:15]
	s_wait_alu 0xfffe
	s_delay_alu instid0(SALU_CYCLE_1) | instskip(SKIP_1) | instid1(SALU_CYCLE_2)
	s_fmamk_f32 s21, s22, 0x4f800000, s21
	s_wait_alu 0xfffe
	v_s_rcp_f32 s21, s21
	s_delay_alu instid0(TRANS32_DEP_1) | instskip(SKIP_1) | instid1(SALU_CYCLE_2)
	s_mul_f32 s21, s21, 0x5f7ffffc
	s_wait_alu 0xfffe
	s_mul_f32 s22, s21, 0x2f800000
	s_wait_alu 0xfffe
	s_delay_alu instid0(SALU_CYCLE_2) | instskip(SKIP_1) | instid1(SALU_CYCLE_2)
	s_trunc_f32 s22, s22
	s_wait_alu 0xfffe
	s_fmamk_f32 s21, s22, 0xcf800000, s21
	s_cvt_u32_f32 s71, s22
	s_wait_alu 0xfffe
	s_delay_alu instid0(SALU_CYCLE_1) | instskip(SKIP_1) | instid1(SALU_CYCLE_2)
	s_cvt_u32_f32 s70, s21
	s_wait_alu 0xfffe
	s_mul_u64 s[74:75], s[72:73], s[70:71]
	s_wait_alu 0xfffe
	s_mul_hi_u32 s77, s70, s75
	s_mul_i32 s76, s70, s75
	s_mul_hi_u32 s52, s70, s74
	s_mul_i32 s22, s71, s74
	s_wait_alu 0xfffe
	s_add_nc_u64 s[76:77], s[52:53], s[76:77]
	s_mul_hi_u32 s21, s71, s74
	s_mul_hi_u32 s78, s71, s75
	s_wait_alu 0xfffe
	s_add_co_u32 s22, s76, s22
	s_add_co_ci_u32 s52, s77, s21
	s_mul_i32 s74, s71, s75
	s_add_co_ci_u32 s75, s78, 0
	s_wait_alu 0xfffe
	s_add_nc_u64 s[74:75], s[52:53], s[74:75]
	s_wait_alu 0xfffe
	s_add_co_u32 s70, s70, s74
	s_cselect_b32 s21, -1, 0
	s_wait_alu 0xfffe
	s_cmp_lg_u32 s21, 0
	s_add_co_ci_u32 s71, s71, s75
	s_wait_alu 0xfffe
	s_mul_u64 s[72:73], s[72:73], s[70:71]
	s_wait_alu 0xfffe
	s_mul_hi_u32 s75, s70, s73
	s_mul_i32 s74, s70, s73
	s_mul_hi_u32 s52, s70, s72
	s_mul_i32 s22, s71, s72
	s_wait_alu 0xfffe
	s_add_nc_u64 s[74:75], s[52:53], s[74:75]
	s_mul_hi_u32 s21, s71, s72
	s_mul_hi_u32 s76, s71, s73
	s_wait_alu 0xfffe
	s_add_co_u32 s22, s74, s22
	s_add_co_ci_u32 s52, s75, s21
	s_mul_i32 s72, s71, s73
	s_add_co_ci_u32 s73, s76, 0
	s_wait_alu 0xfffe
	s_add_nc_u64 s[72:73], s[52:53], s[72:73]
	s_wait_alu 0xfffe
	s_add_co_u32 s21, s70, s72
	s_cselect_b32 s22, -1, 0
	s_wait_alu 0xfffe
	s_cmp_lg_u32 s22, 0
	s_add_co_ci_u32 s22, s71, s73
	s_ashr_i32 s70, s7, 31
	s_wait_alu 0xfffe
	s_mov_b32 s71, s70
	s_wait_alu 0xfffe
	s_add_nc_u64 s[72:73], s[6:7], s[70:71]
	s_wait_alu 0xfffe
	s_xor_b64 s[72:73], s[72:73], s[70:71]
	s_wait_alu 0xfffe
	s_mul_hi_u32 s75, s72, s22
	s_mul_i32 s74, s72, s22
	s_mul_hi_u32 s52, s72, s21
	s_mul_hi_u32 s78, s73, s21
	s_mul_i32 s21, s73, s21
	s_wait_alu 0xfffe
	s_add_nc_u64 s[74:75], s[52:53], s[74:75]
	s_mul_hi_u32 s77, s73, s22
	s_wait_alu 0xfffe
	s_add_co_u32 s21, s74, s21
	s_add_co_ci_u32 s52, s75, s78
	s_mul_i32 s76, s73, s22
	s_add_co_ci_u32 s77, s77, 0
	s_wait_alu 0xfffe
	s_add_nc_u64 s[74:75], s[52:53], s[76:77]
	s_wait_alu 0xfffe
	s_mul_u64 s[74:75], s[14:15], s[74:75]
	s_wait_alu 0xfffe
	s_sub_co_u32 s21, s72, s74
	s_cselect_b32 s22, -1, 0
	s_sub_co_i32 s52, s73, s75
	s_wait_alu 0xfffe
	s_cmp_lg_u32 s22, 0
	s_sub_co_ci_u32 s52, s52, s15
	s_sub_co_u32 s72, s21, s14
	s_cselect_b32 s74, -1, 0
	s_wait_alu 0xfffe
	s_cmp_lg_u32 s74, 0
	s_sub_co_ci_u32 s76, s52, 0
	s_wait_alu 0xfffe
	s_cmp_ge_u32 s76, s15
	s_cselect_b32 s77, -1, 0
	s_cmp_ge_u32 s72, s14
	s_cselect_b32 s78, -1, 0
	s_cmp_eq_u32 s76, s15
	s_wait_alu 0xfffe
	s_cselect_b32 s77, s78, s77
	s_cmp_lg_u32 s74, 0
	s_sub_co_ci_u32 s52, s52, s15
	s_sub_co_u32 s74, s72, s14
	s_cselect_b32 s78, -1, 0
	s_wait_alu 0xfffe
	s_cmp_lg_u32 s78, 0
	s_sub_co_ci_u32 s52, s52, 0
	s_cmp_lg_u32 s77, 0
	s_cselect_b32 s72, s74, s72
	s_wait_alu 0xfffe
	s_cselect_b32 s52, s52, s76
	s_cmp_lg_u32 s22, 0
	s_sub_co_ci_u32 s22, s73, s75
	s_wait_alu 0xfffe
	s_cmp_ge_u32 s22, s15
	s_cselect_b32 s73, -1, 0
	s_cmp_ge_u32 s21, s14
	s_cselect_b32 s14, -1, 0
	s_cmp_eq_u32 s22, s15
	s_wait_alu 0xfffe
	s_cselect_b32 s14, s14, s73
	s_wait_alu 0xfffe
	s_cmp_lg_u32 s14, 0
	s_cselect_b32 s15, s52, s22
	s_cselect_b32 s14, s72, s21
	s_wait_alu 0xfffe
	s_xor_b64 s[14:15], s[14:15], s[70:71]
	s_wait_alu 0xfffe
	s_sub_nc_u64 s[14:15], s[14:15], s[70:71]
	s_cbranch_execnz .LBB71_171
.LBB71_170:                             ;   in Loop: Header=BB71_32 Depth=1
	v_cvt_f32_u32_e32 v4, s50
	s_sub_co_i32 s15, 0, s50
	s_delay_alu instid0(VALU_DEP_1) | instskip(NEXT) | instid1(TRANS32_DEP_1)
	v_rcp_iflag_f32_e32 v4, v4
	v_mul_f32_e32 v4, 0x4f7ffffe, v4
	s_delay_alu instid0(VALU_DEP_1) | instskip(NEXT) | instid1(VALU_DEP_1)
	v_cvt_u32_f32_e32 v4, v4
	v_readfirstlane_b32 s14, v4
	s_wait_alu 0xfffe
	s_mul_i32 s15, s15, s14
	s_wait_alu 0xfffe
	s_mul_hi_u32 s15, s14, s15
	s_wait_alu 0xfffe
	s_add_co_i32 s14, s14, s15
	s_wait_alu 0xfffe
	s_mul_hi_u32 s14, s6, s14
	s_wait_alu 0xfffe
	s_mul_i32 s14, s14, s50
	s_wait_alu 0xfffe
	s_sub_co_i32 s14, s6, s14
	s_wait_alu 0xfffe
	s_sub_co_i32 s15, s14, s50
	s_cmp_ge_u32 s14, s50
	s_wait_alu 0xfffe
	s_cselect_b32 s14, s15, s14
	s_wait_alu 0xfffe
	s_sub_co_i32 s15, s14, s50
	s_cmp_ge_u32 s14, s50
	s_wait_alu 0xfffe
	s_cselect_b32 s52, s15, s14
	s_wait_alu 0xfffe
	s_mov_b64 s[14:15], s[52:53]
.LBB71_171:                             ;   in Loop: Header=BB71_32 Depth=1
	s_wait_alu 0xfffe
	s_sub_nc_u64 s[6:7], s[6:7], s[14:15]
	s_mov_b32 s14, exec_lo
                                        ; implicit-def: $vgpr54
	s_wait_alu 0xfffe
	v_cmpx_gt_i64_e64 s[6:7], v[0:1]
	s_cbranch_execz .LBB71_180
; %bb.172:                              ;   in Loop: Header=BB71_32 Depth=1
	v_dual_mov_b32 v10, v42 :: v_dual_mov_b32 v5, v1
	v_mov_b32_e32 v4, v0
	s_mov_b32 s15, 0
                                        ; implicit-def: $sgpr21
	s_branch .LBB71_175
.LBB71_173:                             ;   in Loop: Header=BB71_175 Depth=2
	s_wait_alu 0xfffe
	s_or_b32 exec_lo, exec_lo, s22
	s_wait_loadcnt_dscnt 0x0
	s_barrier_signal -1
	s_barrier_wait -1
	global_inv scope:SCOPE_SE
	ds_load_b32 v11, v3 offset:3072
	s_mov_b32 s22, -1
	s_mov_b32 s52, -1
	s_wait_loadcnt_dscnt 0x0
	s_barrier_signal -1
	s_barrier_wait -1
	global_inv scope:SCOPE_SE
	v_and_b32_e32 v29, 0x7fff, v11
	s_delay_alu instid0(VALU_DEP_1)
	v_cmp_eq_u32_e32 vcc_lo, 0, v29
	s_cbranch_vccnz .LBB71_178
.LBB71_174:                             ;   in Loop: Header=BB71_175 Depth=2
	s_wait_alu 0xfffe
	s_and_b32 s22, exec_lo, s22
	s_wait_alu 0xfffe
	s_or_b32 s15, s22, s15
	s_and_not1_b32 s21, s21, exec_lo
	s_and_b32 s22, s52, exec_lo
	s_wait_alu 0xfffe
	s_or_b32 s21, s21, s22
	s_and_not1_b32 exec_lo, exec_lo, s15
	s_cbranch_execz .LBB71_179
.LBB71_175:                             ;   Parent Loop BB71_32 Depth=1
                                        ; =>  This Inner Loop Header: Depth=2
	s_mov_b32 s22, exec_lo
	s_delay_alu instid0(VALU_DEP_1)
	v_cmpx_gt_u64_e64 s[12:13], v[4:5]
	s_cbranch_execz .LBB71_173
; %bb.176:                              ;   in Loop: Header=BB71_175 Depth=2
	ds_load_u16 v11, v10
	s_wait_dscnt 0x0
	v_cmp_lt_i16_e32 vcc_lo, -1, v11
	v_and_b32_e32 v29, 0xffff, v11
	s_wait_alu 0xfffd
	v_dual_cndmask_b32 v30, 0xffff, v52 :: v_dual_lshlrev_b32 v31, 16, v11
	s_delay_alu instid0(VALU_DEP_1) | instskip(NEXT) | instid1(VALU_DEP_2)
	v_cmp_o_f32_e32 vcc_lo, v31, v31
	v_xor_b32_e32 v29, v30, v29
	s_wait_alu 0xfffd
	s_delay_alu instid0(VALU_DEP_1) | instskip(NEXT) | instid1(VALU_DEP_1)
	v_cndmask_b32_e32 v29, 0xffff, v29, vcc_lo
	v_and_b32_e32 v29, v29, v53
	s_delay_alu instid0(VALU_DEP_1)
	v_cmp_eq_u32_e32 vcc_lo, v29, v47
	s_and_b32 exec_lo, exec_lo, vcc_lo
	s_cbranch_execz .LBB71_173
; %bb.177:                              ;   in Loop: Header=BB71_175 Depth=2
	v_perm_b32 v11, v11, s95, 0x5040100
	ds_store_b32 v3, v11 offset:3072
	s_branch .LBB71_173
.LBB71_178:                             ;   in Loop: Header=BB71_175 Depth=2
	v_add_co_u32 v4, vcc_lo, v4, s50
	s_wait_alu 0xfffd
	v_add_co_ci_u32_e64 v5, null, 0, v5, vcc_lo
	v_add_nc_u32_e32 v10, s94, v10
	s_mov_b32 s52, 0
	s_delay_alu instid0(VALU_DEP_2)
	v_cmp_le_i64_e32 vcc_lo, s[6:7], v[4:5]
	s_or_not1_b32 s22, vcc_lo, exec_lo
	s_branch .LBB71_174
.LBB71_179:                             ;   in Loop: Header=BB71_32 Depth=1
	s_or_b32 exec_lo, exec_lo, s15
	v_lshrrev_b32_e32 v54, 16, v11
	s_and_not1_b32 s6, s25, exec_lo
	s_wait_alu 0xfffe
	s_and_b32 s7, s21, exec_lo
	s_wait_alu 0xfffe
	s_or_b32 s25, s6, s7
.LBB71_180:                             ;   in Loop: Header=BB71_32 Depth=1
	s_or_b32 exec_lo, exec_lo, s14
	s_mov_b32 s21, 0
	s_mov_b32 s22, -1
.LBB71_181:                             ;   in Loop: Header=BB71_32 Depth=1
	s_wait_alu 0xfffe
	s_or_not1_b32 s6, s25, exec_lo
.LBB71_182:                             ;   in Loop: Header=BB71_32 Depth=1
	s_wait_alu 0xfffe
	s_or_b32 exec_lo, exec_lo, s23
	s_mov_b32 s7, 0
	s_and_saveexec_b32 s23, s6
	s_cbranch_execz .LBB71_288
; %bb.183:                              ;   in Loop: Header=BB71_32 Depth=1
	v_mov_b32_e32 v4, 1
	v_dual_mov_b32 v5, 0 :: v_dual_mov_b32 v2, 1
	s_xor_b32 s12, s24, -1
	s_wait_alu 0xfffe
	s_and_saveexec_b32 s6, s12
	s_cbranch_execz .LBB71_193
; %bb.184:                              ;   in Loop: Header=BB71_32 Depth=1
	s_mov_b32 s7, exec_lo
	v_cmpx_le_i64_e64 v[8:9], v[6:7]
	s_wait_alu 0xfffe
	s_xor_b32 s7, exec_lo, s7
	s_cbranch_execz .LBB71_190
; %bb.185:                              ;   in Loop: Header=BB71_32 Depth=1
	ds_load_b64 v[4:5], v3 offset:5120
	s_lshl_b32 s12, 1, s96
	v_or_b32_e32 v53, s16, v53
	s_wait_alu 0xfffe
	v_and_or_b32 v47, v47, s20, s12
	s_wait_dscnt 0x0
	v_cmp_ne_u64_e32 vcc_lo, 0, v[4:5]
	s_cbranch_vccnz .LBB71_189
; %bb.186:                              ;   in Loop: Header=BB71_32 Depth=1
	s_and_saveexec_b32 s12, s2
; %bb.187:                              ;   in Loop: Header=BB71_32 Depth=1
	ds_store_b64 v3, v[6:7] offset:5128
; %bb.188:                              ;   in Loop: Header=BB71_32 Depth=1
	s_wait_alu 0xfffe
	s_or_b32 exec_lo, exec_lo, s12
	s_wait_loadcnt_dscnt 0x0
	s_barrier_signal -1
	s_barrier_wait -1
	global_inv scope:SCOPE_SE
.LBB71_189:                             ;   in Loop: Header=BB71_32 Depth=1
                                        ; implicit-def: $vgpr4_vgpr5_vgpr6_vgpr7
.LBB71_190:                             ;   in Loop: Header=BB71_32 Depth=1
	s_wait_alu 0xfffe
	s_or_saveexec_b32 s7, s7
	v_mov_b32_e32 v2, 8
	s_mov_b32 s12, 0
	s_wait_alu 0xfffe
	s_xor_b32 exec_lo, exec_lo, s7
; %bb.191:                              ;   in Loop: Header=BB71_32 Depth=1
	v_sub_co_u32 v8, vcc_lo, v8, v6
	s_wait_alu 0xfffd
	v_sub_co_ci_u32_e64 v9, null, v9, v7, vcc_lo
	v_mov_b32_e32 v2, 0
	s_mov_b32 s12, exec_lo
; %bb.192:                              ;   in Loop: Header=BB71_32 Depth=1
	s_or_b32 exec_lo, exec_lo, s7
	s_delay_alu instid0(VALU_DEP_2)
	v_dual_mov_b32 v4, v8 :: v_dual_mov_b32 v5, v9
	s_wait_alu 0xfffe
	s_and_b32 s7, s12, exec_lo
.LBB71_193:                             ;   in Loop: Header=BB71_32 Depth=1
	s_wait_alu 0xfffe
	s_or_b32 exec_lo, exec_lo, s6
	s_mov_b32 s6, -1
                                        ; implicit-def: $sgpr25
                                        ; implicit-def: $sgpr70
	s_and_saveexec_b32 s24, s7
	s_cbranch_execz .LBB71_287
; %bb.194:                              ;   in Loop: Header=BB71_32 Depth=1
	v_cmp_eq_u64_e32 vcc_lo, 1, v[4:5]
	s_cmp_eq_u64 s[10:11], 1
                                        ; implicit-def: $sgpr70
                                        ; implicit-def: $sgpr25
	s_cselect_b32 s6, -1, 0
	s_wait_alu 0xfffe
	s_and_b32 s71, s6, vcc_lo
	s_mov_b32 s6, -1
	s_wait_alu 0xfffe
	s_and_saveexec_b32 s72, s71
	s_cbranch_execz .LBB71_228
; %bb.195:                              ;   in Loop: Header=BB71_32 Depth=1
	ds_load_b64 v[6:7], v3 offset:5120
	s_wait_loadcnt_dscnt 0x0
	s_barrier_signal -1
	s_barrier_wait -1
	global_inv scope:SCOPE_SE
	v_readfirstlane_b32 s12, v6
	v_readfirstlane_b32 s13, v7
	s_and_saveexec_b32 s6, s3
; %bb.196:                              ;   in Loop: Header=BB71_32 Depth=1
	ds_store_b16 v43, v3
; %bb.197:                              ;   in Loop: Header=BB71_32 Depth=1
	s_wait_alu 0xfffe
	s_or_b32 exec_lo, exec_lo, s6
	s_lshl_b32 s6, 2, s96
	v_or_b32_e32 v53, s16, v53
	s_wait_alu 0xfffe
	v_and_or_b32 v47, v47, s20, s6
	v_cmp_gt_i64_e64 s6, s[12:13], 0
	s_mov_b32 s25, -1
	s_mov_b32 s70, 0
	s_mov_b32 s73, 0
	s_mov_b32 s7, -1
	s_wait_loadcnt_dscnt 0x0
	s_and_b32 vcc_lo, exec_lo, s6
	s_barrier_signal -1
	s_barrier_wait -1
	global_inv scope:SCOPE_SE
                                        ; implicit-def: $vgpr54
	s_wait_alu 0xfffe
	s_cbranch_vccnz .LBB71_213
; %bb.198:                              ;   in Loop: Header=BB71_32 Depth=1
	s_mov_b32 s6, s53
	s_mov_b32 s7, s63
	s_wait_alu 0xfffe
	s_cmp_lg_u64 s[6:7], 0
	s_cbranch_scc0 .LBB71_254
; %bb.199:                              ;   in Loop: Header=BB71_32 Depth=1
	s_add_nc_u64 s[6:7], s[50:51], 0
	s_wait_alu 0xfffe
	s_xor_b64 s[6:7], s[6:7], 0
	s_wait_alu 0xfffe
	s_cvt_f32_u32 s14, s6
	s_cvt_f32_u32 s15, s7
	s_sub_nc_u64 s[74:75], 0, s[6:7]
	s_wait_alu 0xfffe
	s_delay_alu instid0(SALU_CYCLE_1) | instskip(SKIP_1) | instid1(SALU_CYCLE_2)
	s_fmamk_f32 s14, s15, 0x4f800000, s14
	s_wait_alu 0xfffe
	v_s_rcp_f32 s14, s14
	s_delay_alu instid0(TRANS32_DEP_1) | instskip(SKIP_1) | instid1(SALU_CYCLE_2)
	s_mul_f32 s14, s14, 0x5f7ffffc
	s_wait_alu 0xfffe
	s_mul_f32 s15, s14, 0x2f800000
	s_wait_alu 0xfffe
	s_delay_alu instid0(SALU_CYCLE_2) | instskip(SKIP_1) | instid1(SALU_CYCLE_2)
	s_trunc_f32 s15, s15
	s_wait_alu 0xfffe
	s_fmamk_f32 s14, s15, 0xcf800000, s14
	s_cvt_u32_f32 s15, s15
	s_wait_alu 0xfffe
	s_delay_alu instid0(SALU_CYCLE_1) | instskip(SKIP_1) | instid1(SALU_CYCLE_2)
	s_cvt_u32_f32 s14, s14
	s_wait_alu 0xfffe
	s_mul_u64 s[76:77], s[74:75], s[14:15]
	s_wait_alu 0xfffe
	s_mul_hi_u32 s79, s14, s77
	s_mul_i32 s78, s14, s77
	s_mul_hi_u32 s52, s14, s76
	s_mul_i32 s80, s15, s76
	s_wait_alu 0xfffe
	s_add_nc_u64 s[78:79], s[52:53], s[78:79]
	s_mul_hi_u32 s73, s15, s76
	s_mul_hi_u32 s81, s15, s77
	s_wait_alu 0xfffe
	s_add_co_u32 s52, s78, s80
	s_add_co_ci_u32 s52, s79, s73
	s_mul_i32 s76, s15, s77
	s_add_co_ci_u32 s77, s81, 0
	s_wait_alu 0xfffe
	s_add_nc_u64 s[76:77], s[52:53], s[76:77]
	s_wait_alu 0xfffe
	s_add_co_u32 s14, s14, s76
	s_cselect_b32 s52, -1, 0
	s_wait_alu 0xfffe
	s_cmp_lg_u32 s52, 0
	s_add_co_ci_u32 s15, s15, s77
	s_wait_alu 0xfffe
	s_mul_u64 s[74:75], s[74:75], s[14:15]
	s_wait_alu 0xfffe
	s_mul_hi_u32 s77, s14, s75
	s_mul_i32 s76, s14, s75
	s_mul_hi_u32 s52, s14, s74
	s_mul_i32 s78, s15, s74
	s_wait_alu 0xfffe
	s_add_nc_u64 s[76:77], s[52:53], s[76:77]
	s_mul_hi_u32 s73, s15, s74
	s_mul_hi_u32 s79, s15, s75
	s_wait_alu 0xfffe
	s_add_co_u32 s52, s76, s78
	s_add_co_ci_u32 s52, s77, s73
	s_mul_i32 s74, s15, s75
	s_add_co_ci_u32 s75, s79, 0
	s_wait_alu 0xfffe
	s_add_nc_u64 s[74:75], s[52:53], s[74:75]
	s_wait_alu 0xfffe
	s_add_co_u32 s73, s14, s74
	s_cselect_b32 s14, -1, 0
	s_wait_alu 0xfffe
	s_cmp_lg_u32 s14, 0
	s_add_co_ci_u32 s78, s15, s75
	s_ashr_i32 s14, s63, 31
	s_wait_alu 0xfffe
	s_mov_b32 s15, s14
	s_wait_alu 0xfffe
	s_add_nc_u64 s[74:75], s[62:63], s[14:15]
	s_wait_alu 0xfffe
	s_xor_b64 s[74:75], s[74:75], s[14:15]
	s_wait_alu 0xfffe
	s_mul_hi_u32 s77, s74, s78
	s_mul_i32 s76, s74, s78
	s_mul_hi_u32 s52, s74, s73
	s_mul_hi_u32 s80, s75, s73
	s_mul_i32 s73, s75, s73
	s_wait_alu 0xfffe
	s_add_nc_u64 s[76:77], s[52:53], s[76:77]
	s_mul_hi_u32 s79, s75, s78
	s_wait_alu 0xfffe
	s_add_co_u32 s52, s76, s73
	s_add_co_ci_u32 s52, s77, s80
	s_mul_i32 s78, s75, s78
	s_add_co_ci_u32 s79, s79, 0
	s_wait_alu 0xfffe
	s_add_nc_u64 s[76:77], s[52:53], s[78:79]
	s_wait_alu 0xfffe
	s_mul_u64 s[76:77], s[6:7], s[76:77]
	s_wait_alu 0xfffe
	s_sub_co_u32 s52, s74, s76
	s_cselect_b32 s73, -1, 0
	s_sub_co_i32 s74, s75, s77
	s_wait_alu 0xfffe
	s_cmp_lg_u32 s73, 0
	s_sub_co_ci_u32 s74, s74, s7
	s_sub_co_u32 s76, s52, s6
	s_cselect_b32 s78, -1, 0
	s_wait_alu 0xfffe
	s_cmp_lg_u32 s78, 0
	s_sub_co_ci_u32 s79, s74, 0
	s_wait_alu 0xfffe
	s_cmp_ge_u32 s79, s7
	s_cselect_b32 s80, -1, 0
	s_cmp_ge_u32 s76, s6
	s_cselect_b32 s81, -1, 0
	s_cmp_eq_u32 s79, s7
	s_wait_alu 0xfffe
	s_cselect_b32 s80, s81, s80
	s_cmp_lg_u32 s78, 0
	s_sub_co_ci_u32 s74, s74, s7
	s_sub_co_u32 s78, s76, s6
	s_cselect_b32 s81, -1, 0
	s_wait_alu 0xfffe
	s_cmp_lg_u32 s81, 0
	s_sub_co_ci_u32 s74, s74, 0
	s_cmp_lg_u32 s80, 0
	s_cselect_b32 s76, s78, s76
	s_wait_alu 0xfffe
	s_cselect_b32 s74, s74, s79
	s_cmp_lg_u32 s73, 0
	s_sub_co_ci_u32 s73, s75, s77
	s_wait_alu 0xfffe
	s_cmp_ge_u32 s73, s7
	s_cselect_b32 s75, -1, 0
	s_cmp_ge_u32 s52, s6
	s_cselect_b32 s6, -1, 0
	s_cmp_eq_u32 s73, s7
	s_wait_alu 0xfffe
	s_cselect_b32 s6, s6, s75
	s_wait_alu 0xfffe
	s_cmp_lg_u32 s6, 0
	s_cselect_b32 s7, s74, s73
	s_cselect_b32 s6, s76, s52
	s_wait_alu 0xfffe
	s_xor_b64 s[6:7], s[6:7], s[14:15]
	s_wait_alu 0xfffe
	s_sub_nc_u64 s[6:7], s[6:7], s[14:15]
	s_cbranch_execnz .LBB71_201
.LBB71_200:                             ;   in Loop: Header=BB71_32 Depth=1
	v_cvt_f32_u32_e32 v6, s50
	s_sub_co_i32 s7, 0, s50
	s_delay_alu instid0(VALU_DEP_1) | instskip(NEXT) | instid1(TRANS32_DEP_1)
	v_rcp_iflag_f32_e32 v6, v6
	v_mul_f32_e32 v6, 0x4f7ffffe, v6
	s_delay_alu instid0(VALU_DEP_1) | instskip(NEXT) | instid1(VALU_DEP_1)
	v_cvt_u32_f32_e32 v6, v6
	v_readfirstlane_b32 s6, v6
	s_wait_alu 0xfffe
	s_mul_i32 s7, s7, s6
	s_wait_alu 0xfffe
	s_mul_hi_u32 s7, s6, s7
	s_wait_alu 0xfffe
	s_add_co_i32 s6, s6, s7
	s_wait_alu 0xfffe
	s_mul_hi_u32 s6, s62, s6
	s_wait_alu 0xfffe
	s_mul_i32 s6, s6, s50
	s_wait_alu 0xfffe
	s_sub_co_i32 s6, s62, s6
	s_wait_alu 0xfffe
	s_sub_co_i32 s7, s6, s50
	s_cmp_ge_u32 s6, s50
	s_wait_alu 0xfffe
	s_cselect_b32 s6, s7, s6
	s_wait_alu 0xfffe
	s_sub_co_i32 s7, s6, s50
	s_cmp_ge_u32 s6, s50
	s_wait_alu 0xfffe
	s_cselect_b32 s52, s7, s6
	s_wait_alu 0xfffe
	s_mov_b64 s[6:7], s[52:53]
.LBB71_201:                             ;   in Loop: Header=BB71_32 Depth=1
	s_wait_alu 0xfffe
	s_sub_nc_u64 s[14:15], s[62:63], s[6:7]
	s_mov_b32 s7, 0
	s_mov_b32 s73, 0
	s_mov_b32 s52, exec_lo
                                        ; implicit-def: $vgpr54
	s_wait_alu 0xfffe
	v_cmpx_gt_i64_e64 s[14:15], v[0:1]
	s_cbranch_execz .LBB71_212
; %bb.202:                              ;   in Loop: Header=BB71_32 Depth=1
	v_dual_mov_b32 v6, v12 :: v_dual_mov_b32 v7, v13
	v_dual_mov_b32 v9, v1 :: v_dual_mov_b32 v8, v0
                                        ; implicit-def: $sgpr74
	s_branch .LBB71_205
.LBB71_203:                             ;   in Loop: Header=BB71_205 Depth=2
	s_wait_alu 0xfffe
	s_or_b32 exec_lo, exec_lo, s6
	s_wait_loadcnt_dscnt 0x0
	s_barrier_signal -1
	s_barrier_wait -1
	global_inv scope:SCOPE_SE
	ds_load_b32 v10, v3 offset:3072
	s_mov_b32 s6, -1
	s_mov_b32 s75, -1
	s_wait_loadcnt_dscnt 0x0
	s_barrier_signal -1
	s_barrier_wait -1
	global_inv scope:SCOPE_SE
	v_and_b32_e32 v11, 0x7fff, v10
	s_delay_alu instid0(VALU_DEP_1)
	v_cmp_ne_u32_e32 vcc_lo, 0, v11
	s_cbranch_vccz .LBB71_208
.LBB71_204:                             ;   in Loop: Header=BB71_205 Depth=2
	s_wait_alu 0xfffe
	s_and_b32 s6, exec_lo, s6
	s_wait_alu 0xfffe
	s_or_b32 s73, s6, s73
	s_and_not1_b32 s6, s74, exec_lo
	s_and_b32 s74, s75, exec_lo
	s_wait_alu 0xfffe
	s_or_b32 s74, s6, s74
	s_and_not1_b32 exec_lo, exec_lo, s73
	s_cbranch_execz .LBB71_211
.LBB71_205:                             ;   Parent Loop BB71_32 Depth=1
                                        ; =>  This Inner Loop Header: Depth=2
	s_mov_b32 s6, exec_lo
	s_delay_alu instid0(VALU_DEP_1)
	v_cmpx_gt_i64_e64 s[36:37], v[8:9]
	s_cbranch_execz .LBB71_203
; %bb.206:                              ;   in Loop: Header=BB71_205 Depth=2
	global_load_u16 v10, v[6:7], off
	s_wait_loadcnt 0x0
	v_cmp_lt_i16_e32 vcc_lo, -1, v10
	v_and_b32_e32 v11, 0xffff, v10
	s_wait_alu 0xfffd
	v_dual_cndmask_b32 v29, 0xffff, v52 :: v_dual_lshlrev_b32 v30, 16, v10
	s_delay_alu instid0(VALU_DEP_1) | instskip(NEXT) | instid1(VALU_DEP_2)
	v_cmp_o_f32_e32 vcc_lo, v30, v30
	v_xor_b32_e32 v11, v29, v11
	s_wait_alu 0xfffd
	s_delay_alu instid0(VALU_DEP_1) | instskip(NEXT) | instid1(VALU_DEP_1)
	v_cndmask_b32_e32 v11, 0xffff, v11, vcc_lo
	v_and_b32_e32 v11, v11, v53
	s_delay_alu instid0(VALU_DEP_1)
	v_cmp_eq_u32_e32 vcc_lo, v11, v47
	s_and_b32 exec_lo, exec_lo, vcc_lo
	s_cbranch_execz .LBB71_203
; %bb.207:                              ;   in Loop: Header=BB71_205 Depth=2
	v_perm_b32 v10, v10, s95, 0x5040100
	ds_store_b32 v3, v10 offset:3072
	s_branch .LBB71_203
.LBB71_208:                             ;   in Loop: Header=BB71_205 Depth=2
	v_add_co_u32 v8, vcc_lo, v8, s50
	s_wait_alu 0xfffd
	v_add_co_ci_u32_e64 v9, null, 0, v9, vcc_lo
	v_add_co_u32 v6, s6, v6, s54
	s_wait_alu 0xf1fe
	v_add_co_ci_u32_e64 v7, null, s55, v7, s6
	s_delay_alu instid0(VALU_DEP_3)
	v_cmp_le_i64_e32 vcc_lo, s[14:15], v[8:9]
	s_mov_b32 s75, 0
	s_or_not1_b32 s6, vcc_lo, exec_lo
	s_branch .LBB71_204
.LBB71_209:                             ;   in Loop: Header=BB71_32 Depth=1
                                        ; implicit-def: $sgpr6_sgpr7
	s_branch .LBB71_154
.LBB71_210:                             ;   in Loop: Header=BB71_32 Depth=1
                                        ; implicit-def: $sgpr14_sgpr15
	s_branch .LBB71_170
.LBB71_211:                             ;   in Loop: Header=BB71_32 Depth=1
	s_or_b32 exec_lo, exec_lo, s73
	v_lshrrev_b32_e32 v54, 16, v10
	s_wait_alu 0xfffe
	s_and_b32 s73, s74, exec_lo
.LBB71_212:                             ;   in Loop: Header=BB71_32 Depth=1
	s_or_b32 exec_lo, exec_lo, s52
.LBB71_213:                             ;   in Loop: Header=BB71_32 Depth=1
	s_delay_alu instid0(SALU_CYCLE_1)
	s_and_b32 vcc_lo, exec_lo, s7
	s_wait_alu 0xfffe
	s_cbranch_vccz .LBB71_227
; %bb.214:                              ;   in Loop: Header=BB71_32 Depth=1
	s_add_nc_u64 s[6:7], s[12:13], s[60:61]
	s_mov_b32 s14, s53
	s_wait_alu 0xfffe
	s_mov_b32 s15, s7
	s_wait_alu 0xfffe
	s_cmp_lg_u64 s[14:15], 0
	s_cbranch_scc0 .LBB71_255
; %bb.215:                              ;   in Loop: Header=BB71_32 Depth=1
	s_add_nc_u64 s[14:15], s[50:51], 0
	s_wait_alu 0xfffe
	s_xor_b64 s[14:15], s[14:15], 0
	s_wait_alu 0xfffe
	s_cvt_f32_u32 s25, s14
	s_cvt_f32_u32 s52, s15
	s_sub_nc_u64 s[76:77], 0, s[14:15]
	s_wait_alu 0xfffe
	s_delay_alu instid0(SALU_CYCLE_1) | instskip(SKIP_1) | instid1(SALU_CYCLE_2)
	s_fmamk_f32 s25, s52, 0x4f800000, s25
	s_wait_alu 0xfffe
	v_s_rcp_f32 s25, s25
	s_delay_alu instid0(TRANS32_DEP_1) | instskip(SKIP_1) | instid1(SALU_CYCLE_2)
	s_mul_f32 s25, s25, 0x5f7ffffc
	s_wait_alu 0xfffe
	s_mul_f32 s52, s25, 0x2f800000
	s_wait_alu 0xfffe
	s_delay_alu instid0(SALU_CYCLE_2) | instskip(SKIP_1) | instid1(SALU_CYCLE_2)
	s_trunc_f32 s52, s52
	s_wait_alu 0xfffe
	s_fmamk_f32 s25, s52, 0xcf800000, s25
	s_cvt_u32_f32 s75, s52
	s_wait_alu 0xfffe
	s_delay_alu instid0(SALU_CYCLE_1) | instskip(SKIP_1) | instid1(SALU_CYCLE_2)
	s_cvt_u32_f32 s74, s25
	s_wait_alu 0xfffe
	s_mul_u64 s[78:79], s[76:77], s[74:75]
	s_wait_alu 0xfffe
	s_mul_hi_u32 s81, s74, s79
	s_mul_i32 s80, s74, s79
	s_mul_hi_u32 s52, s74, s78
	s_mul_i32 s70, s75, s78
	s_wait_alu 0xfffe
	s_add_nc_u64 s[80:81], s[52:53], s[80:81]
	s_mul_hi_u32 s25, s75, s78
	s_mul_hi_u32 s82, s75, s79
	s_wait_alu 0xfffe
	s_add_co_u32 s52, s80, s70
	s_add_co_ci_u32 s52, s81, s25
	s_mul_i32 s78, s75, s79
	s_add_co_ci_u32 s79, s82, 0
	s_wait_alu 0xfffe
	s_add_nc_u64 s[78:79], s[52:53], s[78:79]
	s_wait_alu 0xfffe
	s_add_co_u32 s74, s74, s78
	s_cselect_b32 s25, -1, 0
	s_wait_alu 0xfffe
	s_cmp_lg_u32 s25, 0
	s_add_co_ci_u32 s75, s75, s79
	s_wait_alu 0xfffe
	s_mul_u64 s[76:77], s[76:77], s[74:75]
	s_wait_alu 0xfffe
	s_mul_hi_u32 s79, s74, s77
	s_mul_i32 s78, s74, s77
	s_mul_hi_u32 s52, s74, s76
	s_mul_i32 s70, s75, s76
	s_wait_alu 0xfffe
	s_add_nc_u64 s[78:79], s[52:53], s[78:79]
	s_mul_hi_u32 s25, s75, s76
	s_mul_hi_u32 s80, s75, s77
	s_wait_alu 0xfffe
	s_add_co_u32 s52, s78, s70
	s_add_co_ci_u32 s52, s79, s25
	s_mul_i32 s76, s75, s77
	s_add_co_ci_u32 s77, s80, 0
	s_wait_alu 0xfffe
	s_add_nc_u64 s[76:77], s[52:53], s[76:77]
	s_wait_alu 0xfffe
	s_add_co_u32 s25, s74, s76
	s_cselect_b32 s52, -1, 0
	s_wait_alu 0xfffe
	s_cmp_lg_u32 s52, 0
	s_add_co_ci_u32 s70, s75, s77
	s_ashr_i32 s74, s7, 31
	s_wait_alu 0xfffe
	s_mov_b32 s75, s74
	s_wait_alu 0xfffe
	s_add_nc_u64 s[76:77], s[6:7], s[74:75]
	s_wait_alu 0xfffe
	s_xor_b64 s[76:77], s[76:77], s[74:75]
	s_wait_alu 0xfffe
	s_mul_hi_u32 s79, s76, s70
	s_mul_i32 s78, s76, s70
	s_mul_hi_u32 s52, s76, s25
	s_mul_hi_u32 s82, s77, s25
	s_mul_i32 s25, s77, s25
	s_wait_alu 0xfffe
	s_add_nc_u64 s[78:79], s[52:53], s[78:79]
	s_mul_hi_u32 s81, s77, s70
	s_wait_alu 0xfffe
	s_add_co_u32 s25, s78, s25
	s_add_co_ci_u32 s52, s79, s82
	s_mul_i32 s80, s77, s70
	s_add_co_ci_u32 s81, s81, 0
	s_wait_alu 0xfffe
	s_add_nc_u64 s[78:79], s[52:53], s[80:81]
	s_wait_alu 0xfffe
	s_mul_u64 s[78:79], s[14:15], s[78:79]
	s_wait_alu 0xfffe
	s_sub_co_u32 s25, s76, s78
	s_cselect_b32 s52, -1, 0
	s_sub_co_i32 s70, s77, s79
	s_wait_alu 0xfffe
	s_cmp_lg_u32 s52, 0
	s_sub_co_ci_u32 s70, s70, s15
	s_sub_co_u32 s76, s25, s14
	s_cselect_b32 s78, -1, 0
	s_wait_alu 0xfffe
	s_cmp_lg_u32 s78, 0
	s_sub_co_ci_u32 s80, s70, 0
	s_wait_alu 0xfffe
	s_cmp_ge_u32 s80, s15
	s_cselect_b32 s81, -1, 0
	s_cmp_ge_u32 s76, s14
	s_cselect_b32 s82, -1, 0
	s_cmp_eq_u32 s80, s15
	s_wait_alu 0xfffe
	s_cselect_b32 s81, s82, s81
	s_cmp_lg_u32 s78, 0
	s_sub_co_ci_u32 s70, s70, s15
	s_sub_co_u32 s78, s76, s14
	s_cselect_b32 s82, -1, 0
	s_wait_alu 0xfffe
	s_cmp_lg_u32 s82, 0
	s_sub_co_ci_u32 s70, s70, 0
	s_cmp_lg_u32 s81, 0
	s_cselect_b32 s76, s78, s76
	s_wait_alu 0xfffe
	s_cselect_b32 s70, s70, s80
	s_cmp_lg_u32 s52, 0
	s_sub_co_ci_u32 s52, s77, s79
	s_wait_alu 0xfffe
	s_cmp_ge_u32 s52, s15
	s_cselect_b32 s77, -1, 0
	s_cmp_ge_u32 s25, s14
	s_cselect_b32 s14, -1, 0
	s_cmp_eq_u32 s52, s15
	s_wait_alu 0xfffe
	s_cselect_b32 s14, s14, s77
	s_wait_alu 0xfffe
	s_cmp_lg_u32 s14, 0
	s_cselect_b32 s15, s70, s52
	s_cselect_b32 s14, s76, s25
	s_wait_alu 0xfffe
	s_xor_b64 s[14:15], s[14:15], s[74:75]
	s_wait_alu 0xfffe
	s_sub_nc_u64 s[14:15], s[14:15], s[74:75]
	s_cbranch_execnz .LBB71_217
.LBB71_216:                             ;   in Loop: Header=BB71_32 Depth=1
	v_cvt_f32_u32_e32 v6, s50
	s_sub_co_i32 s15, 0, s50
	s_delay_alu instid0(VALU_DEP_1) | instskip(NEXT) | instid1(TRANS32_DEP_1)
	v_rcp_iflag_f32_e32 v6, v6
	v_mul_f32_e32 v6, 0x4f7ffffe, v6
	s_delay_alu instid0(VALU_DEP_1) | instskip(NEXT) | instid1(VALU_DEP_1)
	v_cvt_u32_f32_e32 v6, v6
	v_readfirstlane_b32 s14, v6
	s_wait_alu 0xfffe
	s_mul_i32 s15, s15, s14
	s_wait_alu 0xfffe
	s_mul_hi_u32 s15, s14, s15
	s_wait_alu 0xfffe
	s_add_co_i32 s14, s14, s15
	s_wait_alu 0xfffe
	s_mul_hi_u32 s14, s6, s14
	s_wait_alu 0xfffe
	s_mul_i32 s14, s14, s50
	s_wait_alu 0xfffe
	s_sub_co_i32 s14, s6, s14
	s_wait_alu 0xfffe
	s_sub_co_i32 s15, s14, s50
	s_cmp_ge_u32 s14, s50
	s_wait_alu 0xfffe
	s_cselect_b32 s14, s15, s14
	s_wait_alu 0xfffe
	s_sub_co_i32 s15, s14, s50
	s_cmp_ge_u32 s14, s50
	s_wait_alu 0xfffe
	s_cselect_b32 s52, s15, s14
	s_wait_alu 0xfffe
	s_mov_b64 s[14:15], s[52:53]
.LBB71_217:                             ;   in Loop: Header=BB71_32 Depth=1
	s_wait_alu 0xfffe
	s_sub_nc_u64 s[6:7], s[6:7], s[14:15]
	s_mov_b32 s14, exec_lo
                                        ; implicit-def: $vgpr54
	s_wait_alu 0xfffe
	v_cmpx_gt_i64_e64 s[6:7], v[0:1]
	s_cbranch_execz .LBB71_226
; %bb.218:                              ;   in Loop: Header=BB71_32 Depth=1
	v_dual_mov_b32 v8, v42 :: v_dual_mov_b32 v7, v1
	v_mov_b32_e32 v6, v0
	s_mov_b32 s15, 0
                                        ; implicit-def: $sgpr25
	s_branch .LBB71_221
.LBB71_219:                             ;   in Loop: Header=BB71_221 Depth=2
	s_wait_alu 0xfffe
	s_or_b32 exec_lo, exec_lo, s52
	s_wait_loadcnt_dscnt 0x0
	s_barrier_signal -1
	s_barrier_wait -1
	global_inv scope:SCOPE_SE
	ds_load_b32 v9, v3 offset:3072
	s_mov_b32 s52, -1
	s_mov_b32 s70, -1
	s_wait_loadcnt_dscnt 0x0
	s_barrier_signal -1
	s_barrier_wait -1
	global_inv scope:SCOPE_SE
	v_and_b32_e32 v10, 0x7fff, v9
	s_delay_alu instid0(VALU_DEP_1)
	v_cmp_eq_u32_e32 vcc_lo, 0, v10
	s_cbranch_vccnz .LBB71_224
.LBB71_220:                             ;   in Loop: Header=BB71_221 Depth=2
	s_wait_alu 0xfffe
	s_and_b32 s52, exec_lo, s52
	s_wait_alu 0xfffe
	s_or_b32 s15, s52, s15
	s_and_not1_b32 s25, s25, exec_lo
	s_and_b32 s52, s70, exec_lo
	s_wait_alu 0xfffe
	s_or_b32 s25, s25, s52
	s_and_not1_b32 exec_lo, exec_lo, s15
	s_cbranch_execz .LBB71_225
.LBB71_221:                             ;   Parent Loop BB71_32 Depth=1
                                        ; =>  This Inner Loop Header: Depth=2
	s_mov_b32 s52, exec_lo
	s_delay_alu instid0(VALU_DEP_1)
	v_cmpx_gt_u64_e64 s[12:13], v[6:7]
	s_cbranch_execz .LBB71_219
; %bb.222:                              ;   in Loop: Header=BB71_221 Depth=2
	ds_load_u16 v9, v8
	s_wait_dscnt 0x0
	v_cmp_lt_i16_e32 vcc_lo, -1, v9
	s_wait_alu 0xfffd
	v_dual_cndmask_b32 v11, 0xffff, v52 :: v_dual_and_b32 v10, 0xffff, v9
	s_delay_alu instid0(VALU_DEP_1) | instskip(SKIP_1) | instid1(VALU_DEP_1)
	v_xor_b32_e32 v10, v11, v10
	v_lshlrev_b32_e32 v29, 16, v9
	v_cmp_o_f32_e32 vcc_lo, v29, v29
	s_wait_alu 0xfffd
	s_delay_alu instid0(VALU_DEP_3) | instskip(NEXT) | instid1(VALU_DEP_1)
	v_cndmask_b32_e32 v10, 0xffff, v10, vcc_lo
	v_and_b32_e32 v10, v10, v53
	s_delay_alu instid0(VALU_DEP_1)
	v_cmp_eq_u32_e32 vcc_lo, v10, v47
	s_and_b32 exec_lo, exec_lo, vcc_lo
	s_cbranch_execz .LBB71_219
; %bb.223:                              ;   in Loop: Header=BB71_221 Depth=2
	v_perm_b32 v9, v9, s95, 0x5040100
	ds_store_b32 v3, v9 offset:3072
	s_branch .LBB71_219
.LBB71_224:                             ;   in Loop: Header=BB71_221 Depth=2
	v_add_co_u32 v6, vcc_lo, v6, s50
	s_wait_alu 0xfffd
	v_add_co_ci_u32_e64 v7, null, 0, v7, vcc_lo
	v_add_nc_u32_e32 v8, s94, v8
	s_mov_b32 s70, 0
	s_delay_alu instid0(VALU_DEP_2)
	v_cmp_le_i64_e32 vcc_lo, s[6:7], v[6:7]
	s_or_not1_b32 s52, vcc_lo, exec_lo
	s_branch .LBB71_220
.LBB71_225:                             ;   in Loop: Header=BB71_32 Depth=1
	s_or_b32 exec_lo, exec_lo, s15
	v_lshrrev_b32_e32 v54, 16, v9
	s_and_not1_b32 s6, s73, exec_lo
	s_wait_alu 0xfffe
	s_and_b32 s7, s25, exec_lo
	s_wait_alu 0xfffe
	s_or_b32 s73, s6, s7
.LBB71_226:                             ;   in Loop: Header=BB71_32 Depth=1
	s_or_b32 exec_lo, exec_lo, s14
	s_mov_b32 s25, 0
	s_mov_b32 s70, -1
.LBB71_227:                             ;   in Loop: Header=BB71_32 Depth=1
	s_wait_alu 0xfffe
	s_or_not1_b32 s6, s73, exec_lo
.LBB71_228:                             ;   in Loop: Header=BB71_32 Depth=1
	s_wait_alu 0xfffe
	s_or_b32 exec_lo, exec_lo, s72
	s_mov_b32 s7, 0
	s_and_saveexec_b32 s14, s6
	s_cbranch_execz .LBB71_286
; %bb.229:                              ;   in Loop: Header=BB71_32 Depth=1
	v_mov_b32_e32 v6, 1
	v_dual_mov_b32 v7, 0 :: v_dual_mov_b32 v2, 1
	s_xor_b32 s12, s71, -1
	s_wait_alu 0xfffe
	s_and_saveexec_b32 s6, s12
	s_cbranch_execz .LBB71_238
; %bb.230:                              ;   in Loop: Header=BB71_32 Depth=1
	s_mov_b32 s7, exec_lo
	v_cmpx_ge_i64_e64 s[10:11], v[4:5]
	s_wait_alu 0xfffe
	s_xor_b32 s7, exec_lo, s7
	s_cbranch_execz .LBB71_235
; %bb.231:                              ;   in Loop: Header=BB71_32 Depth=1
	ds_load_b64 v[6:7], v3 offset:5120
	s_lshl_b32 s12, 2, s96
	v_or_b32_e32 v53, s16, v53
	s_wait_alu 0xfffe
	v_and_or_b32 v47, v47, s20, s12
	s_wait_dscnt 0x0
	v_cmp_ne_u64_e32 vcc_lo, 0, v[6:7]
	s_cbranch_vccnz .LBB71_235
; %bb.232:                              ;   in Loop: Header=BB71_32 Depth=1
	s_and_saveexec_b32 s12, s2
; %bb.233:                              ;   in Loop: Header=BB71_32 Depth=1
	v_dual_mov_b32 v6, s10 :: v_dual_mov_b32 v7, s11
	ds_store_b64 v3, v[6:7] offset:5128
; %bb.234:                              ;   in Loop: Header=BB71_32 Depth=1
	s_wait_alu 0xfffe
	s_or_b32 exec_lo, exec_lo, s12
	s_wait_loadcnt_dscnt 0x0
	s_barrier_signal -1
	s_barrier_wait -1
	global_inv scope:SCOPE_SE
.LBB71_235:                             ;   in Loop: Header=BB71_32 Depth=1
	s_wait_alu 0xfffe
	s_or_saveexec_b32 s7, s7
	v_mov_b32_e32 v2, 8
	s_mov_b32 s12, 0
	s_wait_alu 0xfffe
	s_xor_b32 exec_lo, exec_lo, s7
; %bb.236:                              ;   in Loop: Header=BB71_32 Depth=1
	v_sub_co_u32 v4, vcc_lo, v4, s10
	s_wait_alu 0xfffd
	v_subrev_co_ci_u32_e64 v5, null, s11, v5, vcc_lo
	v_mov_b32_e32 v2, 0
	s_mov_b32 s12, exec_lo
; %bb.237:                              ;   in Loop: Header=BB71_32 Depth=1
	s_or_b32 exec_lo, exec_lo, s7
	s_delay_alu instid0(VALU_DEP_2)
	v_dual_mov_b32 v7, v5 :: v_dual_mov_b32 v6, v4
	s_wait_alu 0xfffe
	s_and_b32 s7, s12, exec_lo
.LBB71_238:                             ;   in Loop: Header=BB71_32 Depth=1
	s_wait_alu 0xfffe
	s_or_b32 exec_lo, exec_lo, s6
	s_mov_b32 s6, -1
                                        ; implicit-def: $sgpr73
                                        ; implicit-def: $sgpr72
	s_and_saveexec_b32 s15, s7
	s_cbranch_execz .LBB71_285
; %bb.239:                              ;   in Loop: Header=BB71_32 Depth=1
	v_cmp_eq_u64_e32 vcc_lo, 1, v[6:7]
	s_cmp_eq_u64 s[8:9], 1
	s_mov_b32 s7, -1
	s_cselect_b32 s6, -1, 0
                                        ; implicit-def: $sgpr73
                                        ; implicit-def: $sgpr72
	s_wait_alu 0xfffe
	s_and_b32 s20, s6, vcc_lo
	s_wait_alu 0xfffe
	s_and_saveexec_b32 s71, s20
	s_cbranch_execz .LBB71_273
; %bb.240:                              ;   in Loop: Header=BB71_32 Depth=1
	ds_load_b64 v[4:5], v3 offset:5120
	s_wait_loadcnt_dscnt 0x0
	s_barrier_signal -1
	s_barrier_wait -1
	global_inv scope:SCOPE_SE
	v_readfirstlane_b32 s10, v4
	v_readfirstlane_b32 s11, v5
	s_and_saveexec_b32 s6, s3
; %bb.241:                              ;   in Loop: Header=BB71_32 Depth=1
	ds_store_b16 v43, v3
; %bb.242:                              ;   in Loop: Header=BB71_32 Depth=1
	s_wait_alu 0xfffe
	s_or_b32 exec_lo, exec_lo, s6
	v_cmp_gt_i64_e64 s6, s[10:11], 0
	v_or_b32_e32 v47, s16, v47
	v_or_b32_e32 v53, s16, v53
	s_mov_b32 s72, -1
	s_mov_b32 s73, 0
	s_mov_b32 s74, 0
	s_and_b32 vcc_lo, exec_lo, s6
	s_wait_loadcnt_dscnt 0x0
	s_barrier_signal -1
	s_barrier_wait -1
	global_inv scope:SCOPE_SE
                                        ; implicit-def: $vgpr54
	s_wait_alu 0xfffe
	s_cbranch_vccnz .LBB71_258
; %bb.243:                              ;   in Loop: Header=BB71_32 Depth=1
	s_mov_b32 s6, s53
	s_mov_b32 s7, s63
	s_wait_alu 0xfffe
	s_cmp_lg_u64 s[6:7], 0
	s_cbranch_scc0 .LBB71_292
; %bb.244:                              ;   in Loop: Header=BB71_32 Depth=1
	s_add_nc_u64 s[6:7], s[50:51], 0
	s_wait_alu 0xfffe
	s_xor_b64 s[6:7], s[6:7], 0
	s_wait_alu 0xfffe
	s_cvt_f32_u32 s12, s6
	s_cvt_f32_u32 s13, s7
	s_sub_nc_u64 s[74:75], 0, s[6:7]
	s_wait_alu 0xfffe
	s_delay_alu instid0(SALU_CYCLE_1) | instskip(SKIP_1) | instid1(SALU_CYCLE_2)
	s_fmamk_f32 s12, s13, 0x4f800000, s12
	s_wait_alu 0xfffe
	v_s_rcp_f32 s12, s12
	s_delay_alu instid0(TRANS32_DEP_1) | instskip(SKIP_1) | instid1(SALU_CYCLE_2)
	s_mul_f32 s12, s12, 0x5f7ffffc
	s_wait_alu 0xfffe
	s_mul_f32 s13, s12, 0x2f800000
	s_wait_alu 0xfffe
	s_delay_alu instid0(SALU_CYCLE_2) | instskip(SKIP_1) | instid1(SALU_CYCLE_2)
	s_trunc_f32 s13, s13
	s_wait_alu 0xfffe
	s_fmamk_f32 s12, s13, 0xcf800000, s12
	s_cvt_u32_f32 s13, s13
	s_wait_alu 0xfffe
	s_delay_alu instid0(SALU_CYCLE_1) | instskip(SKIP_1) | instid1(SALU_CYCLE_2)
	s_cvt_u32_f32 s12, s12
	s_wait_alu 0xfffe
	s_mul_u64 s[76:77], s[74:75], s[12:13]
	s_wait_alu 0xfffe
	s_mul_hi_u32 s79, s12, s77
	s_mul_i32 s78, s12, s77
	s_mul_hi_u32 s52, s12, s76
	s_mul_i32 s81, s13, s76
	s_wait_alu 0xfffe
	s_add_nc_u64 s[78:79], s[52:53], s[78:79]
	s_mul_hi_u32 s80, s13, s76
	s_mul_hi_u32 s82, s13, s77
	s_wait_alu 0xfffe
	s_add_co_u32 s52, s78, s81
	s_add_co_ci_u32 s52, s79, s80
	s_mul_i32 s76, s13, s77
	s_add_co_ci_u32 s77, s82, 0
	s_wait_alu 0xfffe
	s_add_nc_u64 s[76:77], s[52:53], s[76:77]
	s_wait_alu 0xfffe
	s_add_co_u32 s12, s12, s76
	s_cselect_b32 s52, -1, 0
	s_wait_alu 0xfffe
	s_cmp_lg_u32 s52, 0
	s_add_co_ci_u32 s13, s13, s77
	s_wait_alu 0xfffe
	s_mul_u64 s[74:75], s[74:75], s[12:13]
	s_wait_alu 0xfffe
	s_mul_hi_u32 s77, s12, s75
	s_mul_i32 s76, s12, s75
	s_mul_hi_u32 s52, s12, s74
	s_mul_i32 s79, s13, s74
	s_wait_alu 0xfffe
	s_add_nc_u64 s[76:77], s[52:53], s[76:77]
	s_mul_hi_u32 s78, s13, s74
	s_mul_hi_u32 s80, s13, s75
	s_wait_alu 0xfffe
	s_add_co_u32 s52, s76, s79
	s_add_co_ci_u32 s52, s77, s78
	s_mul_i32 s74, s13, s75
	s_add_co_ci_u32 s75, s80, 0
	s_wait_alu 0xfffe
	s_add_nc_u64 s[74:75], s[52:53], s[74:75]
	s_wait_alu 0xfffe
	s_add_co_u32 s78, s12, s74
	s_cselect_b32 s12, -1, 0
	s_wait_alu 0xfffe
	s_cmp_lg_u32 s12, 0
	s_add_co_ci_u32 s79, s13, s75
	s_ashr_i32 s12, s63, 31
	s_wait_alu 0xfffe
	s_mov_b32 s13, s12
	s_wait_alu 0xfffe
	s_add_nc_u64 s[74:75], s[62:63], s[12:13]
	s_wait_alu 0xfffe
	s_xor_b64 s[74:75], s[74:75], s[12:13]
	s_wait_alu 0xfffe
	s_mul_hi_u32 s77, s74, s79
	s_mul_i32 s76, s74, s79
	s_mul_hi_u32 s52, s74, s78
	s_mul_i32 s82, s75, s78
	s_wait_alu 0xfffe
	s_add_nc_u64 s[76:77], s[52:53], s[76:77]
	s_mul_hi_u32 s81, s75, s78
	s_mul_hi_u32 s80, s75, s79
	s_wait_alu 0xfffe
	s_add_co_u32 s52, s76, s82
	s_add_co_ci_u32 s52, s77, s81
	s_mul_i32 s78, s75, s79
	s_add_co_ci_u32 s79, s80, 0
	s_wait_alu 0xfffe
	s_add_nc_u64 s[76:77], s[52:53], s[78:79]
	s_wait_alu 0xfffe
	s_mul_u64 s[76:77], s[6:7], s[76:77]
	s_wait_alu 0xfffe
	s_sub_co_u32 s52, s74, s76
	s_cselect_b32 s74, -1, 0
	s_sub_co_i32 s76, s75, s77
	s_wait_alu 0xfffe
	s_cmp_lg_u32 s74, 0
	s_sub_co_ci_u32 s76, s76, s7
	s_sub_co_u32 s78, s52, s6
	s_cselect_b32 s79, -1, 0
	s_wait_alu 0xfffe
	s_cmp_lg_u32 s79, 0
	s_sub_co_ci_u32 s80, s76, 0
	s_wait_alu 0xfffe
	s_cmp_ge_u32 s80, s7
	s_cselect_b32 s81, -1, 0
	s_cmp_ge_u32 s78, s6
	s_cselect_b32 s82, -1, 0
	s_cmp_eq_u32 s80, s7
	s_wait_alu 0xfffe
	s_cselect_b32 s81, s82, s81
	s_cmp_lg_u32 s79, 0
	s_sub_co_ci_u32 s76, s76, s7
	s_sub_co_u32 s79, s78, s6
	s_cselect_b32 s82, -1, 0
	s_wait_alu 0xfffe
	s_cmp_lg_u32 s82, 0
	s_sub_co_ci_u32 s76, s76, 0
	s_cmp_lg_u32 s81, 0
	s_cselect_b32 s78, s79, s78
	s_wait_alu 0xfffe
	s_cselect_b32 s76, s76, s80
	s_cmp_lg_u32 s74, 0
	s_sub_co_ci_u32 s74, s75, s77
	s_wait_alu 0xfffe
	s_cmp_ge_u32 s74, s7
	s_cselect_b32 s75, -1, 0
	s_cmp_ge_u32 s52, s6
	s_cselect_b32 s6, -1, 0
	s_cmp_eq_u32 s74, s7
	s_wait_alu 0xfffe
	s_cselect_b32 s6, s6, s75
	s_wait_alu 0xfffe
	s_cmp_lg_u32 s6, 0
	s_cselect_b32 s7, s76, s74
	s_cselect_b32 s6, s78, s52
	s_wait_alu 0xfffe
	s_xor_b64 s[6:7], s[6:7], s[12:13]
	s_wait_alu 0xfffe
	s_sub_nc_u64 s[6:7], s[6:7], s[12:13]
	s_cbranch_execnz .LBB71_246
.LBB71_245:                             ;   in Loop: Header=BB71_32 Depth=1
	v_cvt_f32_u32_e32 v4, s50
	s_sub_co_i32 s7, 0, s50
	s_delay_alu instid0(VALU_DEP_1) | instskip(NEXT) | instid1(TRANS32_DEP_1)
	v_rcp_iflag_f32_e32 v4, v4
	v_mul_f32_e32 v4, 0x4f7ffffe, v4
	s_delay_alu instid0(VALU_DEP_1) | instskip(NEXT) | instid1(VALU_DEP_1)
	v_cvt_u32_f32_e32 v4, v4
	v_readfirstlane_b32 s6, v4
	s_wait_alu 0xfffe
	s_mul_i32 s7, s7, s6
	s_wait_alu 0xfffe
	s_mul_hi_u32 s7, s6, s7
	s_wait_alu 0xfffe
	s_add_co_i32 s6, s6, s7
	s_wait_alu 0xfffe
	s_mul_hi_u32 s6, s62, s6
	s_wait_alu 0xfffe
	s_mul_i32 s6, s6, s50
	s_wait_alu 0xfffe
	s_sub_co_i32 s6, s62, s6
	s_wait_alu 0xfffe
	s_sub_co_i32 s7, s6, s50
	s_cmp_ge_u32 s6, s50
	s_wait_alu 0xfffe
	s_cselect_b32 s6, s7, s6
	s_wait_alu 0xfffe
	s_sub_co_i32 s7, s6, s50
	s_cmp_ge_u32 s6, s50
	s_wait_alu 0xfffe
	s_cselect_b32 s52, s7, s6
	s_wait_alu 0xfffe
	s_mov_b64 s[6:7], s[52:53]
.LBB71_246:                             ;   in Loop: Header=BB71_32 Depth=1
	s_wait_alu 0xfffe
	s_sub_nc_u64 s[12:13], s[62:63], s[6:7]
	s_mov_b32 s7, 0
	s_mov_b32 s74, 0
	s_mov_b32 s52, exec_lo
                                        ; implicit-def: $vgpr54
	s_wait_alu 0xfffe
	v_cmpx_gt_i64_e64 s[12:13], v[0:1]
	s_cbranch_execz .LBB71_257
; %bb.247:                              ;   in Loop: Header=BB71_32 Depth=1
	v_dual_mov_b32 v4, v12 :: v_dual_mov_b32 v5, v13
	v_dual_mov_b32 v9, v1 :: v_dual_mov_b32 v8, v0
                                        ; implicit-def: $sgpr75
	s_branch .LBB71_250
.LBB71_248:                             ;   in Loop: Header=BB71_250 Depth=2
	s_wait_alu 0xfffe
	s_or_b32 exec_lo, exec_lo, s6
	s_wait_loadcnt_dscnt 0x0
	s_barrier_signal -1
	s_barrier_wait -1
	global_inv scope:SCOPE_SE
	ds_load_b32 v10, v3 offset:3072
	s_mov_b32 s6, -1
	s_mov_b32 s76, -1
	s_wait_loadcnt_dscnt 0x0
	s_barrier_signal -1
	s_barrier_wait -1
	global_inv scope:SCOPE_SE
	v_and_b32_e32 v11, 0x7fff, v10
	s_delay_alu instid0(VALU_DEP_1)
	v_cmp_ne_u32_e32 vcc_lo, 0, v11
	s_cbranch_vccz .LBB71_253
.LBB71_249:                             ;   in Loop: Header=BB71_250 Depth=2
	s_wait_alu 0xfffe
	s_and_b32 s6, exec_lo, s6
	s_wait_alu 0xfffe
	s_or_b32 s74, s6, s74
	s_and_not1_b32 s6, s75, exec_lo
	s_and_b32 s75, s76, exec_lo
	s_wait_alu 0xfffe
	s_or_b32 s75, s6, s75
	s_and_not1_b32 exec_lo, exec_lo, s74
	s_cbranch_execz .LBB71_256
.LBB71_250:                             ;   Parent Loop BB71_32 Depth=1
                                        ; =>  This Inner Loop Header: Depth=2
	s_mov_b32 s6, exec_lo
	s_delay_alu instid0(VALU_DEP_1)
	v_cmpx_gt_i64_e64 s[36:37], v[8:9]
	s_cbranch_execz .LBB71_248
; %bb.251:                              ;   in Loop: Header=BB71_250 Depth=2
	global_load_u16 v10, v[4:5], off
	s_wait_loadcnt 0x0
	v_cmp_lt_i16_e32 vcc_lo, -1, v10
	v_and_b32_e32 v11, 0xffff, v10
	s_wait_alu 0xfffd
	v_dual_cndmask_b32 v29, 0xffff, v52 :: v_dual_lshlrev_b32 v30, 16, v10
	s_delay_alu instid0(VALU_DEP_1) | instskip(NEXT) | instid1(VALU_DEP_2)
	v_cmp_o_f32_e32 vcc_lo, v30, v30
	v_xor_b32_e32 v11, v29, v11
	s_wait_alu 0xfffd
	s_delay_alu instid0(VALU_DEP_1) | instskip(NEXT) | instid1(VALU_DEP_1)
	v_cndmask_b32_e32 v11, 0xffff, v11, vcc_lo
	v_and_b32_e32 v11, v11, v53
	s_delay_alu instid0(VALU_DEP_1)
	v_cmp_eq_u32_e32 vcc_lo, v11, v47
	s_and_b32 exec_lo, exec_lo, vcc_lo
	s_cbranch_execz .LBB71_248
; %bb.252:                              ;   in Loop: Header=BB71_250 Depth=2
	v_perm_b32 v10, v10, s95, 0x5040100
	ds_store_b32 v3, v10 offset:3072
	s_branch .LBB71_248
.LBB71_253:                             ;   in Loop: Header=BB71_250 Depth=2
	v_add_co_u32 v8, vcc_lo, v8, s50
	s_wait_alu 0xfffd
	v_add_co_ci_u32_e64 v9, null, 0, v9, vcc_lo
	v_add_co_u32 v4, s6, v4, s54
	s_wait_alu 0xf1fe
	v_add_co_ci_u32_e64 v5, null, s55, v5, s6
	s_delay_alu instid0(VALU_DEP_3)
	v_cmp_le_i64_e32 vcc_lo, s[12:13], v[8:9]
	s_mov_b32 s76, 0
	s_or_not1_b32 s6, vcc_lo, exec_lo
	s_branch .LBB71_249
.LBB71_254:                             ;   in Loop: Header=BB71_32 Depth=1
                                        ; implicit-def: $sgpr6_sgpr7
	s_branch .LBB71_200
.LBB71_255:                             ;   in Loop: Header=BB71_32 Depth=1
                                        ; implicit-def: $sgpr14_sgpr15
	s_branch .LBB71_216
.LBB71_256:                             ;   in Loop: Header=BB71_32 Depth=1
	s_or_b32 exec_lo, exec_lo, s74
	v_lshrrev_b32_e32 v54, 16, v10
	s_wait_alu 0xfffe
	s_and_b32 s74, s75, exec_lo
.LBB71_257:                             ;   in Loop: Header=BB71_32 Depth=1
	s_or_b32 exec_lo, exec_lo, s52
.LBB71_258:                             ;   in Loop: Header=BB71_32 Depth=1
	s_delay_alu instid0(SALU_CYCLE_1)
	s_and_b32 vcc_lo, exec_lo, s7
	s_wait_alu 0xfffe
	s_cbranch_vccz .LBB71_272
; %bb.259:                              ;   in Loop: Header=BB71_32 Depth=1
	s_add_nc_u64 s[6:7], s[10:11], s[60:61]
	s_mov_b32 s12, s53
	s_wait_alu 0xfffe
	s_mov_b32 s13, s7
	s_wait_alu 0xfffe
	s_cmp_lg_u64 s[12:13], 0
	s_cbranch_scc0 .LBB71_293
; %bb.260:                              ;   in Loop: Header=BB71_32 Depth=1
	s_add_nc_u64 s[12:13], s[50:51], 0
	s_wait_alu 0xfffe
	s_xor_b64 s[12:13], s[12:13], 0
	s_wait_alu 0xfffe
	s_cvt_f32_u32 s52, s12
	s_cvt_f32_u32 s72, s13
	s_sub_nc_u64 s[76:77], 0, s[12:13]
	s_wait_alu 0xfffe
	s_delay_alu instid0(SALU_CYCLE_1) | instskip(SKIP_1) | instid1(SALU_CYCLE_2)
	s_fmamk_f32 s52, s72, 0x4f800000, s52
	s_wait_alu 0xfffe
	v_s_rcp_f32 s52, s52
	s_delay_alu instid0(TRANS32_DEP_1) | instskip(SKIP_1) | instid1(SALU_CYCLE_2)
	s_mul_f32 s52, s52, 0x5f7ffffc
	s_wait_alu 0xfffe
	s_mul_f32 s72, s52, 0x2f800000
	s_wait_alu 0xfffe
	s_delay_alu instid0(SALU_CYCLE_2) | instskip(SKIP_1) | instid1(SALU_CYCLE_2)
	s_trunc_f32 s72, s72
	s_wait_alu 0xfffe
	s_fmamk_f32 s52, s72, 0xcf800000, s52
	s_cvt_u32_f32 s73, s72
	s_wait_alu 0xfffe
	s_delay_alu instid0(SALU_CYCLE_1) | instskip(SKIP_1) | instid1(SALU_CYCLE_2)
	s_cvt_u32_f32 s72, s52
	s_wait_alu 0xfffe
	s_mul_u64 s[78:79], s[76:77], s[72:73]
	s_wait_alu 0xfffe
	s_mul_hi_u32 s81, s72, s79
	s_mul_i32 s80, s72, s79
	s_mul_hi_u32 s52, s72, s78
	s_mul_i32 s82, s73, s78
	s_wait_alu 0xfffe
	s_add_nc_u64 s[80:81], s[52:53], s[80:81]
	s_mul_hi_u32 s75, s73, s78
	s_mul_hi_u32 s83, s73, s79
	s_wait_alu 0xfffe
	s_add_co_u32 s52, s80, s82
	s_add_co_ci_u32 s52, s81, s75
	s_mul_i32 s78, s73, s79
	s_add_co_ci_u32 s79, s83, 0
	s_wait_alu 0xfffe
	s_add_nc_u64 s[78:79], s[52:53], s[78:79]
	s_wait_alu 0xfffe
	s_add_co_u32 s72, s72, s78
	s_cselect_b32 s52, -1, 0
	s_wait_alu 0xfffe
	s_cmp_lg_u32 s52, 0
	s_add_co_ci_u32 s73, s73, s79
	s_wait_alu 0xfffe
	s_mul_u64 s[76:77], s[76:77], s[72:73]
	s_wait_alu 0xfffe
	s_mul_hi_u32 s79, s72, s77
	s_mul_i32 s78, s72, s77
	s_mul_hi_u32 s52, s72, s76
	s_mul_i32 s80, s73, s76
	s_wait_alu 0xfffe
	s_add_nc_u64 s[78:79], s[52:53], s[78:79]
	s_mul_hi_u32 s75, s73, s76
	s_mul_hi_u32 s81, s73, s77
	s_wait_alu 0xfffe
	s_add_co_u32 s52, s78, s80
	s_add_co_ci_u32 s52, s79, s75
	s_mul_i32 s76, s73, s77
	s_add_co_ci_u32 s77, s81, 0
	s_wait_alu 0xfffe
	s_add_nc_u64 s[76:77], s[52:53], s[76:77]
	s_wait_alu 0xfffe
	s_add_co_u32 s75, s72, s76
	s_cselect_b32 s52, -1, 0
	s_wait_alu 0xfffe
	s_cmp_lg_u32 s52, 0
	s_add_co_ci_u32 s80, s73, s77
	s_ashr_i32 s72, s7, 31
	s_wait_alu 0xfffe
	s_mov_b32 s73, s72
	s_wait_alu 0xfffe
	s_add_nc_u64 s[76:77], s[6:7], s[72:73]
	s_wait_alu 0xfffe
	s_xor_b64 s[76:77], s[76:77], s[72:73]
	s_wait_alu 0xfffe
	s_mul_hi_u32 s79, s76, s80
	s_mul_i32 s78, s76, s80
	s_mul_hi_u32 s52, s76, s75
	s_mul_hi_u32 s82, s77, s75
	s_mul_i32 s75, s77, s75
	s_wait_alu 0xfffe
	s_add_nc_u64 s[78:79], s[52:53], s[78:79]
	s_mul_hi_u32 s81, s77, s80
	s_wait_alu 0xfffe
	s_add_co_u32 s52, s78, s75
	s_add_co_ci_u32 s52, s79, s82
	s_mul_i32 s80, s77, s80
	s_add_co_ci_u32 s81, s81, 0
	s_wait_alu 0xfffe
	s_add_nc_u64 s[78:79], s[52:53], s[80:81]
	s_wait_alu 0xfffe
	s_mul_u64 s[78:79], s[12:13], s[78:79]
	s_wait_alu 0xfffe
	s_sub_co_u32 s52, s76, s78
	s_cselect_b32 s75, -1, 0
	s_sub_co_i32 s76, s77, s79
	s_wait_alu 0xfffe
	s_cmp_lg_u32 s75, 0
	s_sub_co_ci_u32 s76, s76, s13
	s_sub_co_u32 s78, s52, s12
	s_cselect_b32 s80, -1, 0
	s_wait_alu 0xfffe
	s_cmp_lg_u32 s80, 0
	s_sub_co_ci_u32 s81, s76, 0
	s_wait_alu 0xfffe
	s_cmp_ge_u32 s81, s13
	s_cselect_b32 s82, -1, 0
	s_cmp_ge_u32 s78, s12
	s_cselect_b32 s83, -1, 0
	s_cmp_eq_u32 s81, s13
	s_wait_alu 0xfffe
	s_cselect_b32 s82, s83, s82
	s_cmp_lg_u32 s80, 0
	s_sub_co_ci_u32 s76, s76, s13
	s_sub_co_u32 s80, s78, s12
	s_cselect_b32 s83, -1, 0
	s_wait_alu 0xfffe
	s_cmp_lg_u32 s83, 0
	s_sub_co_ci_u32 s76, s76, 0
	s_cmp_lg_u32 s82, 0
	s_cselect_b32 s78, s80, s78
	s_wait_alu 0xfffe
	s_cselect_b32 s76, s76, s81
	s_cmp_lg_u32 s75, 0
	s_sub_co_ci_u32 s75, s77, s79
	s_wait_alu 0xfffe
	s_cmp_ge_u32 s75, s13
	s_cselect_b32 s77, -1, 0
	s_cmp_ge_u32 s52, s12
	s_cselect_b32 s12, -1, 0
	s_cmp_eq_u32 s75, s13
	s_wait_alu 0xfffe
	s_cselect_b32 s12, s12, s77
	s_wait_alu 0xfffe
	s_cmp_lg_u32 s12, 0
	s_cselect_b32 s13, s76, s75
	s_cselect_b32 s12, s78, s52
	s_wait_alu 0xfffe
	s_xor_b64 s[12:13], s[12:13], s[72:73]
	s_wait_alu 0xfffe
	s_sub_nc_u64 s[12:13], s[12:13], s[72:73]
	s_cbranch_execnz .LBB71_262
.LBB71_261:                             ;   in Loop: Header=BB71_32 Depth=1
	v_cvt_f32_u32_e32 v4, s50
	s_sub_co_i32 s13, 0, s50
	s_delay_alu instid0(VALU_DEP_1) | instskip(NEXT) | instid1(TRANS32_DEP_1)
	v_rcp_iflag_f32_e32 v4, v4
	v_mul_f32_e32 v4, 0x4f7ffffe, v4
	s_delay_alu instid0(VALU_DEP_1) | instskip(NEXT) | instid1(VALU_DEP_1)
	v_cvt_u32_f32_e32 v4, v4
	v_readfirstlane_b32 s12, v4
	s_wait_alu 0xfffe
	s_mul_i32 s13, s13, s12
	s_wait_alu 0xfffe
	s_mul_hi_u32 s13, s12, s13
	s_wait_alu 0xfffe
	s_add_co_i32 s12, s12, s13
	s_wait_alu 0xfffe
	s_mul_hi_u32 s12, s6, s12
	s_wait_alu 0xfffe
	s_mul_i32 s12, s12, s50
	s_wait_alu 0xfffe
	s_sub_co_i32 s12, s6, s12
	s_wait_alu 0xfffe
	s_sub_co_i32 s13, s12, s50
	s_cmp_ge_u32 s12, s50
	s_wait_alu 0xfffe
	s_cselect_b32 s12, s13, s12
	s_wait_alu 0xfffe
	s_sub_co_i32 s13, s12, s50
	s_cmp_ge_u32 s12, s50
	s_wait_alu 0xfffe
	s_cselect_b32 s52, s13, s12
	s_wait_alu 0xfffe
	s_mov_b64 s[12:13], s[52:53]
.LBB71_262:                             ;   in Loop: Header=BB71_32 Depth=1
	s_wait_alu 0xfffe
	s_sub_nc_u64 s[6:7], s[6:7], s[12:13]
	s_mov_b32 s12, exec_lo
                                        ; implicit-def: $vgpr54
	s_wait_alu 0xfffe
	v_cmpx_gt_i64_e64 s[6:7], v[0:1]
	s_cbranch_execz .LBB71_271
; %bb.263:                              ;   in Loop: Header=BB71_32 Depth=1
	v_dual_mov_b32 v8, v42 :: v_dual_mov_b32 v5, v1
	v_mov_b32_e32 v4, v0
	s_mov_b32 s13, 0
                                        ; implicit-def: $sgpr52
	s_branch .LBB71_266
.LBB71_264:                             ;   in Loop: Header=BB71_266 Depth=2
	s_wait_alu 0xfffe
	s_or_b32 exec_lo, exec_lo, s72
	s_wait_loadcnt_dscnt 0x0
	s_barrier_signal -1
	s_barrier_wait -1
	global_inv scope:SCOPE_SE
	ds_load_b32 v9, v3 offset:3072
	s_mov_b32 s72, -1
	s_mov_b32 s73, -1
	s_wait_loadcnt_dscnt 0x0
	s_barrier_signal -1
	s_barrier_wait -1
	global_inv scope:SCOPE_SE
	v_and_b32_e32 v10, 0x7fff, v9
	s_delay_alu instid0(VALU_DEP_1)
	v_cmp_eq_u32_e32 vcc_lo, 0, v10
	s_cbranch_vccnz .LBB71_269
.LBB71_265:                             ;   in Loop: Header=BB71_266 Depth=2
	s_wait_alu 0xfffe
	s_and_b32 s72, exec_lo, s72
	s_wait_alu 0xfffe
	s_or_b32 s13, s72, s13
	s_and_not1_b32 s52, s52, exec_lo
	s_and_b32 s72, s73, exec_lo
	s_wait_alu 0xfffe
	s_or_b32 s52, s52, s72
	s_and_not1_b32 exec_lo, exec_lo, s13
	s_cbranch_execz .LBB71_270
.LBB71_266:                             ;   Parent Loop BB71_32 Depth=1
                                        ; =>  This Inner Loop Header: Depth=2
	s_mov_b32 s72, exec_lo
	s_delay_alu instid0(VALU_DEP_1)
	v_cmpx_gt_u64_e64 s[10:11], v[4:5]
	s_cbranch_execz .LBB71_264
; %bb.267:                              ;   in Loop: Header=BB71_266 Depth=2
	ds_load_u16 v9, v8
	s_wait_dscnt 0x0
	v_cmp_lt_i16_e32 vcc_lo, -1, v9
	s_wait_alu 0xfffd
	v_dual_cndmask_b32 v11, 0xffff, v52 :: v_dual_and_b32 v10, 0xffff, v9
	s_delay_alu instid0(VALU_DEP_1) | instskip(SKIP_1) | instid1(VALU_DEP_1)
	v_xor_b32_e32 v10, v11, v10
	v_lshlrev_b32_e32 v29, 16, v9
	v_cmp_o_f32_e32 vcc_lo, v29, v29
	s_wait_alu 0xfffd
	s_delay_alu instid0(VALU_DEP_3) | instskip(NEXT) | instid1(VALU_DEP_1)
	v_cndmask_b32_e32 v10, 0xffff, v10, vcc_lo
	v_and_b32_e32 v10, v10, v53
	s_delay_alu instid0(VALU_DEP_1)
	v_cmp_eq_u32_e32 vcc_lo, v10, v47
	s_and_b32 exec_lo, exec_lo, vcc_lo
	s_cbranch_execz .LBB71_264
; %bb.268:                              ;   in Loop: Header=BB71_266 Depth=2
	v_perm_b32 v9, v9, s95, 0x5040100
	ds_store_b32 v3, v9 offset:3072
	s_branch .LBB71_264
.LBB71_269:                             ;   in Loop: Header=BB71_266 Depth=2
	v_add_co_u32 v4, vcc_lo, v4, s50
	s_wait_alu 0xfffd
	v_add_co_ci_u32_e64 v5, null, 0, v5, vcc_lo
	v_add_nc_u32_e32 v8, s94, v8
	s_mov_b32 s73, 0
	s_delay_alu instid0(VALU_DEP_2)
	v_cmp_le_i64_e32 vcc_lo, s[6:7], v[4:5]
	s_or_not1_b32 s72, vcc_lo, exec_lo
	s_branch .LBB71_265
.LBB71_270:                             ;   in Loop: Header=BB71_32 Depth=1
	s_or_b32 exec_lo, exec_lo, s13
	v_lshrrev_b32_e32 v54, 16, v9
	s_and_not1_b32 s6, s74, exec_lo
	s_wait_alu 0xfffe
	s_and_b32 s7, s52, exec_lo
	s_wait_alu 0xfffe
	s_or_b32 s74, s6, s7
.LBB71_271:                             ;   in Loop: Header=BB71_32 Depth=1
	s_or_b32 exec_lo, exec_lo, s12
	s_mov_b32 s72, 0
	s_mov_b32 s73, -1
.LBB71_272:                             ;   in Loop: Header=BB71_32 Depth=1
	s_wait_alu 0xfffe
	s_or_not1_b32 s7, s74, exec_lo
.LBB71_273:                             ;   in Loop: Header=BB71_32 Depth=1
	s_wait_alu 0xfffe
	s_or_b32 exec_lo, exec_lo, s71
	s_mov_b32 s10, 0
	s_and_saveexec_b32 s6, s7
	s_cbranch_execz .LBB71_284
; %bb.274:                              ;   in Loop: Header=BB71_32 Depth=1
	v_mov_b32_e32 v4, 1
	v_dual_mov_b32 v5, 0 :: v_dual_mov_b32 v2, 1
	s_xor_b32 s10, s20, -1
	s_wait_alu 0xfffe
	s_and_saveexec_b32 s7, s10
	s_cbranch_execz .LBB71_283
; %bb.275:                              ;   in Loop: Header=BB71_32 Depth=1
	s_mov_b32 s10, exec_lo
	v_cmpx_ge_i64_e64 s[8:9], v[6:7]
	s_wait_alu 0xfffe
	s_xor_b32 s10, exec_lo, s10
	s_cbranch_execz .LBB71_280
; %bb.276:                              ;   in Loop: Header=BB71_32 Depth=1
	ds_load_b64 v[4:5], v3 offset:5120
	v_or_b32_e32 v47, s16, v47
	v_or_b32_e32 v53, s16, v53
	s_wait_dscnt 0x0
	v_cmp_ne_u64_e32 vcc_lo, 0, v[4:5]
	s_cbranch_vccnz .LBB71_280
; %bb.277:                              ;   in Loop: Header=BB71_32 Depth=1
	s_and_saveexec_b32 s11, s2
; %bb.278:                              ;   in Loop: Header=BB71_32 Depth=1
	v_dual_mov_b32 v4, s8 :: v_dual_mov_b32 v5, s9
	ds_store_b64 v3, v[4:5] offset:5128
; %bb.279:                              ;   in Loop: Header=BB71_32 Depth=1
	s_wait_alu 0xfffe
	s_or_b32 exec_lo, exec_lo, s11
	s_wait_loadcnt_dscnt 0x0
	s_barrier_signal -1
	s_barrier_wait -1
	global_inv scope:SCOPE_SE
.LBB71_280:                             ;   in Loop: Header=BB71_32 Depth=1
	s_wait_alu 0xfffe
	s_and_not1_saveexec_b32 s10, s10
; %bb.281:                              ;   in Loop: Header=BB71_32 Depth=1
	v_sub_co_u32 v6, vcc_lo, v6, s8
	s_wait_alu 0xfffd
	v_subrev_co_ci_u32_e64 v7, null, s9, v7, vcc_lo
; %bb.282:                              ;   in Loop: Header=BB71_32 Depth=1
	s_wait_alu 0xfffe
	s_or_b32 exec_lo, exec_lo, s10
	v_mov_b32_e32 v4, v6
	s_delay_alu instid0(VALU_DEP_2)
	v_dual_mov_b32 v2, 8 :: v_dual_mov_b32 v5, v7
.LBB71_283:                             ;   in Loop: Header=BB71_32 Depth=1
	s_wait_alu 0xfffe
	s_or_b32 exec_lo, exec_lo, s7
	s_delay_alu instid0(VALU_DEP_1)
	v_dual_mov_b32 v7, v5 :: v_dual_mov_b32 v6, v4
	s_mov_b32 s10, exec_lo
.LBB71_284:                             ;   in Loop: Header=BB71_32 Depth=1
	s_wait_alu 0xfffe
	s_or_b32 exec_lo, exec_lo, s6
	s_delay_alu instid0(SALU_CYCLE_1)
	s_or_not1_b32 s6, s10, exec_lo
.LBB71_285:                             ;   in Loop: Header=BB71_32 Depth=1
	s_wait_alu 0xfffe
	s_or_b32 exec_lo, exec_lo, s15
	v_dual_mov_b32 v4, v6 :: v_dual_mov_b32 v5, v7
	s_and_not1_b32 s7, s70, exec_lo
	s_and_b32 s8, s73, exec_lo
	s_and_not1_b32 s9, s25, exec_lo
	s_and_b32 s10, s72, exec_lo
	s_wait_alu 0xfffe
	s_or_b32 s70, s7, s8
	s_or_b32 s25, s9, s10
	s_and_b32 s7, s6, exec_lo
.LBB71_286:                             ;   in Loop: Header=BB71_32 Depth=1
	s_wait_alu 0xfffe
	s_or_b32 exec_lo, exec_lo, s14
	s_delay_alu instid0(SALU_CYCLE_1)
	s_or_not1_b32 s6, s7, exec_lo
.LBB71_287:                             ;   in Loop: Header=BB71_32 Depth=1
	s_wait_alu 0xfffe
	s_or_b32 exec_lo, exec_lo, s24
	v_dual_mov_b32 v9, v5 :: v_dual_mov_b32 v8, v4
	s_and_not1_b32 s7, s22, exec_lo
	s_and_b32 s8, s70, exec_lo
	s_and_not1_b32 s9, s21, exec_lo
	s_and_b32 s10, s25, exec_lo
	s_wait_alu 0xfffe
	s_or_b32 s22, s7, s8
	s_or_b32 s21, s9, s10
	s_and_b32 s7, s6, exec_lo
.LBB71_288:                             ;   in Loop: Header=BB71_32 Depth=1
	s_wait_alu 0xfffe
	s_or_b32 exec_lo, exec_lo, s23
	s_delay_alu instid0(SALU_CYCLE_1)
	s_or_not1_b32 s6, s7, exec_lo
.LBB71_289:                             ;   in Loop: Header=BB71_32 Depth=1
	s_or_b32 exec_lo, exec_lo, s19
	s_mov_b32 s7, 0
	s_wait_alu 0xfffe
	s_and_saveexec_b32 s8, s6
	s_wait_alu 0xfffe
	s_xor_b32 s6, exec_lo, s8
	s_cbranch_execz .LBB71_30
; %bb.290:                              ;   in Loop: Header=BB71_32 Depth=1
	v_and_b32_e32 v2, 7, v2
	s_mov_b32 s8, -1
	s_mov_b32 s7, -1
	s_mov_b32 s9, exec_lo
	s_delay_alu instid0(VALU_DEP_1)
	v_cmpx_eq_u32_e32 0, v2
	s_cbranch_execz .LBB71_29
; %bb.291:                              ;   in Loop: Header=BB71_32 Depth=1
	s_xor_b32 s98, s98, 1
	s_add_co_i32 s10, s96, -2
	s_cmp_eq_u32 s96, 0
	s_wait_alu 0xfffe
	s_mov_b32 s96, s10
	s_cselect_b32 s8, -1, 0
	s_xor_b32 s7, exec_lo, -1
	s_wait_alu 0xfffe
	s_or_not1_b32 s8, s8, exec_lo
	s_branch .LBB71_29
.LBB71_292:                             ;   in Loop: Header=BB71_32 Depth=1
                                        ; implicit-def: $sgpr6_sgpr7
	s_branch .LBB71_245
.LBB71_293:                             ;   in Loop: Header=BB71_32 Depth=1
                                        ; implicit-def: $sgpr12_sgpr13
	s_branch .LBB71_261
.LBB71_294:
	s_or_b32 exec_lo, exec_lo, s97
	s_xor_b32 s5, s104, -1
	s_xor_b32 s1, s102, -1
	;; [unrolled: 1-line block ×3, first 2 shown]
	s_mov_b32 s3, 0
	s_and_saveexec_b32 s6, s1
	s_wait_alu 0xfffe
	s_xor_b32 s1, exec_lo, s6
	s_cbranch_execnz .LBB71_299
; %bb.295:
	s_and_not1_saveexec_b32 s0, s1
	s_cbranch_execnz .LBB71_321
.LBB71_296:
	s_wait_alu 0xfffe
	s_or_b32 exec_lo, exec_lo, s0
	s_and_saveexec_b32 s0, s3
.LBB71_297:
	; divergent unreachable
.LBB71_298:
	s_endpgm
.LBB71_299:
	s_and_saveexec_b32 s3, s5
	s_wait_alu 0xfffe
	s_xor_b32 s3, exec_lo, s3
	s_cbranch_execz .LBB71_319
; %bb.300:
	s_and_saveexec_b32 s5, s4
	s_wait_alu 0xfffe
	s_xor_b32 s4, exec_lo, s5
; %bb.301:
	v_and_b32_e32 v2, 0x8000, v47
	v_mov_b32_e32 v3, 0xffff
	s_delay_alu instid0(VALU_DEP_2) | instskip(SKIP_1) | instid1(VALU_DEP_2)
	v_cmp_eq_u32_e32 vcc_lo, 0, v2
	s_wait_alu 0xfffd
	v_cndmask_b32_e32 v2, 0x8000, v3, vcc_lo
	s_delay_alu instid0(VALU_DEP_1)
	v_xor_b32_e32 v54, v2, v47
; %bb.302:
	s_wait_alu 0xfffe
	s_or_b32 exec_lo, exec_lo, s4
	s_and_saveexec_b32 s4, s2
; %bb.303:
	v_dual_mov_b32 v2, 0 :: v_dual_mov_b32 v3, s36
	ds_store_b32 v2, v3 offset:5140
; %bb.304:
	s_wait_alu 0xfffe
	s_or_b32 exec_lo, exec_lo, s4
	s_wait_loadcnt_dscnt 0x0
	s_barrier_signal -1
	s_barrier_wait -1
	global_inv scope:SCOPE_SE
	s_and_saveexec_b32 s4, s0
	s_cbranch_execz .LBB71_316
; %bb.305:
	v_mov_b32_e32 v2, 0
	v_lshlrev_b32_e32 v6, 16, v54
	s_mov_b32 s5, 0
                                        ; implicit-def: $sgpr7
                                        ; implicit-def: $sgpr8
                                        ; implicit-def: $sgpr9
	ds_load_b32 v4, v2 offset:5140
	v_cmp_u_f32_e32 vcc_lo, v6, v6
	s_xor_b32 s6, vcc_lo, -1
	s_wait_dscnt 0x0
	v_ashrrev_i32_e32 v5, 31, v4
	s_branch .LBB71_308
.LBB71_306:                             ;   in Loop: Header=BB71_308 Depth=1
	s_wait_alu 0xfffe
	s_or_b32 exec_lo, exec_lo, s13
	s_delay_alu instid0(SALU_CYCLE_1)
	s_and_not1_b32 s0, s9, exec_lo
	s_and_b32 s9, s11, exec_lo
	s_and_not1_b32 s8, s8, exec_lo
	s_and_b32 s11, s12, exec_lo
	s_wait_alu 0xfffe
	s_or_b32 s9, s0, s9
	s_or_b32 s8, s8, s11
.LBB71_307:                             ;   in Loop: Header=BB71_308 Depth=1
	s_wait_alu 0xfffe
	s_or_b32 exec_lo, exec_lo, s10
	s_delay_alu instid0(SALU_CYCLE_1)
	s_and_b32 s0, exec_lo, s8
	s_wait_alu 0xfffe
	s_or_b32 s5, s0, s5
	s_and_not1_b32 s0, s7, exec_lo
	s_and_b32 s7, s9, exec_lo
	s_wait_alu 0xfffe
	s_or_b32 s7, s0, s7
	s_and_not1_b32 exec_lo, exec_lo, s5
	s_cbranch_execz .LBB71_311
.LBB71_308:                             ; =>This Inner Loop Header: Depth=1
	v_dual_mov_b32 v3, v1 :: v_dual_mov_b32 v2, v0
	s_or_b32 s9, s9, exec_lo
	s_or_b32 s8, s8, exec_lo
	s_mov_b32 s10, exec_lo
                                        ; implicit-def: $vgpr0_vgpr1
	s_delay_alu instid0(VALU_DEP_1)
	v_cmpx_lt_i64_e64 v[2:3], v[4:5]
	s_cbranch_execz .LBB71_307
; %bb.309:                              ;   in Loop: Header=BB71_308 Depth=1
	global_load_u16 v0, v[12:13], off
	s_mov_b32 s12, -1
	s_wait_loadcnt 0x0
	v_lshlrev_b32_e32 v0, 16, v0
	s_delay_alu instid0(VALU_DEP_1)
	v_cmp_o_f32_e32 vcc_lo, v0, v0
	v_cmp_neq_f32_e64 s0, v0, v6
                                        ; implicit-def: $vgpr0_vgpr1
	s_wait_alu 0xfffe
	s_or_b32 s11, s6, vcc_lo
	s_wait_alu 0xfffe
	s_and_b32 s0, s0, s11
	s_mov_b32 s11, 0
	s_wait_alu 0xfffe
	s_and_saveexec_b32 s13, s0
	s_cbranch_execz .LBB71_306
; %bb.310:                              ;   in Loop: Header=BB71_308 Depth=1
	v_add_co_u32 v0, vcc_lo, v2, s50
	s_wait_alu 0xfffd
	v_add_co_ci_u32_e64 v1, null, 0, v3, vcc_lo
	v_add_co_u32 v12, s0, v12, s54
	s_wait_alu 0xf1ff
	v_add_co_ci_u32_e64 v13, null, s55, v13, s0
	s_delay_alu instid0(VALU_DEP_3)
	v_cmp_le_i64_e32 vcc_lo, s[36:37], v[0:1]
	s_mov_b32 s11, exec_lo
	s_or_not1_b32 s12, vcc_lo, exec_lo
	s_branch .LBB71_306
.LBB71_311:
	s_or_b32 exec_lo, exec_lo, s5
	s_wait_alu 0xfffe
	s_xor_b32 s0, s7, -1
	s_wait_alu 0xfffe
	s_and_saveexec_b32 s5, s0
	s_wait_alu 0xfffe
	s_xor_b32 s5, exec_lo, s5
	s_cbranch_execz .LBB71_316
; %bb.312:
	s_mov_b32 s5, exec_lo
	s_brev_b32 s0, -2
.LBB71_313:                             ; =>This Inner Loop Header: Depth=1
	s_wait_alu 0xfffe
	s_ctz_i32_b32 s6, s5
	s_wait_alu 0xfffe
	v_readlane_b32 s7, v2, s6
	s_lshl_b32 s6, 1, s6
	s_wait_alu 0xfffe
	s_and_not1_b32 s5, s5, s6
	s_min_i32 s0, s0, s7
	s_wait_alu 0xfffe
	s_cmp_lg_u32 s5, 0
	s_cbranch_scc1 .LBB71_313
; %bb.314:
	v_mbcnt_lo_u32_b32 v0, exec_lo, 0
	s_mov_b32 s5, exec_lo
	s_delay_alu instid0(VALU_DEP_1)
	v_cmpx_eq_u32_e32 0, v0
	s_wait_alu 0xfffe
	s_xor_b32 s5, exec_lo, s5
; %bb.315:
	v_dual_mov_b32 v0, 0 :: v_dual_mov_b32 v1, s0
	ds_min_i32 v0, v1 offset:5140
.LBB71_316:
	s_wait_alu 0xfffe
	s_or_b32 exec_lo, exec_lo, s4
	s_wait_loadcnt_dscnt 0x0
	s_barrier_signal -1
	s_barrier_wait -1
	global_inv scope:SCOPE_SE
	s_and_saveexec_b32 s0, s2
	s_cbranch_execz .LBB71_318
; %bb.317:
	v_mov_b32_e32 v2, 0
	s_mul_u64 s[6:7], s[48:49], s[34:35]
	s_mul_u64 s[4:5], s[40:41], s[28:29]
	s_wait_alu 0xfffe
	s_lshl_b64 s[6:7], s[6:7], 3
	s_lshl_b64 s[4:5], s[4:5], 1
	ds_load_b32 v0, v2 offset:5140
	s_lshl_b64 s[10:11], s[30:31], 3
	s_wait_alu 0xfffe
	s_add_nc_u64 s[6:7], s[46:47], s[6:7]
	s_lshl_b64 s[8:9], s[26:27], 1
	s_add_nc_u64 s[4:5], s[44:45], s[4:5]
	s_wait_alu 0xfffe
	s_add_nc_u64 s[6:7], s[6:7], s[10:11]
	s_add_nc_u64 s[4:5], s[4:5], s[8:9]
	s_wait_dscnt 0x0
	v_ashrrev_i32_e32 v1, 31, v0
	s_clause 0x1
	global_store_b64 v2, v[0:1], s[6:7]
	global_store_b16 v2, v54, s[4:5]
.LBB71_318:
	s_wait_alu 0xfffe
	s_or_b32 exec_lo, exec_lo, s0
.LBB71_319:
	s_wait_alu 0xfffe
	s_or_saveexec_b32 s0, s3
	s_mov_b32 s2, 0
	s_wait_alu 0xfffe
	s_xor_b32 exec_lo, exec_lo, s0
	s_cbranch_execnz .LBB71_322
.LBB71_320:
	s_or_b32 exec_lo, exec_lo, s0
	s_wait_alu 0xfffe
	s_and_b32 s3, s2, exec_lo
	s_and_not1_saveexec_b32 s0, s1
	s_cbranch_execz .LBB71_296
.LBB71_321:
	s_wait_alu 0xfffe
	s_or_b32 s3, s3, exec_lo
	s_trap 2
	s_or_b32 exec_lo, exec_lo, s0
	s_wait_alu 0xfffe
	s_and_saveexec_b32 s0, s3
	s_cbranch_execnz .LBB71_297
	s_branch .LBB71_298
.LBB71_322:
	s_mov_b32 s2, exec_lo
	s_trap 2
	s_branch .LBB71_320
	.section	.rodata,"a",@progbits
	.p2align	6, 0x0
	.amdhsa_kernel _ZN2at6native12_GLOBAL__N_114gatherKthValueIN3c108BFloat16ElLin1EEEvNS_4cuda6detail10TensorInfoIKT_T0_EESA_SA_SA_SA_NS7_IS8_SA_EENS7_IlSA_EE
		.amdhsa_group_segment_fixed_size 5144
		.amdhsa_private_segment_fixed_size 0
		.amdhsa_kernarg_size 1536
		.amdhsa_user_sgpr_count 2
		.amdhsa_user_sgpr_dispatch_ptr 0
		.amdhsa_user_sgpr_queue_ptr 0
		.amdhsa_user_sgpr_kernarg_segment_ptr 1
		.amdhsa_user_sgpr_dispatch_id 0
		.amdhsa_user_sgpr_private_segment_size 0
		.amdhsa_wavefront_size32 1
		.amdhsa_uses_dynamic_stack 0
		.amdhsa_enable_private_segment 0
		.amdhsa_system_sgpr_workgroup_id_x 1
		.amdhsa_system_sgpr_workgroup_id_y 1
		.amdhsa_system_sgpr_workgroup_id_z 1
		.amdhsa_system_sgpr_workgroup_info 0
		.amdhsa_system_vgpr_workitem_id 0
		.amdhsa_next_free_vgpr 65
		.amdhsa_next_free_sgpr 105
		.amdhsa_reserve_vcc 1
		.amdhsa_float_round_mode_32 0
		.amdhsa_float_round_mode_16_64 0
		.amdhsa_float_denorm_mode_32 3
		.amdhsa_float_denorm_mode_16_64 3
		.amdhsa_fp16_overflow 0
		.amdhsa_workgroup_processor_mode 1
		.amdhsa_memory_ordered 1
		.amdhsa_forward_progress 1
		.amdhsa_inst_pref_size 181
		.amdhsa_round_robin_scheduling 0
		.amdhsa_exception_fp_ieee_invalid_op 0
		.amdhsa_exception_fp_denorm_src 0
		.amdhsa_exception_fp_ieee_div_zero 0
		.amdhsa_exception_fp_ieee_overflow 0
		.amdhsa_exception_fp_ieee_underflow 0
		.amdhsa_exception_fp_ieee_inexact 0
		.amdhsa_exception_int_div_zero 0
	.end_amdhsa_kernel
	.section	.text._ZN2at6native12_GLOBAL__N_114gatherKthValueIN3c108BFloat16ElLin1EEEvNS_4cuda6detail10TensorInfoIKT_T0_EESA_SA_SA_SA_NS7_IS8_SA_EENS7_IlSA_EE,"axG",@progbits,_ZN2at6native12_GLOBAL__N_114gatherKthValueIN3c108BFloat16ElLin1EEEvNS_4cuda6detail10TensorInfoIKT_T0_EESA_SA_SA_SA_NS7_IS8_SA_EENS7_IlSA_EE,comdat
.Lfunc_end71:
	.size	_ZN2at6native12_GLOBAL__N_114gatherKthValueIN3c108BFloat16ElLin1EEEvNS_4cuda6detail10TensorInfoIKT_T0_EESA_SA_SA_SA_NS7_IS8_SA_EENS7_IlSA_EE, .Lfunc_end71-_ZN2at6native12_GLOBAL__N_114gatherKthValueIN3c108BFloat16ElLin1EEEvNS_4cuda6detail10TensorInfoIKT_T0_EESA_SA_SA_SA_NS7_IS8_SA_EENS7_IlSA_EE
                                        ; -- End function
	.set _ZN2at6native12_GLOBAL__N_114gatherKthValueIN3c108BFloat16ElLin1EEEvNS_4cuda6detail10TensorInfoIKT_T0_EESA_SA_SA_SA_NS7_IS8_SA_EENS7_IlSA_EE.num_vgpr, 65
	.set _ZN2at6native12_GLOBAL__N_114gatherKthValueIN3c108BFloat16ElLin1EEEvNS_4cuda6detail10TensorInfoIKT_T0_EESA_SA_SA_SA_NS7_IS8_SA_EENS7_IlSA_EE.num_agpr, 0
	.set _ZN2at6native12_GLOBAL__N_114gatherKthValueIN3c108BFloat16ElLin1EEEvNS_4cuda6detail10TensorInfoIKT_T0_EESA_SA_SA_SA_NS7_IS8_SA_EENS7_IlSA_EE.numbered_sgpr, 105
	.set _ZN2at6native12_GLOBAL__N_114gatherKthValueIN3c108BFloat16ElLin1EEEvNS_4cuda6detail10TensorInfoIKT_T0_EESA_SA_SA_SA_NS7_IS8_SA_EENS7_IlSA_EE.num_named_barrier, 0
	.set _ZN2at6native12_GLOBAL__N_114gatherKthValueIN3c108BFloat16ElLin1EEEvNS_4cuda6detail10TensorInfoIKT_T0_EESA_SA_SA_SA_NS7_IS8_SA_EENS7_IlSA_EE.private_seg_size, 0
	.set _ZN2at6native12_GLOBAL__N_114gatherKthValueIN3c108BFloat16ElLin1EEEvNS_4cuda6detail10TensorInfoIKT_T0_EESA_SA_SA_SA_NS7_IS8_SA_EENS7_IlSA_EE.uses_vcc, 1
	.set _ZN2at6native12_GLOBAL__N_114gatherKthValueIN3c108BFloat16ElLin1EEEvNS_4cuda6detail10TensorInfoIKT_T0_EESA_SA_SA_SA_NS7_IS8_SA_EENS7_IlSA_EE.uses_flat_scratch, 0
	.set _ZN2at6native12_GLOBAL__N_114gatherKthValueIN3c108BFloat16ElLin1EEEvNS_4cuda6detail10TensorInfoIKT_T0_EESA_SA_SA_SA_NS7_IS8_SA_EENS7_IlSA_EE.has_dyn_sized_stack, 0
	.set _ZN2at6native12_GLOBAL__N_114gatherKthValueIN3c108BFloat16ElLin1EEEvNS_4cuda6detail10TensorInfoIKT_T0_EESA_SA_SA_SA_NS7_IS8_SA_EENS7_IlSA_EE.has_recursion, 0
	.set _ZN2at6native12_GLOBAL__N_114gatherKthValueIN3c108BFloat16ElLin1EEEvNS_4cuda6detail10TensorInfoIKT_T0_EESA_SA_SA_SA_NS7_IS8_SA_EENS7_IlSA_EE.has_indirect_call, 0
	.section	.AMDGPU.csdata,"",@progbits
; Kernel info:
; codeLenInByte = 23112
; TotalNumSgprs: 107
; NumVgprs: 65
; ScratchSize: 0
; MemoryBound: 0
; FloatMode: 240
; IeeeMode: 1
; LDSByteSize: 5144 bytes/workgroup (compile time only)
; SGPRBlocks: 0
; VGPRBlocks: 8
; NumSGPRsForWavesPerEU: 107
; NumVGPRsForWavesPerEU: 65
; Occupancy: 16
; WaveLimiterHint : 1
; COMPUTE_PGM_RSRC2:SCRATCH_EN: 0
; COMPUTE_PGM_RSRC2:USER_SGPR: 2
; COMPUTE_PGM_RSRC2:TRAP_HANDLER: 0
; COMPUTE_PGM_RSRC2:TGID_X_EN: 1
; COMPUTE_PGM_RSRC2:TGID_Y_EN: 1
; COMPUTE_PGM_RSRC2:TGID_Z_EN: 1
; COMPUTE_PGM_RSRC2:TIDIG_COMP_CNT: 0
	.section	.text._ZN2at6native12_GLOBAL__N_112gatherMedianIhjLi1EEEvNS_4cuda6detail10TensorInfoIT_T0_EENS5_IlS7_EENS5_IKS6_S7_EES7_S7_S7_b,"axG",@progbits,_ZN2at6native12_GLOBAL__N_112gatherMedianIhjLi1EEEvNS_4cuda6detail10TensorInfoIT_T0_EENS5_IlS7_EENS5_IKS6_S7_EES7_S7_S7_b,comdat
	.globl	_ZN2at6native12_GLOBAL__N_112gatherMedianIhjLi1EEEvNS_4cuda6detail10TensorInfoIT_T0_EENS5_IlS7_EENS5_IKS6_S7_EES7_S7_S7_b ; -- Begin function _ZN2at6native12_GLOBAL__N_112gatherMedianIhjLi1EEEvNS_4cuda6detail10TensorInfoIT_T0_EENS5_IlS7_EENS5_IKS6_S7_EES7_S7_S7_b
	.p2align	8
	.type	_ZN2at6native12_GLOBAL__N_112gatherMedianIhjLi1EEEvNS_4cuda6detail10TensorInfoIT_T0_EENS5_IlS7_EENS5_IKS6_S7_EES7_S7_S7_b,@function
_ZN2at6native12_GLOBAL__N_112gatherMedianIhjLi1EEEvNS_4cuda6detail10TensorInfoIT_T0_EENS5_IlS7_EENS5_IKS6_S7_EES7_S7_S7_b: ; @_ZN2at6native12_GLOBAL__N_112gatherMedianIhjLi1EEEvNS_4cuda6detail10TensorInfoIT_T0_EENS5_IlS7_EENS5_IKS6_S7_EES7_S7_S7_b
; %bb.0:
	s_clause 0x1
	s_load_b64 s[4:5], s[0:1], 0x298
	s_load_b128 s[36:39], s[0:1], 0x288
	s_lshr_b32 s2, ttmp7, 16
	s_and_b32 s3, ttmp7, 0xffff
	s_wait_kmcnt 0x0
	s_mul_i32 s2, s5, s2
	s_delay_alu instid0(SALU_CYCLE_1) | instskip(NEXT) | instid1(SALU_CYCLE_1)
	s_add_co_i32 s2, s2, s3
	s_mul_i32 s31, s2, s4
	s_delay_alu instid0(SALU_CYCLE_1) | instskip(NEXT) | instid1(SALU_CYCLE_1)
	s_add_co_i32 s31, s31, ttmp9
	s_cmp_ge_u32 s31, s37
	s_cbranch_scc1 .LBB72_250
; %bb.1:
	v_cmp_eq_u32_e64 s2, 0, v0
	s_and_saveexec_b32 s3, s2
; %bb.2:
	v_mov_b32_e32 v1, 0
	s_delay_alu instid0(VALU_DEP_1)
	v_mov_b32_e32 v2, v1
	ds_store_b64 v1, v[1:2] offset:4096
; %bb.3:
	s_or_b32 exec_lo, exec_lo, s3
	v_mov_b32_e32 v1, 0
	s_wait_dscnt 0x0
	s_barrier_signal -1
	s_barrier_wait -1
	global_inv scope:SCOPE_SE
	s_wait_loadcnt 0x0
	s_barrier_signal -1
	s_barrier_wait -1
	global_inv scope:SCOPE_SE
	ds_load_b64 v[1:2], v1 offset:4096
	s_bitcmp1_b32 s39, 0
	s_mov_b32 s11, s36
	s_cselect_b32 s5, -1, 0
	s_wait_dscnt 0x0
	v_readfirstlane_b32 s6, v1
	v_readfirstlane_b32 s7, v2
	s_delay_alu instid0(VALU_DEP_1) | instskip(SKIP_1) | instid1(SALU_CYCLE_1)
	v_cmp_lt_i64_e64 s3, s[6:7], 1
	s_or_b32 s3, s5, s3
	s_and_not1_b32 vcc_lo, exec_lo, s3
	s_cbranch_vccnz .LBB72_5
; %bb.4:
	s_not_b64 s[6:7], s[6:7]
	s_mov_b32 s37, 0
	s_wait_alu 0xfffe
	s_add_nc_u64 s[6:7], s[6:7], s[36:37]
	s_mov_b32 s9, s37
	s_wait_alu 0xfffe
	s_lshr_b32 s8, s7, 31
	s_delay_alu instid0(SALU_CYCLE_1)
	s_add_nc_u64 s[6:7], s[6:7], s[8:9]
	s_wait_alu 0xfffe
	s_lshr_b64 s[6:7], s[6:7], 1
	s_wait_alu 0xfffe
	s_add_co_i32 s11, s6, 1
.LBB72_5:
	s_clause 0x2
	s_load_b64 s[40:41], s[0:1], 0x0
	s_load_b32 s3, s[0:1], 0x21c
	s_load_b64 s[6:7], s[0:1], 0x1b0
	s_add_nc_u64 s[12:13], s[0:1], 0x298
	s_and_saveexec_b32 s5, s2
	s_cbranch_execz .LBB72_7
; %bb.6:
	v_dual_mov_b32 v1, 0 :: v_dual_mov_b32 v2, s36
	ds_store_b32 v1, v1 offset:4112
	ds_store_b64 v1, v[1:2] offset:4104
.LBB72_7:
	s_or_b32 exec_lo, exec_lo, s5
	s_wait_loadcnt_dscnt 0x0
	s_barrier_signal -1
	s_barrier_wait -1
	global_inv scope:SCOPE_SE
	s_load_b32 s5, s[12:13], 0xc
	s_clause 0x2
	s_load_b32 s33, s[0:1], 0x144
	s_load_b64 s[34:35], s[0:1], 0xd8
	s_load_b32 s39, s[0:1], 0x6c
	v_mul_lo_u32 v15, s38, v0
	s_wait_kmcnt 0x0
	s_mul_i32 s44, s3, s31
	s_mov_b32 s45, 0
	v_mbcnt_lo_u32_b32 v16, -1, 0
	s_add_nc_u64 s[42:43], s[6:7], s[44:45]
	v_dual_mov_b32 v34, s11 :: v_dual_add_nc_u32 v1, 2, v0
	v_cmp_gt_u32_e32 vcc_lo, 32, v0
	v_add_co_u32 v9, s6, s42, v15
	s_wait_alu 0xf1ff
	v_add_co_ci_u32_e64 v10, null, s43, 0, s6
	v_cmp_gt_i32_e64 s3, 4, v16
	v_max_u32_e32 v3, s36, v1
	v_lshlrev_b64_e64 v[1:2], v16, -1
	v_dual_mov_b32 v18, 0 :: v_dual_lshlrev_b32 v17, 2, v0
	s_and_b32 s37, s5, 0xffff
	s_and_b32 s52, vcc_lo, s3
	s_wait_alu 0xfffe
	s_lshl_b32 s54, s37, 2
	s_add_co_i32 s53, s37, -1
	s_cvt_f32_u32 s6, s54
	s_bfe_u32 s5, s5, 0xb0005
	s_add_co_i32 s10, s53, s36
	s_cmp_gt_u32 s36, 0xc00
	s_wait_alu 0xfffe
	v_rcp_iflag_f32_e32 v4, s6
	s_cselect_b32 s55, -1, 0
	s_cmp_gt_u32 s37, 31
	v_not_b32_e32 v19, v1
	v_lshrrev_b32_e32 v1, 1, v0
	s_cselect_b32 s56, -1, 0
	s_cmp_lt_u32 ttmp9, s4
	s_movk_i32 s6, 0x1f0
	s_cselect_b32 s44, 12, 18
	s_add_co_i32 s4, s5, -1
	s_wait_alu 0xfffe
	v_and_or_b32 v20, v1, s6, 0xc00
	v_readfirstlane_b32 s6, v4
	s_and_b32 s4, s4, 0xffff
	s_bfe_u32 s58, s37, 0x30005
	s_cmp_gt_u32 s4, 6
	v_xad_u32 v2, v0, -1, v3
	s_cselect_b32 s59, -1, 0
	s_and_b32 s60, s5, 0x7f8
	s_mul_f32 s5, s6, 0x4f7ffffe
	s_cvt_f32_u32 s6, s37
	s_cmp_lg_u32 s58, 0
	v_add_nc_u32_e32 v3, -4, v2
	s_cvt_u32_f32 s5, s5
	s_cselect_b32 s61, -1, 0
	s_sub_co_i32 s7, 0, s54
	s_wait_alu 0xfffe
	v_rcp_iflag_f32_e32 v4, s6
	s_mul_i32 s7, s7, s5
	v_mad_co_u64_u32 v[13:14], null, s38, v17, s[38:39]
	s_wait_alu 0xfffe
	s_mul_hi_u32 s6, s5, s7
	v_mov_b32_e32 v14, 0
	s_wait_alu 0xfffe
	s_add_co_i32 s46, s5, s6
	v_lshrrev_b32_e32 v5, 2, v3
	s_mul_hi_u32 s5, s36, s46
	v_mov_b32_e32 v32, 0
	s_mul_i32 s5, s5, s54
	v_readfirstlane_b32 s6, v4
	s_sub_co_i32 s5, s36, s5
	v_add_nc_u32_e32 v1, 1, v5
	s_sub_co_i32 s7, s5, s54
	s_cmp_ge_u32 s5, s54
	s_mul_f32 s6, s6, 0x4f7ffffe
	s_wait_alu 0xfffe
	s_cselect_b32 s7, s7, s5
	v_dual_mov_b32 v31, 0 :: v_dual_and_b32 v4, 3, v1
	s_wait_alu 0xfffe
	s_sub_co_i32 s8, s7, s54
	s_cmp_ge_u32 s7, s54
	s_cvt_u32_f32 s9, s6
	s_cselect_b32 s14, s8, s7
	s_sub_co_i32 s6, 0, s37
	s_sub_co_i32 s66, s36, s14
	s_wait_alu 0xfffe
	s_mul_i32 s7, s6, s9
	v_add_nc_u32_e32 v24, s66, v0
	s_wait_alu 0xfffe
	s_mul_hi_u32 s8, s9, s7
	v_and_b32_e32 v23, 0x7ffffffc, v1
	s_add_co_i32 s48, s9, s8
	v_and_b32_e32 v21, -4, v2
	s_mul_hi_u32 s8, s10, s48
	v_mul_lo_u32 v1, v24, s38
	s_mul_i32 s8, s8, s37
	v_cmp_lt_u32_e64 s4, 31, v2
	s_sub_co_i32 s8, s10, s8
	v_cmp_lt_u32_e64 s5, 11, v3
	s_sub_co_i32 s9, s8, s37
	s_cmp_ge_u32 s8, s37
	v_cmp_ne_u32_e64 s7, v2, v21
	s_cselect_b32 s15, s9, s8
	v_or_b32_e32 v2, 2, v17
	s_sub_co_i32 s16, s15, s37
	s_cmp_ge_u32 s15, s37
	v_or_b32_e32 v3, 3, v17
	s_cselect_b32 s15, s16, s15
	v_add_co_u32 v11, s16, s42, v1
	v_add3_u32 v1, s37, s36, v0
	v_mul_lo_u32 v26, s38, v2
	v_mul_lo_u32 v27, s38, v3
	s_sub_co_i32 s67, s10, s15
	v_cmp_gt_u32_e64 s0, s36, v0
	v_subrev_nc_u32_e32 v1, s14, v1
	v_cmp_eq_u32_e64 s1, 0, v16
	v_cmp_gt_u32_e64 s3, 2, v0
	v_dual_mov_b32 v33, 0 :: v_dual_add_nc_u32 v22, v0, v21
	s_delay_alu instid0(VALU_DEP_4)
	v_mul_lo_u32 v29, s38, v1
	v_cmp_ne_u32_e64 s6, 0, v4
	v_cmp_gt_u32_e64 s8, s66, v17
	v_cmp_gt_u32_e64 s9, s36, v24
	v_add_co_ci_u32_e64 v12, null, s43, 0, s16
	s_wait_alu 0xfffe
	v_cmp_gt_u32_e64 s10, s67, v0
	v_lshlrev_b32_e32 v25, 2, v4
	v_lshlrev_b32_e32 v28, 2, v15
	v_lshl_or_b32 v30, v16, 2, 0xc00
	s_mul_i32 s57, s38, s37
	s_mov_b32 s62, s38
	s_mov_b32 s63, s38
	;; [unrolled: 1-line block ×7, first 2 shown]
	s_lshl_b32 s68, s57, 2
	s_add_nc_u64 s[50:51], s[12:13], s[44:45]
	s_mov_b32 s69, 0
                                        ; implicit-def: $sgpr73
                                        ; implicit-def: $sgpr75
                                        ; implicit-def: $sgpr70
                                        ; implicit-def: $sgpr72
                                        ; implicit-def: $sgpr74
                                        ; implicit-def: $sgpr71
	s_branch .LBB72_11
.LBB72_8:                               ;   in Loop: Header=BB72_11 Depth=1
	s_wait_alu 0xfffe
	s_or_b32 exec_lo, exec_lo, s15
	s_delay_alu instid0(SALU_CYCLE_1)
	s_and_b32 s12, s12, exec_lo
	s_and_not1_b32 s17, s17, exec_lo
	s_and_not1_b32 s16, s16, exec_lo
	s_or_not1_b32 s14, s14, exec_lo
.LBB72_9:                               ;   in Loop: Header=BB72_11 Depth=1
	s_wait_alu 0xfffe
	s_or_b32 exec_lo, exec_lo, s11
	s_delay_alu instid0(SALU_CYCLE_1)
	s_and_not1_b32 s11, s71, exec_lo
	s_and_b32 s12, s12, exec_lo
	s_and_not1_b32 s15, s72, exec_lo
	s_wait_alu 0xfffe
	s_or_b32 s71, s11, s12
	s_and_not1_b32 s11, s74, exec_lo
	s_and_b32 s12, s17, exec_lo
	s_and_b32 s16, s16, exec_lo
	s_wait_alu 0xfffe
	s_or_b32 s74, s11, s12
	s_or_b32 s72, s15, s16
	s_or_not1_b32 s15, s14, exec_lo
.LBB72_10:                              ;   in Loop: Header=BB72_11 Depth=1
	s_wait_alu 0xfffe
	s_or_b32 exec_lo, exec_lo, s13
	s_delay_alu instid0(SALU_CYCLE_1)
	s_and_b32 s11, exec_lo, s15
	v_mov_b32_e32 v34, v2
	s_wait_alu 0xfffe
	s_or_b32 s69, s11, s69
	s_and_not1_b32 s11, s70, exec_lo
	s_and_b32 s12, s71, exec_lo
	s_and_not1_b32 s13, s75, exec_lo
	s_wait_alu 0xfffe
	s_or_b32 s70, s11, s12
	s_and_b32 s11, s74, exec_lo
	s_and_not1_b32 s12, s73, exec_lo
	s_and_b32 s14, s72, exec_lo
	s_wait_alu 0xfffe
	s_or_b32 s75, s13, s11
	s_or_b32 s73, s12, s14
	s_mov_b32 s76, s22
	s_and_not1_b32 exec_lo, exec_lo, s69
	s_cbranch_execz .LBB72_246
.LBB72_11:                              ; =>This Loop Header: Depth=1
                                        ;     Child Loop BB72_16 Depth 2
                                        ;     Child Loop BB72_37 Depth 2
	;; [unrolled: 1-line block ×18, first 2 shown]
	ds_load_b64 v[1:2], v18 offset:4104
	s_wait_dscnt 0x0
	v_readfirstlane_b32 s44, v1
	s_cmp_lg_u32 s44, 0
	s_cbranch_scc1 .LBB72_56
; %bb.12:                               ;   in Loop: Header=BB72_11 Depth=1
	s_and_b32 vcc_lo, exec_lo, s55
	s_wait_alu 0xfffe
	s_cbranch_vccz .LBB72_24
; %bb.13:                               ;   in Loop: Header=BB72_11 Depth=1
	v_cmp_gt_u32_e32 vcc_lo, 0xc01, v2
	s_mov_b32 s13, 0
	s_mov_b32 s11, 0
	s_cbranch_vccz .LBB72_25
; %bb.14:                               ;   in Loop: Header=BB72_11 Depth=1
	global_load_u8 v2, v[9:10], off
	s_load_u16 s14, s[50:51], 0x0
	v_mov_b32_e32 v3, v0
	s_mov_b32 s15, 0
	s_wait_kmcnt 0x0
	v_add_nc_u32_e32 v1, s14, v0
	s_mul_i32 s16, s38, s14
	s_delay_alu instid0(VALU_DEP_1)
	v_mul_lo_u32 v1, s38, v1
	s_branch .LBB72_16
.LBB72_15:                              ;   in Loop: Header=BB72_16 Depth=2
	s_wait_alu 0xfffe
	s_or_b32 exec_lo, exec_lo, s12
	v_dual_mov_b32 v2, v4 :: v_dual_add_nc_u32 v1, s16, v1
	s_and_not1_b32 exec_lo, exec_lo, s15
	s_cbranch_execz .LBB72_31
.LBB72_16:                              ;   Parent Loop BB72_11 Depth=1
                                        ; =>  This Inner Loop Header: Depth=2
	v_dual_mov_b32 v4, 0 :: v_dual_add_nc_u32 v3, s14, v3
	s_wait_dscnt 0x0
	v_mov_b32_e32 v5, 0
	s_mov_b32 s12, exec_lo
	s_delay_alu instid0(VALU_DEP_2)
	v_cmp_le_u32_e32 vcc_lo, s36, v3
	v_cmpx_gt_u32_e64 s36, v3
	s_cbranch_execz .LBB72_18
; %bb.17:                               ;   in Loop: Header=BB72_16 Depth=2
	global_load_u8 v4, v1, s[42:43]
.LBB72_18:                              ;   in Loop: Header=BB72_16 Depth=2
	s_wait_alu 0xfffe
	s_or_b32 exec_lo, exec_lo, s12
	s_wait_loadcnt 0x0
	v_and_b32_e32 v6, v2, v32
	s_delay_alu instid0(VALU_DEP_1) | instskip(NEXT) | instid1(VALU_DEP_1)
	v_and_b32_e32 v6, 0xff, v6
	v_cmp_eq_u32_e64 s11, v6, v14
	s_cmp_lg_u32 s11, 0
	s_cselect_b32 s12, -1, 0
	s_wait_alu 0xfffe
	s_and_b32 s12, s1, s12
	s_wait_alu 0xfffe
	s_and_saveexec_b32 s17, s12
	s_cbranch_execz .LBB72_22
; %bb.19:                               ;   in Loop: Header=BB72_16 Depth=2
	s_mov_b32 s20, exec_lo
	s_bcnt1_i32_b32 s18, s11
	s_wait_alu 0xfffe
	v_mbcnt_lo_u32_b32 v5, s20, 0
	s_mov_b32 s19, exec_lo
                                        ; implicit-def: $vgpr6
	s_delay_alu instid0(VALU_DEP_1)
	v_cmpx_eq_u32_e32 0, v5
; %bb.20:                               ;   in Loop: Header=BB72_16 Depth=2
	s_bcnt1_i32_b32 s12, s20
	s_wait_alu 0xfffe
	s_mul_i32 s12, s18, s12
	s_wait_alu 0xfffe
	v_mov_b32_e32 v6, s12
	ds_add_rtn_u32 v6, v18, v6 offset:4112
; %bb.21:                               ;   in Loop: Header=BB72_16 Depth=2
	s_or_b32 exec_lo, exec_lo, s19
	s_wait_dscnt 0x0
	v_readfirstlane_b32 s12, v6
	s_wait_alu 0xf1ff
	s_delay_alu instid0(VALU_DEP_1)
	v_mad_u32_u24 v5, s18, v5, s12
.LBB72_22:                              ;   in Loop: Header=BB72_16 Depth=2
	s_wait_alu 0xfffe
	s_or_b32 exec_lo, exec_lo, s17
	ds_bpermute_b32 v5, v18, v5
	s_and_b32 s12, exec_lo, vcc_lo
	s_wait_alu 0xfffe
	s_or_b32 s15, s12, s15
	s_and_saveexec_b32 s12, s11
	s_cbranch_execz .LBB72_15
; %bb.23:                               ;   in Loop: Header=BB72_16 Depth=2
	v_and_b32_e32 v6, s11, v19
	s_wait_dscnt 0x0
	s_delay_alu instid0(VALU_DEP_1)
	v_bcnt_u32_b32 v5, v6, v5
	ds_store_b8 v5, v2
	s_branch .LBB72_15
.LBB72_24:                              ;   in Loop: Header=BB72_11 Depth=1
	s_mov_b32 s13, -1
	s_mov_b32 s11, 0
.LBB72_25:                              ;   in Loop: Header=BB72_11 Depth=1
	s_wait_alu 0xfffe
	s_and_b32 vcc_lo, exec_lo, s13
	s_wait_alu 0xfffe
	s_cbranch_vccz .LBB72_54
.LBB72_26:                              ;   in Loop: Header=BB72_11 Depth=1
	s_and_saveexec_b32 s12, s0
	s_cbranch_execz .LBB72_51
; %bb.27:                               ;   in Loop: Header=BB72_11 Depth=1
	global_load_u8 v35, v[9:10], off
	s_load_u16 s14, s[50:51], 0x0
	s_mov_b32 s13, exec_lo
	s_wait_kmcnt 0x0
	v_dual_mov_b32 v2, v0 :: v_dual_add_nc_u32 v1, s14, v0
	s_delay_alu instid0(VALU_DEP_1)
	v_cmpx_gt_u32_e64 s36, v1
	s_cbranch_execz .LBB72_50
; %bb.28:                               ;   in Loop: Header=BB72_11 Depth=1
	s_mov_b32 s11, 0
	s_mul_i32 s15, s38, s14
                                        ; implicit-def: $vgpr2
                                        ; implicit-def: $vgpr5
                                        ; implicit-def: $vgpr3
                                        ; implicit-def: $vgpr4
	s_and_saveexec_b32 s16, s4
	s_wait_alu 0xfffe
	s_xor_b32 s16, exec_lo, s16
	s_cbranch_execnz .LBB72_34
; %bb.29:                               ;   in Loop: Header=BB72_11 Depth=1
	s_wait_alu 0xfffe
	s_and_not1_saveexec_b32 s16, s16
	s_cbranch_execnz .LBB72_45
.LBB72_30:                              ;   in Loop: Header=BB72_11 Depth=1
	s_wait_alu 0xfffe
	s_or_b32 exec_lo, exec_lo, s16
	s_and_saveexec_b32 s15, s11
	s_cbranch_execnz .LBB72_46
	s_branch .LBB72_49
.LBB72_31:                              ;   in Loop: Header=BB72_11 Depth=1
	s_or_b32 exec_lo, exec_lo, s15
	s_wait_dscnt 0x0
	s_barrier_signal -1
	s_barrier_wait -1
	global_inv scope:SCOPE_SE
	s_and_saveexec_b32 s11, s2
	s_cbranch_execz .LBB72_33
; %bb.32:                               ;   in Loop: Header=BB72_11 Depth=1
	ds_load_b32 v1, v18 offset:4112
	s_wait_dscnt 0x0
	ds_store_b32 v18, v1 offset:4104
.LBB72_33:                              ;   in Loop: Header=BB72_11 Depth=1
	s_wait_alu 0xfffe
	s_or_b32 exec_lo, exec_lo, s11
	s_wait_loadcnt_dscnt 0x0
	s_barrier_signal -1
	s_mov_b32 s11, -1
	s_barrier_wait -1
	s_and_b32 vcc_lo, exec_lo, s13
	s_wait_alu 0xfffe
	s_cbranch_vccnz .LBB72_26
	s_branch .LBB72_54
.LBB72_34:                              ;   in Loop: Header=BB72_11 Depth=1
	v_add_nc_u32_e32 v2, s14, v1
	s_cvt_f32_u32 s11, s14
	s_wait_alu 0xfffe
	s_delay_alu instid0(SALU_CYCLE_2) | instskip(NEXT) | instid1(VALU_DEP_1)
	v_rcp_iflag_f32_e32 v3, s11
	v_max_u32_e32 v2, s36, v2
	s_lshl_b32 s11, s14, 1
	s_delay_alu instid0(VALU_DEP_1) | instskip(NEXT) | instid1(TRANS32_DEP_1)
	v_sub_nc_u32_e32 v2, v2, v0
	v_readfirstlane_b32 s17, v3
	s_wait_alu 0xfffe
	s_delay_alu instid0(VALU_DEP_2) | instskip(SKIP_3) | instid1(VALU_DEP_1)
	v_cmp_ne_u32_e32 vcc_lo, s11, v2
	s_mul_f32 s17, s17, 0x4f7ffffe
	s_wait_alu 0xfffd
	v_cndmask_b32_e64 v3, 0, 1, vcc_lo
	v_or_b32_e32 v3, s11, v3
	s_wait_alu 0xfffe
	s_cvt_u32_f32 s11, s17
	s_sub_co_i32 s17, 0, s14
	s_wait_alu 0xfffe
	s_delay_alu instid0(SALU_CYCLE_1)
	s_mul_i32 s17, s17, s11
	v_sub_nc_u32_e32 v2, v2, v3
	s_wait_alu 0xfffe
	s_mul_hi_u32 s17, s11, s17
	s_wait_alu 0xfffe
	s_add_co_i32 s11, s11, s17
	s_not_b32 s17, s15
	s_wait_alu 0xfffe
	v_mul_hi_u32 v3, v2, s11
	s_delay_alu instid0(VALU_DEP_1) | instskip(NEXT) | instid1(VALU_DEP_1)
	v_mul_lo_u32 v4, v3, s14
	v_sub_nc_u32_e32 v2, v2, v4
	v_add_nc_u32_e32 v4, 1, v3
	s_delay_alu instid0(VALU_DEP_2) | instskip(SKIP_2) | instid1(VALU_DEP_1)
	v_subrev_nc_u32_e32 v5, s14, v2
	v_cmp_le_u32_e64 s11, s14, v2
	s_wait_alu 0xf1ff
	v_cndmask_b32_e64 v3, v3, v4, s11
	s_delay_alu instid0(VALU_DEP_3) | instskip(NEXT) | instid1(VALU_DEP_2)
	v_cndmask_b32_e64 v2, v2, v5, s11
	v_add_nc_u32_e32 v4, 1, v3
	s_delay_alu instid0(VALU_DEP_2) | instskip(SKIP_1) | instid1(VALU_DEP_1)
	v_cmp_le_u32_e64 s11, s14, v2
	s_wait_alu 0xf1ff
	v_cndmask_b32_e64 v2, v3, v4, s11
	v_mul_lo_u32 v3, s38, v1
	s_abs_i32 s11, s15
	s_delay_alu instid0(VALU_DEP_2) | instskip(SKIP_1) | instid1(VALU_DEP_1)
	v_add_co_ci_u32_e64 v2, null, 0, v2, vcc_lo
	s_wait_alu 0xfffe
	v_mul_hi_u32 v4, s11, v2
	v_mul_lo_u32 v2, s11, v2
	s_ashr_i32 s11, s17, 31
	s_cmp_eq_u32 s14, 1
	s_wait_alu 0xfffe
	v_xor_b32_e32 v3, s11, v3
	s_cselect_b32 s17, -1, 0
	s_delay_alu instid0(VALU_DEP_3) | instskip(NEXT) | instid1(VALU_DEP_2)
	v_cmp_eq_u32_e32 vcc_lo, 0, v4
	v_cmp_le_u32_e64 s11, v2, v3
	v_mov_b32_e32 v3, v0
                                        ; implicit-def: $vgpr2
	s_wait_alu 0xfffe
	s_and_b32 s17, vcc_lo, s17
	s_wait_alu 0xfffe
	s_and_b32 s18, s17, s11
	s_mov_b32 s17, -1
	s_wait_alu 0xfffe
	s_and_saveexec_b32 s11, s18
	s_cbranch_execz .LBB72_44
; %bb.35:                               ;   in Loop: Header=BB72_11 Depth=1
	v_add_nc_u32_e32 v4, 3, v1
	v_dual_mov_b32 v38, 0 :: v_dual_add_nc_u32 v3, 2, v1
	v_add_nc_u32_e32 v2, 1, v1
	s_wait_loadcnt 0x0
	v_lshlrev_b32_e32 v36, 24, v35
	v_dual_mov_b32 v8, v4 :: v_dual_mov_b32 v5, v1
	s_delay_alu instid0(VALU_DEP_3)
	v_dual_mov_b32 v7, v3 :: v_dual_mov_b32 v6, v2
                                        ; implicit-def: $vgpr35
	s_and_saveexec_b32 s17, s5
	s_cbranch_execz .LBB72_39
; %bb.36:                               ;   in Loop: Header=BB72_11 Depth=1
	v_dual_mov_b32 v37, v23 :: v_dual_mov_b32 v8, v4
	v_dual_mov_b32 v7, v3 :: v_dual_mov_b32 v6, v2
	v_mov_b32_e32 v5, v1
	s_mov_b32 s18, 0
	s_mov_b32 s19, 0
.LBB72_37:                              ;   Parent Loop BB72_11 Depth=1
                                        ; =>  This Inner Loop Header: Depth=2
	s_delay_alu instid0(VALU_DEP_1)
	v_mul_lo_u32 v2, v5, s62
	v_mul_lo_u32 v38, v6, s63
	v_add_nc_u32_e32 v3, 4, v5
	v_mul_lo_u32 v35, v7, s64
	v_add_nc_u32_e32 v39, 4, v6
	;; [unrolled: 2-line block ×3, first 2 shown]
	v_mul_lo_u32 v53, v3, s62
	v_add_co_u32 v2, s20, s42, v2
	v_add_nc_u32_e32 v41, 4, v8
	v_add_nc_u32_e32 v42, 8, v5
	v_mul_lo_u32 v52, v39, s63
	s_wait_alu 0xf1ff
	v_add_co_ci_u32_e64 v3, null, s43, 0, s20
	v_add_co_u32 v38, s20, s42, v38
	v_add_nc_u32_e32 v43, 8, v6
	v_add_nc_u32_e32 v44, 8, v7
	v_mul_lo_u32 v51, v40, s64
	s_wait_alu 0xf1ff
	v_add_co_ci_u32_e64 v39, null, s43, 0, s20
	v_add_co_u32 v40, s20, s42, v35
	v_add_nc_u32_e32 v45, 8, v8
	v_add_nc_u32_e32 v46, 12, v5
	v_mul_lo_u32 v50, v41, s65
	v_mul_lo_u32 v55, v42, s62
	s_wait_alu 0xf1ff
	v_add_co_ci_u32_e64 v41, null, s43, 0, s20
	v_add_co_u32 v42, s20, s42, v4
	v_add_nc_u32_e32 v47, 12, v6
	v_add_nc_u32_e32 v48, 12, v7
	v_mul_lo_u32 v56, v44, s64
	v_mul_lo_u32 v54, v43, s63
	s_wait_alu 0xf1ff
	v_add_co_ci_u32_e64 v43, null, s43, 0, s20
	v_add_co_u32 v44, s20, s42, v53
	v_add_nc_u32_e32 v49, 12, v8
	v_mul_lo_u32 v58, v45, s65
	v_mul_lo_u32 v60, v46, s62
	s_wait_alu 0xf1ff
	v_add_co_ci_u32_e64 v45, null, s43, 0, s20
	v_add_co_u32 v46, s20, s42, v52
	v_mul_lo_u32 v64, v48, s64
	v_mul_lo_u32 v62, v47, s63
	s_wait_alu 0xf1ff
	v_add_co_ci_u32_e64 v47, null, s43, 0, s20
	v_add_co_u32 v48, s20, s42, v51
	v_mul_lo_u32 v66, v49, s65
	s_wait_alu 0xf1ff
	v_add_co_ci_u32_e64 v49, null, s43, 0, s20
	v_add_co_u32 v50, s20, s42, v50
	s_wait_alu 0xf1ff
	v_add_co_ci_u32_e64 v51, null, s43, 0, s20
	v_add_co_u32 v52, s20, s42, v55
	;; [unrolled: 3-line block ×9, first 2 shown]
	s_wait_alu 0xf1ff
	v_add_co_ci_u32_e64 v67, null, s43, 0, s20
	s_clause 0xf
	global_load_u8 v4, v[40:41], off
	global_load_u8 v40, v[42:43], off
	;; [unrolled: 1-line block ×16, first 2 shown]
	v_add_nc_u32_e32 v37, -4, v37
	s_wait_alu 0xfffe
	v_add_nc_u32_e32 v51, s19, v0
	s_add_co_i32 s19, s19, 16
	v_add_nc_u32_e32 v8, 16, v8
	v_add_nc_u32_e32 v7, 16, v7
	v_cmp_eq_u32_e32 vcc_lo, 0, v37
	v_add_nc_u32_e32 v6, 16, v6
	s_wait_alu 0xfffe
	v_dual_mov_b32 v38, s19 :: v_dual_add_nc_u32 v5, 16, v5
	s_or_b32 s18, vcc_lo, s18
	s_wait_loadcnt 0x9
	v_perm_b32 v4, v39, v4, 0xc0c0004
	s_wait_loadcnt 0x8
	v_perm_b32 v2, v36, v2, 0xc0c0007
	v_perm_b32 v36, v40, v41, 0xc0c0004
	;; [unrolled: 1-line block ×3, first 2 shown]
	s_wait_loadcnt 0x7
	v_perm_b32 v3, v43, v3, 0xc0c0004
	s_wait_loadcnt 0x4
	v_perm_b32 v41, v47, v45, 0xc0c0004
	v_lshl_or_b32 v39, v4, 16, v2
	s_wait_loadcnt 0x2
	v_perm_b32 v44, v48, v49, 0xc0c0004
	s_wait_loadcnt 0x1
	v_perm_b32 v43, v50, v48, 0xc0c0004
	v_perm_b32 v42, v46, v50, 0xc0c0004
	s_wait_loadcnt 0x0
	v_perm_b32 v45, v49, v35, 0xc0c0004
	v_lshl_or_b32 v40, v40, 16, v36
	v_lshl_or_b32 v41, v41, 16, v3
	;; [unrolled: 1-line block ×3, first 2 shown]
	s_delay_alu instid0(VALU_DEP_4)
	v_lshl_or_b32 v36, v45, 16, v43
	ds_store_b128 v51, v[39:42]
	s_wait_alu 0xfffe
	s_and_not1_b32 exec_lo, exec_lo, s18
	s_cbranch_execnz .LBB72_37
; %bb.38:                               ;   in Loop: Header=BB72_11 Depth=1
	s_or_b32 exec_lo, exec_lo, s18
.LBB72_39:                              ;   in Loop: Header=BB72_11 Depth=1
	s_wait_alu 0xfffe
	s_or_b32 exec_lo, exec_lo, s17
	s_and_saveexec_b32 s17, s6
	s_cbranch_execz .LBB72_43
; %bb.40:                               ;   in Loop: Header=BB72_11 Depth=1
	v_dual_mov_b32 v3, v25 :: v_dual_add_nc_u32 v2, v0, v38
	s_mov_b32 s18, 0
.LBB72_41:                              ;   Parent Loop BB72_11 Depth=1
                                        ; =>  This Inner Loop Header: Depth=2
	v_mul_lo_u32 v4, v5, s62
	v_mul_lo_u32 v35, v6, s63
	;; [unrolled: 1-line block ×4, first 2 shown]
	v_add_nc_u32_e32 v3, -4, v3
	v_add_nc_u32_e32 v8, 4, v8
	v_add_nc_u32_e32 v6, 4, v6
	;; [unrolled: 1-line block ×3, first 2 shown]
	v_add_co_u32 v37, s19, s42, v4
	s_wait_alu 0xf1ff
	v_add_co_ci_u32_e64 v38, null, s43, 0, s19
	v_add_co_u32 v39, s19, s42, v35
	s_wait_alu 0xf1ff
	v_add_co_ci_u32_e64 v40, null, s43, 0, s19
	;; [unrolled: 3-line block ×4, first 2 shown]
	s_clause 0x3
	global_load_u8 v4, v[39:40], off
	global_load_u8 v39, v[41:42], off
	;; [unrolled: 1-line block ×4, first 2 shown]
	v_cmp_eq_u32_e32 vcc_lo, 0, v3
	s_wait_alu 0xfffe
	s_or_b32 s18, vcc_lo, s18
	s_wait_loadcnt 0x2
	v_perm_b32 v38, v4, v39, 0xc0c0004
	s_wait_loadcnt 0x1
	v_perm_b32 v36, v36, v37, 0xc0c0007
	v_perm_b32 v4, v37, v4, 0xc0c0004
	s_wait_loadcnt 0x0
	v_perm_b32 v37, v39, v35, 0xc0c0004
	s_delay_alu instid0(VALU_DEP_3) | instskip(NEXT) | instid1(VALU_DEP_2)
	v_lshl_or_b32 v36, v38, 16, v36
	v_lshl_or_b32 v4, v37, 16, v4
	v_add_nc_u32_e32 v7, 4, v7
	ds_store_b32 v2, v36
	v_add_nc_u32_e32 v2, 4, v2
	v_mov_b32_e32 v36, v4
	s_wait_alu 0xfffe
	s_and_not1_b32 exec_lo, exec_lo, s18
	s_cbranch_execnz .LBB72_41
; %bb.42:                               ;   in Loop: Header=BB72_11 Depth=1
	s_or_b32 exec_lo, exec_lo, s18
.LBB72_43:                              ;   in Loop: Header=BB72_11 Depth=1
	s_wait_alu 0xfffe
	s_or_b32 exec_lo, exec_lo, s17
	v_add_nc_u32_e32 v1, v1, v21
	s_or_not1_b32 s17, s7, exec_lo
	s_delay_alu instid0(VALU_DEP_1)
	v_dual_mov_b32 v3, v22 :: v_dual_add_nc_u32 v2, -1, v1
.LBB72_44:                              ;   in Loop: Header=BB72_11 Depth=1
	s_wait_alu 0xfffe
	s_or_b32 exec_lo, exec_lo, s11
	s_wait_loadcnt 0x0
	v_dual_mov_b32 v4, s15 :: v_dual_mov_b32 v5, v35
	s_and_b32 s11, s17, exec_lo
	s_and_not1_saveexec_b32 s16, s16
	s_cbranch_execz .LBB72_30
.LBB72_45:                              ;   in Loop: Header=BB72_11 Depth=1
	s_wait_loadcnt 0x0
	v_dual_mov_b32 v4, s15 :: v_dual_mov_b32 v5, v35
	v_mov_b32_e32 v3, v0
	s_wait_alu 0xfffe
	s_or_b32 s11, s11, exec_lo
	s_or_b32 exec_lo, exec_lo, s16
	s_wait_alu 0xfffe
	s_and_saveexec_b32 s15, s11
	s_cbranch_execz .LBB72_49
.LBB72_46:                              ;   in Loop: Header=BB72_11 Depth=1
	v_mul_lo_u32 v2, s38, v1
	s_mov_b32 s16, 0
	s_sub_co_i32 s11, 0, s14
.LBB72_47:                              ;   Parent Loop BB72_11 Depth=1
                                        ; =>  This Inner Loop Header: Depth=2
	s_wait_loadcnt 0x0
	global_load_u8 v35, v2, s[42:43]
	v_mov_b32_e32 v6, v1
	ds_store_b8 v3, v5
	s_wait_loadcnt 0x0
	v_dual_mov_b32 v5, v35 :: v_dual_add_nc_u32 v2, v2, v4
	v_add_nc_u32_e32 v1, s14, v6
	v_mov_b32_e32 v3, v6
	s_delay_alu instid0(VALU_DEP_2)
	v_cmp_le_u32_e32 vcc_lo, s36, v1
	s_wait_alu 0xfffe
	s_or_b32 s16, vcc_lo, s16
	s_wait_alu 0xfffe
	s_and_not1_b32 exec_lo, exec_lo, s16
	s_cbranch_execnz .LBB72_47
; %bb.48:                               ;   in Loop: Header=BB72_11 Depth=1
	s_or_b32 exec_lo, exec_lo, s16
	v_add_nc_u32_e32 v2, s11, v1
.LBB72_49:                              ;   in Loop: Header=BB72_11 Depth=1
	s_wait_alu 0xfffe
	s_or_b32 exec_lo, exec_lo, s15
.LBB72_50:                              ;   in Loop: Header=BB72_11 Depth=1
	s_wait_alu 0xfffe
	s_or_b32 exec_lo, exec_lo, s13
	s_wait_loadcnt 0x0
	ds_store_b8 v2, v35
.LBB72_51:                              ;   in Loop: Header=BB72_11 Depth=1
	s_wait_alu 0xfffe
	s_or_b32 exec_lo, exec_lo, s12
	s_wait_loadcnt_dscnt 0x0
	s_barrier_signal -1
	s_barrier_wait -1
	global_inv scope:SCOPE_SE
	s_and_saveexec_b32 s11, s2
; %bb.52:                               ;   in Loop: Header=BB72_11 Depth=1
	v_mov_b32_e32 v1, s36
	ds_store_b32 v18, v1 offset:4104
; %bb.53:                               ;   in Loop: Header=BB72_11 Depth=1
	s_wait_alu 0xfffe
	s_or_b32 exec_lo, exec_lo, s11
	s_mov_b32 s11, -1
	s_wait_loadcnt_dscnt 0x0
	s_barrier_signal -1
	s_barrier_wait -1
.LBB72_54:                              ;   in Loop: Header=BB72_11 Depth=1
	s_wait_alu 0xfffe
	s_and_b32 vcc_lo, exec_lo, s11
	s_mov_b32 s44, 0
	s_wait_alu 0xfffe
	s_cbranch_vccz .LBB72_56
; %bb.55:                               ;   in Loop: Header=BB72_11 Depth=1
	s_wait_loadcnt 0x0
	global_inv scope:SCOPE_SE
	ds_load_b32 v1, v18 offset:4104
	s_wait_dscnt 0x0
	v_readfirstlane_b32 s44, v1
.LBB72_56:                              ;   in Loop: Header=BB72_11 Depth=1
	s_delay_alu instid0(VALU_DEP_1)
	s_cmp_lt_i32 s44, 1
	s_mov_b32 s11, -1
                                        ; implicit-def: $vgpr4
	s_cbranch_scc1 .LBB72_66
; %bb.57:                               ;   in Loop: Header=BB72_11 Depth=1
	s_wait_alu 0xfffe
	s_and_b32 vcc_lo, exec_lo, s11
	s_wait_alu 0xfffe
	s_cbranch_vccnz .LBB72_77
.LBB72_58:                              ;   in Loop: Header=BB72_11 Depth=1
	v_lshlrev_b32_e32 v5, 7, v31
	s_and_saveexec_b32 s11, s1
.LBB72_59:                              ;   in Loop: Header=BB72_11 Depth=1
	s_delay_alu instid0(VALU_DEP_1)
	v_lshl_add_u32 v6, v5, 2, v20
	ds_store_b128 v6, v[1:4]
.LBB72_60:                              ;   in Loop: Header=BB72_11 Depth=1
	s_wait_alu 0xfffe
	s_or_b32 exec_lo, exec_lo, s11
	s_wait_loadcnt_dscnt 0x0
	s_barrier_signal -1
	s_barrier_wait -1
	global_inv scope:SCOPE_SE
	s_and_saveexec_b32 s11, s52
	s_cbranch_execz .LBB72_90
; %bb.61:                               ;   in Loop: Header=BB72_11 Depth=1
	v_mov_b32_e32 v1, 0
	s_and_not1_b32 vcc_lo, exec_lo, s56
	s_wait_alu 0xfffe
	s_cbranch_vccnz .LBB72_89
; %bb.62:                               ;   in Loop: Header=BB72_11 Depth=1
	s_and_not1_b32 vcc_lo, exec_lo, s59
	s_wait_alu 0xfffe
	s_cbranch_vccnz .LBB72_86
; %bb.63:                               ;   in Loop: Header=BB72_11 Depth=1
	v_lshl_add_u32 v2, v31, 9, v30
	v_mov_b32_e32 v1, 0
	s_mov_b32 s12, 0
.LBB72_64:                              ;   Parent Loop BB72_11 Depth=1
                                        ; =>  This Inner Loop Header: Depth=2
	ds_load_2addr_b32 v[3:4], v2 offset1:4
	ds_load_2addr_b32 v[6:7], v2 offset0:8 offset1:12
	ds_load_2addr_b32 v[35:36], v2 offset0:16 offset1:20
	;; [unrolled: 1-line block ×3, first 2 shown]
	v_add_nc_u32_e32 v2, 0x80, v2
	s_wait_alu 0xfffe
	s_add_co_i32 s12, s12, 8
	s_wait_alu 0xfffe
	s_cmp_eq_u32 s60, s12
	s_wait_dscnt 0x3
	v_add3_u32 v1, v3, v1, v4
	s_wait_dscnt 0x2
	s_delay_alu instid0(VALU_DEP_1) | instskip(SKIP_1) | instid1(VALU_DEP_1)
	v_add3_u32 v1, v6, v1, v7
	s_wait_dscnt 0x1
	v_add3_u32 v1, v35, v1, v36
	s_wait_dscnt 0x0
	s_delay_alu instid0(VALU_DEP_1)
	v_add3_u32 v1, v37, v1, v38
	s_cbranch_scc0 .LBB72_64
; %bb.65:                               ;   in Loop: Header=BB72_11 Depth=1
	s_mov_b32 s12, s60
	s_and_not1_b32 vcc_lo, exec_lo, s61
	s_wait_alu 0xfffe
	s_cbranch_vccz .LBB72_87
	s_branch .LBB72_89
.LBB72_66:                              ;   in Loop: Header=BB72_11 Depth=1
	v_dual_mov_b32 v1, 0 :: v_dual_mov_b32 v2, 0
	v_dual_mov_b32 v3, 0 :: v_dual_mov_b32 v4, 0
	s_and_saveexec_b32 s77, s8
	s_cbranch_execz .LBB72_70
; %bb.67:                               ;   in Loop: Header=BB72_11 Depth=1
	v_mov_b32_e32 v5, v17
	s_mov_b32 s78, 0
	s_mov_b32 s79, 0
	;; [unrolled: 1-line block ×6, first 2 shown]
.LBB72_68:                              ;   Parent Loop BB72_11 Depth=1
                                        ; =>  This Inner Loop Header: Depth=2
	s_wait_alu 0xfffe
	v_add_nc_u32_e32 v1, s79, v28
	v_add_nc_u32_e32 v2, s79, v13
	;; [unrolled: 1-line block ×5, first 2 shown]
	s_clause 0x3
	global_load_u8 v1, v1, s[42:43]
	global_load_u8 v2, v2, s[42:43]
	;; [unrolled: 1-line block ×4, first 2 shown]
	s_add_co_i32 s79, s79, s68
	v_cmp_le_u32_e32 vcc_lo, s66, v5
	s_wait_loadcnt 0x3
	v_and_b32_e32 v6, v32, v1
	v_bfe_u32 v1, v1, s76, 2
	s_wait_loadcnt 0x2
	v_and_b32_e32 v7, v32, v2
	v_bfe_u32 v2, v2, s76, 2
	;; [unrolled: 3-line block ×3, first 2 shown]
	v_cmp_eq_u32_e64 s11, v6, v14
	v_cmp_eq_u32_e64 s15, 0, v1
	s_wait_loadcnt 0x0
	v_and_b32_e32 v35, v32, v4
	v_bfe_u32 v4, v4, s76, 2
	v_cmp_eq_u32_e64 s12, v7, v14
	v_cmp_eq_u32_e64 s16, 0, v2
	v_cmp_eq_u32_e64 s13, v8, v14
	v_cmp_eq_u32_e64 s17, 0, v3
	s_and_b32 s15, s11, s15
	v_cmp_eq_u32_e64 s14, v35, v14
	v_cmp_eq_u32_e64 s18, 0, v4
	;; [unrolled: 1-line block ×5, first 2 shown]
	s_wait_alu 0xfffe
	v_cndmask_b32_e64 v1, 0, 1, s15
	s_and_b32 s15, s12, s16
	v_cmp_eq_u32_e64 s20, 1, v2
	v_cmp_eq_u32_e64 s24, 2, v2
	v_cmp_eq_u32_e64 s28, 3, v2
	s_wait_alu 0xfffe
	v_cndmask_b32_e64 v2, 0, 1, s15
	s_and_b32 s15, s13, s17
	v_cmp_eq_u32_e64 s21, 1, v3
	v_cmp_eq_u32_e64 s25, 2, v3
	v_cmp_eq_u32_e64 s29, 3, v3
	;; [unrolled: 6-line block ×3, first 2 shown]
	s_wait_alu 0xfffe
	v_cndmask_b32_e64 v4, 0, 1, s15
	s_and_b32 s15, s11, s19
	s_wait_alu 0xfffe
	v_cndmask_b32_e64 v6, 0, 1, s15
	s_and_b32 s15, s12, s20
	;; [unrolled: 3-line block ×4, first 2 shown]
	v_cmp_ne_u32_e64 s16, 0, v7
	s_wait_alu 0xfffe
	v_cndmask_b32_e64 v35, 0, 1, s15
	s_and_b32 s15, s11, s23
	s_and_b32 s11, s11, s27
	s_wait_alu 0xfffe
	v_cndmask_b32_e64 v36, 0, 1, s15
	s_and_b32 s15, s12, s24
	v_cndmask_b32_e64 v40, 0, 1, s11
	s_and_b32 s11, s12, s28
	s_wait_alu 0xfffe
	v_cndmask_b32_e64 v37, 0, 1, s15
	s_and_b32 s15, s13, s25
	v_cndmask_b32_e64 v41, 0, 1, s11
	;; [unrolled: 5-line block ×3, first 2 shown]
	s_and_b32 s11, s14, s30
	s_wait_alu 0xfffe
	v_cndmask_b32_e64 v39, 0, 1, s15
	v_cndmask_b32_e64 v43, 0, 1, s11
	v_cmp_ne_u32_e64 s11, 0, v1
	v_cmp_ne_u32_e64 s15, 0, v6
	;; [unrolled: 1-line block ×11, first 2 shown]
	s_bcnt1_i32_b32 s11, s11
	s_bcnt1_i32_b32 s15, s15
	;; [unrolled: 1-line block ×4, first 2 shown]
	v_cmp_ne_u32_e64 s14, 0, v4
	v_cmp_ne_u32_e64 s18, 0, v35
	;; [unrolled: 1-line block ×4, first 2 shown]
	s_bcnt1_i32_b32 s12, s12
	s_bcnt1_i32_b32 s16, s16
	s_bcnt1_i32_b32 s20, s20
	s_bcnt1_i32_b32 s24, s24
	s_wait_alu 0xfffe
	s_add_co_i32 s11, s11, s83
	s_add_co_i32 s15, s15, s82
	s_add_co_i32 s19, s19, s81
	s_add_co_i32 s23, s23, s80
	s_bcnt1_i32_b32 s13, s13
	s_bcnt1_i32_b32 s17, s17
	s_bcnt1_i32_b32 s21, s21
	s_bcnt1_i32_b32 s25, s25
	s_wait_alu 0xfffe
	s_add_co_i32 s11, s11, s12
	s_add_co_i32 s12, s15, s16
	s_add_co_i32 s15, s19, s20
	s_add_co_i32 s16, s23, s24
	;; [unrolled: 9-line block ×3, first 2 shown]
	s_wait_alu 0xfffe
	s_add_co_i32 s83, s11, s14
	s_add_co_i32 s82, s12, s18
	;; [unrolled: 1-line block ×4, first 2 shown]
	s_wait_alu 0xfffe
	v_dual_mov_b32 v1, s83 :: v_dual_mov_b32 v2, s82
	v_dual_mov_b32 v3, s81 :: v_dual_mov_b32 v4, s80
	s_or_b32 s78, vcc_lo, s78
	s_wait_alu 0xfffe
	s_and_not1_b32 exec_lo, exec_lo, s78
	s_cbranch_execnz .LBB72_68
; %bb.69:                               ;   in Loop: Header=BB72_11 Depth=1
	s_or_b32 exec_lo, exec_lo, s78
.LBB72_70:                              ;   in Loop: Header=BB72_11 Depth=1
	s_wait_alu 0xfffe
	s_or_b32 exec_lo, exec_lo, s77
	s_and_saveexec_b32 s15, s9
	s_cbranch_execz .LBB72_76
; %bb.71:                               ;   in Loop: Header=BB72_11 Depth=1
	global_load_u8 v8, v[11:12], off
	v_dual_mov_b32 v5, v29 :: v_dual_mov_b32 v6, v24
	s_mov_b32 s16, 0
	s_branch .LBB72_73
.LBB72_72:                              ;   in Loop: Header=BB72_73 Depth=2
	s_wait_alu 0xfffe
	s_or_b32 exec_lo, exec_lo, s12
	s_wait_loadcnt 0x0
	v_and_b32_e32 v8, 0xff, v8
	s_and_b32 s12, exec_lo, vcc_lo
	v_add_nc_u32_e32 v5, s57, v5
	s_wait_alu 0xfffe
	s_or_b32 s16, s12, s16
	v_and_b32_e32 v35, v32, v8
	v_bfe_u32 v8, v8, s76, 2
	s_delay_alu instid0(VALU_DEP_2) | instskip(NEXT) | instid1(VALU_DEP_2)
	v_cmp_eq_u32_e32 vcc_lo, v35, v14
	v_cmp_eq_u32_e64 s11, 0, v8
	v_cmp_eq_u32_e64 s12, 1, v8
	;; [unrolled: 1-line block ×4, first 2 shown]
	s_and_b32 s11, vcc_lo, s11
	s_wait_alu 0xfffe
	v_cndmask_b32_e64 v8, 0, 1, s11
	s_and_b32 s11, vcc_lo, s12
	s_wait_alu 0xfffe
	v_cndmask_b32_e64 v35, 0, 1, s11
	;; [unrolled: 3-line block ×3, first 2 shown]
	s_and_b32 s11, vcc_lo, s14
	v_cmp_ne_u32_e32 vcc_lo, 0, v8
	s_wait_alu 0xfffe
	v_cndmask_b32_e64 v37, 0, 1, s11
	v_cmp_ne_u32_e64 s11, 0, v35
	v_cmp_ne_u32_e64 s12, 0, v36
	v_mov_b32_e32 v8, v7
	s_bcnt1_i32_b32 s14, vcc_lo
	v_cmp_ne_u32_e64 s13, 0, v37
	s_bcnt1_i32_b32 s11, s11
	s_bcnt1_i32_b32 s12, s12
	s_wait_alu 0xfffe
	v_add_nc_u32_e32 v1, s14, v1
	v_add_nc_u32_e32 v2, s11, v2
	s_bcnt1_i32_b32 s13, s13
	v_add_nc_u32_e32 v3, s12, v3
	s_wait_alu 0xfffe
	v_add_nc_u32_e32 v4, s13, v4
	s_and_not1_b32 exec_lo, exec_lo, s16
	s_cbranch_execz .LBB72_75
.LBB72_73:                              ;   Parent Loop BB72_11 Depth=1
                                        ; =>  This Inner Loop Header: Depth=2
	s_delay_alu instid0(VALU_DEP_1) | instskip(SKIP_1) | instid1(VALU_DEP_1)
	v_dual_mov_b32 v7, 0 :: v_dual_add_nc_u32 v6, s37, v6
	s_mov_b32 s12, exec_lo
	v_cmp_le_u32_e32 vcc_lo, s36, v6
	v_cmpx_gt_u32_e64 s36, v6
	s_cbranch_execz .LBB72_72
; %bb.74:                               ;   in Loop: Header=BB72_73 Depth=2
	global_load_u8 v7, v5, s[42:43]
	s_branch .LBB72_72
.LBB72_75:                              ;   in Loop: Header=BB72_11 Depth=1
	s_or_b32 exec_lo, exec_lo, s16
.LBB72_76:                              ;   in Loop: Header=BB72_11 Depth=1
	s_wait_alu 0xfffe
	s_or_b32 exec_lo, exec_lo, s15
	s_branch .LBB72_58
.LBB72_77:                              ;   in Loop: Header=BB72_11 Depth=1
	s_mul_u64 s[12:13], s[44:45], s[46:47]
	v_dual_mov_b32 v1, 0 :: v_dual_mov_b32 v2, 0
	s_wait_alu 0xfffe
	s_mul_i32 s11, s13, s54
	v_dual_mov_b32 v3, 0 :: v_dual_mov_b32 v4, 0
	s_wait_alu 0xfffe
	s_sub_co_i32 s11, s44, s11
	s_mov_b32 s78, exec_lo
	s_wait_alu 0xfffe
	s_sub_co_i32 s12, s11, s54
	s_cmp_ge_u32 s11, s54
	s_wait_alu 0xfffe
	s_cselect_b32 s11, s12, s11
	s_wait_alu 0xfffe
	s_sub_co_i32 s12, s11, s54
	s_cmp_ge_u32 s11, s54
	s_wait_alu 0xfffe
	s_cselect_b32 s11, s12, s11
	s_wait_alu 0xfffe
	s_sub_co_i32 s77, s44, s11
	s_wait_alu 0xfffe
	v_cmpx_gt_u32_e64 s77, v17
	s_cbranch_execz .LBB72_81
; %bb.78:                               ;   in Loop: Header=BB72_11 Depth=1
	v_mov_b32_e32 v5, v17
	s_mov_b32 s79, 0
	s_mov_b32 s80, 0
	;; [unrolled: 1-line block ×5, first 2 shown]
.LBB72_79:                              ;   Parent Loop BB72_11 Depth=1
                                        ; =>  This Inner Loop Header: Depth=2
	ds_load_b32 v1, v5
	s_wait_dscnt 0x0
	v_and_b32_e32 v2, 0xff, v1
	v_bfe_u32 v3, v1, 8, 8
	v_bfe_u32 v4, v1, 16, 8
	v_lshrrev_b32_e32 v1, 24, v1
	s_delay_alu instid0(VALU_DEP_4)
	v_and_b32_e32 v6, v32, v2
	v_bfe_u32 v2, v2, s76, 2
	v_and_b32_e32 v7, v32, v3
	v_bfe_u32 v3, v3, s76, 2
	v_and_b32_e32 v8, v32, v4
	v_bfe_u32 v4, v4, s76, 2
	v_cmp_eq_u32_e64 s11, v6, v14
	v_cmp_eq_u32_e64 s15, 0, v2
	v_and_b32_e32 v35, v32, v1
	v_bfe_u32 v1, v1, s76, 2
	v_cmp_eq_u32_e64 s12, v7, v14
	v_cmp_eq_u32_e64 s16, 0, v3
	v_cmp_eq_u32_e64 s13, v8, v14
	v_cmp_eq_u32_e64 s17, 0, v4
	s_and_b32 s15, s11, s15
	v_cmp_eq_u32_e64 s14, v35, v14
	v_cmp_eq_u32_e64 s18, 0, v1
	;; [unrolled: 1-line block ×5, first 2 shown]
	s_wait_alu 0xfffe
	v_cndmask_b32_e64 v1, 0, 1, s15
	s_and_b32 s15, s12, s16
	v_cmp_eq_u32_e64 s19, 1, v2
	v_cmp_eq_u32_e64 s23, 2, v2
	v_cmp_eq_u32_e64 s27, 3, v2
	s_wait_alu 0xfffe
	v_cndmask_b32_e64 v2, 0, 1, s15
	s_and_b32 s15, s13, s17
	v_cmp_eq_u32_e64 s20, 1, v3
	v_cmp_eq_u32_e64 s24, 2, v3
	v_cmp_eq_u32_e64 s28, 3, v3
	;; [unrolled: 6-line block ×3, first 2 shown]
	s_wait_alu 0xfffe
	v_cndmask_b32_e64 v4, 0, 1, s15
	s_and_b32 s15, s11, s19
	s_wait_alu 0xfffe
	v_cndmask_b32_e64 v6, 0, 1, s15
	s_and_b32 s15, s12, s20
	;; [unrolled: 3-line block ×4, first 2 shown]
	v_cmp_ne_u32_e64 s16, 0, v7
	s_wait_alu 0xfffe
	v_cndmask_b32_e64 v35, 0, 1, s15
	s_and_b32 s15, s11, s23
	s_and_b32 s11, s11, s27
	s_wait_alu 0xfffe
	v_cndmask_b32_e64 v36, 0, 1, s15
	s_and_b32 s15, s12, s24
	v_cndmask_b32_e64 v40, 0, 1, s11
	s_and_b32 s11, s12, s28
	s_wait_alu 0xfffe
	v_cndmask_b32_e64 v37, 0, 1, s15
	s_and_b32 s15, s13, s25
	v_cndmask_b32_e64 v41, 0, 1, s11
	s_and_b32 s11, s13, s29
	s_wait_alu 0xfffe
	v_cndmask_b32_e64 v38, 0, 1, s15
	s_and_b32 s15, s14, s26
	v_cndmask_b32_e64 v42, 0, 1, s11
	s_and_b32 s11, s14, s30
	s_wait_alu 0xfffe
	v_cndmask_b32_e64 v39, 0, 1, s15
	v_cndmask_b32_e64 v43, 0, 1, s11
	v_cmp_ne_u32_e64 s11, 0, v1
	v_cmp_ne_u32_e64 s15, 0, v6
	;; [unrolled: 1-line block ×6, first 2 shown]
	s_bcnt1_i32_b32 s11, s11
	s_bcnt1_i32_b32 s15, s15
	v_cmp_ne_u32_e64 s18, 0, v35
	v_cmp_ne_u32_e64 s20, 0, v37
	;; [unrolled: 1-line block ×3, first 2 shown]
	s_bcnt1_i32_b32 s12, s12
	s_bcnt1_i32_b32 s16, s16
	s_wait_alu 0xfffe
	s_add_co_i32 s11, s11, s83
	s_add_co_i32 s15, s15, s82
	v_cmp_ne_u32_e64 s13, 0, v3
	v_cmp_ne_u32_e64 s21, 0, v38
	;; [unrolled: 1-line block ×3, first 2 shown]
	s_bcnt1_i32_b32 s17, s17
	s_wait_alu 0xfffe
	s_add_co_i32 s11, s11, s12
	s_add_co_i32 s12, s15, s16
	s_bcnt1_i32_b32 s19, s19
	s_bcnt1_i32_b32 s23, s23
	v_cmp_ne_u32_e64 s14, 0, v4
	v_cmp_ne_u32_e64 s22, 0, v39
	;; [unrolled: 1-line block ×3, first 2 shown]
	s_bcnt1_i32_b32 s18, s18
	s_wait_alu 0xfffe
	s_add_co_i32 s12, s12, s17
	s_bcnt1_i32_b32 s20, s20
	s_bcnt1_i32_b32 s24, s24
	s_add_co_i32 s19, s19, s81
	s_add_co_i32 s23, s23, s80
	s_wait_alu 0xfffe
	s_add_co_i32 s82, s12, s18
	s_wait_alu 0xfffe
	v_dual_mov_b32 v2, s82 :: v_dual_add_nc_u32 v5, s54, v5
	s_bcnt1_i32_b32 s13, s13
	s_bcnt1_i32_b32 s21, s21
	s_bcnt1_i32_b32 s25, s25
	s_add_co_i32 s15, s19, s20
	s_add_co_i32 s16, s23, s24
	s_bcnt1_i32_b32 s14, s14
	s_bcnt1_i32_b32 s22, s22
	s_bcnt1_i32_b32 s26, s26
	s_wait_alu 0xfffe
	s_add_co_i32 s11, s11, s13
	s_add_co_i32 s13, s15, s21
	;; [unrolled: 1-line block ×3, first 2 shown]
	v_cmp_le_u32_e32 vcc_lo, s77, v5
	s_wait_alu 0xfffe
	s_add_co_i32 s83, s11, s14
	s_add_co_i32 s81, s13, s22
	;; [unrolled: 1-line block ×3, first 2 shown]
	s_wait_alu 0xfffe
	v_mov_b32_e32 v1, s83
	v_dual_mov_b32 v3, s81 :: v_dual_mov_b32 v4, s80
	s_or_b32 s79, vcc_lo, s79
	s_wait_alu 0xfffe
	s_and_not1_b32 exec_lo, exec_lo, s79
	s_cbranch_execnz .LBB72_79
; %bb.80:                               ;   in Loop: Header=BB72_11 Depth=1
	s_or_b32 exec_lo, exec_lo, s79
.LBB72_81:                              ;   in Loop: Header=BB72_11 Depth=1
	s_delay_alu instid0(SALU_CYCLE_1) | instskip(SKIP_2) | instid1(VALU_DEP_1)
	s_or_b32 exec_lo, exec_lo, s78
	v_add_nc_u32_e32 v5, s77, v0
	s_mov_b32 s16, exec_lo
	v_cmpx_gt_u32_e64 s44, v5
	s_cbranch_execz .LBB72_85
; %bb.82:                               ;   in Loop: Header=BB72_11 Depth=1
	s_mov_b32 s17, 0
.LBB72_83:                              ;   Parent Loop BB72_11 Depth=1
                                        ; =>  This Inner Loop Header: Depth=2
	ds_load_u8 v6, v5
	v_add_nc_u32_e32 v5, s37, v5
	s_delay_alu instid0(VALU_DEP_1) | instskip(SKIP_3) | instid1(VALU_DEP_2)
	v_cmp_le_u32_e32 vcc_lo, s44, v5
	s_wait_dscnt 0x0
	v_and_b32_e32 v7, v32, v6
	v_bfe_u32 v6, v6, s76, 2
	v_cmp_eq_u32_e64 s11, v7, v14
	s_delay_alu instid0(VALU_DEP_2)
	v_cmp_eq_u32_e64 s12, 0, v6
	v_cmp_eq_u32_e64 s13, 1, v6
	;; [unrolled: 1-line block ×4, first 2 shown]
	s_and_b32 s12, s11, s12
	s_wait_alu 0xfffe
	v_cndmask_b32_e64 v6, 0, 1, s12
	s_and_b32 s12, s11, s13
	s_wait_alu 0xfffe
	v_cndmask_b32_e64 v7, 0, 1, s12
	s_and_b32 s12, s11, s14
	s_and_b32 s11, s11, s15
	s_wait_alu 0xfffe
	v_cndmask_b32_e64 v8, 0, 1, s12
	v_cndmask_b32_e64 v35, 0, 1, s11
	v_cmp_ne_u32_e64 s11, 0, v6
	v_cmp_ne_u32_e64 s12, 0, v7
	s_delay_alu instid0(VALU_DEP_4) | instskip(NEXT) | instid1(VALU_DEP_4)
	v_cmp_ne_u32_e64 s13, 0, v8
	v_cmp_ne_u32_e64 s14, 0, v35
	s_bcnt1_i32_b32 s11, s11
	s_bcnt1_i32_b32 s12, s12
	s_wait_alu 0xfffe
	v_add_nc_u32_e32 v1, s11, v1
	s_bcnt1_i32_b32 s13, s13
	s_bcnt1_i32_b32 s14, s14
	v_add_nc_u32_e32 v2, s12, v2
	s_wait_alu 0xfffe
	v_add_nc_u32_e32 v3, s13, v3
	v_add_nc_u32_e32 v4, s14, v4
	s_or_b32 s17, vcc_lo, s17
	s_wait_alu 0xfffe
	s_and_not1_b32 exec_lo, exec_lo, s17
	s_cbranch_execnz .LBB72_83
; %bb.84:                               ;   in Loop: Header=BB72_11 Depth=1
	s_or_b32 exec_lo, exec_lo, s17
.LBB72_85:                              ;   in Loop: Header=BB72_11 Depth=1
	s_wait_alu 0xfffe
	s_or_b32 exec_lo, exec_lo, s16
	v_lshlrev_b32_e32 v5, 7, v31
	s_and_saveexec_b32 s11, s1
	s_cbranch_execnz .LBB72_59
	s_branch .LBB72_60
.LBB72_86:                              ;   in Loop: Header=BB72_11 Depth=1
	v_mov_b32_e32 v1, 0
	s_mov_b32 s12, 0
	s_and_not1_b32 vcc_lo, exec_lo, s61
	s_wait_alu 0xfffe
	s_cbranch_vccnz .LBB72_89
.LBB72_87:                              ;   in Loop: Header=BB72_11 Depth=1
	v_lshlrev_b32_e32 v2, 9, v31
	s_lshl_b32 s12, s12, 4
	s_wait_alu 0xfffe
	s_delay_alu instid0(VALU_DEP_1)
	v_add3_u32 v2, v2, s12, v30
	s_mov_b32 s12, s58
.LBB72_88:                              ;   Parent Loop BB72_11 Depth=1
                                        ; =>  This Inner Loop Header: Depth=2
	ds_load_b32 v3, v2
	v_add_nc_u32_e32 v2, 16, v2
	s_wait_alu 0xfffe
	s_add_co_i32 s12, s12, -1
	s_wait_alu 0xfffe
	s_cmp_lg_u32 s12, 0
	s_wait_dscnt 0x0
	v_add_nc_u32_e32 v1, v3, v1
	s_cbranch_scc1 .LBB72_88
.LBB72_89:                              ;   in Loop: Header=BB72_11 Depth=1
	v_add_lshl_u32 v2, v5, v16, 2
	ds_store_b32 v2, v1 offset:3072
.LBB72_90:                              ;   in Loop: Header=BB72_11 Depth=1
	s_wait_alu 0xfffe
	s_or_b32 exec_lo, exec_lo, s11
	v_lshlrev_b32_e32 v1, 2, v5
	s_wait_loadcnt_dscnt 0x0
	s_barrier_signal -1
	s_barrier_wait -1
	global_inv scope:SCOPE_SE
	ds_load_b128 v[1:4], v1 offset:3072
	s_lshl_b32 s12, 3, s76
	v_cmp_eq_u32_e32 vcc_lo, 1, v34
	s_wait_alu 0xfffe
	s_not_b32 s19, s12
	s_mov_b32 s15, -1
	s_mov_b32 s23, -1
                                        ; implicit-def: $sgpr20
                                        ; implicit-def: $sgpr17
	s_wait_dscnt 0x0
	v_readfirstlane_b32 s14, v1
	v_readfirstlane_b32 s21, v2
	;; [unrolled: 1-line block ×4, first 2 shown]
	s_cmp_eq_u32 s14, 1
	s_cselect_b32 s13, -1, 0
	s_wait_alu 0xfffe
	s_and_b32 s16, s13, vcc_lo
	s_wait_alu 0xfffe
	s_and_saveexec_b32 s13, s16
	s_cbranch_execz .LBB72_116
; %bb.91:                               ;   in Loop: Header=BB72_11 Depth=1
	ds_load_b32 v1, v18 offset:4104
	s_wait_loadcnt_dscnt 0x0
	s_barrier_signal -1
	s_barrier_wait -1
	global_inv scope:SCOPE_SE
	v_readfirstlane_b32 s23, v1
	s_and_saveexec_b32 s17, s3
; %bb.92:                               ;   in Loop: Header=BB72_11 Depth=1
	ds_store_b8 v0, v18 offset:3072
; %bb.93:                               ;   in Loop: Header=BB72_11 Depth=1
	s_wait_alu 0xfffe
	s_or_b32 exec_lo, exec_lo, s17
	v_and_b32_e32 v14, s19, v14
	v_or_b32_e32 v32, s12, v32
	s_mov_b32 s17, -1
	s_mov_b32 s20, 0
	s_cmp_eq_u32 s23, 0
	s_mov_b32 s22, 0
	s_mov_b32 s24, -1
	s_wait_loadcnt_dscnt 0x0
	s_barrier_signal -1
	s_barrier_wait -1
	global_inv scope:SCOPE_SE
                                        ; implicit-def: $vgpr33
	s_cbranch_scc1 .LBB72_104
; %bb.94:                               ;   in Loop: Header=BB72_11 Depth=1
	s_add_co_i32 s44, s23, s53
                                        ; implicit-def: $vgpr33
	s_wait_alu 0xfffe
	s_mul_u64 s[24:25], s[44:45], s[48:49]
	s_wait_alu 0xfffe
	s_mul_i32 s22, s25, s37
	s_mov_b32 s25, exec_lo
	s_wait_alu 0xfffe
	s_sub_co_i32 s22, s44, s22
	s_wait_alu 0xfffe
	s_sub_co_i32 s24, s22, s37
	s_cmp_ge_u32 s22, s37
	s_wait_alu 0xfffe
	s_cselect_b32 s22, s24, s22
	s_wait_alu 0xfffe
	s_sub_co_i32 s24, s22, s37
	s_cmp_ge_u32 s22, s37
	s_wait_alu 0xfffe
	s_cselect_b32 s22, s24, s22
	s_mov_b32 s24, 0
	s_wait_alu 0xfffe
	s_sub_co_i32 s26, s44, s22
	s_mov_b32 s22, 0
	s_wait_alu 0xfffe
	v_cmpx_gt_u32_e64 s26, v0
	s_cbranch_execz .LBB72_103
; %bb.95:                               ;   in Loop: Header=BB72_11 Depth=1
	v_mov_b32_e32 v1, v0
                                        ; implicit-def: $sgpr27
	s_branch .LBB72_98
.LBB72_96:                              ;   in Loop: Header=BB72_98 Depth=2
	s_wait_alu 0xfffe
	s_or_b32 exec_lo, exec_lo, s28
	s_wait_loadcnt_dscnt 0x0
	s_barrier_signal -1
	s_barrier_wait -1
	global_inv scope:SCOPE_SE
	ds_load_u16 v2, v18 offset:3072
	s_mov_b32 s29, -1
	s_mov_b32 s28, -1
	s_wait_loadcnt_dscnt 0x0
	s_barrier_signal -1
	s_barrier_wait -1
	global_inv scope:SCOPE_SE
	v_and_b32_e32 v3, 0xff, v2
	s_delay_alu instid0(VALU_DEP_1)
	v_cmp_ne_u32_e32 vcc_lo, 0, v3
	s_cbranch_vccz .LBB72_101
.LBB72_97:                              ;   in Loop: Header=BB72_98 Depth=2
	s_wait_alu 0xfffe
	s_and_b32 s29, exec_lo, s29
	s_wait_alu 0xfffe
	s_or_b32 s22, s29, s22
	s_and_not1_b32 s27, s27, exec_lo
	s_and_b32 s28, s28, exec_lo
	s_wait_alu 0xfffe
	s_or_b32 s27, s27, s28
	s_and_not1_b32 exec_lo, exec_lo, s22
	s_cbranch_execz .LBB72_102
.LBB72_98:                              ;   Parent Loop BB72_11 Depth=1
                                        ; =>  This Inner Loop Header: Depth=2
	s_mov_b32 s28, exec_lo
	s_delay_alu instid0(VALU_DEP_1)
	v_cmpx_gt_u32_e64 s23, v1
	s_cbranch_execz .LBB72_96
; %bb.99:                               ;   in Loop: Header=BB72_98 Depth=2
	ds_load_u8 v2, v1
	s_wait_dscnt 0x0
	v_and_b32_e32 v3, v2, v32
	s_delay_alu instid0(VALU_DEP_1) | instskip(NEXT) | instid1(VALU_DEP_1)
	v_and_b32_e32 v3, 0xff, v3
	v_cmp_eq_u32_e32 vcc_lo, v3, v14
	s_and_b32 exec_lo, exec_lo, vcc_lo
	s_cbranch_execz .LBB72_96
; %bb.100:                              ;   in Loop: Header=BB72_98 Depth=2
	v_lshlrev_b16 v2, 8, v2
	s_delay_alu instid0(VALU_DEP_1)
	v_or_b32_e32 v2, 1, v2
	ds_store_b16 v18, v2 offset:3072
	s_branch .LBB72_96
.LBB72_101:                             ;   in Loop: Header=BB72_98 Depth=2
	v_add_nc_u32_e32 v1, s37, v1
	s_mov_b32 s28, 0
	s_delay_alu instid0(VALU_DEP_1)
	v_cmp_le_u32_e32 vcc_lo, s26, v1
	s_or_not1_b32 s29, vcc_lo, exec_lo
	s_branch .LBB72_97
.LBB72_102:                             ;   in Loop: Header=BB72_11 Depth=1
	s_or_b32 exec_lo, exec_lo, s22
	v_and_b32_e32 v1, 0xffff, v2
	s_wait_alu 0xfffe
	s_and_b32 s22, s27, exec_lo
	s_delay_alu instid0(VALU_DEP_1)
	v_lshrrev_b32_e32 v33, 8, v1
.LBB72_103:                             ;   in Loop: Header=BB72_11 Depth=1
	s_or_b32 exec_lo, exec_lo, s25
.LBB72_104:                             ;   in Loop: Header=BB72_11 Depth=1
	s_wait_alu 0xfffe
	s_and_b32 vcc_lo, exec_lo, s24
	s_wait_alu 0xfffe
	s_cbranch_vccz .LBB72_115
; %bb.105:                              ;   in Loop: Header=BB72_11 Depth=1
                                        ; implicit-def: $vgpr33
	s_and_saveexec_b32 s17, s10
	s_cbranch_execz .LBB72_114
; %bb.106:                              ;   in Loop: Header=BB72_11 Depth=1
	v_dual_mov_b32 v1, v15 :: v_dual_mov_b32 v2, v0
	s_mov_b32 s23, 0
                                        ; implicit-def: $sgpr20
	s_branch .LBB72_109
.LBB72_107:                             ;   in Loop: Header=BB72_109 Depth=2
	s_wait_alu 0xfffe
	s_or_b32 exec_lo, exec_lo, s24
	s_wait_loadcnt_dscnt 0x0
	s_barrier_signal -1
	s_barrier_wait -1
	global_inv scope:SCOPE_SE
	ds_load_u16 v3, v18 offset:3072
	s_mov_b32 s24, -1
	s_mov_b32 s25, -1
	s_wait_loadcnt_dscnt 0x0
	s_barrier_signal -1
	s_barrier_wait -1
	global_inv scope:SCOPE_SE
	v_and_b32_e32 v4, 0xff, v3
	s_delay_alu instid0(VALU_DEP_1)
	v_cmp_ne_u32_e32 vcc_lo, 0, v4
	s_cbranch_vccz .LBB72_112
.LBB72_108:                             ;   in Loop: Header=BB72_109 Depth=2
	s_wait_alu 0xfffe
	s_and_b32 s24, exec_lo, s24
	s_wait_alu 0xfffe
	s_or_b32 s23, s24, s23
	s_and_not1_b32 s20, s20, exec_lo
	s_and_b32 s24, s25, exec_lo
	s_wait_alu 0xfffe
	s_or_b32 s20, s20, s24
	s_and_not1_b32 exec_lo, exec_lo, s23
	s_cbranch_execz .LBB72_113
.LBB72_109:                             ;   Parent Loop BB72_11 Depth=1
                                        ; =>  This Inner Loop Header: Depth=2
	s_mov_b32 s24, exec_lo
	s_delay_alu instid0(VALU_DEP_1)
	v_cmpx_gt_u32_e64 s36, v2
	s_cbranch_execz .LBB72_107
; %bb.110:                              ;   in Loop: Header=BB72_109 Depth=2
	global_load_u8 v3, v1, s[42:43]
	s_wait_loadcnt 0x0
	v_and_b32_e32 v4, v3, v32
	s_delay_alu instid0(VALU_DEP_1) | instskip(NEXT) | instid1(VALU_DEP_1)
	v_and_b32_e32 v4, 0xff, v4
	v_cmp_eq_u32_e32 vcc_lo, v4, v14
	s_and_b32 exec_lo, exec_lo, vcc_lo
	s_cbranch_execz .LBB72_107
; %bb.111:                              ;   in Loop: Header=BB72_109 Depth=2
	v_lshlrev_b16 v3, 8, v3
	s_delay_alu instid0(VALU_DEP_1)
	v_or_b32_e32 v3, 1, v3
	ds_store_b16 v18, v3 offset:3072
	s_branch .LBB72_107
.LBB72_112:                             ;   in Loop: Header=BB72_109 Depth=2
	v_add_nc_u32_e32 v2, s37, v2
	v_add_nc_u32_e32 v1, s57, v1
	s_mov_b32 s25, 0
	s_delay_alu instid0(VALU_DEP_2)
	v_cmp_le_u32_e32 vcc_lo, s67, v2
	s_or_not1_b32 s24, vcc_lo, exec_lo
	s_branch .LBB72_108
.LBB72_113:                             ;   in Loop: Header=BB72_11 Depth=1
	s_or_b32 exec_lo, exec_lo, s23
	v_and_b32_e32 v1, 0xffff, v3
	s_and_not1_b32 s22, s22, exec_lo
	s_wait_alu 0xfffe
	s_and_b32 s20, s20, exec_lo
	s_wait_alu 0xfffe
	s_or_b32 s22, s22, s20
	v_lshrrev_b32_e32 v33, 8, v1
.LBB72_114:                             ;   in Loop: Header=BB72_11 Depth=1
	s_wait_alu 0xfffe
	s_or_b32 exec_lo, exec_lo, s17
	s_mov_b32 s17, 0
	s_mov_b32 s20, -1
.LBB72_115:                             ;   in Loop: Header=BB72_11 Depth=1
	s_or_not1_b32 s23, s22, exec_lo
.LBB72_116:                             ;   in Loop: Header=BB72_11 Depth=1
	s_wait_alu 0xfffe
	s_or_b32 exec_lo, exec_lo, s13
	v_readfirstlane_b32 s22, v0
	s_and_not1_b32 s13, s74, exec_lo
	s_and_b32 s20, s20, exec_lo
	s_and_not1_b32 s24, s72, exec_lo
	s_and_b32 s17, s17, exec_lo
	s_and_not1_b32 s71, s71, exec_lo
	s_wait_alu 0xfffe
	s_or_b32 s74, s13, s20
	s_or_b32 s72, s24, s17
                                        ; implicit-def: $vgpr2
	s_and_saveexec_b32 s13, s23
	s_cbranch_execz .LBB72_10
; %bb.117:                              ;   in Loop: Header=BB72_11 Depth=1
	v_dual_mov_b32 v2, 1 :: v_dual_mov_b32 v1, 1
	s_xor_b32 s16, s16, -1
	s_mov_b32 s22, 0
	s_wait_alu 0xfffe
	s_and_saveexec_b32 s15, s16
	s_cbranch_execz .LBB72_126
; %bb.118:                              ;   in Loop: Header=BB72_11 Depth=1
	s_mov_b32 s16, exec_lo
	v_cmpx_ge_u32_e64 s14, v34
	s_wait_alu 0xfffe
	s_xor_b32 s16, exec_lo, s16
	s_cbranch_execz .LBB72_123
; %bb.119:                              ;   in Loop: Header=BB72_11 Depth=1
	ds_load_b32 v1, v18 offset:4104
	v_and_b32_e32 v14, s19, v14
	v_or_b32_e32 v32, s12, v32
	s_wait_dscnt 0x0
	v_cmp_ne_u32_e32 vcc_lo, 0, v1
	s_cbranch_vccnz .LBB72_123
; %bb.120:                              ;   in Loop: Header=BB72_11 Depth=1
	s_and_saveexec_b32 s17, s2
; %bb.121:                              ;   in Loop: Header=BB72_11 Depth=1
	v_mov_b32_e32 v1, s14
	ds_store_b32 v18, v1 offset:4108
; %bb.122:                              ;   in Loop: Header=BB72_11 Depth=1
	s_wait_alu 0xfffe
	s_or_b32 exec_lo, exec_lo, s17
	s_wait_loadcnt_dscnt 0x0
	s_barrier_signal -1
	s_barrier_wait -1
	global_inv scope:SCOPE_SE
.LBB72_123:                             ;   in Loop: Header=BB72_11 Depth=1
	s_wait_alu 0xfffe
	s_or_saveexec_b32 s16, s16
	v_mov_b32_e32 v1, 8
	s_mov_b32 s17, 0
	s_wait_alu 0xfffe
	s_xor_b32 exec_lo, exec_lo, s16
; %bb.124:                              ;   in Loop: Header=BB72_11 Depth=1
	v_subrev_nc_u32_e32 v34, s14, v34
	v_mov_b32_e32 v1, 0
	s_mov_b32 s17, exec_lo
; %bb.125:                              ;   in Loop: Header=BB72_11 Depth=1
	s_or_b32 exec_lo, exec_lo, s16
	s_delay_alu instid0(VALU_DEP_2)
	v_mov_b32_e32 v2, v34
	s_wait_alu 0xfffe
	s_and_b32 s22, s17, exec_lo
.LBB72_126:                             ;   in Loop: Header=BB72_11 Depth=1
	s_wait_alu 0xfffe
	s_or_b32 exec_lo, exec_lo, s15
	s_mov_b32 s14, -1
	s_mov_b32 s20, -1
                                        ; implicit-def: $sgpr16
                                        ; implicit-def: $sgpr17
	s_and_saveexec_b32 s15, s22
	s_wait_alu 0xfffe
	s_xor_b32 s15, exec_lo, s15
	s_cbranch_execz .LBB72_243
; %bb.127:                              ;   in Loop: Header=BB72_11 Depth=1
	v_cmp_eq_u32_e32 vcc_lo, 1, v2
	s_cmp_eq_u32 s21, 1
	s_mov_b32 s23, -1
	s_cselect_b32 s16, -1, 0
                                        ; implicit-def: $sgpr17
	s_wait_alu 0xfffe
	s_and_b32 s22, s16, vcc_lo
                                        ; implicit-def: $sgpr16
	s_wait_alu 0xfffe
	s_and_saveexec_b32 s20, s22
	s_cbranch_execz .LBB72_153
; %bb.128:                              ;   in Loop: Header=BB72_11 Depth=1
	ds_load_b32 v3, v18 offset:4104
	s_wait_loadcnt_dscnt 0x0
	s_barrier_signal -1
	s_barrier_wait -1
	global_inv scope:SCOPE_SE
	v_readfirstlane_b32 s24, v3
	s_and_saveexec_b32 s16, s3
; %bb.129:                              ;   in Loop: Header=BB72_11 Depth=1
	ds_store_b8 v0, v18 offset:3072
; %bb.130:                              ;   in Loop: Header=BB72_11 Depth=1
	s_wait_alu 0xfffe
	s_or_b32 exec_lo, exec_lo, s16
	s_lshl_b32 s16, 1, s76
	v_or_b32_e32 v32, s12, v32
	s_wait_alu 0xfffe
	v_and_or_b32 v14, v14, s19, s16
	s_mov_b32 s16, -1
	s_mov_b32 s17, 0
	s_cmp_eq_u32 s24, 0
	s_mov_b32 s23, 0
	s_mov_b32 s25, -1
	s_wait_loadcnt_dscnt 0x0
	s_barrier_signal -1
	s_barrier_wait -1
	global_inv scope:SCOPE_SE
                                        ; implicit-def: $vgpr33
	s_cbranch_scc1 .LBB72_141
; %bb.131:                              ;   in Loop: Header=BB72_11 Depth=1
	s_add_co_i32 s44, s24, s53
                                        ; implicit-def: $vgpr33
	s_wait_alu 0xfffe
	s_mul_u64 s[26:27], s[44:45], s[48:49]
	s_mov_b32 s26, exec_lo
	s_wait_alu 0xfffe
	s_mul_i32 s23, s27, s37
	s_wait_alu 0xfffe
	s_sub_co_i32 s23, s44, s23
	s_wait_alu 0xfffe
	s_sub_co_i32 s25, s23, s37
	s_cmp_ge_u32 s23, s37
	s_wait_alu 0xfffe
	s_cselect_b32 s23, s25, s23
	s_wait_alu 0xfffe
	s_sub_co_i32 s25, s23, s37
	s_cmp_ge_u32 s23, s37
	s_wait_alu 0xfffe
	s_cselect_b32 s23, s25, s23
	s_mov_b32 s25, 0
	s_wait_alu 0xfffe
	s_sub_co_i32 s27, s44, s23
	s_mov_b32 s23, 0
	s_wait_alu 0xfffe
	v_cmpx_gt_u32_e64 s27, v0
	s_cbranch_execz .LBB72_140
; %bb.132:                              ;   in Loop: Header=BB72_11 Depth=1
	v_mov_b32_e32 v3, v0
                                        ; implicit-def: $sgpr28
	s_branch .LBB72_135
.LBB72_133:                             ;   in Loop: Header=BB72_135 Depth=2
	s_wait_alu 0xfffe
	s_or_b32 exec_lo, exec_lo, s29
	s_wait_loadcnt_dscnt 0x0
	s_barrier_signal -1
	s_barrier_wait -1
	global_inv scope:SCOPE_SE
	ds_load_u16 v4, v18 offset:3072
	s_mov_b32 s30, -1
	s_mov_b32 s29, -1
	s_wait_loadcnt_dscnt 0x0
	s_barrier_signal -1
	s_barrier_wait -1
	global_inv scope:SCOPE_SE
	v_and_b32_e32 v5, 0xff, v4
	s_delay_alu instid0(VALU_DEP_1)
	v_cmp_ne_u32_e32 vcc_lo, 0, v5
	s_cbranch_vccz .LBB72_138
.LBB72_134:                             ;   in Loop: Header=BB72_135 Depth=2
	s_wait_alu 0xfffe
	s_and_b32 s30, exec_lo, s30
	s_wait_alu 0xfffe
	s_or_b32 s23, s30, s23
	s_and_not1_b32 s28, s28, exec_lo
	s_and_b32 s29, s29, exec_lo
	s_wait_alu 0xfffe
	s_or_b32 s28, s28, s29
	s_and_not1_b32 exec_lo, exec_lo, s23
	s_cbranch_execz .LBB72_139
.LBB72_135:                             ;   Parent Loop BB72_11 Depth=1
                                        ; =>  This Inner Loop Header: Depth=2
	s_mov_b32 s29, exec_lo
	s_delay_alu instid0(VALU_DEP_1)
	v_cmpx_gt_u32_e64 s24, v3
	s_cbranch_execz .LBB72_133
; %bb.136:                              ;   in Loop: Header=BB72_135 Depth=2
	ds_load_u8 v4, v3
	s_wait_dscnt 0x0
	v_and_b32_e32 v5, v4, v32
	s_delay_alu instid0(VALU_DEP_1) | instskip(NEXT) | instid1(VALU_DEP_1)
	v_and_b32_e32 v5, 0xff, v5
	v_cmp_eq_u32_e32 vcc_lo, v5, v14
	s_and_b32 exec_lo, exec_lo, vcc_lo
	s_cbranch_execz .LBB72_133
; %bb.137:                              ;   in Loop: Header=BB72_135 Depth=2
	v_lshlrev_b16 v4, 8, v4
	s_delay_alu instid0(VALU_DEP_1)
	v_or_b32_e32 v4, 1, v4
	ds_store_b16 v18, v4 offset:3072
	s_branch .LBB72_133
.LBB72_138:                             ;   in Loop: Header=BB72_135 Depth=2
	v_add_nc_u32_e32 v3, s37, v3
	s_mov_b32 s29, 0
	s_delay_alu instid0(VALU_DEP_1)
	v_cmp_le_u32_e32 vcc_lo, s27, v3
	s_or_not1_b32 s30, vcc_lo, exec_lo
	s_branch .LBB72_134
.LBB72_139:                             ;   in Loop: Header=BB72_11 Depth=1
	s_or_b32 exec_lo, exec_lo, s23
	v_and_b32_e32 v3, 0xffff, v4
	s_wait_alu 0xfffe
	s_and_b32 s23, s28, exec_lo
	s_delay_alu instid0(VALU_DEP_1)
	v_lshrrev_b32_e32 v33, 8, v3
.LBB72_140:                             ;   in Loop: Header=BB72_11 Depth=1
	s_or_b32 exec_lo, exec_lo, s26
.LBB72_141:                             ;   in Loop: Header=BB72_11 Depth=1
	s_wait_alu 0xfffe
	s_and_b32 vcc_lo, exec_lo, s25
	s_wait_alu 0xfffe
	s_cbranch_vccz .LBB72_152
; %bb.142:                              ;   in Loop: Header=BB72_11 Depth=1
                                        ; implicit-def: $vgpr33
	s_and_saveexec_b32 s16, s10
	s_cbranch_execz .LBB72_151
; %bb.143:                              ;   in Loop: Header=BB72_11 Depth=1
	v_dual_mov_b32 v3, v15 :: v_dual_mov_b32 v4, v0
	s_mov_b32 s17, 0
                                        ; implicit-def: $sgpr24
	s_branch .LBB72_146
.LBB72_144:                             ;   in Loop: Header=BB72_146 Depth=2
	s_wait_alu 0xfffe
	s_or_b32 exec_lo, exec_lo, s25
	s_wait_loadcnt_dscnt 0x0
	s_barrier_signal -1
	s_barrier_wait -1
	global_inv scope:SCOPE_SE
	ds_load_u16 v5, v18 offset:3072
	s_mov_b32 s25, -1
	s_mov_b32 s26, -1
	s_wait_loadcnt_dscnt 0x0
	s_barrier_signal -1
	s_barrier_wait -1
	global_inv scope:SCOPE_SE
	v_and_b32_e32 v6, 0xff, v5
	s_delay_alu instid0(VALU_DEP_1)
	v_cmp_eq_u32_e32 vcc_lo, 0, v6
	s_cbranch_vccnz .LBB72_149
.LBB72_145:                             ;   in Loop: Header=BB72_146 Depth=2
	s_wait_alu 0xfffe
	s_and_b32 s25, exec_lo, s25
	s_wait_alu 0xfffe
	s_or_b32 s17, s25, s17
	s_and_not1_b32 s24, s24, exec_lo
	s_and_b32 s25, s26, exec_lo
	s_wait_alu 0xfffe
	s_or_b32 s24, s24, s25
	s_and_not1_b32 exec_lo, exec_lo, s17
	s_cbranch_execz .LBB72_150
.LBB72_146:                             ;   Parent Loop BB72_11 Depth=1
                                        ; =>  This Inner Loop Header: Depth=2
	s_mov_b32 s25, exec_lo
	s_delay_alu instid0(VALU_DEP_1)
	v_cmpx_gt_u32_e64 s36, v4
	s_cbranch_execz .LBB72_144
; %bb.147:                              ;   in Loop: Header=BB72_146 Depth=2
	global_load_u8 v5, v3, s[42:43]
	s_wait_loadcnt 0x0
	v_and_b32_e32 v6, v5, v32
	s_delay_alu instid0(VALU_DEP_1) | instskip(NEXT) | instid1(VALU_DEP_1)
	v_and_b32_e32 v6, 0xff, v6
	v_cmp_eq_u32_e32 vcc_lo, v6, v14
	s_and_b32 exec_lo, exec_lo, vcc_lo
	s_cbranch_execz .LBB72_144
; %bb.148:                              ;   in Loop: Header=BB72_146 Depth=2
	v_lshlrev_b16 v5, 8, v5
	s_delay_alu instid0(VALU_DEP_1)
	v_or_b32_e32 v5, 1, v5
	ds_store_b16 v18, v5 offset:3072
	s_branch .LBB72_144
.LBB72_149:                             ;   in Loop: Header=BB72_146 Depth=2
	v_add_nc_u32_e32 v4, s37, v4
	v_add_nc_u32_e32 v3, s57, v3
	s_mov_b32 s26, 0
	s_delay_alu instid0(VALU_DEP_2)
	v_cmp_le_u32_e32 vcc_lo, s67, v4
	s_or_not1_b32 s25, vcc_lo, exec_lo
	s_branch .LBB72_145
.LBB72_150:                             ;   in Loop: Header=BB72_11 Depth=1
	s_or_b32 exec_lo, exec_lo, s17
	v_and_b32_e32 v3, 0xffff, v5
	s_and_not1_b32 s17, s23, exec_lo
	s_wait_alu 0xfffe
	s_and_b32 s23, s24, exec_lo
	s_wait_alu 0xfffe
	s_or_b32 s23, s17, s23
	v_lshrrev_b32_e32 v33, 8, v3
.LBB72_151:                             ;   in Loop: Header=BB72_11 Depth=1
	s_wait_alu 0xfffe
	s_or_b32 exec_lo, exec_lo, s16
	s_mov_b32 s16, 0
	s_mov_b32 s17, -1
.LBB72_152:                             ;   in Loop: Header=BB72_11 Depth=1
	s_or_not1_b32 s23, s23, exec_lo
.LBB72_153:                             ;   in Loop: Header=BB72_11 Depth=1
	s_wait_alu 0xfffe
	s_or_b32 exec_lo, exec_lo, s20
	s_mov_b32 s24, 0
	s_and_saveexec_b32 s20, s23
	s_cbranch_execz .LBB72_242
; %bb.154:                              ;   in Loop: Header=BB72_11 Depth=1
	v_mov_b32_e32 v3, 1
	v_mov_b32_e32 v1, 1
	s_xor_b32 s23, s22, -1
	s_mov_b32 s25, 0
	s_wait_alu 0xfffe
	s_and_saveexec_b32 s22, s23
	s_cbranch_execz .LBB72_163
; %bb.155:                              ;   in Loop: Header=BB72_11 Depth=1
	s_mov_b32 s23, exec_lo
	v_cmpx_ge_u32_e64 s21, v2
	s_wait_alu 0xfffe
	s_xor_b32 s23, exec_lo, s23
	s_cbranch_execz .LBB72_160
; %bb.156:                              ;   in Loop: Header=BB72_11 Depth=1
	ds_load_b32 v1, v18 offset:4104
	s_lshl_b32 s24, 1, s76
	v_or_b32_e32 v32, s12, v32
	s_wait_alu 0xfffe
	v_and_or_b32 v14, v14, s19, s24
	s_wait_dscnt 0x0
	v_cmp_ne_u32_e32 vcc_lo, 0, v1
	s_cbranch_vccnz .LBB72_160
; %bb.157:                              ;   in Loop: Header=BB72_11 Depth=1
	s_and_saveexec_b32 s24, s2
; %bb.158:                              ;   in Loop: Header=BB72_11 Depth=1
	v_mov_b32_e32 v1, s21
	ds_store_b32 v18, v1 offset:4108
; %bb.159:                              ;   in Loop: Header=BB72_11 Depth=1
	s_wait_alu 0xfffe
	s_or_b32 exec_lo, exec_lo, s24
	s_wait_loadcnt_dscnt 0x0
	s_barrier_signal -1
	s_barrier_wait -1
	global_inv scope:SCOPE_SE
.LBB72_160:                             ;   in Loop: Header=BB72_11 Depth=1
	s_wait_alu 0xfffe
	s_or_saveexec_b32 s23, s23
	v_mov_b32_e32 v1, 8
	s_mov_b32 s24, 0
	s_wait_alu 0xfffe
	s_xor_b32 exec_lo, exec_lo, s23
; %bb.161:                              ;   in Loop: Header=BB72_11 Depth=1
	v_subrev_nc_u32_e32 v2, s21, v2
	v_mov_b32_e32 v1, 0
	s_mov_b32 s24, exec_lo
; %bb.162:                              ;   in Loop: Header=BB72_11 Depth=1
	s_or_b32 exec_lo, exec_lo, s23
	s_delay_alu instid0(VALU_DEP_2)
	v_mov_b32_e32 v3, v2
	s_wait_alu 0xfffe
	s_and_b32 s25, s24, exec_lo
.LBB72_163:                             ;   in Loop: Header=BB72_11 Depth=1
	s_wait_alu 0xfffe
	s_or_b32 exec_lo, exec_lo, s22
	s_mov_b32 s24, -1
                                        ; implicit-def: $sgpr22
                                        ; implicit-def: $sgpr23
	s_and_saveexec_b32 s21, s25
	s_cbranch_execz .LBB72_241
; %bb.164:                              ;   in Loop: Header=BB72_11 Depth=1
	v_cmp_eq_u32_e32 vcc_lo, 1, v3
	s_cmp_eq_u32 s18, 1
	s_mov_b32 s26, -1
	s_cselect_b32 s22, -1, 0
                                        ; implicit-def: $sgpr23
	s_wait_alu 0xfffe
	s_and_b32 s25, s22, vcc_lo
                                        ; implicit-def: $sgpr22
	s_wait_alu 0xfffe
	s_and_saveexec_b32 s24, s25
	s_cbranch_execz .LBB72_190
; %bb.165:                              ;   in Loop: Header=BB72_11 Depth=1
	ds_load_b32 v2, v18 offset:4104
	s_wait_loadcnt_dscnt 0x0
	s_barrier_signal -1
	s_barrier_wait -1
	global_inv scope:SCOPE_SE
	v_readfirstlane_b32 s27, v2
	s_and_saveexec_b32 s22, s3
; %bb.166:                              ;   in Loop: Header=BB72_11 Depth=1
	ds_store_b8 v0, v18 offset:3072
; %bb.167:                              ;   in Loop: Header=BB72_11 Depth=1
	s_wait_alu 0xfffe
	s_or_b32 exec_lo, exec_lo, s22
	s_lshl_b32 s22, 2, s76
	v_or_b32_e32 v32, s12, v32
	s_wait_alu 0xfffe
	v_and_or_b32 v14, v14, s19, s22
	s_mov_b32 s22, -1
	s_mov_b32 s23, 0
	s_cmp_eq_u32 s27, 0
	s_mov_b32 s26, 0
	s_mov_b32 s28, -1
	s_wait_loadcnt_dscnt 0x0
	s_barrier_signal -1
	s_barrier_wait -1
	global_inv scope:SCOPE_SE
                                        ; implicit-def: $vgpr33
	s_cbranch_scc1 .LBB72_178
; %bb.168:                              ;   in Loop: Header=BB72_11 Depth=1
	s_add_co_i32 s44, s27, s53
                                        ; implicit-def: $vgpr33
	s_wait_alu 0xfffe
	s_mul_u64 s[28:29], s[44:45], s[48:49]
	s_wait_alu 0xfffe
	s_mul_i32 s26, s29, s37
	s_mov_b32 s29, exec_lo
	s_wait_alu 0xfffe
	s_sub_co_i32 s26, s44, s26
	s_wait_alu 0xfffe
	s_sub_co_i32 s28, s26, s37
	s_cmp_ge_u32 s26, s37
	s_wait_alu 0xfffe
	s_cselect_b32 s26, s28, s26
	s_wait_alu 0xfffe
	s_sub_co_i32 s28, s26, s37
	s_cmp_ge_u32 s26, s37
	s_wait_alu 0xfffe
	s_cselect_b32 s26, s28, s26
	s_mov_b32 s28, 0
	s_wait_alu 0xfffe
	s_sub_co_i32 s30, s44, s26
	s_mov_b32 s26, 0
	s_wait_alu 0xfffe
	v_cmpx_gt_u32_e64 s30, v0
	s_cbranch_execz .LBB72_177
; %bb.169:                              ;   in Loop: Header=BB72_11 Depth=1
	v_mov_b32_e32 v2, v0
                                        ; implicit-def: $sgpr44
	s_branch .LBB72_172
.LBB72_170:                             ;   in Loop: Header=BB72_172 Depth=2
	s_wait_alu 0xfffe
	s_or_b32 exec_lo, exec_lo, s77
	s_wait_loadcnt_dscnt 0x0
	s_barrier_signal -1
	s_barrier_wait -1
	global_inv scope:SCOPE_SE
	ds_load_u16 v4, v18 offset:3072
	s_mov_b32 s78, -1
	s_mov_b32 s77, -1
	s_wait_loadcnt_dscnt 0x0
	s_barrier_signal -1
	s_barrier_wait -1
	global_inv scope:SCOPE_SE
	v_and_b32_e32 v5, 0xff, v4
	s_delay_alu instid0(VALU_DEP_1)
	v_cmp_ne_u32_e32 vcc_lo, 0, v5
	s_cbranch_vccz .LBB72_175
.LBB72_171:                             ;   in Loop: Header=BB72_172 Depth=2
	s_wait_alu 0xfffe
	s_and_b32 s78, exec_lo, s78
	s_wait_alu 0xfffe
	s_or_b32 s26, s78, s26
	s_and_not1_b32 s44, s44, exec_lo
	s_and_b32 s77, s77, exec_lo
	s_wait_alu 0xfffe
	s_or_b32 s44, s44, s77
	s_and_not1_b32 exec_lo, exec_lo, s26
	s_cbranch_execz .LBB72_176
.LBB72_172:                             ;   Parent Loop BB72_11 Depth=1
                                        ; =>  This Inner Loop Header: Depth=2
	s_mov_b32 s77, exec_lo
	s_delay_alu instid0(VALU_DEP_1)
	v_cmpx_gt_u32_e64 s27, v2
	s_cbranch_execz .LBB72_170
; %bb.173:                              ;   in Loop: Header=BB72_172 Depth=2
	ds_load_u8 v4, v2
	s_wait_dscnt 0x0
	v_and_b32_e32 v5, v4, v32
	s_delay_alu instid0(VALU_DEP_1) | instskip(NEXT) | instid1(VALU_DEP_1)
	v_and_b32_e32 v5, 0xff, v5
	v_cmp_eq_u32_e32 vcc_lo, v5, v14
	s_and_b32 exec_lo, exec_lo, vcc_lo
	s_cbranch_execz .LBB72_170
; %bb.174:                              ;   in Loop: Header=BB72_172 Depth=2
	v_lshlrev_b16 v4, 8, v4
	s_delay_alu instid0(VALU_DEP_1)
	v_or_b32_e32 v4, 1, v4
	ds_store_b16 v18, v4 offset:3072
	s_branch .LBB72_170
.LBB72_175:                             ;   in Loop: Header=BB72_172 Depth=2
	v_add_nc_u32_e32 v2, s37, v2
	s_mov_b32 s77, 0
	s_delay_alu instid0(VALU_DEP_1)
	v_cmp_le_u32_e32 vcc_lo, s30, v2
	s_or_not1_b32 s78, vcc_lo, exec_lo
	s_branch .LBB72_171
.LBB72_176:                             ;   in Loop: Header=BB72_11 Depth=1
	s_or_b32 exec_lo, exec_lo, s26
	v_and_b32_e32 v2, 0xffff, v4
	s_wait_alu 0xfffe
	s_and_b32 s26, s44, exec_lo
	s_delay_alu instid0(VALU_DEP_1)
	v_lshrrev_b32_e32 v33, 8, v2
.LBB72_177:                             ;   in Loop: Header=BB72_11 Depth=1
	s_or_b32 exec_lo, exec_lo, s29
.LBB72_178:                             ;   in Loop: Header=BB72_11 Depth=1
	s_wait_alu 0xfffe
	s_and_b32 vcc_lo, exec_lo, s28
	s_wait_alu 0xfffe
	s_cbranch_vccz .LBB72_189
; %bb.179:                              ;   in Loop: Header=BB72_11 Depth=1
                                        ; implicit-def: $vgpr33
	s_and_saveexec_b32 s22, s10
	s_cbranch_execz .LBB72_188
; %bb.180:                              ;   in Loop: Header=BB72_11 Depth=1
	v_mov_b32_e32 v2, v15
	v_mov_b32_e32 v4, v0
	s_mov_b32 s23, 0
                                        ; implicit-def: $sgpr27
	s_branch .LBB72_183
.LBB72_181:                             ;   in Loop: Header=BB72_183 Depth=2
	s_wait_alu 0xfffe
	s_or_b32 exec_lo, exec_lo, s28
	s_wait_loadcnt_dscnt 0x0
	s_barrier_signal -1
	s_barrier_wait -1
	global_inv scope:SCOPE_SE
	ds_load_u16 v5, v18 offset:3072
	s_mov_b32 s28, -1
	s_mov_b32 s29, -1
	s_wait_loadcnt_dscnt 0x0
	s_barrier_signal -1
	s_barrier_wait -1
	global_inv scope:SCOPE_SE
	v_and_b32_e32 v6, 0xff, v5
	s_delay_alu instid0(VALU_DEP_1)
	v_cmp_eq_u32_e32 vcc_lo, 0, v6
	s_cbranch_vccnz .LBB72_186
.LBB72_182:                             ;   in Loop: Header=BB72_183 Depth=2
	s_wait_alu 0xfffe
	s_and_b32 s28, exec_lo, s28
	s_wait_alu 0xfffe
	s_or_b32 s23, s28, s23
	s_and_not1_b32 s27, s27, exec_lo
	s_and_b32 s28, s29, exec_lo
	s_wait_alu 0xfffe
	s_or_b32 s27, s27, s28
	s_and_not1_b32 exec_lo, exec_lo, s23
	s_cbranch_execz .LBB72_187
.LBB72_183:                             ;   Parent Loop BB72_11 Depth=1
                                        ; =>  This Inner Loop Header: Depth=2
	s_mov_b32 s28, exec_lo
	s_delay_alu instid0(VALU_DEP_1)
	v_cmpx_gt_u32_e64 s36, v4
	s_cbranch_execz .LBB72_181
; %bb.184:                              ;   in Loop: Header=BB72_183 Depth=2
	global_load_u8 v5, v2, s[42:43]
	s_wait_loadcnt 0x0
	v_and_b32_e32 v6, v5, v32
	s_delay_alu instid0(VALU_DEP_1) | instskip(NEXT) | instid1(VALU_DEP_1)
	v_and_b32_e32 v6, 0xff, v6
	v_cmp_eq_u32_e32 vcc_lo, v6, v14
	s_and_b32 exec_lo, exec_lo, vcc_lo
	s_cbranch_execz .LBB72_181
; %bb.185:                              ;   in Loop: Header=BB72_183 Depth=2
	v_lshlrev_b16 v5, 8, v5
	s_delay_alu instid0(VALU_DEP_1)
	v_or_b32_e32 v5, 1, v5
	ds_store_b16 v18, v5 offset:3072
	s_branch .LBB72_181
.LBB72_186:                             ;   in Loop: Header=BB72_183 Depth=2
	v_add_nc_u32_e32 v4, s37, v4
	v_add_nc_u32_e32 v2, s57, v2
	s_mov_b32 s29, 0
	s_delay_alu instid0(VALU_DEP_2)
	v_cmp_le_u32_e32 vcc_lo, s67, v4
	s_or_not1_b32 s28, vcc_lo, exec_lo
	s_branch .LBB72_182
.LBB72_187:                             ;   in Loop: Header=BB72_11 Depth=1
	s_or_b32 exec_lo, exec_lo, s23
	v_and_b32_e32 v2, 0xffff, v5
	s_and_not1_b32 s23, s26, exec_lo
	s_wait_alu 0xfffe
	s_and_b32 s26, s27, exec_lo
	s_wait_alu 0xfffe
	s_or_b32 s26, s23, s26
	v_lshrrev_b32_e32 v33, 8, v2
.LBB72_188:                             ;   in Loop: Header=BB72_11 Depth=1
	s_wait_alu 0xfffe
	s_or_b32 exec_lo, exec_lo, s22
	s_mov_b32 s22, 0
	s_mov_b32 s23, -1
.LBB72_189:                             ;   in Loop: Header=BB72_11 Depth=1
	s_or_not1_b32 s26, s26, exec_lo
.LBB72_190:                             ;   in Loop: Header=BB72_11 Depth=1
	s_wait_alu 0xfffe
	s_or_b32 exec_lo, exec_lo, s24
	s_mov_b32 s27, 0
	s_and_saveexec_b32 s24, s26
	s_cbranch_execz .LBB72_240
; %bb.191:                              ;   in Loop: Header=BB72_11 Depth=1
	v_dual_mov_b32 v2, 1 :: v_dual_mov_b32 v1, 1
	s_xor_b32 s26, s25, -1
	s_wait_alu 0xfffe
	s_and_saveexec_b32 s25, s26
	s_cbranch_execz .LBB72_200
; %bb.192:                              ;   in Loop: Header=BB72_11 Depth=1
	s_mov_b32 s26, exec_lo
	v_cmpx_ge_u32_e64 s18, v3
	s_wait_alu 0xfffe
	s_xor_b32 s26, exec_lo, s26
	s_cbranch_execz .LBB72_197
; %bb.193:                              ;   in Loop: Header=BB72_11 Depth=1
	ds_load_b32 v1, v18 offset:4104
	s_lshl_b32 s27, 2, s76
	v_or_b32_e32 v32, s12, v32
	s_wait_alu 0xfffe
	v_and_or_b32 v14, v14, s19, s27
	s_wait_dscnt 0x0
	v_cmp_ne_u32_e32 vcc_lo, 0, v1
	s_cbranch_vccnz .LBB72_197
; %bb.194:                              ;   in Loop: Header=BB72_11 Depth=1
	s_and_saveexec_b32 s19, s2
; %bb.195:                              ;   in Loop: Header=BB72_11 Depth=1
	v_mov_b32_e32 v1, s18
	ds_store_b32 v18, v1 offset:4108
; %bb.196:                              ;   in Loop: Header=BB72_11 Depth=1
	s_wait_alu 0xfffe
	s_or_b32 exec_lo, exec_lo, s19
	s_wait_loadcnt_dscnt 0x0
	s_barrier_signal -1
	s_barrier_wait -1
	global_inv scope:SCOPE_SE
.LBB72_197:                             ;   in Loop: Header=BB72_11 Depth=1
	s_wait_alu 0xfffe
	s_or_saveexec_b32 s19, s26
	v_mov_b32_e32 v1, 8
	s_mov_b32 s26, 0
	s_wait_alu 0xfffe
	s_xor_b32 exec_lo, exec_lo, s19
; %bb.198:                              ;   in Loop: Header=BB72_11 Depth=1
	v_subrev_nc_u32_e32 v3, s18, v3
	v_mov_b32_e32 v1, 0
	s_mov_b32 s26, exec_lo
; %bb.199:                              ;   in Loop: Header=BB72_11 Depth=1
	s_or_b32 exec_lo, exec_lo, s19
	s_delay_alu instid0(VALU_DEP_2)
	v_mov_b32_e32 v2, v3
	s_wait_alu 0xfffe
	s_and_b32 s27, s26, exec_lo
.LBB72_200:                             ;   in Loop: Header=BB72_11 Depth=1
	s_wait_alu 0xfffe
	s_or_b32 exec_lo, exec_lo, s25
	s_mov_b32 s19, -1
                                        ; implicit-def: $sgpr26
                                        ; implicit-def: $sgpr25
	s_and_saveexec_b32 s18, s27
	s_cbranch_execz .LBB72_239
; %bb.201:                              ;   in Loop: Header=BB72_11 Depth=1
	v_cmp_eq_u32_e32 vcc_lo, 1, v2
	s_cmp_eq_u32 s11, 1
	s_mov_b32 s28, -1
	s_cselect_b32 s19, -1, 0
                                        ; implicit-def: $sgpr26
                                        ; implicit-def: $sgpr25
	s_wait_alu 0xfffe
	s_and_b32 s19, s19, vcc_lo
	s_wait_alu 0xfffe
	s_and_saveexec_b32 s27, s19
	s_cbranch_execz .LBB72_227
; %bb.202:                              ;   in Loop: Header=BB72_11 Depth=1
	ds_load_b32 v3, v18 offset:4104
	s_wait_loadcnt_dscnt 0x0
	s_barrier_signal -1
	s_barrier_wait -1
	global_inv scope:SCOPE_SE
	v_readfirstlane_b32 s29, v3
	s_and_saveexec_b32 s25, s3
; %bb.203:                              ;   in Loop: Header=BB72_11 Depth=1
	ds_store_b8 v0, v18 offset:3072
; %bb.204:                              ;   in Loop: Header=BB72_11 Depth=1
	s_wait_alu 0xfffe
	s_or_b32 exec_lo, exec_lo, s25
	v_or_b32_e32 v14, s12, v14
	v_or_b32_e32 v32, s12, v32
	s_mov_b32 s25, -1
	s_mov_b32 s26, 0
	s_cmp_eq_u32 s29, 0
	s_mov_b32 s28, 0
	s_mov_b32 s30, -1
	s_wait_loadcnt_dscnt 0x0
	s_barrier_signal -1
	s_barrier_wait -1
	global_inv scope:SCOPE_SE
                                        ; implicit-def: $vgpr33
	s_cbranch_scc1 .LBB72_215
; %bb.205:                              ;   in Loop: Header=BB72_11 Depth=1
	s_add_co_i32 s44, s29, s53
                                        ; implicit-def: $vgpr33
	s_wait_alu 0xfffe
	s_mul_u64 s[78:79], s[44:45], s[48:49]
	s_wait_alu 0xfffe
	s_mul_i32 s28, s79, s37
	s_wait_alu 0xfffe
	s_sub_co_i32 s28, s44, s28
	s_wait_alu 0xfffe
	s_sub_co_i32 s30, s28, s37
	s_cmp_ge_u32 s28, s37
	s_wait_alu 0xfffe
	s_cselect_b32 s28, s30, s28
	s_wait_alu 0xfffe
	s_sub_co_i32 s30, s28, s37
	s_cmp_ge_u32 s28, s37
	s_wait_alu 0xfffe
	s_cselect_b32 s28, s30, s28
	s_mov_b32 s30, 0
	s_wait_alu 0xfffe
	s_sub_co_i32 s77, s44, s28
	s_mov_b32 s28, 0
	s_mov_b32 s44, exec_lo
	s_wait_alu 0xfffe
	v_cmpx_gt_u32_e64 s77, v0
	s_cbranch_execz .LBB72_214
; %bb.206:                              ;   in Loop: Header=BB72_11 Depth=1
	v_mov_b32_e32 v3, v0
                                        ; implicit-def: $sgpr78
	s_branch .LBB72_209
.LBB72_207:                             ;   in Loop: Header=BB72_209 Depth=2
	s_wait_alu 0xfffe
	s_or_b32 exec_lo, exec_lo, s79
	s_wait_loadcnt_dscnt 0x0
	s_barrier_signal -1
	s_barrier_wait -1
	global_inv scope:SCOPE_SE
	ds_load_u16 v4, v18 offset:3072
	s_mov_b32 s80, -1
	s_mov_b32 s79, -1
	s_wait_loadcnt_dscnt 0x0
	s_barrier_signal -1
	s_barrier_wait -1
	global_inv scope:SCOPE_SE
	v_and_b32_e32 v5, 0xff, v4
	s_delay_alu instid0(VALU_DEP_1)
	v_cmp_ne_u32_e32 vcc_lo, 0, v5
	s_cbranch_vccz .LBB72_212
.LBB72_208:                             ;   in Loop: Header=BB72_209 Depth=2
	s_wait_alu 0xfffe
	s_and_b32 s80, exec_lo, s80
	s_wait_alu 0xfffe
	s_or_b32 s28, s80, s28
	s_and_not1_b32 s78, s78, exec_lo
	s_and_b32 s79, s79, exec_lo
	s_wait_alu 0xfffe
	s_or_b32 s78, s78, s79
	s_and_not1_b32 exec_lo, exec_lo, s28
	s_cbranch_execz .LBB72_213
.LBB72_209:                             ;   Parent Loop BB72_11 Depth=1
                                        ; =>  This Inner Loop Header: Depth=2
	s_mov_b32 s79, exec_lo
	s_delay_alu instid0(VALU_DEP_1)
	v_cmpx_gt_u32_e64 s29, v3
	s_cbranch_execz .LBB72_207
; %bb.210:                              ;   in Loop: Header=BB72_209 Depth=2
	ds_load_u8 v4, v3
	s_wait_dscnt 0x0
	v_and_b32_e32 v5, v4, v32
	s_delay_alu instid0(VALU_DEP_1) | instskip(NEXT) | instid1(VALU_DEP_1)
	v_and_b32_e32 v5, 0xff, v5
	v_cmp_eq_u32_e32 vcc_lo, v5, v14
	s_and_b32 exec_lo, exec_lo, vcc_lo
	s_cbranch_execz .LBB72_207
; %bb.211:                              ;   in Loop: Header=BB72_209 Depth=2
	v_lshlrev_b16 v4, 8, v4
	s_delay_alu instid0(VALU_DEP_1)
	v_or_b32_e32 v4, 1, v4
	ds_store_b16 v18, v4 offset:3072
	s_branch .LBB72_207
.LBB72_212:                             ;   in Loop: Header=BB72_209 Depth=2
	v_add_nc_u32_e32 v3, s37, v3
	s_mov_b32 s79, 0
	s_delay_alu instid0(VALU_DEP_1)
	v_cmp_le_u32_e32 vcc_lo, s77, v3
	s_or_not1_b32 s80, vcc_lo, exec_lo
	s_branch .LBB72_208
.LBB72_213:                             ;   in Loop: Header=BB72_11 Depth=1
	s_or_b32 exec_lo, exec_lo, s28
	v_and_b32_e32 v3, 0xffff, v4
	s_wait_alu 0xfffe
	s_and_b32 s28, s78, exec_lo
	s_delay_alu instid0(VALU_DEP_1)
	v_lshrrev_b32_e32 v33, 8, v3
.LBB72_214:                             ;   in Loop: Header=BB72_11 Depth=1
	s_or_b32 exec_lo, exec_lo, s44
.LBB72_215:                             ;   in Loop: Header=BB72_11 Depth=1
	s_wait_alu 0xfffe
	s_and_b32 vcc_lo, exec_lo, s30
	s_wait_alu 0xfffe
	s_cbranch_vccz .LBB72_226
; %bb.216:                              ;   in Loop: Header=BB72_11 Depth=1
                                        ; implicit-def: $vgpr33
	s_and_saveexec_b32 s25, s10
	s_cbranch_execz .LBB72_225
; %bb.217:                              ;   in Loop: Header=BB72_11 Depth=1
	v_dual_mov_b32 v3, v15 :: v_dual_mov_b32 v4, v0
	s_mov_b32 s26, 0
                                        ; implicit-def: $sgpr29
	s_branch .LBB72_220
.LBB72_218:                             ;   in Loop: Header=BB72_220 Depth=2
	s_wait_alu 0xfffe
	s_or_b32 exec_lo, exec_lo, s30
	s_wait_loadcnt_dscnt 0x0
	s_barrier_signal -1
	s_barrier_wait -1
	global_inv scope:SCOPE_SE
	ds_load_u16 v5, v18 offset:3072
	s_mov_b32 s30, -1
	s_mov_b32 s44, -1
	s_wait_loadcnt_dscnt 0x0
	s_barrier_signal -1
	s_barrier_wait -1
	global_inv scope:SCOPE_SE
	v_and_b32_e32 v6, 0xff, v5
	s_delay_alu instid0(VALU_DEP_1)
	v_cmp_eq_u32_e32 vcc_lo, 0, v6
	s_cbranch_vccnz .LBB72_223
.LBB72_219:                             ;   in Loop: Header=BB72_220 Depth=2
	s_wait_alu 0xfffe
	s_and_b32 s30, exec_lo, s30
	s_wait_alu 0xfffe
	s_or_b32 s26, s30, s26
	s_and_not1_b32 s29, s29, exec_lo
	s_and_b32 s30, s44, exec_lo
	s_wait_alu 0xfffe
	s_or_b32 s29, s29, s30
	s_and_not1_b32 exec_lo, exec_lo, s26
	s_cbranch_execz .LBB72_224
.LBB72_220:                             ;   Parent Loop BB72_11 Depth=1
                                        ; =>  This Inner Loop Header: Depth=2
	s_mov_b32 s30, exec_lo
	s_delay_alu instid0(VALU_DEP_1)
	v_cmpx_gt_u32_e64 s36, v4
	s_cbranch_execz .LBB72_218
; %bb.221:                              ;   in Loop: Header=BB72_220 Depth=2
	global_load_u8 v5, v3, s[42:43]
	s_wait_loadcnt 0x0
	v_and_b32_e32 v6, v5, v32
	s_delay_alu instid0(VALU_DEP_1) | instskip(NEXT) | instid1(VALU_DEP_1)
	v_and_b32_e32 v6, 0xff, v6
	v_cmp_eq_u32_e32 vcc_lo, v6, v14
	s_and_b32 exec_lo, exec_lo, vcc_lo
	s_cbranch_execz .LBB72_218
; %bb.222:                              ;   in Loop: Header=BB72_220 Depth=2
	v_lshlrev_b16 v5, 8, v5
	s_delay_alu instid0(VALU_DEP_1)
	v_or_b32_e32 v5, 1, v5
	ds_store_b16 v18, v5 offset:3072
	s_branch .LBB72_218
.LBB72_223:                             ;   in Loop: Header=BB72_220 Depth=2
	v_add_nc_u32_e32 v4, s37, v4
	v_add_nc_u32_e32 v3, s57, v3
	s_mov_b32 s44, 0
	s_delay_alu instid0(VALU_DEP_2)
	v_cmp_le_u32_e32 vcc_lo, s67, v4
	s_or_not1_b32 s30, vcc_lo, exec_lo
	s_branch .LBB72_219
.LBB72_224:                             ;   in Loop: Header=BB72_11 Depth=1
	s_or_b32 exec_lo, exec_lo, s26
	v_and_b32_e32 v3, 0xffff, v5
	s_and_not1_b32 s26, s28, exec_lo
	s_wait_alu 0xfffe
	s_and_b32 s28, s29, exec_lo
	s_wait_alu 0xfffe
	s_or_b32 s28, s26, s28
	v_lshrrev_b32_e32 v33, 8, v3
.LBB72_225:                             ;   in Loop: Header=BB72_11 Depth=1
	s_wait_alu 0xfffe
	s_or_b32 exec_lo, exec_lo, s25
	s_mov_b32 s25, 0
	s_mov_b32 s26, -1
.LBB72_226:                             ;   in Loop: Header=BB72_11 Depth=1
	s_or_not1_b32 s28, s28, exec_lo
.LBB72_227:                             ;   in Loop: Header=BB72_11 Depth=1
	s_wait_alu 0xfffe
	s_or_b32 exec_lo, exec_lo, s27
	s_mov_b32 s29, 0
	s_and_saveexec_b32 s27, s28
	s_cbranch_execz .LBB72_238
; %bb.228:                              ;   in Loop: Header=BB72_11 Depth=1
	v_mov_b32_e32 v1, 1
	v_mov_b32_e32 v3, 1
	s_xor_b32 s28, s19, -1
	s_wait_alu 0xfffe
	s_and_saveexec_b32 s19, s28
	s_cbranch_execz .LBB72_237
; %bb.229:                              ;   in Loop: Header=BB72_11 Depth=1
	s_mov_b32 s28, exec_lo
	v_cmpx_ge_u32_e64 s11, v2
	s_wait_alu 0xfffe
	s_xor_b32 s28, exec_lo, s28
	s_cbranch_execz .LBB72_234
; %bb.230:                              ;   in Loop: Header=BB72_11 Depth=1
	ds_load_b32 v1, v18 offset:4104
	v_or_b32_e32 v14, s12, v14
	v_or_b32_e32 v32, s12, v32
	s_wait_dscnt 0x0
	v_cmp_ne_u32_e32 vcc_lo, 0, v1
	s_cbranch_vccnz .LBB72_234
; %bb.231:                              ;   in Loop: Header=BB72_11 Depth=1
	s_and_saveexec_b32 s12, s2
; %bb.232:                              ;   in Loop: Header=BB72_11 Depth=1
	v_mov_b32_e32 v1, s11
	ds_store_b32 v18, v1 offset:4108
; %bb.233:                              ;   in Loop: Header=BB72_11 Depth=1
	s_wait_alu 0xfffe
	s_or_b32 exec_lo, exec_lo, s12
	s_wait_loadcnt_dscnt 0x0
	s_barrier_signal -1
	s_barrier_wait -1
	global_inv scope:SCOPE_SE
.LBB72_234:                             ;   in Loop: Header=BB72_11 Depth=1
	s_wait_alu 0xfffe
	s_and_not1_saveexec_b32 s12, s28
; %bb.235:                              ;   in Loop: Header=BB72_11 Depth=1
	v_subrev_nc_u32_e32 v2, s11, v2
; %bb.236:                              ;   in Loop: Header=BB72_11 Depth=1
	s_wait_alu 0xfffe
	s_or_b32 exec_lo, exec_lo, s12
	v_mov_b32_e32 v1, 8
	s_delay_alu instid0(VALU_DEP_2)
	v_mov_b32_e32 v3, v2
.LBB72_237:                             ;   in Loop: Header=BB72_11 Depth=1
	s_wait_alu 0xfffe
	s_or_b32 exec_lo, exec_lo, s19
	s_delay_alu instid0(VALU_DEP_1)
	v_mov_b32_e32 v2, v3
	s_mov_b32 s29, exec_lo
.LBB72_238:                             ;   in Loop: Header=BB72_11 Depth=1
	s_wait_alu 0xfffe
	s_or_b32 exec_lo, exec_lo, s27
	s_delay_alu instid0(SALU_CYCLE_1)
	s_or_not1_b32 s19, s29, exec_lo
.LBB72_239:                             ;   in Loop: Header=BB72_11 Depth=1
	s_wait_alu 0xfffe
	s_or_b32 exec_lo, exec_lo, s18
	v_mov_b32_e32 v3, v2
	s_and_not1_b32 s11, s23, exec_lo
	s_and_b32 s12, s26, exec_lo
	s_and_not1_b32 s18, s22, exec_lo
	s_and_b32 s22, s25, exec_lo
	s_wait_alu 0xfffe
	s_or_b32 s23, s11, s12
	s_or_b32 s22, s18, s22
	s_and_b32 s27, s19, exec_lo
.LBB72_240:                             ;   in Loop: Header=BB72_11 Depth=1
	s_wait_alu 0xfffe
	s_or_b32 exec_lo, exec_lo, s24
	s_delay_alu instid0(SALU_CYCLE_1)
	s_or_not1_b32 s24, s27, exec_lo
.LBB72_241:                             ;   in Loop: Header=BB72_11 Depth=1
	s_wait_alu 0xfffe
	s_or_b32 exec_lo, exec_lo, s21
	v_mov_b32_e32 v2, v3
	s_and_not1_b32 s11, s17, exec_lo
	s_and_b32 s12, s23, exec_lo
	s_and_not1_b32 s16, s16, exec_lo
	s_and_b32 s18, s22, exec_lo
	s_wait_alu 0xfffe
	s_or_b32 s17, s11, s12
	s_or_b32 s16, s16, s18
	s_and_b32 s24, s24, exec_lo
.LBB72_242:                             ;   in Loop: Header=BB72_11 Depth=1
	s_wait_alu 0xfffe
	s_or_b32 exec_lo, exec_lo, s20
	s_delay_alu instid0(SALU_CYCLE_1)
	s_or_not1_b32 s20, s24, exec_lo
.LBB72_243:                             ;   in Loop: Header=BB72_11 Depth=1
	s_wait_alu 0xfffe
	s_or_b32 exec_lo, exec_lo, s15
	s_mov_b32 s12, 0
                                        ; implicit-def: $sgpr22
	s_and_saveexec_b32 s11, s20
	s_wait_alu 0xfffe
	s_xor_b32 s11, exec_lo, s11
	s_cbranch_execz .LBB72_9
; %bb.244:                              ;   in Loop: Header=BB72_11 Depth=1
	v_and_b32_e32 v1, 7, v1
	s_mov_b32 s14, -1
	s_mov_b32 s12, -1
	s_mov_b32 s15, exec_lo
                                        ; implicit-def: $sgpr22
	s_delay_alu instid0(VALU_DEP_1)
	v_cmpx_eq_u32_e32 0, v1
	s_cbranch_execz .LBB72_8
; %bb.245:                              ;   in Loop: Header=BB72_11 Depth=1
	s_add_co_i32 s22, s76, -2
	s_cmp_eq_u32 s76, 0
	v_xor_b32_e32 v31, 1, v31
	s_cselect_b32 s14, -1, 0
	s_xor_b32 s12, exec_lo, -1
	s_wait_alu 0xfffe
	s_or_not1_b32 s14, s14, exec_lo
	s_branch .LBB72_8
.LBB72_246:
	s_or_b32 exec_lo, exec_lo, s69
	s_xor_b32 s4, s75, -1
	s_xor_b32 s1, s73, -1
	;; [unrolled: 1-line block ×3, first 2 shown]
	s_mov_b32 s2, 0
	s_and_saveexec_b32 s5, s1
	s_delay_alu instid0(SALU_CYCLE_1)
	s_xor_b32 s1, exec_lo, s5
	s_cbranch_execnz .LBB72_251
; %bb.247:
	s_and_not1_saveexec_b32 s0, s1
	s_cbranch_execnz .LBB72_264
.LBB72_248:
	s_or_b32 exec_lo, exec_lo, s0
	s_wait_alu 0xfffe
	s_and_saveexec_b32 s0, s2
.LBB72_249:
	; divergent unreachable
.LBB72_250:
	s_endpgm
.LBB72_251:
	s_and_saveexec_b32 s2, s4
	s_delay_alu instid0(SALU_CYCLE_1)
	s_xor_b32 s2, exec_lo, s2
	s_cbranch_execz .LBB72_262
; %bb.252:
	s_and_saveexec_b32 s4, s3
	s_delay_alu instid0(SALU_CYCLE_1)
	s_xor_b32 s3, exec_lo, s4
; %bb.253:
	v_mov_b32_e32 v33, v14
; %bb.254:
	s_or_b32 exec_lo, exec_lo, s3
	s_mul_i32 s3, s39, s31
	s_delay_alu instid0(SALU_CYCLE_1)
	v_mov_b32_e32 v1, s3
	global_store_b8 v1, v33, s[40:41]
	s_and_saveexec_b32 s3, s0
	s_cbranch_execz .LBB72_261
; %bb.255:
	v_and_b32_e32 v2, 0xff, v33
	s_mov_b32 s0, 0
                                        ; implicit-def: $sgpr4
                                        ; implicit-def: $sgpr6
                                        ; implicit-def: $sgpr5
	s_branch .LBB72_257
.LBB72_256:                             ;   in Loop: Header=BB72_257 Depth=1
	s_wait_alu 0xfffe
	s_or_b32 exec_lo, exec_lo, s7
	s_delay_alu instid0(SALU_CYCLE_1)
	s_and_b32 s7, exec_lo, s6
	s_wait_alu 0xfffe
	s_or_b32 s0, s7, s0
	s_and_not1_b32 s4, s4, exec_lo
	s_and_b32 s7, s5, exec_lo
	s_wait_alu 0xfffe
	s_or_b32 s4, s4, s7
	s_and_not1_b32 exec_lo, exec_lo, s0
	s_cbranch_execz .LBB72_259
.LBB72_257:                             ; =>This Inner Loop Header: Depth=1
	global_load_u8 v3, v15, s[42:43]
	v_mov_b32_e32 v1, v0
	s_or_b32 s5, s5, exec_lo
	s_or_b32 s6, s6, exec_lo
	s_mov_b32 s7, exec_lo
                                        ; implicit-def: $vgpr0
	s_wait_loadcnt 0x0
	v_cmpx_ne_u16_e64 v3, v2
	s_cbranch_execz .LBB72_256
; %bb.258:                              ;   in Loop: Header=BB72_257 Depth=1
	v_add_nc_u32_e32 v0, s37, v1
	v_add_nc_u32_e32 v15, s57, v15
	s_wait_alu 0xfffe
	s_and_not1_b32 s6, s6, exec_lo
	s_and_not1_b32 s5, s5, exec_lo
	v_cmp_le_u32_e32 vcc_lo, s36, v0
	s_and_b32 s8, vcc_lo, exec_lo
	s_wait_alu 0xfffe
	s_or_b32 s6, s6, s8
	s_branch .LBB72_256
.LBB72_259:
	s_or_b32 exec_lo, exec_lo, s0
	s_and_saveexec_b32 s0, s4
	s_delay_alu instid0(SALU_CYCLE_1)
	s_xor_b32 s0, exec_lo, s0
	s_cbranch_execz .LBB72_261
; %bb.260:
	s_mul_i32 s4, s33, s31
	s_mov_b32 s5, 0
	v_mov_b32_e32 v2, 0
	s_lshl_b64 s[4:5], s[4:5], 3
	s_delay_alu instid0(SALU_CYCLE_1)
	s_add_nc_u64 s[4:5], s[34:35], s[4:5]
	global_store_b64 v2, v[1:2], s[4:5]
.LBB72_261:
	s_wait_alu 0xfffe
	s_or_b32 exec_lo, exec_lo, s3
.LBB72_262:
	s_or_saveexec_b32 s0, s2
	s_mov_b32 s2, 0
	s_xor_b32 exec_lo, exec_lo, s0
	s_cbranch_execnz .LBB72_265
.LBB72_263:
	s_or_b32 exec_lo, exec_lo, s0
	s_wait_alu 0xfffe
	s_and_b32 s2, s2, exec_lo
	s_and_not1_saveexec_b32 s0, s1
	s_cbranch_execz .LBB72_248
.LBB72_264:
	s_wait_alu 0xfffe
	s_or_b32 s2, s2, exec_lo
	s_trap 2
	s_or_b32 exec_lo, exec_lo, s0
	s_wait_alu 0xfffe
	s_and_saveexec_b32 s0, s2
	s_cbranch_execnz .LBB72_249
	s_branch .LBB72_250
.LBB72_265:
	s_mov_b32 s2, exec_lo
	s_trap 2
	s_branch .LBB72_263
	.section	.rodata,"a",@progbits
	.p2align	6, 0x0
	.amdhsa_kernel _ZN2at6native12_GLOBAL__N_112gatherMedianIhjLi1EEEvNS_4cuda6detail10TensorInfoIT_T0_EENS5_IlS7_EENS5_IKS6_S7_EES7_S7_S7_b
		.amdhsa_group_segment_fixed_size 4120
		.amdhsa_private_segment_fixed_size 0
		.amdhsa_kernarg_size 920
		.amdhsa_user_sgpr_count 2
		.amdhsa_user_sgpr_dispatch_ptr 0
		.amdhsa_user_sgpr_queue_ptr 0
		.amdhsa_user_sgpr_kernarg_segment_ptr 1
		.amdhsa_user_sgpr_dispatch_id 0
		.amdhsa_user_sgpr_private_segment_size 0
		.amdhsa_wavefront_size32 1
		.amdhsa_uses_dynamic_stack 0
		.amdhsa_enable_private_segment 0
		.amdhsa_system_sgpr_workgroup_id_x 1
		.amdhsa_system_sgpr_workgroup_id_y 1
		.amdhsa_system_sgpr_workgroup_id_z 1
		.amdhsa_system_sgpr_workgroup_info 0
		.amdhsa_system_vgpr_workitem_id 0
		.amdhsa_next_free_vgpr 68
		.amdhsa_next_free_sgpr 84
		.amdhsa_reserve_vcc 1
		.amdhsa_float_round_mode_32 0
		.amdhsa_float_round_mode_16_64 0
		.amdhsa_float_denorm_mode_32 3
		.amdhsa_float_denorm_mode_16_64 3
		.amdhsa_fp16_overflow 0
		.amdhsa_workgroup_processor_mode 1
		.amdhsa_memory_ordered 1
		.amdhsa_forward_progress 1
		.amdhsa_inst_pref_size 95
		.amdhsa_round_robin_scheduling 0
		.amdhsa_exception_fp_ieee_invalid_op 0
		.amdhsa_exception_fp_denorm_src 0
		.amdhsa_exception_fp_ieee_div_zero 0
		.amdhsa_exception_fp_ieee_overflow 0
		.amdhsa_exception_fp_ieee_underflow 0
		.amdhsa_exception_fp_ieee_inexact 0
		.amdhsa_exception_int_div_zero 0
	.end_amdhsa_kernel
	.section	.text._ZN2at6native12_GLOBAL__N_112gatherMedianIhjLi1EEEvNS_4cuda6detail10TensorInfoIT_T0_EENS5_IlS7_EENS5_IKS6_S7_EES7_S7_S7_b,"axG",@progbits,_ZN2at6native12_GLOBAL__N_112gatherMedianIhjLi1EEEvNS_4cuda6detail10TensorInfoIT_T0_EENS5_IlS7_EENS5_IKS6_S7_EES7_S7_S7_b,comdat
.Lfunc_end72:
	.size	_ZN2at6native12_GLOBAL__N_112gatherMedianIhjLi1EEEvNS_4cuda6detail10TensorInfoIT_T0_EENS5_IlS7_EENS5_IKS6_S7_EES7_S7_S7_b, .Lfunc_end72-_ZN2at6native12_GLOBAL__N_112gatherMedianIhjLi1EEEvNS_4cuda6detail10TensorInfoIT_T0_EENS5_IlS7_EENS5_IKS6_S7_EES7_S7_S7_b
                                        ; -- End function
	.set _ZN2at6native12_GLOBAL__N_112gatherMedianIhjLi1EEEvNS_4cuda6detail10TensorInfoIT_T0_EENS5_IlS7_EENS5_IKS6_S7_EES7_S7_S7_b.num_vgpr, 68
	.set _ZN2at6native12_GLOBAL__N_112gatherMedianIhjLi1EEEvNS_4cuda6detail10TensorInfoIT_T0_EENS5_IlS7_EENS5_IKS6_S7_EES7_S7_S7_b.num_agpr, 0
	.set _ZN2at6native12_GLOBAL__N_112gatherMedianIhjLi1EEEvNS_4cuda6detail10TensorInfoIT_T0_EENS5_IlS7_EENS5_IKS6_S7_EES7_S7_S7_b.numbered_sgpr, 84
	.set _ZN2at6native12_GLOBAL__N_112gatherMedianIhjLi1EEEvNS_4cuda6detail10TensorInfoIT_T0_EENS5_IlS7_EENS5_IKS6_S7_EES7_S7_S7_b.num_named_barrier, 0
	.set _ZN2at6native12_GLOBAL__N_112gatherMedianIhjLi1EEEvNS_4cuda6detail10TensorInfoIT_T0_EENS5_IlS7_EENS5_IKS6_S7_EES7_S7_S7_b.private_seg_size, 0
	.set _ZN2at6native12_GLOBAL__N_112gatherMedianIhjLi1EEEvNS_4cuda6detail10TensorInfoIT_T0_EENS5_IlS7_EENS5_IKS6_S7_EES7_S7_S7_b.uses_vcc, 1
	.set _ZN2at6native12_GLOBAL__N_112gatherMedianIhjLi1EEEvNS_4cuda6detail10TensorInfoIT_T0_EENS5_IlS7_EENS5_IKS6_S7_EES7_S7_S7_b.uses_flat_scratch, 0
	.set _ZN2at6native12_GLOBAL__N_112gatherMedianIhjLi1EEEvNS_4cuda6detail10TensorInfoIT_T0_EENS5_IlS7_EENS5_IKS6_S7_EES7_S7_S7_b.has_dyn_sized_stack, 0
	.set _ZN2at6native12_GLOBAL__N_112gatherMedianIhjLi1EEEvNS_4cuda6detail10TensorInfoIT_T0_EENS5_IlS7_EENS5_IKS6_S7_EES7_S7_S7_b.has_recursion, 0
	.set _ZN2at6native12_GLOBAL__N_112gatherMedianIhjLi1EEEvNS_4cuda6detail10TensorInfoIT_T0_EENS5_IlS7_EENS5_IKS6_S7_EES7_S7_S7_b.has_indirect_call, 0
	.section	.AMDGPU.csdata,"",@progbits
; Kernel info:
; codeLenInByte = 12088
; TotalNumSgprs: 86
; NumVgprs: 68
; ScratchSize: 0
; MemoryBound: 0
; FloatMode: 240
; IeeeMode: 1
; LDSByteSize: 4120 bytes/workgroup (compile time only)
; SGPRBlocks: 0
; VGPRBlocks: 8
; NumSGPRsForWavesPerEU: 86
; NumVGPRsForWavesPerEU: 68
; Occupancy: 16
; WaveLimiterHint : 1
; COMPUTE_PGM_RSRC2:SCRATCH_EN: 0
; COMPUTE_PGM_RSRC2:USER_SGPR: 2
; COMPUTE_PGM_RSRC2:TRAP_HANDLER: 0
; COMPUTE_PGM_RSRC2:TGID_X_EN: 1
; COMPUTE_PGM_RSRC2:TGID_Y_EN: 1
; COMPUTE_PGM_RSRC2:TGID_Z_EN: 1
; COMPUTE_PGM_RSRC2:TIDIG_COMP_CNT: 0
	.section	.text._ZN2at6native12_GLOBAL__N_112gatherMedianIhjLi2EEEvNS_4cuda6detail10TensorInfoIT_T0_EENS5_IlS7_EENS5_IKS6_S7_EES7_S7_S7_b,"axG",@progbits,_ZN2at6native12_GLOBAL__N_112gatherMedianIhjLi2EEEvNS_4cuda6detail10TensorInfoIT_T0_EENS5_IlS7_EENS5_IKS6_S7_EES7_S7_S7_b,comdat
	.globl	_ZN2at6native12_GLOBAL__N_112gatherMedianIhjLi2EEEvNS_4cuda6detail10TensorInfoIT_T0_EENS5_IlS7_EENS5_IKS6_S7_EES7_S7_S7_b ; -- Begin function _ZN2at6native12_GLOBAL__N_112gatherMedianIhjLi2EEEvNS_4cuda6detail10TensorInfoIT_T0_EENS5_IlS7_EENS5_IKS6_S7_EES7_S7_S7_b
	.p2align	8
	.type	_ZN2at6native12_GLOBAL__N_112gatherMedianIhjLi2EEEvNS_4cuda6detail10TensorInfoIT_T0_EENS5_IlS7_EENS5_IKS6_S7_EES7_S7_S7_b,@function
_ZN2at6native12_GLOBAL__N_112gatherMedianIhjLi2EEEvNS_4cuda6detail10TensorInfoIT_T0_EENS5_IlS7_EENS5_IKS6_S7_EES7_S7_S7_b: ; @_ZN2at6native12_GLOBAL__N_112gatherMedianIhjLi2EEEvNS_4cuda6detail10TensorInfoIT_T0_EENS5_IlS7_EENS5_IKS6_S7_EES7_S7_S7_b
; %bb.0:
	s_clause 0x1
	s_load_b64 s[4:5], s[0:1], 0x298
	s_load_b128 s[36:39], s[0:1], 0x288
	s_lshr_b32 s2, ttmp7, 16
	s_and_b32 s3, ttmp7, 0xffff
	s_wait_kmcnt 0x0
	s_mul_i32 s2, s5, s2
	s_delay_alu instid0(SALU_CYCLE_1) | instskip(NEXT) | instid1(SALU_CYCLE_1)
	s_add_co_i32 s2, s2, s3
	s_mul_i32 s2, s2, s4
	s_delay_alu instid0(SALU_CYCLE_1) | instskip(NEXT) | instid1(SALU_CYCLE_1)
	s_add_co_i32 s34, s2, ttmp9
	s_cmp_ge_u32 s34, s37
	s_cbranch_scc1 .LBB73_250
; %bb.1:
	s_clause 0x2
	s_load_b32 s60, s[0:1], 0xc
	s_load_b32 s33, s[0:1], 0xe4
	s_load_b32 s3, s[0:1], 0x1bc
	s_mov_b32 s35, 0
	s_wait_kmcnt 0x0
	s_cvt_f32_u32 s2, s60
	s_cvt_f32_u32 s5, s33
	;; [unrolled: 1-line block ×3, first 2 shown]
	s_sub_co_i32 s8, 0, s60
	v_rcp_iflag_f32_e32 v1, s2
	v_rcp_iflag_f32_e32 v2, s5
	;; [unrolled: 1-line block ×3, first 2 shown]
	s_sub_co_i32 s10, 0, s33
	v_cmp_eq_u32_e64 s2, 0, v0
	s_delay_alu instid0(TRANS32_DEP_3) | instskip(NEXT) | instid1(TRANS32_DEP_2)
	v_readfirstlane_b32 s5, v1
	v_readfirstlane_b32 s6, v2
	s_delay_alu instid0(TRANS32_DEP_1)
	v_readfirstlane_b32 s7, v3
	s_mul_f32 s5, s5, 0x4f7ffffe
	s_mul_f32 s9, s6, 0x4f7ffffe
	;; [unrolled: 1-line block ×3, first 2 shown]
	s_wait_alu 0xfffe
	s_cvt_u32_f32 s6, s5
	s_cvt_u32_f32 s5, s9
	;; [unrolled: 1-line block ×3, first 2 shown]
	s_sub_co_i32 s7, 0, s3
	s_wait_alu 0xfffe
	s_mul_i32 s8, s8, s6
	s_mul_i32 s10, s10, s5
	;; [unrolled: 1-line block ×3, first 2 shown]
	s_mul_hi_u32 s8, s6, s8
	s_wait_alu 0xfffe
	s_mul_hi_u32 s11, s9, s7
	s_mul_hi_u32 s7, s5, s10
	s_add_co_i32 s12, s9, s11
	s_and_saveexec_b32 s9, s2
; %bb.2:
	v_mov_b32_e32 v1, 0
	s_delay_alu instid0(VALU_DEP_1)
	v_mov_b32_e32 v2, v1
	ds_store_b64 v1, v[1:2] offset:4096
; %bb.3:
	s_or_b32 exec_lo, exec_lo, s9
	v_mov_b32_e32 v1, 0
	s_wait_dscnt 0x0
	s_barrier_signal -1
	s_barrier_wait -1
	global_inv scope:SCOPE_SE
	s_wait_loadcnt 0x0
	s_barrier_signal -1
	s_barrier_wait -1
	global_inv scope:SCOPE_SE
	ds_load_b64 v[1:2], v1 offset:4096
	s_add_co_i32 s6, s6, s8
	s_load_b64 s[8:9], s[0:1], 0x21c
	s_add_co_i32 s10, s5, s7
	s_bitcmp1_b32 s39, 0
	s_mov_b32 s13, s35
	s_cselect_b32 s5, -1, 0
	s_mov_b32 s18, s36
	s_wait_dscnt 0x0
	v_readfirstlane_b32 s14, v1
	v_readfirstlane_b32 s15, v2
	s_delay_alu instid0(VALU_DEP_1)
	v_cmp_lt_i64_e64 s11, s[14:15], 1
	s_wait_alu 0xfffe
	s_or_b32 s5, s5, s11
	s_wait_alu 0xfffe
	s_and_not1_b32 vcc_lo, exec_lo, s5
	s_cbranch_vccnz .LBB73_5
; %bb.4:
	s_not_b64 s[14:15], s[14:15]
	s_mov_b32 s37, 0
	s_wait_alu 0xfffe
	s_add_nc_u64 s[14:15], s[14:15], s[36:37]
	s_mov_b32 s17, s37
	s_wait_alu 0xfffe
	s_lshr_b32 s16, s15, 31
	s_delay_alu instid0(SALU_CYCLE_1)
	s_add_nc_u64 s[14:15], s[14:15], s[16:17]
	s_wait_alu 0xfffe
	s_lshr_b64 s[14:15], s[14:15], 1
	s_wait_alu 0xfffe
	s_add_co_i32 s18, s14, 1
.LBB73_5:
	s_clause 0x3
	s_load_b64 s[40:41], s[0:1], 0x144
	s_load_b64 s[14:15], s[0:1], 0x1b0
	;; [unrolled: 1-line block ×4, first 2 shown]
	s_mul_u64 s[16:17], s[34:35], s[12:13]
	s_mov_b32 s7, s35
	s_mov_b32 s11, s35
	s_add_nc_u64 s[12:13], s[0:1], 0x298
	s_and_saveexec_b32 s5, s2
	s_cbranch_execz .LBB73_7
; %bb.6:
	v_dual_mov_b32 v1, 0 :: v_dual_mov_b32 v2, s36
	ds_store_b32 v1, v1 offset:4112
	ds_store_b64 v1, v[1:2] offset:4104
.LBB73_7:
	s_wait_alu 0xfffe
	s_or_b32 exec_lo, exec_lo, s5
	s_mul_i32 s5, s17, s3
	s_wait_loadcnt_dscnt 0x0
	s_wait_alu 0xfffe
	s_sub_co_i32 s5, s34, s5
	s_barrier_signal -1
	s_barrier_wait -1
	global_inv scope:SCOPE_SE
	s_load_b32 s20, s[12:13], 0xc
	s_add_co_i32 s16, s17, 1
	s_sub_co_i32 s19, s5, s3
	s_cmp_ge_u32 s5, s3
	v_mul_lo_u32 v15, s38, v0
	s_cselect_b32 s16, s16, s17
	s_cselect_b32 s5, s19, s5
	s_add_co_i32 s17, s16, 1
	s_wait_alu 0xfffe
	s_cmp_ge_u32 s5, s3
	s_load_b64 s[42:43], s[0:1], 0xd8
	s_cselect_b32 s5, s17, s16
	s_mov_b32 s53, 0
	s_wait_alu 0xfffe
	s_mul_i32 s3, s5, s3
	s_wait_kmcnt 0x0
	s_mul_i32 s0, s5, s8
	s_wait_alu 0xfffe
	s_sub_co_i32 s3, s34, s3
	s_mul_u64 s[50:51], s[34:35], s[6:7]
	s_wait_alu 0xfffe
	s_mul_i32 s3, s3, s9
	s_mul_u64 s[30:31], s[34:35], s[10:11]
	s_wait_alu 0xfffe
	s_add_co_i32 s52, s0, s3
	v_mbcnt_lo_u32_b32 v16, -1, 0
	s_add_nc_u64 s[44:45], s[14:15], s[52:53]
	s_and_b32 s35, s20, 0xffff
	v_dual_mov_b32 v34, s18 :: v_dual_add_nc_u32 v1, 2, v0
	s_lshl_b32 s37, s35, 2
	v_add_co_u32 v9, s6, s44, v15
	s_wait_alu 0xf1ff
	v_add_co_ci_u32_e64 v10, null, s45, 0, s6
	s_wait_alu 0xfffe
	s_cvt_f32_u32 s6, s37
	v_cmp_gt_u32_e32 vcc_lo, 32, v0
	v_cmp_gt_i32_e64 s3, 4, v16
	v_max_u32_e32 v3, s36, v1
	v_lshlrev_b64_e64 v[1:2], v16, -1
	s_add_co_i32 s39, s35, -1
	s_wait_alu 0xfffe
	v_rcp_iflag_f32_e32 v4, s6
	s_bfe_u32 s5, s20, 0xb0005
	s_and_b32 s50, vcc_lo, s3
	s_add_co_i32 s10, s39, s36
	s_cmp_gt_u32 s36, 0xc00
	v_not_b32_e32 v19, v1
	s_cselect_b32 s61, -1, 0
	s_cmp_gt_u32 s35, 31
	v_lshrrev_b32_e32 v1, 1, v0
	s_cselect_b32 s63, -1, 0
	s_cmp_lt_u32 ttmp9, s4
	s_movk_i32 s6, 0x1f0
	s_cselect_b32 s52, 12, 18
	s_wait_alu 0xfffe
	s_add_co_i32 s4, s5, -1
	v_and_or_b32 v20, v1, s6, 0xc00
	v_readfirstlane_b32 s6, v4
	s_wait_alu 0xfffe
	s_and_b32 s4, s4, 0xffff
	s_bfe_u32 s64, s35, 0x30005
	s_wait_alu 0xfffe
	s_cmp_gt_u32 s4, 6
	v_xad_u32 v2, v0, -1, v3
	s_cselect_b32 s65, -1, 0
	s_and_b32 s66, s5, 0x7f8
	s_mul_f32 s5, s6, 0x4f7ffffe
	s_cvt_f32_u32 s6, s35
	s_cmp_lg_u32 s64, 0
	v_dual_mov_b32 v18, 0 :: v_dual_lshlrev_b32 v17, 2, v0
	s_wait_alu 0xfffe
	s_cvt_u32_f32 s5, s5
	s_cselect_b32 s67, -1, 0
	s_sub_co_i32 s7, 0, s37
	v_rcp_iflag_f32_e32 v4, s6
	s_wait_alu 0xfffe
	s_mul_i32 s7, s7, s5
	v_add_nc_u32_e32 v3, -4, v2
	s_wait_alu 0xfffe
	s_mul_hi_u32 s6, s5, s7
	v_mad_co_u64_u32 v[13:14], null, s38, v17, s[38:39]
	s_wait_alu 0xfffe
	s_add_co_i32 s54, s5, s6
	v_mov_b32_e32 v14, 0
	s_mul_hi_u32 s5, s36, s54
	v_lshrrev_b32_e32 v5, 2, v3
	s_wait_alu 0xfffe
	s_mul_i32 s5, s5, s37
	v_readfirstlane_b32 s6, v4
	s_wait_alu 0xfffe
	s_sub_co_i32 s5, s36, s5
	v_dual_mov_b32 v32, 0 :: v_dual_add_nc_u32 v1, 1, v5
	s_wait_alu 0xfffe
	s_sub_co_i32 s7, s5, s37
	s_cmp_ge_u32 s5, s37
	s_mul_f32 s6, s6, 0x4f7ffffe
	s_wait_alu 0xfffe
	s_cselect_b32 s7, s7, s5
	v_dual_mov_b32 v31, 0 :: v_dual_and_b32 v4, 3, v1
	s_wait_alu 0xfffe
	s_sub_co_i32 s8, s7, s37
	s_cmp_ge_u32 s7, s37
	s_cvt_u32_f32 s9, s6
	s_cselect_b32 s11, s8, s7
	s_sub_co_i32 s6, 0, s35
	s_sub_co_i32 s72, s36, s11
	s_wait_alu 0xfffe
	s_mul_i32 s7, s6, s9
	v_add_nc_u32_e32 v24, s72, v0
	s_wait_alu 0xfffe
	s_mul_hi_u32 s8, s9, s7
	v_and_b32_e32 v23, 0x7ffffffc, v1
	s_add_co_i32 s56, s9, s8
	v_and_b32_e32 v21, -4, v2
	s_mul_hi_u32 s8, s10, s56
	v_mul_lo_u32 v1, v24, s38
	s_mul_i32 s8, s8, s35
	v_cmp_lt_u32_e64 s4, 31, v2
	s_sub_co_i32 s8, s10, s8
	v_cmp_lt_u32_e64 s5, 11, v3
	s_sub_co_i32 s9, s8, s35
	s_cmp_ge_u32 s8, s35
	v_cmp_ne_u32_e64 s7, v2, v21
	s_cselect_b32 s14, s9, s8
	v_or_b32_e32 v2, 2, v17
	s_wait_alu 0xfffe
	s_sub_co_i32 s15, s14, s35
	s_cmp_ge_u32 s14, s35
	v_or_b32_e32 v3, 3, v17
	s_wait_alu 0xfffe
	s_cselect_b32 s14, s15, s14
	v_add_co_u32 v11, s15, s44, v1
	v_add3_u32 v1, s35, s36, v0
	v_mul_lo_u32 v26, s38, v2
	v_mul_lo_u32 v27, s38, v3
	s_wait_alu 0xfffe
	s_sub_co_i32 s73, s10, s14
	v_cmp_gt_u32_e64 s0, s36, v0
	v_subrev_nc_u32_e32 v1, s11, v1
	v_cmp_eq_u32_e64 s1, 0, v16
	v_cmp_gt_u32_e64 s3, 2, v0
	v_dual_mov_b32 v33, 0 :: v_dual_add_nc_u32 v22, v0, v21
	s_delay_alu instid0(VALU_DEP_4)
	v_mul_lo_u32 v29, s38, v1
	v_cmp_ne_u32_e64 s6, 0, v4
	v_cmp_gt_u32_e64 s8, s72, v17
	v_cmp_gt_u32_e64 s9, s36, v24
	v_add_co_ci_u32_e64 v12, null, s45, 0, s15
	s_wait_alu 0xfffe
	v_cmp_gt_u32_e64 s10, s73, v0
	v_lshlrev_b32_e32 v25, 2, v4
	v_lshlrev_b32_e32 v28, 2, v15
	v_lshl_or_b32 v30, v16, 2, 0xc00
	s_mul_i32 s62, s38, s35
	s_mov_b32 s68, s38
	s_mov_b32 s69, s38
	;; [unrolled: 1-line block ×7, first 2 shown]
	s_lshl_b32 s74, s62, 2
	s_add_nc_u64 s[58:59], s[12:13], s[52:53]
	s_mov_b32 s75, 0
                                        ; implicit-def: $sgpr79
                                        ; implicit-def: $sgpr81
                                        ; implicit-def: $sgpr76
                                        ; implicit-def: $sgpr78
                                        ; implicit-def: $sgpr80
                                        ; implicit-def: $sgpr77
	s_branch .LBB73_11
.LBB73_8:                               ;   in Loop: Header=BB73_11 Depth=1
	s_wait_alu 0xfffe
	s_or_b32 exec_lo, exec_lo, s15
	s_delay_alu instid0(SALU_CYCLE_1)
	s_and_b32 s12, s12, exec_lo
	s_and_not1_b32 s17, s17, exec_lo
	s_and_not1_b32 s16, s16, exec_lo
	s_or_not1_b32 s14, s14, exec_lo
.LBB73_9:                               ;   in Loop: Header=BB73_11 Depth=1
	s_wait_alu 0xfffe
	s_or_b32 exec_lo, exec_lo, s11
	s_delay_alu instid0(SALU_CYCLE_1)
	s_and_not1_b32 s11, s77, exec_lo
	s_and_b32 s12, s12, exec_lo
	s_and_not1_b32 s15, s78, exec_lo
	s_wait_alu 0xfffe
	s_or_b32 s77, s11, s12
	s_and_not1_b32 s11, s80, exec_lo
	s_and_b32 s12, s17, exec_lo
	s_and_b32 s16, s16, exec_lo
	s_wait_alu 0xfffe
	s_or_b32 s80, s11, s12
	s_or_b32 s78, s15, s16
	s_or_not1_b32 s15, s14, exec_lo
.LBB73_10:                              ;   in Loop: Header=BB73_11 Depth=1
	s_wait_alu 0xfffe
	s_or_b32 exec_lo, exec_lo, s13
	s_delay_alu instid0(SALU_CYCLE_1)
	s_and_b32 s11, exec_lo, s15
	v_mov_b32_e32 v34, v2
	s_wait_alu 0xfffe
	s_or_b32 s75, s11, s75
	s_and_not1_b32 s11, s76, exec_lo
	s_and_b32 s12, s77, exec_lo
	s_and_not1_b32 s13, s81, exec_lo
	s_wait_alu 0xfffe
	s_or_b32 s76, s11, s12
	s_and_b32 s11, s80, exec_lo
	s_and_not1_b32 s12, s79, exec_lo
	s_and_b32 s14, s78, exec_lo
	s_wait_alu 0xfffe
	s_or_b32 s81, s13, s11
	s_or_b32 s79, s12, s14
	s_mov_b32 s82, s22
	s_and_not1_b32 exec_lo, exec_lo, s75
	s_cbranch_execz .LBB73_246
.LBB73_11:                              ; =>This Loop Header: Depth=1
                                        ;     Child Loop BB73_16 Depth 2
                                        ;     Child Loop BB73_37 Depth 2
                                        ;     Child Loop BB73_41 Depth 2
                                        ;     Child Loop BB73_47 Depth 2
                                        ;     Child Loop BB73_79 Depth 2
                                        ;     Child Loop BB73_83 Depth 2
                                        ;     Child Loop BB73_68 Depth 2
                                        ;     Child Loop BB73_73 Depth 2
                                        ;     Child Loop BB73_64 Depth 2
                                        ;     Child Loop BB73_88 Depth 2
                                        ;     Child Loop BB73_98 Depth 2
                                        ;     Child Loop BB73_109 Depth 2
                                        ;     Child Loop BB73_135 Depth 2
                                        ;     Child Loop BB73_146 Depth 2
                                        ;     Child Loop BB73_172 Depth 2
                                        ;     Child Loop BB73_183 Depth 2
                                        ;     Child Loop BB73_209 Depth 2
                                        ;     Child Loop BB73_220 Depth 2
	ds_load_b64 v[1:2], v18 offset:4104
	s_wait_dscnt 0x0
	v_readfirstlane_b32 s52, v1
	s_cmp_lg_u32 s52, 0
	s_cbranch_scc1 .LBB73_56
; %bb.12:                               ;   in Loop: Header=BB73_11 Depth=1
	s_and_b32 vcc_lo, exec_lo, s61
	s_wait_alu 0xfffe
	s_cbranch_vccz .LBB73_24
; %bb.13:                               ;   in Loop: Header=BB73_11 Depth=1
	v_cmp_gt_u32_e32 vcc_lo, 0xc01, v2
	s_mov_b32 s13, 0
	s_mov_b32 s11, 0
	s_cbranch_vccz .LBB73_25
; %bb.14:                               ;   in Loop: Header=BB73_11 Depth=1
	global_load_u8 v2, v[9:10], off
	s_load_u16 s14, s[58:59], 0x0
	v_mov_b32_e32 v3, v0
	s_mov_b32 s15, 0
	s_wait_kmcnt 0x0
	v_add_nc_u32_e32 v1, s14, v0
	s_mul_i32 s16, s38, s14
	s_delay_alu instid0(VALU_DEP_1)
	v_mul_lo_u32 v1, s38, v1
	s_branch .LBB73_16
.LBB73_15:                              ;   in Loop: Header=BB73_16 Depth=2
	s_wait_alu 0xfffe
	s_or_b32 exec_lo, exec_lo, s12
	v_dual_mov_b32 v2, v4 :: v_dual_add_nc_u32 v1, s16, v1
	s_and_not1_b32 exec_lo, exec_lo, s15
	s_cbranch_execz .LBB73_31
.LBB73_16:                              ;   Parent Loop BB73_11 Depth=1
                                        ; =>  This Inner Loop Header: Depth=2
	v_dual_mov_b32 v4, 0 :: v_dual_add_nc_u32 v3, s14, v3
	s_wait_dscnt 0x0
	v_mov_b32_e32 v5, 0
	s_mov_b32 s12, exec_lo
	s_delay_alu instid0(VALU_DEP_2)
	v_cmp_le_u32_e32 vcc_lo, s36, v3
	v_cmpx_gt_u32_e64 s36, v3
	s_cbranch_execz .LBB73_18
; %bb.17:                               ;   in Loop: Header=BB73_16 Depth=2
	global_load_u8 v4, v1, s[44:45]
.LBB73_18:                              ;   in Loop: Header=BB73_16 Depth=2
	s_wait_alu 0xfffe
	s_or_b32 exec_lo, exec_lo, s12
	s_wait_loadcnt 0x0
	v_and_b32_e32 v6, v2, v32
	s_delay_alu instid0(VALU_DEP_1) | instskip(NEXT) | instid1(VALU_DEP_1)
	v_and_b32_e32 v6, 0xff, v6
	v_cmp_eq_u32_e64 s11, v6, v14
	s_cmp_lg_u32 s11, 0
	s_cselect_b32 s12, -1, 0
	s_wait_alu 0xfffe
	s_and_b32 s12, s1, s12
	s_wait_alu 0xfffe
	s_and_saveexec_b32 s17, s12
	s_cbranch_execz .LBB73_22
; %bb.19:                               ;   in Loop: Header=BB73_16 Depth=2
	s_mov_b32 s20, exec_lo
	s_bcnt1_i32_b32 s18, s11
	s_wait_alu 0xfffe
	v_mbcnt_lo_u32_b32 v5, s20, 0
	s_mov_b32 s19, exec_lo
                                        ; implicit-def: $vgpr6
	s_delay_alu instid0(VALU_DEP_1)
	v_cmpx_eq_u32_e32 0, v5
; %bb.20:                               ;   in Loop: Header=BB73_16 Depth=2
	s_bcnt1_i32_b32 s12, s20
	s_wait_alu 0xfffe
	s_mul_i32 s12, s18, s12
	s_wait_alu 0xfffe
	v_mov_b32_e32 v6, s12
	ds_add_rtn_u32 v6, v18, v6 offset:4112
; %bb.21:                               ;   in Loop: Header=BB73_16 Depth=2
	s_or_b32 exec_lo, exec_lo, s19
	s_wait_dscnt 0x0
	v_readfirstlane_b32 s12, v6
	s_wait_alu 0xf1ff
	s_delay_alu instid0(VALU_DEP_1)
	v_mad_u32_u24 v5, s18, v5, s12
.LBB73_22:                              ;   in Loop: Header=BB73_16 Depth=2
	s_wait_alu 0xfffe
	s_or_b32 exec_lo, exec_lo, s17
	ds_bpermute_b32 v5, v18, v5
	s_and_b32 s12, exec_lo, vcc_lo
	s_wait_alu 0xfffe
	s_or_b32 s15, s12, s15
	s_and_saveexec_b32 s12, s11
	s_cbranch_execz .LBB73_15
; %bb.23:                               ;   in Loop: Header=BB73_16 Depth=2
	v_and_b32_e32 v6, s11, v19
	s_wait_dscnt 0x0
	s_delay_alu instid0(VALU_DEP_1)
	v_bcnt_u32_b32 v5, v6, v5
	ds_store_b8 v5, v2
	s_branch .LBB73_15
.LBB73_24:                              ;   in Loop: Header=BB73_11 Depth=1
	s_mov_b32 s13, -1
	s_mov_b32 s11, 0
.LBB73_25:                              ;   in Loop: Header=BB73_11 Depth=1
	s_wait_alu 0xfffe
	s_and_b32 vcc_lo, exec_lo, s13
	s_wait_alu 0xfffe
	s_cbranch_vccz .LBB73_54
.LBB73_26:                              ;   in Loop: Header=BB73_11 Depth=1
	s_and_saveexec_b32 s12, s0
	s_cbranch_execz .LBB73_51
; %bb.27:                               ;   in Loop: Header=BB73_11 Depth=1
	global_load_u8 v35, v[9:10], off
	s_load_u16 s14, s[58:59], 0x0
	s_mov_b32 s13, exec_lo
	s_wait_kmcnt 0x0
	v_dual_mov_b32 v2, v0 :: v_dual_add_nc_u32 v1, s14, v0
	s_delay_alu instid0(VALU_DEP_1)
	v_cmpx_gt_u32_e64 s36, v1
	s_cbranch_execz .LBB73_50
; %bb.28:                               ;   in Loop: Header=BB73_11 Depth=1
	s_mov_b32 s11, 0
	s_mul_i32 s15, s38, s14
                                        ; implicit-def: $vgpr2
                                        ; implicit-def: $vgpr5
                                        ; implicit-def: $vgpr3
                                        ; implicit-def: $vgpr4
	s_and_saveexec_b32 s16, s4
	s_wait_alu 0xfffe
	s_xor_b32 s16, exec_lo, s16
	s_cbranch_execnz .LBB73_34
; %bb.29:                               ;   in Loop: Header=BB73_11 Depth=1
	s_wait_alu 0xfffe
	s_and_not1_saveexec_b32 s16, s16
	s_cbranch_execnz .LBB73_45
.LBB73_30:                              ;   in Loop: Header=BB73_11 Depth=1
	s_wait_alu 0xfffe
	s_or_b32 exec_lo, exec_lo, s16
	s_and_saveexec_b32 s15, s11
	s_cbranch_execnz .LBB73_46
	s_branch .LBB73_49
.LBB73_31:                              ;   in Loop: Header=BB73_11 Depth=1
	s_or_b32 exec_lo, exec_lo, s15
	s_wait_dscnt 0x0
	s_barrier_signal -1
	s_barrier_wait -1
	global_inv scope:SCOPE_SE
	s_and_saveexec_b32 s11, s2
	s_cbranch_execz .LBB73_33
; %bb.32:                               ;   in Loop: Header=BB73_11 Depth=1
	ds_load_b32 v1, v18 offset:4112
	s_wait_dscnt 0x0
	ds_store_b32 v18, v1 offset:4104
.LBB73_33:                              ;   in Loop: Header=BB73_11 Depth=1
	s_wait_alu 0xfffe
	s_or_b32 exec_lo, exec_lo, s11
	s_wait_loadcnt_dscnt 0x0
	s_barrier_signal -1
	s_mov_b32 s11, -1
	s_barrier_wait -1
	s_and_b32 vcc_lo, exec_lo, s13
	s_wait_alu 0xfffe
	s_cbranch_vccnz .LBB73_26
	s_branch .LBB73_54
.LBB73_34:                              ;   in Loop: Header=BB73_11 Depth=1
	v_add_nc_u32_e32 v2, s14, v1
	s_cvt_f32_u32 s11, s14
	s_wait_alu 0xfffe
	s_delay_alu instid0(SALU_CYCLE_2) | instskip(NEXT) | instid1(VALU_DEP_1)
	v_rcp_iflag_f32_e32 v3, s11
	v_max_u32_e32 v2, s36, v2
	s_lshl_b32 s11, s14, 1
	s_delay_alu instid0(VALU_DEP_1) | instskip(NEXT) | instid1(TRANS32_DEP_1)
	v_sub_nc_u32_e32 v2, v2, v0
	v_readfirstlane_b32 s17, v3
	s_wait_alu 0xfffe
	s_delay_alu instid0(VALU_DEP_2) | instskip(SKIP_3) | instid1(VALU_DEP_1)
	v_cmp_ne_u32_e32 vcc_lo, s11, v2
	s_mul_f32 s17, s17, 0x4f7ffffe
	s_wait_alu 0xfffd
	v_cndmask_b32_e64 v3, 0, 1, vcc_lo
	v_or_b32_e32 v3, s11, v3
	s_wait_alu 0xfffe
	s_cvt_u32_f32 s11, s17
	s_sub_co_i32 s17, 0, s14
	s_wait_alu 0xfffe
	s_delay_alu instid0(SALU_CYCLE_1)
	s_mul_i32 s17, s17, s11
	v_sub_nc_u32_e32 v2, v2, v3
	s_wait_alu 0xfffe
	s_mul_hi_u32 s17, s11, s17
	s_wait_alu 0xfffe
	s_add_co_i32 s11, s11, s17
	s_not_b32 s17, s15
	s_wait_alu 0xfffe
	v_mul_hi_u32 v3, v2, s11
	s_delay_alu instid0(VALU_DEP_1) | instskip(NEXT) | instid1(VALU_DEP_1)
	v_mul_lo_u32 v4, v3, s14
	v_sub_nc_u32_e32 v2, v2, v4
	v_add_nc_u32_e32 v4, 1, v3
	s_delay_alu instid0(VALU_DEP_2) | instskip(SKIP_2) | instid1(VALU_DEP_1)
	v_subrev_nc_u32_e32 v5, s14, v2
	v_cmp_le_u32_e64 s11, s14, v2
	s_wait_alu 0xf1ff
	v_cndmask_b32_e64 v3, v3, v4, s11
	s_delay_alu instid0(VALU_DEP_3) | instskip(NEXT) | instid1(VALU_DEP_2)
	v_cndmask_b32_e64 v2, v2, v5, s11
	v_add_nc_u32_e32 v4, 1, v3
	s_delay_alu instid0(VALU_DEP_2) | instskip(SKIP_1) | instid1(VALU_DEP_1)
	v_cmp_le_u32_e64 s11, s14, v2
	s_wait_alu 0xf1ff
	v_cndmask_b32_e64 v2, v3, v4, s11
	v_mul_lo_u32 v3, s38, v1
	s_abs_i32 s11, s15
	s_delay_alu instid0(VALU_DEP_2) | instskip(SKIP_1) | instid1(VALU_DEP_1)
	v_add_co_ci_u32_e64 v2, null, 0, v2, vcc_lo
	s_wait_alu 0xfffe
	v_mul_hi_u32 v4, s11, v2
	v_mul_lo_u32 v2, s11, v2
	s_ashr_i32 s11, s17, 31
	s_cmp_eq_u32 s14, 1
	s_wait_alu 0xfffe
	v_xor_b32_e32 v3, s11, v3
	s_cselect_b32 s17, -1, 0
	s_delay_alu instid0(VALU_DEP_3) | instskip(NEXT) | instid1(VALU_DEP_2)
	v_cmp_eq_u32_e32 vcc_lo, 0, v4
	v_cmp_le_u32_e64 s11, v2, v3
	v_mov_b32_e32 v3, v0
                                        ; implicit-def: $vgpr2
	s_wait_alu 0xfffe
	s_and_b32 s17, vcc_lo, s17
	s_wait_alu 0xfffe
	s_and_b32 s18, s17, s11
	s_mov_b32 s17, -1
	s_wait_alu 0xfffe
	s_and_saveexec_b32 s11, s18
	s_cbranch_execz .LBB73_44
; %bb.35:                               ;   in Loop: Header=BB73_11 Depth=1
	v_add_nc_u32_e32 v4, 3, v1
	v_dual_mov_b32 v38, 0 :: v_dual_add_nc_u32 v3, 2, v1
	v_add_nc_u32_e32 v2, 1, v1
	s_wait_loadcnt 0x0
	v_lshlrev_b32_e32 v36, 24, v35
	v_dual_mov_b32 v8, v4 :: v_dual_mov_b32 v5, v1
	s_delay_alu instid0(VALU_DEP_3)
	v_dual_mov_b32 v7, v3 :: v_dual_mov_b32 v6, v2
                                        ; implicit-def: $vgpr35
	s_and_saveexec_b32 s17, s5
	s_cbranch_execz .LBB73_39
; %bb.36:                               ;   in Loop: Header=BB73_11 Depth=1
	v_dual_mov_b32 v37, v23 :: v_dual_mov_b32 v8, v4
	v_dual_mov_b32 v7, v3 :: v_dual_mov_b32 v6, v2
	v_mov_b32_e32 v5, v1
	s_mov_b32 s18, 0
	s_mov_b32 s19, 0
.LBB73_37:                              ;   Parent Loop BB73_11 Depth=1
                                        ; =>  This Inner Loop Header: Depth=2
	s_delay_alu instid0(VALU_DEP_1)
	v_mul_lo_u32 v2, v5, s68
	v_mul_lo_u32 v38, v6, s69
	v_add_nc_u32_e32 v3, 4, v5
	v_mul_lo_u32 v35, v7, s70
	v_add_nc_u32_e32 v39, 4, v6
	v_mul_lo_u32 v4, v8, s71
	v_add_nc_u32_e32 v40, 4, v7
	v_mul_lo_u32 v53, v3, s68
	v_add_co_u32 v2, s20, s44, v2
	v_add_nc_u32_e32 v41, 4, v8
	v_add_nc_u32_e32 v42, 8, v5
	v_mul_lo_u32 v52, v39, s69
	s_wait_alu 0xf1ff
	v_add_co_ci_u32_e64 v3, null, s45, 0, s20
	v_add_co_u32 v38, s20, s44, v38
	v_add_nc_u32_e32 v43, 8, v6
	v_add_nc_u32_e32 v44, 8, v7
	v_mul_lo_u32 v51, v40, s70
	s_wait_alu 0xf1ff
	v_add_co_ci_u32_e64 v39, null, s45, 0, s20
	v_add_co_u32 v40, s20, s44, v35
	v_add_nc_u32_e32 v45, 8, v8
	v_add_nc_u32_e32 v46, 12, v5
	v_mul_lo_u32 v50, v41, s71
	v_mul_lo_u32 v55, v42, s68
	s_wait_alu 0xf1ff
	v_add_co_ci_u32_e64 v41, null, s45, 0, s20
	v_add_co_u32 v42, s20, s44, v4
	v_add_nc_u32_e32 v47, 12, v6
	v_add_nc_u32_e32 v48, 12, v7
	v_mul_lo_u32 v56, v44, s70
	v_mul_lo_u32 v54, v43, s69
	s_wait_alu 0xf1ff
	v_add_co_ci_u32_e64 v43, null, s45, 0, s20
	v_add_co_u32 v44, s20, s44, v53
	v_add_nc_u32_e32 v49, 12, v8
	v_mul_lo_u32 v58, v45, s71
	v_mul_lo_u32 v60, v46, s68
	s_wait_alu 0xf1ff
	v_add_co_ci_u32_e64 v45, null, s45, 0, s20
	v_add_co_u32 v46, s20, s44, v52
	v_mul_lo_u32 v64, v48, s70
	v_mul_lo_u32 v62, v47, s69
	s_wait_alu 0xf1ff
	v_add_co_ci_u32_e64 v47, null, s45, 0, s20
	v_add_co_u32 v48, s20, s44, v51
	v_mul_lo_u32 v66, v49, s71
	s_wait_alu 0xf1ff
	v_add_co_ci_u32_e64 v49, null, s45, 0, s20
	v_add_co_u32 v50, s20, s44, v50
	s_wait_alu 0xf1ff
	v_add_co_ci_u32_e64 v51, null, s45, 0, s20
	v_add_co_u32 v52, s20, s44, v55
	s_wait_alu 0xf1ff
	v_add_co_ci_u32_e64 v53, null, s45, 0, s20
	v_add_co_u32 v54, s20, s44, v54
	s_wait_alu 0xf1ff
	v_add_co_ci_u32_e64 v55, null, s45, 0, s20
	v_add_co_u32 v56, s20, s44, v56
	s_wait_alu 0xf1ff
	v_add_co_ci_u32_e64 v57, null, s45, 0, s20
	v_add_co_u32 v58, s20, s44, v58
	s_wait_alu 0xf1ff
	v_add_co_ci_u32_e64 v59, null, s45, 0, s20
	v_add_co_u32 v60, s20, s44, v60
	s_wait_alu 0xf1ff
	v_add_co_ci_u32_e64 v61, null, s45, 0, s20
	v_add_co_u32 v62, s20, s44, v62
	s_wait_alu 0xf1ff
	v_add_co_ci_u32_e64 v63, null, s45, 0, s20
	v_add_co_u32 v64, s20, s44, v64
	s_wait_alu 0xf1ff
	v_add_co_ci_u32_e64 v65, null, s45, 0, s20
	v_add_co_u32 v66, s20, s44, v66
	s_wait_alu 0xf1ff
	v_add_co_ci_u32_e64 v67, null, s45, 0, s20
	s_clause 0xf
	global_load_u8 v4, v[40:41], off
	global_load_u8 v40, v[42:43], off
	;; [unrolled: 1-line block ×16, first 2 shown]
	v_add_nc_u32_e32 v37, -4, v37
	s_wait_alu 0xfffe
	v_add_nc_u32_e32 v51, s19, v0
	s_add_co_i32 s19, s19, 16
	v_add_nc_u32_e32 v8, 16, v8
	v_add_nc_u32_e32 v7, 16, v7
	v_cmp_eq_u32_e32 vcc_lo, 0, v37
	v_add_nc_u32_e32 v6, 16, v6
	s_wait_alu 0xfffe
	v_dual_mov_b32 v38, s19 :: v_dual_add_nc_u32 v5, 16, v5
	s_or_b32 s18, vcc_lo, s18
	s_wait_loadcnt 0x9
	v_perm_b32 v4, v39, v4, 0xc0c0004
	s_wait_loadcnt 0x8
	v_perm_b32 v2, v36, v2, 0xc0c0007
	v_perm_b32 v36, v40, v41, 0xc0c0004
	v_perm_b32 v40, v44, v42, 0xc0c0004
	s_wait_loadcnt 0x7
	v_perm_b32 v3, v43, v3, 0xc0c0004
	s_wait_loadcnt 0x4
	v_perm_b32 v41, v47, v45, 0xc0c0004
	v_lshl_or_b32 v39, v4, 16, v2
	s_wait_loadcnt 0x2
	v_perm_b32 v44, v48, v49, 0xc0c0004
	s_wait_loadcnt 0x1
	v_perm_b32 v43, v50, v48, 0xc0c0004
	v_perm_b32 v42, v46, v50, 0xc0c0004
	s_wait_loadcnt 0x0
	v_perm_b32 v45, v49, v35, 0xc0c0004
	v_lshl_or_b32 v40, v40, 16, v36
	v_lshl_or_b32 v41, v41, 16, v3
	;; [unrolled: 1-line block ×3, first 2 shown]
	s_delay_alu instid0(VALU_DEP_4)
	v_lshl_or_b32 v36, v45, 16, v43
	ds_store_b128 v51, v[39:42]
	s_wait_alu 0xfffe
	s_and_not1_b32 exec_lo, exec_lo, s18
	s_cbranch_execnz .LBB73_37
; %bb.38:                               ;   in Loop: Header=BB73_11 Depth=1
	s_or_b32 exec_lo, exec_lo, s18
.LBB73_39:                              ;   in Loop: Header=BB73_11 Depth=1
	s_wait_alu 0xfffe
	s_or_b32 exec_lo, exec_lo, s17
	s_and_saveexec_b32 s17, s6
	s_cbranch_execz .LBB73_43
; %bb.40:                               ;   in Loop: Header=BB73_11 Depth=1
	v_dual_mov_b32 v3, v25 :: v_dual_add_nc_u32 v2, v0, v38
	s_mov_b32 s18, 0
.LBB73_41:                              ;   Parent Loop BB73_11 Depth=1
                                        ; =>  This Inner Loop Header: Depth=2
	v_mul_lo_u32 v4, v5, s68
	v_mul_lo_u32 v35, v6, s69
	;; [unrolled: 1-line block ×4, first 2 shown]
	v_add_nc_u32_e32 v3, -4, v3
	v_add_nc_u32_e32 v8, 4, v8
	v_add_nc_u32_e32 v6, 4, v6
	;; [unrolled: 1-line block ×3, first 2 shown]
	v_add_co_u32 v37, s19, s44, v4
	s_wait_alu 0xf1ff
	v_add_co_ci_u32_e64 v38, null, s45, 0, s19
	v_add_co_u32 v39, s19, s44, v35
	s_wait_alu 0xf1ff
	v_add_co_ci_u32_e64 v40, null, s45, 0, s19
	;; [unrolled: 3-line block ×4, first 2 shown]
	s_clause 0x3
	global_load_u8 v4, v[39:40], off
	global_load_u8 v39, v[41:42], off
	;; [unrolled: 1-line block ×4, first 2 shown]
	v_cmp_eq_u32_e32 vcc_lo, 0, v3
	s_wait_alu 0xfffe
	s_or_b32 s18, vcc_lo, s18
	s_wait_loadcnt 0x2
	v_perm_b32 v38, v4, v39, 0xc0c0004
	s_wait_loadcnt 0x1
	v_perm_b32 v36, v36, v37, 0xc0c0007
	v_perm_b32 v4, v37, v4, 0xc0c0004
	s_wait_loadcnt 0x0
	v_perm_b32 v37, v39, v35, 0xc0c0004
	s_delay_alu instid0(VALU_DEP_3) | instskip(NEXT) | instid1(VALU_DEP_2)
	v_lshl_or_b32 v36, v38, 16, v36
	v_lshl_or_b32 v4, v37, 16, v4
	v_add_nc_u32_e32 v7, 4, v7
	ds_store_b32 v2, v36
	v_add_nc_u32_e32 v2, 4, v2
	v_mov_b32_e32 v36, v4
	s_wait_alu 0xfffe
	s_and_not1_b32 exec_lo, exec_lo, s18
	s_cbranch_execnz .LBB73_41
; %bb.42:                               ;   in Loop: Header=BB73_11 Depth=1
	s_or_b32 exec_lo, exec_lo, s18
.LBB73_43:                              ;   in Loop: Header=BB73_11 Depth=1
	s_wait_alu 0xfffe
	s_or_b32 exec_lo, exec_lo, s17
	v_add_nc_u32_e32 v1, v1, v21
	s_or_not1_b32 s17, s7, exec_lo
	s_delay_alu instid0(VALU_DEP_1)
	v_dual_mov_b32 v3, v22 :: v_dual_add_nc_u32 v2, -1, v1
.LBB73_44:                              ;   in Loop: Header=BB73_11 Depth=1
	s_wait_alu 0xfffe
	s_or_b32 exec_lo, exec_lo, s11
	s_wait_loadcnt 0x0
	v_dual_mov_b32 v4, s15 :: v_dual_mov_b32 v5, v35
	s_and_b32 s11, s17, exec_lo
	s_and_not1_saveexec_b32 s16, s16
	s_cbranch_execz .LBB73_30
.LBB73_45:                              ;   in Loop: Header=BB73_11 Depth=1
	s_wait_loadcnt 0x0
	s_wait_alu 0xfffe
	v_dual_mov_b32 v4, s15 :: v_dual_mov_b32 v5, v35
	v_mov_b32_e32 v3, v0
	s_or_b32 s11, s11, exec_lo
	s_or_b32 exec_lo, exec_lo, s16
	s_wait_alu 0xfffe
	s_and_saveexec_b32 s15, s11
	s_cbranch_execz .LBB73_49
.LBB73_46:                              ;   in Loop: Header=BB73_11 Depth=1
	v_mul_lo_u32 v2, s38, v1
	s_mov_b32 s16, 0
	s_sub_co_i32 s11, 0, s14
.LBB73_47:                              ;   Parent Loop BB73_11 Depth=1
                                        ; =>  This Inner Loop Header: Depth=2
	s_wait_loadcnt 0x0
	global_load_u8 v35, v2, s[44:45]
	v_mov_b32_e32 v6, v1
	ds_store_b8 v3, v5
	s_wait_loadcnt 0x0
	v_dual_mov_b32 v5, v35 :: v_dual_add_nc_u32 v2, v2, v4
	v_add_nc_u32_e32 v1, s14, v6
	v_mov_b32_e32 v3, v6
	s_delay_alu instid0(VALU_DEP_2)
	v_cmp_le_u32_e32 vcc_lo, s36, v1
	s_wait_alu 0xfffe
	s_or_b32 s16, vcc_lo, s16
	s_wait_alu 0xfffe
	s_and_not1_b32 exec_lo, exec_lo, s16
	s_cbranch_execnz .LBB73_47
; %bb.48:                               ;   in Loop: Header=BB73_11 Depth=1
	s_or_b32 exec_lo, exec_lo, s16
	v_add_nc_u32_e32 v2, s11, v1
.LBB73_49:                              ;   in Loop: Header=BB73_11 Depth=1
	s_wait_alu 0xfffe
	s_or_b32 exec_lo, exec_lo, s15
.LBB73_50:                              ;   in Loop: Header=BB73_11 Depth=1
	s_wait_alu 0xfffe
	s_or_b32 exec_lo, exec_lo, s13
	s_wait_loadcnt 0x0
	ds_store_b8 v2, v35
.LBB73_51:                              ;   in Loop: Header=BB73_11 Depth=1
	s_wait_alu 0xfffe
	s_or_b32 exec_lo, exec_lo, s12
	s_wait_loadcnt_dscnt 0x0
	s_barrier_signal -1
	s_barrier_wait -1
	global_inv scope:SCOPE_SE
	s_and_saveexec_b32 s11, s2
; %bb.52:                               ;   in Loop: Header=BB73_11 Depth=1
	v_mov_b32_e32 v1, s36
	ds_store_b32 v18, v1 offset:4104
; %bb.53:                               ;   in Loop: Header=BB73_11 Depth=1
	s_wait_alu 0xfffe
	s_or_b32 exec_lo, exec_lo, s11
	s_mov_b32 s11, -1
	s_wait_loadcnt_dscnt 0x0
	s_barrier_signal -1
	s_barrier_wait -1
.LBB73_54:                              ;   in Loop: Header=BB73_11 Depth=1
	s_wait_alu 0xfffe
	s_and_b32 vcc_lo, exec_lo, s11
	s_mov_b32 s52, 0
	s_wait_alu 0xfffe
	s_cbranch_vccz .LBB73_56
; %bb.55:                               ;   in Loop: Header=BB73_11 Depth=1
	s_wait_loadcnt 0x0
	global_inv scope:SCOPE_SE
	ds_load_b32 v1, v18 offset:4104
	s_wait_dscnt 0x0
	v_readfirstlane_b32 s52, v1
.LBB73_56:                              ;   in Loop: Header=BB73_11 Depth=1
	s_delay_alu instid0(VALU_DEP_1)
	s_cmp_lt_i32 s52, 1
	s_mov_b32 s11, -1
                                        ; implicit-def: $vgpr4
	s_cbranch_scc1 .LBB73_66
; %bb.57:                               ;   in Loop: Header=BB73_11 Depth=1
	s_wait_alu 0xfffe
	s_and_b32 vcc_lo, exec_lo, s11
	s_wait_alu 0xfffe
	s_cbranch_vccnz .LBB73_77
.LBB73_58:                              ;   in Loop: Header=BB73_11 Depth=1
	v_lshlrev_b32_e32 v5, 7, v31
	s_and_saveexec_b32 s11, s1
.LBB73_59:                              ;   in Loop: Header=BB73_11 Depth=1
	s_delay_alu instid0(VALU_DEP_1)
	v_lshl_add_u32 v6, v5, 2, v20
	ds_store_b128 v6, v[1:4]
.LBB73_60:                              ;   in Loop: Header=BB73_11 Depth=1
	s_wait_alu 0xfffe
	s_or_b32 exec_lo, exec_lo, s11
	s_wait_loadcnt_dscnt 0x0
	s_barrier_signal -1
	s_barrier_wait -1
	global_inv scope:SCOPE_SE
	s_and_saveexec_b32 s11, s50
	s_cbranch_execz .LBB73_90
; %bb.61:                               ;   in Loop: Header=BB73_11 Depth=1
	v_mov_b32_e32 v1, 0
	s_and_not1_b32 vcc_lo, exec_lo, s63
	s_wait_alu 0xfffe
	s_cbranch_vccnz .LBB73_89
; %bb.62:                               ;   in Loop: Header=BB73_11 Depth=1
	s_and_not1_b32 vcc_lo, exec_lo, s65
	s_wait_alu 0xfffe
	s_cbranch_vccnz .LBB73_86
; %bb.63:                               ;   in Loop: Header=BB73_11 Depth=1
	v_lshl_add_u32 v2, v31, 9, v30
	v_mov_b32_e32 v1, 0
	s_mov_b32 s12, 0
.LBB73_64:                              ;   Parent Loop BB73_11 Depth=1
                                        ; =>  This Inner Loop Header: Depth=2
	ds_load_2addr_b32 v[3:4], v2 offset1:4
	ds_load_2addr_b32 v[6:7], v2 offset0:8 offset1:12
	ds_load_2addr_b32 v[35:36], v2 offset0:16 offset1:20
	;; [unrolled: 1-line block ×3, first 2 shown]
	v_add_nc_u32_e32 v2, 0x80, v2
	s_wait_alu 0xfffe
	s_add_co_i32 s12, s12, 8
	s_wait_alu 0xfffe
	s_cmp_eq_u32 s66, s12
	s_wait_dscnt 0x3
	v_add3_u32 v1, v3, v1, v4
	s_wait_dscnt 0x2
	s_delay_alu instid0(VALU_DEP_1) | instskip(SKIP_1) | instid1(VALU_DEP_1)
	v_add3_u32 v1, v6, v1, v7
	s_wait_dscnt 0x1
	v_add3_u32 v1, v35, v1, v36
	s_wait_dscnt 0x0
	s_delay_alu instid0(VALU_DEP_1)
	v_add3_u32 v1, v37, v1, v38
	s_cbranch_scc0 .LBB73_64
; %bb.65:                               ;   in Loop: Header=BB73_11 Depth=1
	s_mov_b32 s12, s66
	s_and_not1_b32 vcc_lo, exec_lo, s67
	s_wait_alu 0xfffe
	s_cbranch_vccz .LBB73_87
	s_branch .LBB73_89
.LBB73_66:                              ;   in Loop: Header=BB73_11 Depth=1
	v_dual_mov_b32 v1, 0 :: v_dual_mov_b32 v2, 0
	v_dual_mov_b32 v3, 0 :: v_dual_mov_b32 v4, 0
	s_and_saveexec_b32 s83, s8
	s_cbranch_execz .LBB73_70
; %bb.67:                               ;   in Loop: Header=BB73_11 Depth=1
	v_mov_b32_e32 v5, v17
	s_mov_b32 s84, 0
	s_mov_b32 s85, 0
	;; [unrolled: 1-line block ×6, first 2 shown]
.LBB73_68:                              ;   Parent Loop BB73_11 Depth=1
                                        ; =>  This Inner Loop Header: Depth=2
	s_wait_alu 0xfffe
	v_add_nc_u32_e32 v1, s85, v28
	v_add_nc_u32_e32 v2, s85, v13
	;; [unrolled: 1-line block ×5, first 2 shown]
	s_clause 0x3
	global_load_u8 v1, v1, s[44:45]
	global_load_u8 v2, v2, s[44:45]
	;; [unrolled: 1-line block ×4, first 2 shown]
	s_add_co_i32 s85, s85, s74
	v_cmp_le_u32_e32 vcc_lo, s72, v5
	s_wait_loadcnt 0x3
	v_and_b32_e32 v6, v32, v1
	v_bfe_u32 v1, v1, s82, 2
	s_wait_loadcnt 0x2
	v_and_b32_e32 v7, v32, v2
	v_bfe_u32 v2, v2, s82, 2
	;; [unrolled: 3-line block ×3, first 2 shown]
	v_cmp_eq_u32_e64 s11, v6, v14
	v_cmp_eq_u32_e64 s15, 0, v1
	s_wait_loadcnt 0x0
	v_and_b32_e32 v35, v32, v4
	v_bfe_u32 v4, v4, s82, 2
	v_cmp_eq_u32_e64 s12, v7, v14
	v_cmp_eq_u32_e64 s16, 0, v2
	;; [unrolled: 1-line block ×4, first 2 shown]
	s_and_b32 s15, s11, s15
	v_cmp_eq_u32_e64 s14, v35, v14
	v_cmp_eq_u32_e64 s18, 0, v4
	;; [unrolled: 1-line block ×5, first 2 shown]
	s_wait_alu 0xfffe
	v_cndmask_b32_e64 v1, 0, 1, s15
	s_and_b32 s15, s12, s16
	v_cmp_eq_u32_e64 s20, 1, v2
	v_cmp_eq_u32_e64 s24, 2, v2
	v_cmp_eq_u32_e64 s28, 3, v2
	s_wait_alu 0xfffe
	v_cndmask_b32_e64 v2, 0, 1, s15
	s_and_b32 s15, s13, s17
	v_cmp_eq_u32_e64 s21, 1, v3
	v_cmp_eq_u32_e64 s25, 2, v3
	v_cmp_eq_u32_e64 s29, 3, v3
	;; [unrolled: 6-line block ×3, first 2 shown]
	s_wait_alu 0xfffe
	v_cndmask_b32_e64 v4, 0, 1, s15
	s_and_b32 s15, s11, s19
	s_wait_alu 0xfffe
	v_cndmask_b32_e64 v6, 0, 1, s15
	s_and_b32 s15, s12, s20
	;; [unrolled: 3-line block ×4, first 2 shown]
	v_cmp_ne_u32_e64 s16, 0, v7
	s_wait_alu 0xfffe
	v_cndmask_b32_e64 v35, 0, 1, s15
	s_and_b32 s15, s11, s23
	s_and_b32 s11, s11, s27
	s_wait_alu 0xfffe
	v_cndmask_b32_e64 v36, 0, 1, s15
	s_and_b32 s15, s12, s24
	v_cndmask_b32_e64 v40, 0, 1, s11
	s_and_b32 s11, s12, s28
	s_wait_alu 0xfffe
	v_cndmask_b32_e64 v37, 0, 1, s15
	s_and_b32 s15, s13, s25
	v_cndmask_b32_e64 v41, 0, 1, s11
	;; [unrolled: 5-line block ×3, first 2 shown]
	s_and_b32 s11, s14, s30
	s_wait_alu 0xfffe
	v_cndmask_b32_e64 v39, 0, 1, s15
	v_cndmask_b32_e64 v43, 0, 1, s11
	v_cmp_ne_u32_e64 s11, 0, v1
	v_cmp_ne_u32_e64 s15, 0, v6
	;; [unrolled: 1-line block ×11, first 2 shown]
	s_bcnt1_i32_b32 s11, s11
	s_bcnt1_i32_b32 s15, s15
	;; [unrolled: 1-line block ×4, first 2 shown]
	v_cmp_ne_u32_e64 s14, 0, v4
	v_cmp_ne_u32_e64 s18, 0, v35
	;; [unrolled: 1-line block ×4, first 2 shown]
	s_bcnt1_i32_b32 s12, s12
	s_bcnt1_i32_b32 s16, s16
	s_bcnt1_i32_b32 s20, s20
	s_bcnt1_i32_b32 s24, s24
	s_wait_alu 0xfffe
	s_add_co_i32 s11, s11, s89
	s_add_co_i32 s15, s15, s88
	s_add_co_i32 s19, s19, s87
	s_add_co_i32 s23, s23, s86
	s_bcnt1_i32_b32 s13, s13
	s_bcnt1_i32_b32 s17, s17
	s_bcnt1_i32_b32 s21, s21
	s_bcnt1_i32_b32 s25, s25
	s_wait_alu 0xfffe
	s_add_co_i32 s11, s11, s12
	s_add_co_i32 s12, s15, s16
	s_add_co_i32 s15, s19, s20
	s_add_co_i32 s16, s23, s24
	;; [unrolled: 9-line block ×3, first 2 shown]
	s_wait_alu 0xfffe
	s_add_co_i32 s89, s11, s14
	s_add_co_i32 s88, s12, s18
	;; [unrolled: 1-line block ×4, first 2 shown]
	s_wait_alu 0xfffe
	v_dual_mov_b32 v1, s89 :: v_dual_mov_b32 v2, s88
	v_dual_mov_b32 v3, s87 :: v_dual_mov_b32 v4, s86
	s_or_b32 s84, vcc_lo, s84
	s_wait_alu 0xfffe
	s_and_not1_b32 exec_lo, exec_lo, s84
	s_cbranch_execnz .LBB73_68
; %bb.69:                               ;   in Loop: Header=BB73_11 Depth=1
	s_or_b32 exec_lo, exec_lo, s84
.LBB73_70:                              ;   in Loop: Header=BB73_11 Depth=1
	s_wait_alu 0xfffe
	s_or_b32 exec_lo, exec_lo, s83
	s_and_saveexec_b32 s15, s9
	s_cbranch_execz .LBB73_76
; %bb.71:                               ;   in Loop: Header=BB73_11 Depth=1
	global_load_u8 v8, v[11:12], off
	v_dual_mov_b32 v5, v29 :: v_dual_mov_b32 v6, v24
	s_mov_b32 s16, 0
	s_branch .LBB73_73
.LBB73_72:                              ;   in Loop: Header=BB73_73 Depth=2
	s_wait_alu 0xfffe
	s_or_b32 exec_lo, exec_lo, s12
	s_wait_loadcnt 0x0
	v_and_b32_e32 v8, 0xff, v8
	s_and_b32 s12, exec_lo, vcc_lo
	v_add_nc_u32_e32 v5, s62, v5
	s_wait_alu 0xfffe
	s_or_b32 s16, s12, s16
	v_and_b32_e32 v35, v32, v8
	v_bfe_u32 v8, v8, s82, 2
	s_delay_alu instid0(VALU_DEP_2) | instskip(NEXT) | instid1(VALU_DEP_2)
	v_cmp_eq_u32_e32 vcc_lo, v35, v14
	v_cmp_eq_u32_e64 s11, 0, v8
	v_cmp_eq_u32_e64 s12, 1, v8
	;; [unrolled: 1-line block ×4, first 2 shown]
	s_and_b32 s11, vcc_lo, s11
	s_wait_alu 0xfffe
	v_cndmask_b32_e64 v8, 0, 1, s11
	s_and_b32 s11, vcc_lo, s12
	s_wait_alu 0xfffe
	v_cndmask_b32_e64 v35, 0, 1, s11
	;; [unrolled: 3-line block ×3, first 2 shown]
	s_and_b32 s11, vcc_lo, s14
	v_cmp_ne_u32_e32 vcc_lo, 0, v8
	s_wait_alu 0xfffe
	v_cndmask_b32_e64 v37, 0, 1, s11
	v_cmp_ne_u32_e64 s11, 0, v35
	v_cmp_ne_u32_e64 s12, 0, v36
	v_mov_b32_e32 v8, v7
	s_bcnt1_i32_b32 s14, vcc_lo
	v_cmp_ne_u32_e64 s13, 0, v37
	s_bcnt1_i32_b32 s11, s11
	s_bcnt1_i32_b32 s12, s12
	s_wait_alu 0xfffe
	v_add_nc_u32_e32 v1, s14, v1
	v_add_nc_u32_e32 v2, s11, v2
	s_bcnt1_i32_b32 s13, s13
	v_add_nc_u32_e32 v3, s12, v3
	s_wait_alu 0xfffe
	v_add_nc_u32_e32 v4, s13, v4
	s_and_not1_b32 exec_lo, exec_lo, s16
	s_cbranch_execz .LBB73_75
.LBB73_73:                              ;   Parent Loop BB73_11 Depth=1
                                        ; =>  This Inner Loop Header: Depth=2
	s_delay_alu instid0(VALU_DEP_1) | instskip(SKIP_1) | instid1(VALU_DEP_1)
	v_dual_mov_b32 v7, 0 :: v_dual_add_nc_u32 v6, s35, v6
	s_mov_b32 s12, exec_lo
	v_cmp_le_u32_e32 vcc_lo, s36, v6
	v_cmpx_gt_u32_e64 s36, v6
	s_cbranch_execz .LBB73_72
; %bb.74:                               ;   in Loop: Header=BB73_73 Depth=2
	global_load_u8 v7, v5, s[44:45]
	s_branch .LBB73_72
.LBB73_75:                              ;   in Loop: Header=BB73_11 Depth=1
	s_or_b32 exec_lo, exec_lo, s16
.LBB73_76:                              ;   in Loop: Header=BB73_11 Depth=1
	s_wait_alu 0xfffe
	s_or_b32 exec_lo, exec_lo, s15
	s_branch .LBB73_58
.LBB73_77:                              ;   in Loop: Header=BB73_11 Depth=1
	s_mul_u64 s[12:13], s[52:53], s[54:55]
	v_dual_mov_b32 v1, 0 :: v_dual_mov_b32 v2, 0
	s_wait_alu 0xfffe
	s_mul_i32 s11, s13, s37
	v_dual_mov_b32 v3, 0 :: v_dual_mov_b32 v4, 0
	s_wait_alu 0xfffe
	s_sub_co_i32 s11, s52, s11
	s_mov_b32 s84, exec_lo
	s_wait_alu 0xfffe
	s_sub_co_i32 s12, s11, s37
	s_cmp_ge_u32 s11, s37
	s_wait_alu 0xfffe
	s_cselect_b32 s11, s12, s11
	s_wait_alu 0xfffe
	s_sub_co_i32 s12, s11, s37
	s_cmp_ge_u32 s11, s37
	s_wait_alu 0xfffe
	s_cselect_b32 s11, s12, s11
	s_wait_alu 0xfffe
	s_sub_co_i32 s83, s52, s11
	s_wait_alu 0xfffe
	v_cmpx_gt_u32_e64 s83, v17
	s_cbranch_execz .LBB73_81
; %bb.78:                               ;   in Loop: Header=BB73_11 Depth=1
	v_mov_b32_e32 v5, v17
	s_mov_b32 s85, 0
	s_mov_b32 s86, 0
	;; [unrolled: 1-line block ×5, first 2 shown]
.LBB73_79:                              ;   Parent Loop BB73_11 Depth=1
                                        ; =>  This Inner Loop Header: Depth=2
	ds_load_b32 v1, v5
	s_wait_dscnt 0x0
	v_and_b32_e32 v2, 0xff, v1
	v_bfe_u32 v3, v1, 8, 8
	v_bfe_u32 v4, v1, 16, 8
	v_lshrrev_b32_e32 v1, 24, v1
	s_delay_alu instid0(VALU_DEP_4)
	v_and_b32_e32 v6, v32, v2
	v_bfe_u32 v2, v2, s82, 2
	v_and_b32_e32 v7, v32, v3
	v_bfe_u32 v3, v3, s82, 2
	;; [unrolled: 2-line block ×3, first 2 shown]
	v_cmp_eq_u32_e64 s11, v6, v14
	v_cmp_eq_u32_e64 s15, 0, v2
	v_and_b32_e32 v35, v32, v1
	v_bfe_u32 v1, v1, s82, 2
	v_cmp_eq_u32_e64 s12, v7, v14
	v_cmp_eq_u32_e64 s16, 0, v3
	;; [unrolled: 1-line block ×4, first 2 shown]
	s_and_b32 s15, s11, s15
	v_cmp_eq_u32_e64 s14, v35, v14
	v_cmp_eq_u32_e64 s18, 0, v1
	;; [unrolled: 1-line block ×5, first 2 shown]
	s_wait_alu 0xfffe
	v_cndmask_b32_e64 v1, 0, 1, s15
	s_and_b32 s15, s12, s16
	v_cmp_eq_u32_e64 s19, 1, v2
	v_cmp_eq_u32_e64 s23, 2, v2
	v_cmp_eq_u32_e64 s27, 3, v2
	s_wait_alu 0xfffe
	v_cndmask_b32_e64 v2, 0, 1, s15
	s_and_b32 s15, s13, s17
	v_cmp_eq_u32_e64 s20, 1, v3
	v_cmp_eq_u32_e64 s24, 2, v3
	v_cmp_eq_u32_e64 s28, 3, v3
	;; [unrolled: 6-line block ×3, first 2 shown]
	s_wait_alu 0xfffe
	v_cndmask_b32_e64 v4, 0, 1, s15
	s_and_b32 s15, s11, s19
	s_wait_alu 0xfffe
	v_cndmask_b32_e64 v6, 0, 1, s15
	s_and_b32 s15, s12, s20
	;; [unrolled: 3-line block ×4, first 2 shown]
	v_cmp_ne_u32_e64 s16, 0, v7
	s_wait_alu 0xfffe
	v_cndmask_b32_e64 v35, 0, 1, s15
	s_and_b32 s15, s11, s23
	s_and_b32 s11, s11, s27
	s_wait_alu 0xfffe
	v_cndmask_b32_e64 v36, 0, 1, s15
	s_and_b32 s15, s12, s24
	v_cndmask_b32_e64 v40, 0, 1, s11
	s_and_b32 s11, s12, s28
	s_wait_alu 0xfffe
	v_cndmask_b32_e64 v37, 0, 1, s15
	s_and_b32 s15, s13, s25
	v_cndmask_b32_e64 v41, 0, 1, s11
	;; [unrolled: 5-line block ×3, first 2 shown]
	s_and_b32 s11, s14, s30
	s_wait_alu 0xfffe
	v_cndmask_b32_e64 v39, 0, 1, s15
	v_cndmask_b32_e64 v43, 0, 1, s11
	v_cmp_ne_u32_e64 s11, 0, v1
	v_cmp_ne_u32_e64 s15, 0, v6
	;; [unrolled: 1-line block ×6, first 2 shown]
	s_bcnt1_i32_b32 s11, s11
	s_bcnt1_i32_b32 s15, s15
	v_cmp_ne_u32_e64 s18, 0, v35
	v_cmp_ne_u32_e64 s20, 0, v37
	;; [unrolled: 1-line block ×3, first 2 shown]
	s_bcnt1_i32_b32 s12, s12
	s_bcnt1_i32_b32 s16, s16
	s_wait_alu 0xfffe
	s_add_co_i32 s11, s11, s89
	s_add_co_i32 s15, s15, s88
	v_cmp_ne_u32_e64 s13, 0, v3
	v_cmp_ne_u32_e64 s21, 0, v38
	;; [unrolled: 1-line block ×3, first 2 shown]
	s_bcnt1_i32_b32 s17, s17
	s_wait_alu 0xfffe
	s_add_co_i32 s11, s11, s12
	s_add_co_i32 s12, s15, s16
	s_bcnt1_i32_b32 s19, s19
	s_bcnt1_i32_b32 s23, s23
	v_cmp_ne_u32_e64 s14, 0, v4
	v_cmp_ne_u32_e64 s22, 0, v39
	v_cmp_ne_u32_e64 s26, 0, v43
	s_bcnt1_i32_b32 s18, s18
	s_wait_alu 0xfffe
	s_add_co_i32 s12, s12, s17
	s_bcnt1_i32_b32 s20, s20
	s_bcnt1_i32_b32 s24, s24
	s_add_co_i32 s19, s19, s87
	s_add_co_i32 s23, s23, s86
	s_wait_alu 0xfffe
	s_add_co_i32 s88, s12, s18
	s_wait_alu 0xfffe
	v_dual_mov_b32 v2, s88 :: v_dual_add_nc_u32 v5, s37, v5
	s_bcnt1_i32_b32 s13, s13
	s_bcnt1_i32_b32 s21, s21
	;; [unrolled: 1-line block ×3, first 2 shown]
	s_add_co_i32 s15, s19, s20
	s_add_co_i32 s16, s23, s24
	s_bcnt1_i32_b32 s14, s14
	s_bcnt1_i32_b32 s22, s22
	;; [unrolled: 1-line block ×3, first 2 shown]
	s_wait_alu 0xfffe
	s_add_co_i32 s11, s11, s13
	s_add_co_i32 s13, s15, s21
	s_add_co_i32 s15, s16, s25
	v_cmp_le_u32_e32 vcc_lo, s83, v5
	s_wait_alu 0xfffe
	s_add_co_i32 s89, s11, s14
	s_add_co_i32 s87, s13, s22
	;; [unrolled: 1-line block ×3, first 2 shown]
	s_wait_alu 0xfffe
	v_mov_b32_e32 v1, s89
	v_dual_mov_b32 v3, s87 :: v_dual_mov_b32 v4, s86
	s_or_b32 s85, vcc_lo, s85
	s_wait_alu 0xfffe
	s_and_not1_b32 exec_lo, exec_lo, s85
	s_cbranch_execnz .LBB73_79
; %bb.80:                               ;   in Loop: Header=BB73_11 Depth=1
	s_or_b32 exec_lo, exec_lo, s85
.LBB73_81:                              ;   in Loop: Header=BB73_11 Depth=1
	s_delay_alu instid0(SALU_CYCLE_1) | instskip(SKIP_2) | instid1(VALU_DEP_1)
	s_or_b32 exec_lo, exec_lo, s84
	v_add_nc_u32_e32 v5, s83, v0
	s_mov_b32 s16, exec_lo
	v_cmpx_gt_u32_e64 s52, v5
	s_cbranch_execz .LBB73_85
; %bb.82:                               ;   in Loop: Header=BB73_11 Depth=1
	s_mov_b32 s17, 0
.LBB73_83:                              ;   Parent Loop BB73_11 Depth=1
                                        ; =>  This Inner Loop Header: Depth=2
	ds_load_u8 v6, v5
	v_add_nc_u32_e32 v5, s35, v5
	s_delay_alu instid0(VALU_DEP_1) | instskip(SKIP_3) | instid1(VALU_DEP_2)
	v_cmp_le_u32_e32 vcc_lo, s52, v5
	s_wait_dscnt 0x0
	v_and_b32_e32 v7, v32, v6
	v_bfe_u32 v6, v6, s82, 2
	v_cmp_eq_u32_e64 s11, v7, v14
	s_delay_alu instid0(VALU_DEP_2)
	v_cmp_eq_u32_e64 s12, 0, v6
	v_cmp_eq_u32_e64 s13, 1, v6
	;; [unrolled: 1-line block ×4, first 2 shown]
	s_and_b32 s12, s11, s12
	s_wait_alu 0xfffe
	v_cndmask_b32_e64 v6, 0, 1, s12
	s_and_b32 s12, s11, s13
	s_wait_alu 0xfffe
	v_cndmask_b32_e64 v7, 0, 1, s12
	s_and_b32 s12, s11, s14
	s_and_b32 s11, s11, s15
	s_wait_alu 0xfffe
	v_cndmask_b32_e64 v8, 0, 1, s12
	v_cndmask_b32_e64 v35, 0, 1, s11
	v_cmp_ne_u32_e64 s11, 0, v6
	v_cmp_ne_u32_e64 s12, 0, v7
	s_delay_alu instid0(VALU_DEP_4) | instskip(NEXT) | instid1(VALU_DEP_4)
	v_cmp_ne_u32_e64 s13, 0, v8
	v_cmp_ne_u32_e64 s14, 0, v35
	s_bcnt1_i32_b32 s11, s11
	s_bcnt1_i32_b32 s12, s12
	s_wait_alu 0xfffe
	v_add_nc_u32_e32 v1, s11, v1
	s_bcnt1_i32_b32 s13, s13
	s_bcnt1_i32_b32 s14, s14
	v_add_nc_u32_e32 v2, s12, v2
	s_wait_alu 0xfffe
	v_add_nc_u32_e32 v3, s13, v3
	v_add_nc_u32_e32 v4, s14, v4
	s_or_b32 s17, vcc_lo, s17
	s_wait_alu 0xfffe
	s_and_not1_b32 exec_lo, exec_lo, s17
	s_cbranch_execnz .LBB73_83
; %bb.84:                               ;   in Loop: Header=BB73_11 Depth=1
	s_or_b32 exec_lo, exec_lo, s17
.LBB73_85:                              ;   in Loop: Header=BB73_11 Depth=1
	s_wait_alu 0xfffe
	s_or_b32 exec_lo, exec_lo, s16
	v_lshlrev_b32_e32 v5, 7, v31
	s_and_saveexec_b32 s11, s1
	s_cbranch_execnz .LBB73_59
	s_branch .LBB73_60
.LBB73_86:                              ;   in Loop: Header=BB73_11 Depth=1
	v_mov_b32_e32 v1, 0
	s_mov_b32 s12, 0
	s_and_not1_b32 vcc_lo, exec_lo, s67
	s_wait_alu 0xfffe
	s_cbranch_vccnz .LBB73_89
.LBB73_87:                              ;   in Loop: Header=BB73_11 Depth=1
	v_lshlrev_b32_e32 v2, 9, v31
	s_lshl_b32 s12, s12, 4
	s_wait_alu 0xfffe
	s_delay_alu instid0(VALU_DEP_1)
	v_add3_u32 v2, v2, s12, v30
	s_mov_b32 s12, s64
.LBB73_88:                              ;   Parent Loop BB73_11 Depth=1
                                        ; =>  This Inner Loop Header: Depth=2
	ds_load_b32 v3, v2
	v_add_nc_u32_e32 v2, 16, v2
	s_wait_alu 0xfffe
	s_add_co_i32 s12, s12, -1
	s_wait_alu 0xfffe
	s_cmp_lg_u32 s12, 0
	s_wait_dscnt 0x0
	v_add_nc_u32_e32 v1, v3, v1
	s_cbranch_scc1 .LBB73_88
.LBB73_89:                              ;   in Loop: Header=BB73_11 Depth=1
	v_add_lshl_u32 v2, v5, v16, 2
	ds_store_b32 v2, v1 offset:3072
.LBB73_90:                              ;   in Loop: Header=BB73_11 Depth=1
	s_wait_alu 0xfffe
	s_or_b32 exec_lo, exec_lo, s11
	v_lshlrev_b32_e32 v1, 2, v5
	s_wait_loadcnt_dscnt 0x0
	s_barrier_signal -1
	s_barrier_wait -1
	global_inv scope:SCOPE_SE
	ds_load_b128 v[1:4], v1 offset:3072
	s_lshl_b32 s12, 3, s82
	v_cmp_eq_u32_e32 vcc_lo, 1, v34
	s_wait_alu 0xfffe
	s_not_b32 s19, s12
	s_mov_b32 s15, -1
	s_mov_b32 s23, -1
                                        ; implicit-def: $sgpr20
                                        ; implicit-def: $sgpr17
	s_wait_dscnt 0x0
	v_readfirstlane_b32 s14, v1
	v_readfirstlane_b32 s21, v2
	;; [unrolled: 1-line block ×4, first 2 shown]
	s_cmp_eq_u32 s14, 1
	s_cselect_b32 s13, -1, 0
	s_wait_alu 0xfffe
	s_and_b32 s16, s13, vcc_lo
	s_wait_alu 0xfffe
	s_and_saveexec_b32 s13, s16
	s_cbranch_execz .LBB73_116
; %bb.91:                               ;   in Loop: Header=BB73_11 Depth=1
	ds_load_b32 v1, v18 offset:4104
	s_wait_loadcnt_dscnt 0x0
	s_barrier_signal -1
	s_barrier_wait -1
	global_inv scope:SCOPE_SE
	v_readfirstlane_b32 s23, v1
	s_and_saveexec_b32 s17, s3
; %bb.92:                               ;   in Loop: Header=BB73_11 Depth=1
	ds_store_b8 v0, v18 offset:3072
; %bb.93:                               ;   in Loop: Header=BB73_11 Depth=1
	s_wait_alu 0xfffe
	s_or_b32 exec_lo, exec_lo, s17
	v_and_b32_e32 v14, s19, v14
	v_or_b32_e32 v32, s12, v32
	s_mov_b32 s17, -1
	s_mov_b32 s20, 0
	s_cmp_eq_u32 s23, 0
	s_mov_b32 s22, 0
	s_mov_b32 s24, -1
	s_wait_loadcnt_dscnt 0x0
	s_barrier_signal -1
	s_barrier_wait -1
	global_inv scope:SCOPE_SE
                                        ; implicit-def: $vgpr33
	s_cbranch_scc1 .LBB73_104
; %bb.94:                               ;   in Loop: Header=BB73_11 Depth=1
	s_add_co_i32 s52, s23, s39
                                        ; implicit-def: $vgpr33
	s_wait_alu 0xfffe
	s_mul_u64 s[24:25], s[52:53], s[56:57]
	s_wait_alu 0xfffe
	s_mul_i32 s22, s25, s35
	s_mov_b32 s25, exec_lo
	s_wait_alu 0xfffe
	s_sub_co_i32 s22, s52, s22
	s_wait_alu 0xfffe
	s_sub_co_i32 s24, s22, s35
	s_cmp_ge_u32 s22, s35
	s_wait_alu 0xfffe
	s_cselect_b32 s22, s24, s22
	s_wait_alu 0xfffe
	s_sub_co_i32 s24, s22, s35
	s_cmp_ge_u32 s22, s35
	s_wait_alu 0xfffe
	s_cselect_b32 s22, s24, s22
	s_mov_b32 s24, 0
	s_wait_alu 0xfffe
	s_sub_co_i32 s26, s52, s22
	s_mov_b32 s22, 0
	s_wait_alu 0xfffe
	v_cmpx_gt_u32_e64 s26, v0
	s_cbranch_execz .LBB73_103
; %bb.95:                               ;   in Loop: Header=BB73_11 Depth=1
	v_mov_b32_e32 v1, v0
                                        ; implicit-def: $sgpr27
	s_branch .LBB73_98
.LBB73_96:                              ;   in Loop: Header=BB73_98 Depth=2
	s_wait_alu 0xfffe
	s_or_b32 exec_lo, exec_lo, s28
	s_wait_loadcnt_dscnt 0x0
	s_barrier_signal -1
	s_barrier_wait -1
	global_inv scope:SCOPE_SE
	ds_load_u16 v2, v18 offset:3072
	s_mov_b32 s29, -1
	s_mov_b32 s28, -1
	s_wait_loadcnt_dscnt 0x0
	s_barrier_signal -1
	s_barrier_wait -1
	global_inv scope:SCOPE_SE
	v_and_b32_e32 v3, 0xff, v2
	s_delay_alu instid0(VALU_DEP_1)
	v_cmp_ne_u32_e32 vcc_lo, 0, v3
	s_cbranch_vccz .LBB73_101
.LBB73_97:                              ;   in Loop: Header=BB73_98 Depth=2
	s_wait_alu 0xfffe
	s_and_b32 s29, exec_lo, s29
	s_wait_alu 0xfffe
	s_or_b32 s22, s29, s22
	s_and_not1_b32 s27, s27, exec_lo
	s_and_b32 s28, s28, exec_lo
	s_wait_alu 0xfffe
	s_or_b32 s27, s27, s28
	s_and_not1_b32 exec_lo, exec_lo, s22
	s_cbranch_execz .LBB73_102
.LBB73_98:                              ;   Parent Loop BB73_11 Depth=1
                                        ; =>  This Inner Loop Header: Depth=2
	s_mov_b32 s28, exec_lo
	s_delay_alu instid0(VALU_DEP_1)
	v_cmpx_gt_u32_e64 s23, v1
	s_cbranch_execz .LBB73_96
; %bb.99:                               ;   in Loop: Header=BB73_98 Depth=2
	ds_load_u8 v2, v1
	s_wait_dscnt 0x0
	v_and_b32_e32 v3, v2, v32
	s_delay_alu instid0(VALU_DEP_1) | instskip(NEXT) | instid1(VALU_DEP_1)
	v_and_b32_e32 v3, 0xff, v3
	v_cmp_eq_u32_e32 vcc_lo, v3, v14
	s_and_b32 exec_lo, exec_lo, vcc_lo
	s_cbranch_execz .LBB73_96
; %bb.100:                              ;   in Loop: Header=BB73_98 Depth=2
	v_lshlrev_b16 v2, 8, v2
	s_delay_alu instid0(VALU_DEP_1)
	v_or_b32_e32 v2, 1, v2
	ds_store_b16 v18, v2 offset:3072
	s_branch .LBB73_96
.LBB73_101:                             ;   in Loop: Header=BB73_98 Depth=2
	v_add_nc_u32_e32 v1, s35, v1
	s_mov_b32 s28, 0
	s_delay_alu instid0(VALU_DEP_1)
	v_cmp_le_u32_e32 vcc_lo, s26, v1
	s_or_not1_b32 s29, vcc_lo, exec_lo
	s_branch .LBB73_97
.LBB73_102:                             ;   in Loop: Header=BB73_11 Depth=1
	s_or_b32 exec_lo, exec_lo, s22
	v_and_b32_e32 v1, 0xffff, v2
	s_wait_alu 0xfffe
	s_and_b32 s22, s27, exec_lo
	s_delay_alu instid0(VALU_DEP_1)
	v_lshrrev_b32_e32 v33, 8, v1
.LBB73_103:                             ;   in Loop: Header=BB73_11 Depth=1
	s_or_b32 exec_lo, exec_lo, s25
.LBB73_104:                             ;   in Loop: Header=BB73_11 Depth=1
	s_wait_alu 0xfffe
	s_and_b32 vcc_lo, exec_lo, s24
	s_wait_alu 0xfffe
	s_cbranch_vccz .LBB73_115
; %bb.105:                              ;   in Loop: Header=BB73_11 Depth=1
                                        ; implicit-def: $vgpr33
	s_and_saveexec_b32 s17, s10
	s_cbranch_execz .LBB73_114
; %bb.106:                              ;   in Loop: Header=BB73_11 Depth=1
	v_dual_mov_b32 v1, v15 :: v_dual_mov_b32 v2, v0
	s_mov_b32 s23, 0
                                        ; implicit-def: $sgpr20
	s_branch .LBB73_109
.LBB73_107:                             ;   in Loop: Header=BB73_109 Depth=2
	s_wait_alu 0xfffe
	s_or_b32 exec_lo, exec_lo, s24
	s_wait_loadcnt_dscnt 0x0
	s_barrier_signal -1
	s_barrier_wait -1
	global_inv scope:SCOPE_SE
	ds_load_u16 v3, v18 offset:3072
	s_mov_b32 s24, -1
	s_mov_b32 s25, -1
	s_wait_loadcnt_dscnt 0x0
	s_barrier_signal -1
	s_barrier_wait -1
	global_inv scope:SCOPE_SE
	v_and_b32_e32 v4, 0xff, v3
	s_delay_alu instid0(VALU_DEP_1)
	v_cmp_ne_u32_e32 vcc_lo, 0, v4
	s_cbranch_vccz .LBB73_112
.LBB73_108:                             ;   in Loop: Header=BB73_109 Depth=2
	s_wait_alu 0xfffe
	s_and_b32 s24, exec_lo, s24
	s_wait_alu 0xfffe
	s_or_b32 s23, s24, s23
	s_and_not1_b32 s20, s20, exec_lo
	s_and_b32 s24, s25, exec_lo
	s_wait_alu 0xfffe
	s_or_b32 s20, s20, s24
	s_and_not1_b32 exec_lo, exec_lo, s23
	s_cbranch_execz .LBB73_113
.LBB73_109:                             ;   Parent Loop BB73_11 Depth=1
                                        ; =>  This Inner Loop Header: Depth=2
	s_mov_b32 s24, exec_lo
	s_delay_alu instid0(VALU_DEP_1)
	v_cmpx_gt_u32_e64 s36, v2
	s_cbranch_execz .LBB73_107
; %bb.110:                              ;   in Loop: Header=BB73_109 Depth=2
	global_load_u8 v3, v1, s[44:45]
	s_wait_loadcnt 0x0
	v_and_b32_e32 v4, v3, v32
	s_delay_alu instid0(VALU_DEP_1) | instskip(NEXT) | instid1(VALU_DEP_1)
	v_and_b32_e32 v4, 0xff, v4
	v_cmp_eq_u32_e32 vcc_lo, v4, v14
	s_and_b32 exec_lo, exec_lo, vcc_lo
	s_cbranch_execz .LBB73_107
; %bb.111:                              ;   in Loop: Header=BB73_109 Depth=2
	v_lshlrev_b16 v3, 8, v3
	s_delay_alu instid0(VALU_DEP_1)
	v_or_b32_e32 v3, 1, v3
	ds_store_b16 v18, v3 offset:3072
	s_branch .LBB73_107
.LBB73_112:                             ;   in Loop: Header=BB73_109 Depth=2
	v_add_nc_u32_e32 v2, s35, v2
	v_add_nc_u32_e32 v1, s62, v1
	s_mov_b32 s25, 0
	s_delay_alu instid0(VALU_DEP_2)
	v_cmp_le_u32_e32 vcc_lo, s73, v2
	s_or_not1_b32 s24, vcc_lo, exec_lo
	s_branch .LBB73_108
.LBB73_113:                             ;   in Loop: Header=BB73_11 Depth=1
	s_or_b32 exec_lo, exec_lo, s23
	v_and_b32_e32 v1, 0xffff, v3
	s_and_not1_b32 s22, s22, exec_lo
	s_wait_alu 0xfffe
	s_and_b32 s20, s20, exec_lo
	s_wait_alu 0xfffe
	s_or_b32 s22, s22, s20
	v_lshrrev_b32_e32 v33, 8, v1
.LBB73_114:                             ;   in Loop: Header=BB73_11 Depth=1
	s_wait_alu 0xfffe
	s_or_b32 exec_lo, exec_lo, s17
	s_mov_b32 s17, 0
	s_mov_b32 s20, -1
.LBB73_115:                             ;   in Loop: Header=BB73_11 Depth=1
	s_or_not1_b32 s23, s22, exec_lo
.LBB73_116:                             ;   in Loop: Header=BB73_11 Depth=1
	s_wait_alu 0xfffe
	s_or_b32 exec_lo, exec_lo, s13
	v_readfirstlane_b32 s22, v0
	s_and_not1_b32 s13, s80, exec_lo
	s_and_b32 s20, s20, exec_lo
	s_and_not1_b32 s24, s78, exec_lo
	s_and_b32 s17, s17, exec_lo
	s_and_not1_b32 s77, s77, exec_lo
	s_wait_alu 0xfffe
	s_or_b32 s80, s13, s20
	s_or_b32 s78, s24, s17
                                        ; implicit-def: $vgpr2
	s_and_saveexec_b32 s13, s23
	s_cbranch_execz .LBB73_10
; %bb.117:                              ;   in Loop: Header=BB73_11 Depth=1
	v_dual_mov_b32 v2, 1 :: v_dual_mov_b32 v1, 1
	s_xor_b32 s16, s16, -1
	s_mov_b32 s22, 0
	s_wait_alu 0xfffe
	s_and_saveexec_b32 s15, s16
	s_cbranch_execz .LBB73_126
; %bb.118:                              ;   in Loop: Header=BB73_11 Depth=1
	s_mov_b32 s16, exec_lo
	v_cmpx_ge_u32_e64 s14, v34
	s_wait_alu 0xfffe
	s_xor_b32 s16, exec_lo, s16
	s_cbranch_execz .LBB73_123
; %bb.119:                              ;   in Loop: Header=BB73_11 Depth=1
	ds_load_b32 v1, v18 offset:4104
	v_and_b32_e32 v14, s19, v14
	v_or_b32_e32 v32, s12, v32
	s_wait_dscnt 0x0
	v_cmp_ne_u32_e32 vcc_lo, 0, v1
	s_cbranch_vccnz .LBB73_123
; %bb.120:                              ;   in Loop: Header=BB73_11 Depth=1
	s_and_saveexec_b32 s17, s2
; %bb.121:                              ;   in Loop: Header=BB73_11 Depth=1
	v_mov_b32_e32 v1, s14
	ds_store_b32 v18, v1 offset:4108
; %bb.122:                              ;   in Loop: Header=BB73_11 Depth=1
	s_wait_alu 0xfffe
	s_or_b32 exec_lo, exec_lo, s17
	s_wait_loadcnt_dscnt 0x0
	s_barrier_signal -1
	s_barrier_wait -1
	global_inv scope:SCOPE_SE
.LBB73_123:                             ;   in Loop: Header=BB73_11 Depth=1
	s_wait_alu 0xfffe
	s_or_saveexec_b32 s16, s16
	v_mov_b32_e32 v1, 8
	s_mov_b32 s17, 0
	s_wait_alu 0xfffe
	s_xor_b32 exec_lo, exec_lo, s16
; %bb.124:                              ;   in Loop: Header=BB73_11 Depth=1
	v_subrev_nc_u32_e32 v34, s14, v34
	v_mov_b32_e32 v1, 0
	s_mov_b32 s17, exec_lo
; %bb.125:                              ;   in Loop: Header=BB73_11 Depth=1
	s_or_b32 exec_lo, exec_lo, s16
	s_delay_alu instid0(VALU_DEP_2)
	v_mov_b32_e32 v2, v34
	s_wait_alu 0xfffe
	s_and_b32 s22, s17, exec_lo
.LBB73_126:                             ;   in Loop: Header=BB73_11 Depth=1
	s_wait_alu 0xfffe
	s_or_b32 exec_lo, exec_lo, s15
	s_mov_b32 s14, -1
	s_mov_b32 s20, -1
                                        ; implicit-def: $sgpr16
                                        ; implicit-def: $sgpr17
	s_and_saveexec_b32 s15, s22
	s_wait_alu 0xfffe
	s_xor_b32 s15, exec_lo, s15
	s_cbranch_execz .LBB73_243
; %bb.127:                              ;   in Loop: Header=BB73_11 Depth=1
	v_cmp_eq_u32_e32 vcc_lo, 1, v2
	s_cmp_eq_u32 s21, 1
	s_mov_b32 s23, -1
	s_cselect_b32 s16, -1, 0
                                        ; implicit-def: $sgpr17
	s_wait_alu 0xfffe
	s_and_b32 s22, s16, vcc_lo
                                        ; implicit-def: $sgpr16
	s_wait_alu 0xfffe
	s_and_saveexec_b32 s20, s22
	s_cbranch_execz .LBB73_153
; %bb.128:                              ;   in Loop: Header=BB73_11 Depth=1
	ds_load_b32 v3, v18 offset:4104
	s_wait_loadcnt_dscnt 0x0
	s_barrier_signal -1
	s_barrier_wait -1
	global_inv scope:SCOPE_SE
	v_readfirstlane_b32 s24, v3
	s_and_saveexec_b32 s16, s3
; %bb.129:                              ;   in Loop: Header=BB73_11 Depth=1
	ds_store_b8 v0, v18 offset:3072
; %bb.130:                              ;   in Loop: Header=BB73_11 Depth=1
	s_wait_alu 0xfffe
	s_or_b32 exec_lo, exec_lo, s16
	s_lshl_b32 s16, 1, s82
	v_or_b32_e32 v32, s12, v32
	s_wait_alu 0xfffe
	v_and_or_b32 v14, v14, s19, s16
	s_mov_b32 s16, -1
	s_mov_b32 s17, 0
	s_cmp_eq_u32 s24, 0
	s_mov_b32 s23, 0
	s_mov_b32 s25, -1
	s_wait_loadcnt_dscnt 0x0
	s_barrier_signal -1
	s_barrier_wait -1
	global_inv scope:SCOPE_SE
                                        ; implicit-def: $vgpr33
	s_cbranch_scc1 .LBB73_141
; %bb.131:                              ;   in Loop: Header=BB73_11 Depth=1
	s_add_co_i32 s52, s24, s39
                                        ; implicit-def: $vgpr33
	s_wait_alu 0xfffe
	s_mul_u64 s[26:27], s[52:53], s[56:57]
	s_mov_b32 s26, exec_lo
	s_wait_alu 0xfffe
	s_mul_i32 s23, s27, s35
	s_wait_alu 0xfffe
	s_sub_co_i32 s23, s52, s23
	s_wait_alu 0xfffe
	s_sub_co_i32 s25, s23, s35
	s_cmp_ge_u32 s23, s35
	s_wait_alu 0xfffe
	s_cselect_b32 s23, s25, s23
	s_wait_alu 0xfffe
	s_sub_co_i32 s25, s23, s35
	s_cmp_ge_u32 s23, s35
	s_wait_alu 0xfffe
	s_cselect_b32 s23, s25, s23
	s_mov_b32 s25, 0
	s_wait_alu 0xfffe
	s_sub_co_i32 s27, s52, s23
	s_mov_b32 s23, 0
	s_wait_alu 0xfffe
	v_cmpx_gt_u32_e64 s27, v0
	s_cbranch_execz .LBB73_140
; %bb.132:                              ;   in Loop: Header=BB73_11 Depth=1
	v_mov_b32_e32 v3, v0
                                        ; implicit-def: $sgpr28
	s_branch .LBB73_135
.LBB73_133:                             ;   in Loop: Header=BB73_135 Depth=2
	s_wait_alu 0xfffe
	s_or_b32 exec_lo, exec_lo, s29
	s_wait_loadcnt_dscnt 0x0
	s_barrier_signal -1
	s_barrier_wait -1
	global_inv scope:SCOPE_SE
	ds_load_u16 v4, v18 offset:3072
	s_mov_b32 s30, -1
	s_mov_b32 s29, -1
	s_wait_loadcnt_dscnt 0x0
	s_barrier_signal -1
	s_barrier_wait -1
	global_inv scope:SCOPE_SE
	v_and_b32_e32 v5, 0xff, v4
	s_delay_alu instid0(VALU_DEP_1)
	v_cmp_ne_u32_e32 vcc_lo, 0, v5
	s_cbranch_vccz .LBB73_138
.LBB73_134:                             ;   in Loop: Header=BB73_135 Depth=2
	s_wait_alu 0xfffe
	s_and_b32 s30, exec_lo, s30
	s_wait_alu 0xfffe
	s_or_b32 s23, s30, s23
	s_and_not1_b32 s28, s28, exec_lo
	s_and_b32 s29, s29, exec_lo
	s_wait_alu 0xfffe
	s_or_b32 s28, s28, s29
	s_and_not1_b32 exec_lo, exec_lo, s23
	s_cbranch_execz .LBB73_139
.LBB73_135:                             ;   Parent Loop BB73_11 Depth=1
                                        ; =>  This Inner Loop Header: Depth=2
	s_mov_b32 s29, exec_lo
	s_delay_alu instid0(VALU_DEP_1)
	v_cmpx_gt_u32_e64 s24, v3
	s_cbranch_execz .LBB73_133
; %bb.136:                              ;   in Loop: Header=BB73_135 Depth=2
	ds_load_u8 v4, v3
	s_wait_dscnt 0x0
	v_and_b32_e32 v5, v4, v32
	s_delay_alu instid0(VALU_DEP_1) | instskip(NEXT) | instid1(VALU_DEP_1)
	v_and_b32_e32 v5, 0xff, v5
	v_cmp_eq_u32_e32 vcc_lo, v5, v14
	s_and_b32 exec_lo, exec_lo, vcc_lo
	s_cbranch_execz .LBB73_133
; %bb.137:                              ;   in Loop: Header=BB73_135 Depth=2
	v_lshlrev_b16 v4, 8, v4
	s_delay_alu instid0(VALU_DEP_1)
	v_or_b32_e32 v4, 1, v4
	ds_store_b16 v18, v4 offset:3072
	s_branch .LBB73_133
.LBB73_138:                             ;   in Loop: Header=BB73_135 Depth=2
	v_add_nc_u32_e32 v3, s35, v3
	s_mov_b32 s29, 0
	s_delay_alu instid0(VALU_DEP_1)
	v_cmp_le_u32_e32 vcc_lo, s27, v3
	s_or_not1_b32 s30, vcc_lo, exec_lo
	s_branch .LBB73_134
.LBB73_139:                             ;   in Loop: Header=BB73_11 Depth=1
	s_or_b32 exec_lo, exec_lo, s23
	v_and_b32_e32 v3, 0xffff, v4
	s_wait_alu 0xfffe
	s_and_b32 s23, s28, exec_lo
	s_delay_alu instid0(VALU_DEP_1)
	v_lshrrev_b32_e32 v33, 8, v3
.LBB73_140:                             ;   in Loop: Header=BB73_11 Depth=1
	s_or_b32 exec_lo, exec_lo, s26
.LBB73_141:                             ;   in Loop: Header=BB73_11 Depth=1
	s_wait_alu 0xfffe
	s_and_b32 vcc_lo, exec_lo, s25
	s_wait_alu 0xfffe
	s_cbranch_vccz .LBB73_152
; %bb.142:                              ;   in Loop: Header=BB73_11 Depth=1
                                        ; implicit-def: $vgpr33
	s_and_saveexec_b32 s16, s10
	s_cbranch_execz .LBB73_151
; %bb.143:                              ;   in Loop: Header=BB73_11 Depth=1
	v_dual_mov_b32 v3, v15 :: v_dual_mov_b32 v4, v0
	s_mov_b32 s17, 0
                                        ; implicit-def: $sgpr24
	s_branch .LBB73_146
.LBB73_144:                             ;   in Loop: Header=BB73_146 Depth=2
	s_wait_alu 0xfffe
	s_or_b32 exec_lo, exec_lo, s25
	s_wait_loadcnt_dscnt 0x0
	s_barrier_signal -1
	s_barrier_wait -1
	global_inv scope:SCOPE_SE
	ds_load_u16 v5, v18 offset:3072
	s_mov_b32 s25, -1
	s_mov_b32 s26, -1
	s_wait_loadcnt_dscnt 0x0
	s_barrier_signal -1
	s_barrier_wait -1
	global_inv scope:SCOPE_SE
	v_and_b32_e32 v6, 0xff, v5
	s_delay_alu instid0(VALU_DEP_1)
	v_cmp_eq_u32_e32 vcc_lo, 0, v6
	s_cbranch_vccnz .LBB73_149
.LBB73_145:                             ;   in Loop: Header=BB73_146 Depth=2
	s_wait_alu 0xfffe
	s_and_b32 s25, exec_lo, s25
	s_wait_alu 0xfffe
	s_or_b32 s17, s25, s17
	s_and_not1_b32 s24, s24, exec_lo
	s_and_b32 s25, s26, exec_lo
	s_wait_alu 0xfffe
	s_or_b32 s24, s24, s25
	s_and_not1_b32 exec_lo, exec_lo, s17
	s_cbranch_execz .LBB73_150
.LBB73_146:                             ;   Parent Loop BB73_11 Depth=1
                                        ; =>  This Inner Loop Header: Depth=2
	s_mov_b32 s25, exec_lo
	s_delay_alu instid0(VALU_DEP_1)
	v_cmpx_gt_u32_e64 s36, v4
	s_cbranch_execz .LBB73_144
; %bb.147:                              ;   in Loop: Header=BB73_146 Depth=2
	global_load_u8 v5, v3, s[44:45]
	s_wait_loadcnt 0x0
	v_and_b32_e32 v6, v5, v32
	s_delay_alu instid0(VALU_DEP_1) | instskip(NEXT) | instid1(VALU_DEP_1)
	v_and_b32_e32 v6, 0xff, v6
	v_cmp_eq_u32_e32 vcc_lo, v6, v14
	s_and_b32 exec_lo, exec_lo, vcc_lo
	s_cbranch_execz .LBB73_144
; %bb.148:                              ;   in Loop: Header=BB73_146 Depth=2
	v_lshlrev_b16 v5, 8, v5
	s_delay_alu instid0(VALU_DEP_1)
	v_or_b32_e32 v5, 1, v5
	ds_store_b16 v18, v5 offset:3072
	s_branch .LBB73_144
.LBB73_149:                             ;   in Loop: Header=BB73_146 Depth=2
	v_add_nc_u32_e32 v4, s35, v4
	v_add_nc_u32_e32 v3, s62, v3
	s_mov_b32 s26, 0
	s_delay_alu instid0(VALU_DEP_2)
	v_cmp_le_u32_e32 vcc_lo, s73, v4
	s_or_not1_b32 s25, vcc_lo, exec_lo
	s_branch .LBB73_145
.LBB73_150:                             ;   in Loop: Header=BB73_11 Depth=1
	s_or_b32 exec_lo, exec_lo, s17
	v_and_b32_e32 v3, 0xffff, v5
	s_and_not1_b32 s17, s23, exec_lo
	s_wait_alu 0xfffe
	s_and_b32 s23, s24, exec_lo
	s_wait_alu 0xfffe
	s_or_b32 s23, s17, s23
	v_lshrrev_b32_e32 v33, 8, v3
.LBB73_151:                             ;   in Loop: Header=BB73_11 Depth=1
	s_wait_alu 0xfffe
	s_or_b32 exec_lo, exec_lo, s16
	s_mov_b32 s16, 0
	s_mov_b32 s17, -1
.LBB73_152:                             ;   in Loop: Header=BB73_11 Depth=1
	s_or_not1_b32 s23, s23, exec_lo
.LBB73_153:                             ;   in Loop: Header=BB73_11 Depth=1
	s_wait_alu 0xfffe
	s_or_b32 exec_lo, exec_lo, s20
	s_mov_b32 s24, 0
	s_and_saveexec_b32 s20, s23
	s_cbranch_execz .LBB73_242
; %bb.154:                              ;   in Loop: Header=BB73_11 Depth=1
	v_mov_b32_e32 v3, 1
	v_mov_b32_e32 v1, 1
	s_xor_b32 s23, s22, -1
	s_mov_b32 s25, 0
	s_wait_alu 0xfffe
	s_and_saveexec_b32 s22, s23
	s_cbranch_execz .LBB73_163
; %bb.155:                              ;   in Loop: Header=BB73_11 Depth=1
	s_mov_b32 s23, exec_lo
	v_cmpx_ge_u32_e64 s21, v2
	s_wait_alu 0xfffe
	s_xor_b32 s23, exec_lo, s23
	s_cbranch_execz .LBB73_160
; %bb.156:                              ;   in Loop: Header=BB73_11 Depth=1
	ds_load_b32 v1, v18 offset:4104
	s_lshl_b32 s24, 1, s82
	v_or_b32_e32 v32, s12, v32
	s_wait_alu 0xfffe
	v_and_or_b32 v14, v14, s19, s24
	s_wait_dscnt 0x0
	v_cmp_ne_u32_e32 vcc_lo, 0, v1
	s_cbranch_vccnz .LBB73_160
; %bb.157:                              ;   in Loop: Header=BB73_11 Depth=1
	s_and_saveexec_b32 s24, s2
; %bb.158:                              ;   in Loop: Header=BB73_11 Depth=1
	v_mov_b32_e32 v1, s21
	ds_store_b32 v18, v1 offset:4108
; %bb.159:                              ;   in Loop: Header=BB73_11 Depth=1
	s_wait_alu 0xfffe
	s_or_b32 exec_lo, exec_lo, s24
	s_wait_loadcnt_dscnt 0x0
	s_barrier_signal -1
	s_barrier_wait -1
	global_inv scope:SCOPE_SE
.LBB73_160:                             ;   in Loop: Header=BB73_11 Depth=1
	s_wait_alu 0xfffe
	s_or_saveexec_b32 s23, s23
	v_mov_b32_e32 v1, 8
	s_mov_b32 s24, 0
	s_wait_alu 0xfffe
	s_xor_b32 exec_lo, exec_lo, s23
; %bb.161:                              ;   in Loop: Header=BB73_11 Depth=1
	v_subrev_nc_u32_e32 v2, s21, v2
	v_mov_b32_e32 v1, 0
	s_mov_b32 s24, exec_lo
; %bb.162:                              ;   in Loop: Header=BB73_11 Depth=1
	s_or_b32 exec_lo, exec_lo, s23
	s_delay_alu instid0(VALU_DEP_2)
	v_mov_b32_e32 v3, v2
	s_wait_alu 0xfffe
	s_and_b32 s25, s24, exec_lo
.LBB73_163:                             ;   in Loop: Header=BB73_11 Depth=1
	s_wait_alu 0xfffe
	s_or_b32 exec_lo, exec_lo, s22
	s_mov_b32 s24, -1
                                        ; implicit-def: $sgpr22
                                        ; implicit-def: $sgpr23
	s_and_saveexec_b32 s21, s25
	s_cbranch_execz .LBB73_241
; %bb.164:                              ;   in Loop: Header=BB73_11 Depth=1
	v_cmp_eq_u32_e32 vcc_lo, 1, v3
	s_cmp_eq_u32 s18, 1
	s_mov_b32 s26, -1
	s_cselect_b32 s22, -1, 0
                                        ; implicit-def: $sgpr23
	s_wait_alu 0xfffe
	s_and_b32 s25, s22, vcc_lo
                                        ; implicit-def: $sgpr22
	s_wait_alu 0xfffe
	s_and_saveexec_b32 s24, s25
	s_cbranch_execz .LBB73_190
; %bb.165:                              ;   in Loop: Header=BB73_11 Depth=1
	ds_load_b32 v2, v18 offset:4104
	s_wait_loadcnt_dscnt 0x0
	s_barrier_signal -1
	s_barrier_wait -1
	global_inv scope:SCOPE_SE
	v_readfirstlane_b32 s27, v2
	s_and_saveexec_b32 s22, s3
; %bb.166:                              ;   in Loop: Header=BB73_11 Depth=1
	ds_store_b8 v0, v18 offset:3072
; %bb.167:                              ;   in Loop: Header=BB73_11 Depth=1
	s_wait_alu 0xfffe
	s_or_b32 exec_lo, exec_lo, s22
	s_lshl_b32 s22, 2, s82
	v_or_b32_e32 v32, s12, v32
	s_wait_alu 0xfffe
	v_and_or_b32 v14, v14, s19, s22
	s_mov_b32 s22, -1
	s_mov_b32 s23, 0
	s_cmp_eq_u32 s27, 0
	s_mov_b32 s26, 0
	s_mov_b32 s28, -1
	s_wait_loadcnt_dscnt 0x0
	s_barrier_signal -1
	s_barrier_wait -1
	global_inv scope:SCOPE_SE
                                        ; implicit-def: $vgpr33
	s_cbranch_scc1 .LBB73_178
; %bb.168:                              ;   in Loop: Header=BB73_11 Depth=1
	s_add_co_i32 s52, s27, s39
                                        ; implicit-def: $vgpr33
	s_wait_alu 0xfffe
	s_mul_u64 s[28:29], s[52:53], s[56:57]
	s_wait_alu 0xfffe
	s_mul_i32 s26, s29, s35
	s_mov_b32 s29, exec_lo
	s_wait_alu 0xfffe
	s_sub_co_i32 s26, s52, s26
	s_wait_alu 0xfffe
	s_sub_co_i32 s28, s26, s35
	s_cmp_ge_u32 s26, s35
	s_wait_alu 0xfffe
	s_cselect_b32 s26, s28, s26
	s_wait_alu 0xfffe
	s_sub_co_i32 s28, s26, s35
	s_cmp_ge_u32 s26, s35
	s_wait_alu 0xfffe
	s_cselect_b32 s26, s28, s26
	s_mov_b32 s28, 0
	s_wait_alu 0xfffe
	s_sub_co_i32 s30, s52, s26
	s_mov_b32 s26, 0
	s_wait_alu 0xfffe
	v_cmpx_gt_u32_e64 s30, v0
	s_cbranch_execz .LBB73_177
; %bb.169:                              ;   in Loop: Header=BB73_11 Depth=1
	v_mov_b32_e32 v2, v0
                                        ; implicit-def: $sgpr52
	s_branch .LBB73_172
.LBB73_170:                             ;   in Loop: Header=BB73_172 Depth=2
	s_wait_alu 0xfffe
	s_or_b32 exec_lo, exec_lo, s83
	s_wait_loadcnt_dscnt 0x0
	s_barrier_signal -1
	s_barrier_wait -1
	global_inv scope:SCOPE_SE
	ds_load_u16 v4, v18 offset:3072
	s_mov_b32 s84, -1
	s_mov_b32 s83, -1
	s_wait_loadcnt_dscnt 0x0
	s_barrier_signal -1
	s_barrier_wait -1
	global_inv scope:SCOPE_SE
	v_and_b32_e32 v5, 0xff, v4
	s_delay_alu instid0(VALU_DEP_1)
	v_cmp_ne_u32_e32 vcc_lo, 0, v5
	s_cbranch_vccz .LBB73_175
.LBB73_171:                             ;   in Loop: Header=BB73_172 Depth=2
	s_wait_alu 0xfffe
	s_and_b32 s84, exec_lo, s84
	s_wait_alu 0xfffe
	s_or_b32 s26, s84, s26
	s_and_not1_b32 s52, s52, exec_lo
	s_and_b32 s83, s83, exec_lo
	s_wait_alu 0xfffe
	s_or_b32 s52, s52, s83
	s_and_not1_b32 exec_lo, exec_lo, s26
	s_cbranch_execz .LBB73_176
.LBB73_172:                             ;   Parent Loop BB73_11 Depth=1
                                        ; =>  This Inner Loop Header: Depth=2
	s_mov_b32 s83, exec_lo
	s_delay_alu instid0(VALU_DEP_1)
	v_cmpx_gt_u32_e64 s27, v2
	s_cbranch_execz .LBB73_170
; %bb.173:                              ;   in Loop: Header=BB73_172 Depth=2
	ds_load_u8 v4, v2
	s_wait_dscnt 0x0
	v_and_b32_e32 v5, v4, v32
	s_delay_alu instid0(VALU_DEP_1) | instskip(NEXT) | instid1(VALU_DEP_1)
	v_and_b32_e32 v5, 0xff, v5
	v_cmp_eq_u32_e32 vcc_lo, v5, v14
	s_and_b32 exec_lo, exec_lo, vcc_lo
	s_cbranch_execz .LBB73_170
; %bb.174:                              ;   in Loop: Header=BB73_172 Depth=2
	v_lshlrev_b16 v4, 8, v4
	s_delay_alu instid0(VALU_DEP_1)
	v_or_b32_e32 v4, 1, v4
	ds_store_b16 v18, v4 offset:3072
	s_branch .LBB73_170
.LBB73_175:                             ;   in Loop: Header=BB73_172 Depth=2
	v_add_nc_u32_e32 v2, s35, v2
	s_mov_b32 s83, 0
	s_delay_alu instid0(VALU_DEP_1)
	v_cmp_le_u32_e32 vcc_lo, s30, v2
	s_or_not1_b32 s84, vcc_lo, exec_lo
	s_branch .LBB73_171
.LBB73_176:                             ;   in Loop: Header=BB73_11 Depth=1
	s_or_b32 exec_lo, exec_lo, s26
	v_and_b32_e32 v2, 0xffff, v4
	s_wait_alu 0xfffe
	s_and_b32 s26, s52, exec_lo
	s_delay_alu instid0(VALU_DEP_1)
	v_lshrrev_b32_e32 v33, 8, v2
.LBB73_177:                             ;   in Loop: Header=BB73_11 Depth=1
	s_or_b32 exec_lo, exec_lo, s29
.LBB73_178:                             ;   in Loop: Header=BB73_11 Depth=1
	s_wait_alu 0xfffe
	s_and_b32 vcc_lo, exec_lo, s28
	s_wait_alu 0xfffe
	s_cbranch_vccz .LBB73_189
; %bb.179:                              ;   in Loop: Header=BB73_11 Depth=1
                                        ; implicit-def: $vgpr33
	s_and_saveexec_b32 s22, s10
	s_cbranch_execz .LBB73_188
; %bb.180:                              ;   in Loop: Header=BB73_11 Depth=1
	v_mov_b32_e32 v2, v15
	v_mov_b32_e32 v4, v0
	s_mov_b32 s23, 0
                                        ; implicit-def: $sgpr27
	s_branch .LBB73_183
.LBB73_181:                             ;   in Loop: Header=BB73_183 Depth=2
	s_wait_alu 0xfffe
	s_or_b32 exec_lo, exec_lo, s28
	s_wait_loadcnt_dscnt 0x0
	s_barrier_signal -1
	s_barrier_wait -1
	global_inv scope:SCOPE_SE
	ds_load_u16 v5, v18 offset:3072
	s_mov_b32 s28, -1
	s_mov_b32 s29, -1
	s_wait_loadcnt_dscnt 0x0
	s_barrier_signal -1
	s_barrier_wait -1
	global_inv scope:SCOPE_SE
	v_and_b32_e32 v6, 0xff, v5
	s_delay_alu instid0(VALU_DEP_1)
	v_cmp_eq_u32_e32 vcc_lo, 0, v6
	s_cbranch_vccnz .LBB73_186
.LBB73_182:                             ;   in Loop: Header=BB73_183 Depth=2
	s_wait_alu 0xfffe
	s_and_b32 s28, exec_lo, s28
	s_wait_alu 0xfffe
	s_or_b32 s23, s28, s23
	s_and_not1_b32 s27, s27, exec_lo
	s_and_b32 s28, s29, exec_lo
	s_wait_alu 0xfffe
	s_or_b32 s27, s27, s28
	s_and_not1_b32 exec_lo, exec_lo, s23
	s_cbranch_execz .LBB73_187
.LBB73_183:                             ;   Parent Loop BB73_11 Depth=1
                                        ; =>  This Inner Loop Header: Depth=2
	s_mov_b32 s28, exec_lo
	s_delay_alu instid0(VALU_DEP_1)
	v_cmpx_gt_u32_e64 s36, v4
	s_cbranch_execz .LBB73_181
; %bb.184:                              ;   in Loop: Header=BB73_183 Depth=2
	global_load_u8 v5, v2, s[44:45]
	s_wait_loadcnt 0x0
	v_and_b32_e32 v6, v5, v32
	s_delay_alu instid0(VALU_DEP_1) | instskip(NEXT) | instid1(VALU_DEP_1)
	v_and_b32_e32 v6, 0xff, v6
	v_cmp_eq_u32_e32 vcc_lo, v6, v14
	s_and_b32 exec_lo, exec_lo, vcc_lo
	s_cbranch_execz .LBB73_181
; %bb.185:                              ;   in Loop: Header=BB73_183 Depth=2
	v_lshlrev_b16 v5, 8, v5
	s_delay_alu instid0(VALU_DEP_1)
	v_or_b32_e32 v5, 1, v5
	ds_store_b16 v18, v5 offset:3072
	s_branch .LBB73_181
.LBB73_186:                             ;   in Loop: Header=BB73_183 Depth=2
	v_add_nc_u32_e32 v4, s35, v4
	v_add_nc_u32_e32 v2, s62, v2
	s_mov_b32 s29, 0
	s_delay_alu instid0(VALU_DEP_2)
	v_cmp_le_u32_e32 vcc_lo, s73, v4
	s_or_not1_b32 s28, vcc_lo, exec_lo
	s_branch .LBB73_182
.LBB73_187:                             ;   in Loop: Header=BB73_11 Depth=1
	s_or_b32 exec_lo, exec_lo, s23
	v_and_b32_e32 v2, 0xffff, v5
	s_and_not1_b32 s23, s26, exec_lo
	s_wait_alu 0xfffe
	s_and_b32 s26, s27, exec_lo
	s_wait_alu 0xfffe
	s_or_b32 s26, s23, s26
	v_lshrrev_b32_e32 v33, 8, v2
.LBB73_188:                             ;   in Loop: Header=BB73_11 Depth=1
	s_wait_alu 0xfffe
	s_or_b32 exec_lo, exec_lo, s22
	s_mov_b32 s22, 0
	s_mov_b32 s23, -1
.LBB73_189:                             ;   in Loop: Header=BB73_11 Depth=1
	s_or_not1_b32 s26, s26, exec_lo
.LBB73_190:                             ;   in Loop: Header=BB73_11 Depth=1
	s_wait_alu 0xfffe
	s_or_b32 exec_lo, exec_lo, s24
	s_mov_b32 s27, 0
	s_and_saveexec_b32 s24, s26
	s_cbranch_execz .LBB73_240
; %bb.191:                              ;   in Loop: Header=BB73_11 Depth=1
	v_dual_mov_b32 v2, 1 :: v_dual_mov_b32 v1, 1
	s_xor_b32 s26, s25, -1
	s_wait_alu 0xfffe
	s_and_saveexec_b32 s25, s26
	s_cbranch_execz .LBB73_200
; %bb.192:                              ;   in Loop: Header=BB73_11 Depth=1
	s_mov_b32 s26, exec_lo
	v_cmpx_ge_u32_e64 s18, v3
	s_wait_alu 0xfffe
	s_xor_b32 s26, exec_lo, s26
	s_cbranch_execz .LBB73_197
; %bb.193:                              ;   in Loop: Header=BB73_11 Depth=1
	ds_load_b32 v1, v18 offset:4104
	s_lshl_b32 s27, 2, s82
	v_or_b32_e32 v32, s12, v32
	s_wait_alu 0xfffe
	v_and_or_b32 v14, v14, s19, s27
	s_wait_dscnt 0x0
	v_cmp_ne_u32_e32 vcc_lo, 0, v1
	s_cbranch_vccnz .LBB73_197
; %bb.194:                              ;   in Loop: Header=BB73_11 Depth=1
	s_and_saveexec_b32 s19, s2
; %bb.195:                              ;   in Loop: Header=BB73_11 Depth=1
	v_mov_b32_e32 v1, s18
	ds_store_b32 v18, v1 offset:4108
; %bb.196:                              ;   in Loop: Header=BB73_11 Depth=1
	s_wait_alu 0xfffe
	s_or_b32 exec_lo, exec_lo, s19
	s_wait_loadcnt_dscnt 0x0
	s_barrier_signal -1
	s_barrier_wait -1
	global_inv scope:SCOPE_SE
.LBB73_197:                             ;   in Loop: Header=BB73_11 Depth=1
	s_wait_alu 0xfffe
	s_or_saveexec_b32 s19, s26
	v_mov_b32_e32 v1, 8
	s_mov_b32 s26, 0
	s_wait_alu 0xfffe
	s_xor_b32 exec_lo, exec_lo, s19
; %bb.198:                              ;   in Loop: Header=BB73_11 Depth=1
	v_subrev_nc_u32_e32 v3, s18, v3
	v_mov_b32_e32 v1, 0
	s_mov_b32 s26, exec_lo
; %bb.199:                              ;   in Loop: Header=BB73_11 Depth=1
	s_or_b32 exec_lo, exec_lo, s19
	s_delay_alu instid0(VALU_DEP_2)
	v_mov_b32_e32 v2, v3
	s_wait_alu 0xfffe
	s_and_b32 s27, s26, exec_lo
.LBB73_200:                             ;   in Loop: Header=BB73_11 Depth=1
	s_wait_alu 0xfffe
	s_or_b32 exec_lo, exec_lo, s25
	s_mov_b32 s19, -1
                                        ; implicit-def: $sgpr26
                                        ; implicit-def: $sgpr25
	s_and_saveexec_b32 s18, s27
	s_cbranch_execz .LBB73_239
; %bb.201:                              ;   in Loop: Header=BB73_11 Depth=1
	v_cmp_eq_u32_e32 vcc_lo, 1, v2
	s_cmp_eq_u32 s11, 1
	s_mov_b32 s28, -1
	s_cselect_b32 s19, -1, 0
                                        ; implicit-def: $sgpr26
                                        ; implicit-def: $sgpr25
	s_wait_alu 0xfffe
	s_and_b32 s19, s19, vcc_lo
	s_wait_alu 0xfffe
	s_and_saveexec_b32 s27, s19
	s_cbranch_execz .LBB73_227
; %bb.202:                              ;   in Loop: Header=BB73_11 Depth=1
	ds_load_b32 v3, v18 offset:4104
	s_wait_loadcnt_dscnt 0x0
	s_barrier_signal -1
	s_barrier_wait -1
	global_inv scope:SCOPE_SE
	v_readfirstlane_b32 s29, v3
	s_and_saveexec_b32 s25, s3
; %bb.203:                              ;   in Loop: Header=BB73_11 Depth=1
	ds_store_b8 v0, v18 offset:3072
; %bb.204:                              ;   in Loop: Header=BB73_11 Depth=1
	s_wait_alu 0xfffe
	s_or_b32 exec_lo, exec_lo, s25
	v_or_b32_e32 v14, s12, v14
	v_or_b32_e32 v32, s12, v32
	s_mov_b32 s25, -1
	s_mov_b32 s26, 0
	s_cmp_eq_u32 s29, 0
	s_mov_b32 s28, 0
	s_mov_b32 s30, -1
	s_wait_loadcnt_dscnt 0x0
	s_barrier_signal -1
	s_barrier_wait -1
	global_inv scope:SCOPE_SE
                                        ; implicit-def: $vgpr33
	s_cbranch_scc1 .LBB73_215
; %bb.205:                              ;   in Loop: Header=BB73_11 Depth=1
	s_add_co_i32 s52, s29, s39
                                        ; implicit-def: $vgpr33
	s_wait_alu 0xfffe
	s_mul_u64 s[84:85], s[52:53], s[56:57]
	s_wait_alu 0xfffe
	s_mul_i32 s28, s85, s35
	s_wait_alu 0xfffe
	s_sub_co_i32 s28, s52, s28
	s_wait_alu 0xfffe
	s_sub_co_i32 s30, s28, s35
	s_cmp_ge_u32 s28, s35
	s_wait_alu 0xfffe
	s_cselect_b32 s28, s30, s28
	s_wait_alu 0xfffe
	s_sub_co_i32 s30, s28, s35
	s_cmp_ge_u32 s28, s35
	s_wait_alu 0xfffe
	s_cselect_b32 s28, s30, s28
	s_mov_b32 s30, 0
	s_wait_alu 0xfffe
	s_sub_co_i32 s83, s52, s28
	s_mov_b32 s28, 0
	s_mov_b32 s52, exec_lo
	s_wait_alu 0xfffe
	v_cmpx_gt_u32_e64 s83, v0
	s_cbranch_execz .LBB73_214
; %bb.206:                              ;   in Loop: Header=BB73_11 Depth=1
	v_mov_b32_e32 v3, v0
                                        ; implicit-def: $sgpr84
	s_branch .LBB73_209
.LBB73_207:                             ;   in Loop: Header=BB73_209 Depth=2
	s_wait_alu 0xfffe
	s_or_b32 exec_lo, exec_lo, s85
	s_wait_loadcnt_dscnt 0x0
	s_barrier_signal -1
	s_barrier_wait -1
	global_inv scope:SCOPE_SE
	ds_load_u16 v4, v18 offset:3072
	s_mov_b32 s86, -1
	s_mov_b32 s85, -1
	s_wait_loadcnt_dscnt 0x0
	s_barrier_signal -1
	s_barrier_wait -1
	global_inv scope:SCOPE_SE
	v_and_b32_e32 v5, 0xff, v4
	s_delay_alu instid0(VALU_DEP_1)
	v_cmp_ne_u32_e32 vcc_lo, 0, v5
	s_cbranch_vccz .LBB73_212
.LBB73_208:                             ;   in Loop: Header=BB73_209 Depth=2
	s_wait_alu 0xfffe
	s_and_b32 s86, exec_lo, s86
	s_wait_alu 0xfffe
	s_or_b32 s28, s86, s28
	s_and_not1_b32 s84, s84, exec_lo
	s_and_b32 s85, s85, exec_lo
	s_wait_alu 0xfffe
	s_or_b32 s84, s84, s85
	s_and_not1_b32 exec_lo, exec_lo, s28
	s_cbranch_execz .LBB73_213
.LBB73_209:                             ;   Parent Loop BB73_11 Depth=1
                                        ; =>  This Inner Loop Header: Depth=2
	s_mov_b32 s85, exec_lo
	s_delay_alu instid0(VALU_DEP_1)
	v_cmpx_gt_u32_e64 s29, v3
	s_cbranch_execz .LBB73_207
; %bb.210:                              ;   in Loop: Header=BB73_209 Depth=2
	ds_load_u8 v4, v3
	s_wait_dscnt 0x0
	v_and_b32_e32 v5, v4, v32
	s_delay_alu instid0(VALU_DEP_1) | instskip(NEXT) | instid1(VALU_DEP_1)
	v_and_b32_e32 v5, 0xff, v5
	v_cmp_eq_u32_e32 vcc_lo, v5, v14
	s_and_b32 exec_lo, exec_lo, vcc_lo
	s_cbranch_execz .LBB73_207
; %bb.211:                              ;   in Loop: Header=BB73_209 Depth=2
	v_lshlrev_b16 v4, 8, v4
	s_delay_alu instid0(VALU_DEP_1)
	v_or_b32_e32 v4, 1, v4
	ds_store_b16 v18, v4 offset:3072
	s_branch .LBB73_207
.LBB73_212:                             ;   in Loop: Header=BB73_209 Depth=2
	v_add_nc_u32_e32 v3, s35, v3
	s_mov_b32 s85, 0
	s_delay_alu instid0(VALU_DEP_1)
	v_cmp_le_u32_e32 vcc_lo, s83, v3
	s_or_not1_b32 s86, vcc_lo, exec_lo
	s_branch .LBB73_208
.LBB73_213:                             ;   in Loop: Header=BB73_11 Depth=1
	s_or_b32 exec_lo, exec_lo, s28
	v_and_b32_e32 v3, 0xffff, v4
	s_wait_alu 0xfffe
	s_and_b32 s28, s84, exec_lo
	s_delay_alu instid0(VALU_DEP_1)
	v_lshrrev_b32_e32 v33, 8, v3
.LBB73_214:                             ;   in Loop: Header=BB73_11 Depth=1
	s_or_b32 exec_lo, exec_lo, s52
.LBB73_215:                             ;   in Loop: Header=BB73_11 Depth=1
	s_wait_alu 0xfffe
	s_and_b32 vcc_lo, exec_lo, s30
	s_wait_alu 0xfffe
	s_cbranch_vccz .LBB73_226
; %bb.216:                              ;   in Loop: Header=BB73_11 Depth=1
                                        ; implicit-def: $vgpr33
	s_and_saveexec_b32 s25, s10
	s_cbranch_execz .LBB73_225
; %bb.217:                              ;   in Loop: Header=BB73_11 Depth=1
	v_dual_mov_b32 v3, v15 :: v_dual_mov_b32 v4, v0
	s_mov_b32 s26, 0
                                        ; implicit-def: $sgpr29
	s_branch .LBB73_220
.LBB73_218:                             ;   in Loop: Header=BB73_220 Depth=2
	s_wait_alu 0xfffe
	s_or_b32 exec_lo, exec_lo, s30
	s_wait_loadcnt_dscnt 0x0
	s_barrier_signal -1
	s_barrier_wait -1
	global_inv scope:SCOPE_SE
	ds_load_u16 v5, v18 offset:3072
	s_mov_b32 s30, -1
	s_mov_b32 s52, -1
	s_wait_loadcnt_dscnt 0x0
	s_barrier_signal -1
	s_barrier_wait -1
	global_inv scope:SCOPE_SE
	v_and_b32_e32 v6, 0xff, v5
	s_delay_alu instid0(VALU_DEP_1)
	v_cmp_eq_u32_e32 vcc_lo, 0, v6
	s_cbranch_vccnz .LBB73_223
.LBB73_219:                             ;   in Loop: Header=BB73_220 Depth=2
	s_wait_alu 0xfffe
	s_and_b32 s30, exec_lo, s30
	s_wait_alu 0xfffe
	s_or_b32 s26, s30, s26
	s_and_not1_b32 s29, s29, exec_lo
	s_and_b32 s30, s52, exec_lo
	s_wait_alu 0xfffe
	s_or_b32 s29, s29, s30
	s_and_not1_b32 exec_lo, exec_lo, s26
	s_cbranch_execz .LBB73_224
.LBB73_220:                             ;   Parent Loop BB73_11 Depth=1
                                        ; =>  This Inner Loop Header: Depth=2
	s_mov_b32 s30, exec_lo
	s_delay_alu instid0(VALU_DEP_1)
	v_cmpx_gt_u32_e64 s36, v4
	s_cbranch_execz .LBB73_218
; %bb.221:                              ;   in Loop: Header=BB73_220 Depth=2
	global_load_u8 v5, v3, s[44:45]
	s_wait_loadcnt 0x0
	v_and_b32_e32 v6, v5, v32
	s_delay_alu instid0(VALU_DEP_1) | instskip(NEXT) | instid1(VALU_DEP_1)
	v_and_b32_e32 v6, 0xff, v6
	v_cmp_eq_u32_e32 vcc_lo, v6, v14
	s_and_b32 exec_lo, exec_lo, vcc_lo
	s_cbranch_execz .LBB73_218
; %bb.222:                              ;   in Loop: Header=BB73_220 Depth=2
	v_lshlrev_b16 v5, 8, v5
	s_delay_alu instid0(VALU_DEP_1)
	v_or_b32_e32 v5, 1, v5
	ds_store_b16 v18, v5 offset:3072
	s_branch .LBB73_218
.LBB73_223:                             ;   in Loop: Header=BB73_220 Depth=2
	v_add_nc_u32_e32 v4, s35, v4
	v_add_nc_u32_e32 v3, s62, v3
	s_mov_b32 s52, 0
	s_delay_alu instid0(VALU_DEP_2)
	v_cmp_le_u32_e32 vcc_lo, s73, v4
	s_or_not1_b32 s30, vcc_lo, exec_lo
	s_branch .LBB73_219
.LBB73_224:                             ;   in Loop: Header=BB73_11 Depth=1
	s_or_b32 exec_lo, exec_lo, s26
	v_and_b32_e32 v3, 0xffff, v5
	s_and_not1_b32 s26, s28, exec_lo
	s_wait_alu 0xfffe
	s_and_b32 s28, s29, exec_lo
	s_wait_alu 0xfffe
	s_or_b32 s28, s26, s28
	v_lshrrev_b32_e32 v33, 8, v3
.LBB73_225:                             ;   in Loop: Header=BB73_11 Depth=1
	s_wait_alu 0xfffe
	s_or_b32 exec_lo, exec_lo, s25
	s_mov_b32 s25, 0
	s_mov_b32 s26, -1
.LBB73_226:                             ;   in Loop: Header=BB73_11 Depth=1
	s_or_not1_b32 s28, s28, exec_lo
.LBB73_227:                             ;   in Loop: Header=BB73_11 Depth=1
	s_wait_alu 0xfffe
	s_or_b32 exec_lo, exec_lo, s27
	s_mov_b32 s29, 0
	s_and_saveexec_b32 s27, s28
	s_cbranch_execz .LBB73_238
; %bb.228:                              ;   in Loop: Header=BB73_11 Depth=1
	v_mov_b32_e32 v1, 1
	v_mov_b32_e32 v3, 1
	s_xor_b32 s28, s19, -1
	s_wait_alu 0xfffe
	s_and_saveexec_b32 s19, s28
	s_cbranch_execz .LBB73_237
; %bb.229:                              ;   in Loop: Header=BB73_11 Depth=1
	s_mov_b32 s28, exec_lo
	v_cmpx_ge_u32_e64 s11, v2
	s_wait_alu 0xfffe
	s_xor_b32 s28, exec_lo, s28
	s_cbranch_execz .LBB73_234
; %bb.230:                              ;   in Loop: Header=BB73_11 Depth=1
	ds_load_b32 v1, v18 offset:4104
	v_or_b32_e32 v14, s12, v14
	v_or_b32_e32 v32, s12, v32
	s_wait_dscnt 0x0
	v_cmp_ne_u32_e32 vcc_lo, 0, v1
	s_cbranch_vccnz .LBB73_234
; %bb.231:                              ;   in Loop: Header=BB73_11 Depth=1
	s_and_saveexec_b32 s12, s2
; %bb.232:                              ;   in Loop: Header=BB73_11 Depth=1
	v_mov_b32_e32 v1, s11
	ds_store_b32 v18, v1 offset:4108
; %bb.233:                              ;   in Loop: Header=BB73_11 Depth=1
	s_wait_alu 0xfffe
	s_or_b32 exec_lo, exec_lo, s12
	s_wait_loadcnt_dscnt 0x0
	s_barrier_signal -1
	s_barrier_wait -1
	global_inv scope:SCOPE_SE
.LBB73_234:                             ;   in Loop: Header=BB73_11 Depth=1
	s_wait_alu 0xfffe
	s_and_not1_saveexec_b32 s12, s28
; %bb.235:                              ;   in Loop: Header=BB73_11 Depth=1
	v_subrev_nc_u32_e32 v2, s11, v2
; %bb.236:                              ;   in Loop: Header=BB73_11 Depth=1
	s_wait_alu 0xfffe
	s_or_b32 exec_lo, exec_lo, s12
	v_mov_b32_e32 v1, 8
	s_delay_alu instid0(VALU_DEP_2)
	v_mov_b32_e32 v3, v2
.LBB73_237:                             ;   in Loop: Header=BB73_11 Depth=1
	s_wait_alu 0xfffe
	s_or_b32 exec_lo, exec_lo, s19
	s_delay_alu instid0(VALU_DEP_1)
	v_mov_b32_e32 v2, v3
	s_mov_b32 s29, exec_lo
.LBB73_238:                             ;   in Loop: Header=BB73_11 Depth=1
	s_wait_alu 0xfffe
	s_or_b32 exec_lo, exec_lo, s27
	s_delay_alu instid0(SALU_CYCLE_1)
	s_or_not1_b32 s19, s29, exec_lo
.LBB73_239:                             ;   in Loop: Header=BB73_11 Depth=1
	s_wait_alu 0xfffe
	s_or_b32 exec_lo, exec_lo, s18
	v_mov_b32_e32 v3, v2
	s_and_not1_b32 s11, s23, exec_lo
	s_and_b32 s12, s26, exec_lo
	s_and_not1_b32 s18, s22, exec_lo
	s_and_b32 s22, s25, exec_lo
	s_wait_alu 0xfffe
	s_or_b32 s23, s11, s12
	s_or_b32 s22, s18, s22
	s_and_b32 s27, s19, exec_lo
.LBB73_240:                             ;   in Loop: Header=BB73_11 Depth=1
	s_wait_alu 0xfffe
	s_or_b32 exec_lo, exec_lo, s24
	s_delay_alu instid0(SALU_CYCLE_1)
	s_or_not1_b32 s24, s27, exec_lo
.LBB73_241:                             ;   in Loop: Header=BB73_11 Depth=1
	s_wait_alu 0xfffe
	s_or_b32 exec_lo, exec_lo, s21
	v_mov_b32_e32 v2, v3
	s_and_not1_b32 s11, s17, exec_lo
	s_and_b32 s12, s23, exec_lo
	s_and_not1_b32 s16, s16, exec_lo
	s_and_b32 s18, s22, exec_lo
	s_wait_alu 0xfffe
	s_or_b32 s17, s11, s12
	s_or_b32 s16, s16, s18
	s_and_b32 s24, s24, exec_lo
.LBB73_242:                             ;   in Loop: Header=BB73_11 Depth=1
	s_wait_alu 0xfffe
	s_or_b32 exec_lo, exec_lo, s20
	s_delay_alu instid0(SALU_CYCLE_1)
	s_or_not1_b32 s20, s24, exec_lo
.LBB73_243:                             ;   in Loop: Header=BB73_11 Depth=1
	s_wait_alu 0xfffe
	s_or_b32 exec_lo, exec_lo, s15
	s_mov_b32 s12, 0
                                        ; implicit-def: $sgpr22
	s_and_saveexec_b32 s11, s20
	s_wait_alu 0xfffe
	s_xor_b32 s11, exec_lo, s11
	s_cbranch_execz .LBB73_9
; %bb.244:                              ;   in Loop: Header=BB73_11 Depth=1
	v_and_b32_e32 v1, 7, v1
	s_mov_b32 s14, -1
	s_mov_b32 s12, -1
	s_mov_b32 s15, exec_lo
                                        ; implicit-def: $sgpr22
	s_delay_alu instid0(VALU_DEP_1)
	v_cmpx_eq_u32_e32 0, v1
	s_cbranch_execz .LBB73_8
; %bb.245:                              ;   in Loop: Header=BB73_11 Depth=1
	s_add_co_i32 s22, s82, -2
	s_cmp_eq_u32 s82, 0
	v_xor_b32_e32 v31, 1, v31
	s_cselect_b32 s14, -1, 0
	s_xor_b32 s12, exec_lo, -1
	s_wait_alu 0xfffe
	s_or_not1_b32 s14, s14, exec_lo
	s_branch .LBB73_8
.LBB73_246:
	s_or_b32 exec_lo, exec_lo, s75
	s_xor_b32 s4, s81, -1
	s_xor_b32 s1, s79, -1
	;; [unrolled: 1-line block ×3, first 2 shown]
	s_mov_b32 s2, 0
	s_and_saveexec_b32 s5, s1
	s_wait_alu 0xfffe
	s_xor_b32 s1, exec_lo, s5
	s_cbranch_execnz .LBB73_251
; %bb.247:
	s_and_not1_saveexec_b32 s0, s1
	s_cbranch_execnz .LBB73_264
.LBB73_248:
	s_or_b32 exec_lo, exec_lo, s0
	s_wait_alu 0xfffe
	s_and_saveexec_b32 s0, s2
.LBB73_249:
	; divergent unreachable
.LBB73_250:
	s_endpgm
.LBB73_251:
	s_and_saveexec_b32 s2, s4
	s_wait_alu 0xfffe
	s_xor_b32 s2, exec_lo, s2
	s_cbranch_execz .LBB73_262
; %bb.252:
	s_and_saveexec_b32 s4, s3
	s_wait_alu 0xfffe
	s_xor_b32 s3, exec_lo, s4
; %bb.253:
	v_mov_b32_e32 v33, v14
; %bb.254:
	s_wait_alu 0xfffe
	s_or_b32 exec_lo, exec_lo, s3
	s_mul_i32 s3, s51, s60
	s_add_co_i32 s4, s51, 1
	s_wait_alu 0xfffe
	s_sub_co_i32 s3, s34, s3
	s_wait_alu 0xfffe
	s_sub_co_i32 s5, s3, s60
	s_cmp_ge_u32 s3, s60
	s_cselect_b32 s4, s4, s51
	s_wait_alu 0xfffe
	s_cselect_b32 s3, s5, s3
	s_add_co_i32 s5, s4, 1
	s_wait_alu 0xfffe
	s_cmp_ge_u32 s3, s60
	s_cselect_b32 s3, s5, s4
	s_wait_alu 0xfffe
	s_mul_i32 s4, s3, s60
	s_mul_i32 s3, s3, s48
	s_wait_alu 0xfffe
	s_sub_co_i32 s4, s34, s4
	s_wait_alu 0xfffe
	s_mul_i32 s4, s4, s49
	s_wait_alu 0xfffe
	s_add_co_i32 s3, s3, s4
	s_wait_alu 0xfffe
	v_mov_b32_e32 v1, s3
	global_store_b8 v1, v33, s[46:47]
	s_and_saveexec_b32 s3, s0
	s_cbranch_execz .LBB73_261
; %bb.255:
	v_and_b32_e32 v2, 0xff, v33
	s_mov_b32 s0, 0
                                        ; implicit-def: $sgpr4
                                        ; implicit-def: $sgpr6
                                        ; implicit-def: $sgpr5
	s_branch .LBB73_257
.LBB73_256:                             ;   in Loop: Header=BB73_257 Depth=1
	s_wait_alu 0xfffe
	s_or_b32 exec_lo, exec_lo, s7
	s_delay_alu instid0(SALU_CYCLE_1)
	s_and_b32 s7, exec_lo, s6
	s_wait_alu 0xfffe
	s_or_b32 s0, s7, s0
	s_and_not1_b32 s4, s4, exec_lo
	s_and_b32 s7, s5, exec_lo
	s_wait_alu 0xfffe
	s_or_b32 s4, s4, s7
	s_and_not1_b32 exec_lo, exec_lo, s0
	s_cbranch_execz .LBB73_259
.LBB73_257:                             ; =>This Inner Loop Header: Depth=1
	global_load_u8 v3, v15, s[44:45]
	v_mov_b32_e32 v1, v0
	s_or_b32 s5, s5, exec_lo
	s_or_b32 s6, s6, exec_lo
	s_mov_b32 s7, exec_lo
                                        ; implicit-def: $vgpr0
	s_wait_loadcnt 0x0
	v_cmpx_ne_u16_e64 v3, v2
	s_cbranch_execz .LBB73_256
; %bb.258:                              ;   in Loop: Header=BB73_257 Depth=1
	v_add_nc_u32_e32 v0, s35, v1
	v_add_nc_u32_e32 v15, s62, v15
	s_wait_alu 0xfffe
	s_and_not1_b32 s6, s6, exec_lo
	s_and_not1_b32 s5, s5, exec_lo
	v_cmp_le_u32_e32 vcc_lo, s36, v0
	s_and_b32 s8, vcc_lo, exec_lo
	s_wait_alu 0xfffe
	s_or_b32 s6, s6, s8
	s_branch .LBB73_256
.LBB73_259:
	s_or_b32 exec_lo, exec_lo, s0
	s_wait_alu 0xfffe
	s_and_saveexec_b32 s0, s4
	s_delay_alu instid0(SALU_CYCLE_1)
	s_xor_b32 s0, exec_lo, s0
	s_cbranch_execz .LBB73_261
; %bb.260:
	s_mul_i32 s0, s31, s33
	s_add_co_i32 s4, s31, 1
	s_sub_co_i32 s0, s34, s0
	v_mov_b32_e32 v2, 0
	s_sub_co_i32 s5, s0, s33
	s_cmp_ge_u32 s0, s33
	s_wait_alu 0xfffe
	s_cselect_b32 s4, s4, s31
	s_cselect_b32 s0, s5, s0
	s_wait_alu 0xfffe
	s_add_co_i32 s5, s4, 1
	s_cmp_ge_u32 s0, s33
	s_wait_alu 0xfffe
	s_cselect_b32 s0, s5, s4
	s_mov_b32 s5, 0
	s_mul_i32 s4, s0, s33
	s_mul_i32 s0, s0, s40
	s_wait_alu 0xfffe
	s_sub_co_i32 s4, s34, s4
	s_wait_alu 0xfffe
	s_mul_i32 s4, s4, s41
	s_wait_alu 0xfffe
	s_add_co_i32 s4, s0, s4
	s_wait_alu 0xfffe
	s_lshl_b64 s[4:5], s[4:5], 3
	s_wait_alu 0xfffe
	s_add_nc_u64 s[4:5], s[42:43], s[4:5]
	global_store_b64 v2, v[1:2], s[4:5]
.LBB73_261:
	s_wait_alu 0xfffe
	s_or_b32 exec_lo, exec_lo, s3
.LBB73_262:
	s_wait_alu 0xfffe
	s_or_saveexec_b32 s0, s2
	s_mov_b32 s2, 0
	s_xor_b32 exec_lo, exec_lo, s0
	s_cbranch_execnz .LBB73_265
.LBB73_263:
	s_or_b32 exec_lo, exec_lo, s0
	s_wait_alu 0xfffe
	s_and_b32 s2, s2, exec_lo
	s_and_not1_saveexec_b32 s0, s1
	s_cbranch_execz .LBB73_248
.LBB73_264:
	s_wait_alu 0xfffe
	s_or_b32 s2, s2, exec_lo
	s_trap 2
	s_or_b32 exec_lo, exec_lo, s0
	s_wait_alu 0xfffe
	s_and_saveexec_b32 s0, s2
	s_cbranch_execnz .LBB73_249
	s_branch .LBB73_250
.LBB73_265:
	s_mov_b32 s2, exec_lo
	s_trap 2
	s_branch .LBB73_263
	.section	.rodata,"a",@progbits
	.p2align	6, 0x0
	.amdhsa_kernel _ZN2at6native12_GLOBAL__N_112gatherMedianIhjLi2EEEvNS_4cuda6detail10TensorInfoIT_T0_EENS5_IlS7_EENS5_IKS6_S7_EES7_S7_S7_b
		.amdhsa_group_segment_fixed_size 4120
		.amdhsa_private_segment_fixed_size 0
		.amdhsa_kernarg_size 920
		.amdhsa_user_sgpr_count 2
		.amdhsa_user_sgpr_dispatch_ptr 0
		.amdhsa_user_sgpr_queue_ptr 0
		.amdhsa_user_sgpr_kernarg_segment_ptr 1
		.amdhsa_user_sgpr_dispatch_id 0
		.amdhsa_user_sgpr_private_segment_size 0
		.amdhsa_wavefront_size32 1
		.amdhsa_uses_dynamic_stack 0
		.amdhsa_enable_private_segment 0
		.amdhsa_system_sgpr_workgroup_id_x 1
		.amdhsa_system_sgpr_workgroup_id_y 1
		.amdhsa_system_sgpr_workgroup_id_z 1
		.amdhsa_system_sgpr_workgroup_info 0
		.amdhsa_system_vgpr_workitem_id 0
		.amdhsa_next_free_vgpr 68
		.amdhsa_next_free_sgpr 90
		.amdhsa_reserve_vcc 1
		.amdhsa_float_round_mode_32 0
		.amdhsa_float_round_mode_16_64 0
		.amdhsa_float_denorm_mode_32 3
		.amdhsa_float_denorm_mode_16_64 3
		.amdhsa_fp16_overflow 0
		.amdhsa_workgroup_processor_mode 1
		.amdhsa_memory_ordered 1
		.amdhsa_forward_progress 1
		.amdhsa_inst_pref_size 99
		.amdhsa_round_robin_scheduling 0
		.amdhsa_exception_fp_ieee_invalid_op 0
		.amdhsa_exception_fp_denorm_src 0
		.amdhsa_exception_fp_ieee_div_zero 0
		.amdhsa_exception_fp_ieee_overflow 0
		.amdhsa_exception_fp_ieee_underflow 0
		.amdhsa_exception_fp_ieee_inexact 0
		.amdhsa_exception_int_div_zero 0
	.end_amdhsa_kernel
	.section	.text._ZN2at6native12_GLOBAL__N_112gatherMedianIhjLi2EEEvNS_4cuda6detail10TensorInfoIT_T0_EENS5_IlS7_EENS5_IKS6_S7_EES7_S7_S7_b,"axG",@progbits,_ZN2at6native12_GLOBAL__N_112gatherMedianIhjLi2EEEvNS_4cuda6detail10TensorInfoIT_T0_EENS5_IlS7_EENS5_IKS6_S7_EES7_S7_S7_b,comdat
.Lfunc_end73:
	.size	_ZN2at6native12_GLOBAL__N_112gatherMedianIhjLi2EEEvNS_4cuda6detail10TensorInfoIT_T0_EENS5_IlS7_EENS5_IKS6_S7_EES7_S7_S7_b, .Lfunc_end73-_ZN2at6native12_GLOBAL__N_112gatherMedianIhjLi2EEEvNS_4cuda6detail10TensorInfoIT_T0_EENS5_IlS7_EENS5_IKS6_S7_EES7_S7_S7_b
                                        ; -- End function
	.set _ZN2at6native12_GLOBAL__N_112gatherMedianIhjLi2EEEvNS_4cuda6detail10TensorInfoIT_T0_EENS5_IlS7_EENS5_IKS6_S7_EES7_S7_S7_b.num_vgpr, 68
	.set _ZN2at6native12_GLOBAL__N_112gatherMedianIhjLi2EEEvNS_4cuda6detail10TensorInfoIT_T0_EENS5_IlS7_EENS5_IKS6_S7_EES7_S7_S7_b.num_agpr, 0
	.set _ZN2at6native12_GLOBAL__N_112gatherMedianIhjLi2EEEvNS_4cuda6detail10TensorInfoIT_T0_EENS5_IlS7_EENS5_IKS6_S7_EES7_S7_S7_b.numbered_sgpr, 90
	.set _ZN2at6native12_GLOBAL__N_112gatherMedianIhjLi2EEEvNS_4cuda6detail10TensorInfoIT_T0_EENS5_IlS7_EENS5_IKS6_S7_EES7_S7_S7_b.num_named_barrier, 0
	.set _ZN2at6native12_GLOBAL__N_112gatherMedianIhjLi2EEEvNS_4cuda6detail10TensorInfoIT_T0_EENS5_IlS7_EENS5_IKS6_S7_EES7_S7_S7_b.private_seg_size, 0
	.set _ZN2at6native12_GLOBAL__N_112gatherMedianIhjLi2EEEvNS_4cuda6detail10TensorInfoIT_T0_EENS5_IlS7_EENS5_IKS6_S7_EES7_S7_S7_b.uses_vcc, 1
	.set _ZN2at6native12_GLOBAL__N_112gatherMedianIhjLi2EEEvNS_4cuda6detail10TensorInfoIT_T0_EENS5_IlS7_EENS5_IKS6_S7_EES7_S7_S7_b.uses_flat_scratch, 0
	.set _ZN2at6native12_GLOBAL__N_112gatherMedianIhjLi2EEEvNS_4cuda6detail10TensorInfoIT_T0_EENS5_IlS7_EENS5_IKS6_S7_EES7_S7_S7_b.has_dyn_sized_stack, 0
	.set _ZN2at6native12_GLOBAL__N_112gatherMedianIhjLi2EEEvNS_4cuda6detail10TensorInfoIT_T0_EENS5_IlS7_EENS5_IKS6_S7_EES7_S7_S7_b.has_recursion, 0
	.set _ZN2at6native12_GLOBAL__N_112gatherMedianIhjLi2EEEvNS_4cuda6detail10TensorInfoIT_T0_EENS5_IlS7_EENS5_IKS6_S7_EES7_S7_S7_b.has_indirect_call, 0
	.section	.AMDGPU.csdata,"",@progbits
; Kernel info:
; codeLenInByte = 12596
; TotalNumSgprs: 92
; NumVgprs: 68
; ScratchSize: 0
; MemoryBound: 0
; FloatMode: 240
; IeeeMode: 1
; LDSByteSize: 4120 bytes/workgroup (compile time only)
; SGPRBlocks: 0
; VGPRBlocks: 8
; NumSGPRsForWavesPerEU: 92
; NumVGPRsForWavesPerEU: 68
; Occupancy: 16
; WaveLimiterHint : 1
; COMPUTE_PGM_RSRC2:SCRATCH_EN: 0
; COMPUTE_PGM_RSRC2:USER_SGPR: 2
; COMPUTE_PGM_RSRC2:TRAP_HANDLER: 0
; COMPUTE_PGM_RSRC2:TGID_X_EN: 1
; COMPUTE_PGM_RSRC2:TGID_Y_EN: 1
; COMPUTE_PGM_RSRC2:TGID_Z_EN: 1
; COMPUTE_PGM_RSRC2:TIDIG_COMP_CNT: 0
	.section	.text._ZN2at6native12_GLOBAL__N_112gatherMedianIhjLi3EEEvNS_4cuda6detail10TensorInfoIT_T0_EENS5_IlS7_EENS5_IKS6_S7_EES7_S7_S7_b,"axG",@progbits,_ZN2at6native12_GLOBAL__N_112gatherMedianIhjLi3EEEvNS_4cuda6detail10TensorInfoIT_T0_EENS5_IlS7_EENS5_IKS6_S7_EES7_S7_S7_b,comdat
	.globl	_ZN2at6native12_GLOBAL__N_112gatherMedianIhjLi3EEEvNS_4cuda6detail10TensorInfoIT_T0_EENS5_IlS7_EENS5_IKS6_S7_EES7_S7_S7_b ; -- Begin function _ZN2at6native12_GLOBAL__N_112gatherMedianIhjLi3EEEvNS_4cuda6detail10TensorInfoIT_T0_EENS5_IlS7_EENS5_IKS6_S7_EES7_S7_S7_b
	.p2align	8
	.type	_ZN2at6native12_GLOBAL__N_112gatherMedianIhjLi3EEEvNS_4cuda6detail10TensorInfoIT_T0_EENS5_IlS7_EENS5_IKS6_S7_EES7_S7_S7_b,@function
_ZN2at6native12_GLOBAL__N_112gatherMedianIhjLi3EEEvNS_4cuda6detail10TensorInfoIT_T0_EENS5_IlS7_EENS5_IKS6_S7_EES7_S7_S7_b: ; @_ZN2at6native12_GLOBAL__N_112gatherMedianIhjLi3EEEvNS_4cuda6detail10TensorInfoIT_T0_EENS5_IlS7_EENS5_IKS6_S7_EES7_S7_S7_b
; %bb.0:
	s_clause 0x1
	s_load_b64 s[8:9], s[0:1], 0x298
	s_load_b128 s[36:39], s[0:1], 0x288
	s_lshr_b32 s2, ttmp7, 16
	s_and_b32 s3, ttmp7, 0xffff
	s_wait_kmcnt 0x0
	s_mul_i32 s2, s9, s2
	s_delay_alu instid0(SALU_CYCLE_1) | instskip(NEXT) | instid1(SALU_CYCLE_1)
	s_add_co_i32 s2, s2, s3
	s_mul_i32 s33, s2, s8
	s_delay_alu instid0(SALU_CYCLE_1) | instskip(NEXT) | instid1(SALU_CYCLE_1)
	s_add_co_i32 s33, s33, ttmp9
	s_cmp_ge_u32 s33, s37
	s_cbranch_scc1 .LBB74_250
; %bb.1:
	s_clause 0x2
	s_load_b64 s[48:49], s[0:1], 0xc
	s_load_b64 s[34:35], s[0:1], 0xe4
	;; [unrolled: 1-line block ×3, first 2 shown]
	s_mov_b32 s13, 0
	s_wait_kmcnt 0x0
	s_cvt_f32_u32 s5, s35
	s_cvt_f32_u32 s2, s49
	s_sub_co_i32 s3, 0, s49
	s_cvt_f32_u32 s4, s48
	s_cvt_f32_u32 s6, s34
	v_rcp_iflag_f32_e32 v1, s2
	s_cvt_f32_u32 s7, s11
	v_rcp_iflag_f32_e32 v2, s4
	v_rcp_iflag_f32_e32 v3, s6
	s_cvt_f32_u32 s9, s10
	v_rcp_iflag_f32_e32 v4, s7
	s_delay_alu instid0(SALU_CYCLE_2) | instskip(SKIP_4) | instid1(SALU_CYCLE_2)
	v_rcp_iflag_f32_e32 v5, s9
	v_readfirstlane_b32 s2, v1
	v_rcp_iflag_f32_e32 v1, s5
	s_mul_f32 s2, s2, 0x4f7ffffe
	s_wait_alu 0xfffe
	s_cvt_u32_f32 s2, s2
	s_delay_alu instid0(TRANS32_DEP_1) | instskip(SKIP_1) | instid1(SALU_CYCLE_1)
	v_readfirstlane_b32 s4, v1
	s_wait_alu 0xfffe
	s_mul_i32 s3, s3, s2
	s_wait_alu 0xfffe
	s_mul_hi_u32 s3, s2, s3
	s_mul_f32 s4, s4, 0x4f7ffffe
	s_wait_alu 0xfffe
	s_add_co_i32 s2, s2, s3
	s_wait_alu 0xfffe
	s_mul_hi_u32 s2, s33, s2
	s_wait_alu 0xfffe
	s_mul_i32 s3, s2, s49
	s_add_co_i32 s5, s2, 1
	s_wait_alu 0xfffe
	s_sub_co_i32 s3, s33, s3
	s_wait_alu 0xfffe
	s_sub_co_i32 s6, s3, s49
	s_cmp_ge_u32 s3, s49
	s_cselect_b32 s2, s5, s2
	s_wait_alu 0xfffe
	s_cselect_b32 s3, s6, s3
	s_add_co_i32 s5, s2, 1
	s_wait_alu 0xfffe
	s_cmp_ge_u32 s3, s49
	s_cvt_u32_f32 s3, s4
	s_cselect_b32 s52, s5, s2
	s_sub_co_i32 s2, 0, s35
	v_readfirstlane_b32 s6, v4
	s_wait_alu 0xfffe
	s_mul_i32 s2, s2, s3
	s_sub_co_i32 s9, 0, s48
	s_wait_alu 0xfffe
	s_mul_hi_u32 s2, s3, s2
	v_readfirstlane_b32 s4, v2
	s_wait_alu 0xfffe
	s_add_co_i32 s3, s3, s2
	s_mul_f32 s6, s6, 0x4f7ffffe
	s_wait_alu 0xfffe
	s_mul_hi_u32 s3, s33, s3
	v_readfirstlane_b32 s5, v3
	s_wait_alu 0xfffe
	s_mul_i32 s7, s3, s35
	s_add_co_i32 s12, s3, 1
	s_wait_alu 0xfffe
	s_sub_co_i32 s7, s33, s7
	v_readfirstlane_b32 s2, v5
	s_wait_alu 0xfffe
	s_sub_co_i32 s14, s7, s35
	s_cmp_ge_u32 s7, s35
	s_mul_f32 s4, s4, 0x4f7ffffe
	s_cselect_b32 s3, s12, s3
	s_cselect_b32 s7, s14, s7
	s_wait_alu 0xfffe
	s_add_co_i32 s12, s3, 1
	s_cmp_ge_u32 s7, s35
	s_cvt_u32_f32 s7, s6
	s_cselect_b32 s50, s12, s3
	s_sub_co_i32 s3, 0, s11
	s_mul_f32 s5, s5, 0x4f7ffffe
	s_wait_alu 0xfffe
	s_mul_i32 s3, s3, s7
	s_mul_f32 s2, s2, 0x4f7ffffe
	s_wait_alu 0xfffe
	s_mul_hi_u32 s3, s7, s3
	s_cvt_u32_f32 s6, s4
	s_wait_alu 0xfffe
	s_add_co_i32 s7, s7, s3
	s_cvt_u32_f32 s3, s5
	s_wait_alu 0xfffe
	s_mul_hi_u32 s4, s33, s7
	s_cvt_u32_f32 s5, s2
	s_wait_alu 0xfffe
	s_mul_i32 s2, s4, s11
	s_sub_co_i32 s14, 0, s34
	s_wait_alu 0xfffe
	s_sub_co_i32 s2, s33, s2
	s_add_co_i32 s7, s4, 1
	s_wait_alu 0xfffe
	s_sub_co_i32 s12, s2, s11
	s_cmp_ge_u32 s2, s11
	s_mul_i32 s9, s9, s6
	s_cselect_b32 s4, s7, s4
	s_cselect_b32 s2, s12, s2
	s_wait_alu 0xfffe
	s_add_co_i32 s12, s4, 1
	s_cmp_ge_u32 s2, s11
	s_mul_i32 s14, s14, s3
	s_cselect_b32 s12, s12, s4
	s_sub_co_i32 s2, 0, s10
	s_mul_hi_u32 s7, s6, s9
	s_wait_alu 0xfffe
	s_mul_i32 s4, s2, s5
	v_cmp_eq_u32_e64 s2, 0, v0
	s_wait_alu 0xfffe
	s_mul_hi_u32 s4, s5, s4
	s_mul_hi_u32 s9, s3, s14
	s_wait_alu 0xfffe
	s_add_co_i32 s14, s5, s4
	s_and_saveexec_b32 s4, s2
; %bb.2:
	v_mov_b32_e32 v1, 0
	s_delay_alu instid0(VALU_DEP_1)
	v_mov_b32_e32 v2, v1
	ds_store_b64 v1, v[1:2] offset:4096
; %bb.3:
	s_wait_alu 0xfffe
	s_or_b32 exec_lo, exec_lo, s4
	v_mov_b32_e32 v1, 0
	s_wait_dscnt 0x0
	s_barrier_signal -1
	s_barrier_wait -1
	global_inv scope:SCOPE_SE
	s_wait_loadcnt 0x0
	s_barrier_signal -1
	s_barrier_wait -1
	global_inv scope:SCOPE_SE
	ds_load_b64 v[1:2], v1 offset:4096
	s_add_co_i32 s16, s6, s7
	s_add_co_i32 s18, s3, s9
	s_bitcmp1_b32 s39, 0
	s_mov_b32 s15, s13
	s_cselect_b32 s3, -1, 0
	s_mov_b32 s24, s36
	s_wait_dscnt 0x0
	v_readfirstlane_b32 s4, v1
	v_readfirstlane_b32 s5, v2
	s_wait_alu 0xf1ff
	s_delay_alu instid0(VALU_DEP_1)
	v_cmp_lt_i64_e64 s6, s[4:5], 1
	s_wait_alu 0xfffe
	s_or_b32 s3, s3, s6
	s_wait_alu 0xfffe
	s_and_not1_b32 vcc_lo, exec_lo, s3
	s_cbranch_vccnz .LBB74_5
; %bb.4:
	s_not_b64 s[4:5], s[4:5]
	s_mov_b32 s37, 0
	s_wait_alu 0xfffe
	s_add_nc_u64 s[4:5], s[4:5], s[36:37]
	s_mov_b32 s7, s37
	s_wait_alu 0xfffe
	s_lshr_b32 s6, s5, 31
	s_wait_alu 0xfffe
	s_add_nc_u64 s[4:5], s[4:5], s[6:7]
	s_wait_alu 0xfffe
	s_lshr_b64 s[4:5], s[4:5], 1
	s_wait_alu 0xfffe
	s_add_co_i32 s24, s4, 1
.LBB74_5:
	s_clause 0x2
	s_load_b96 s[4:6], s[0:1], 0x21c
	s_load_b64 s[56:57], s[0:1], 0x0
	s_load_b64 s[20:21], s[0:1], 0x1b0
	s_mov_b32 s53, s13
	s_mov_b32 s17, s13
	s_mul_u64 s[22:23], s[12:13], s[14:15]
	s_mov_b32 s51, s13
	s_mov_b32 s19, s13
	s_add_nc_u64 s[14:15], s[0:1], 0x298
	s_and_saveexec_b32 s3, s2
	s_cbranch_execz .LBB74_7
; %bb.6:
	v_dual_mov_b32 v1, 0 :: v_dual_mov_b32 v2, s36
	ds_store_b32 v1, v1 offset:4112
	ds_store_b64 v1, v[1:2] offset:4104
.LBB74_7:
	s_wait_alu 0xfffe
	s_or_b32 exec_lo, exec_lo, s3
	s_mul_i32 s7, s23, s10
	s_mul_i32 s3, s12, s11
	s_wait_alu 0xfffe
	s_sub_co_i32 s7, s12, s7
	s_sub_co_i32 s3, s33, s3
	s_add_co_i32 s9, s23, 1
	s_wait_alu 0xfffe
	s_sub_co_i32 s11, s7, s10
	s_cmp_ge_u32 s7, s10
	s_wait_loadcnt_dscnt 0x0
	s_cselect_b32 s7, s11, s7
	s_barrier_signal -1
	s_barrier_wait -1
	global_inv scope:SCOPE_SE
	s_load_b32 s11, s[14:15], 0xc
	s_cselect_b32 s9, s9, s23
	s_wait_kmcnt 0x0
	s_mul_i32 s3, s3, s6
	s_wait_alu 0xfffe
	s_add_co_i32 s13, s9, 1
	s_cmp_ge_u32 s7, s10
	v_mul_lo_u32 v15, s38, v0
	s_cselect_b32 s7, s13, s9
	s_load_b96 s[40:42], s[0:1], 0x144
	s_mul_i32 s9, s7, s10
	s_clause 0x1
	s_load_b64 s[54:55], s[0:1], 0xd8
	s_load_b96 s[44:46], s[0:1], 0x6c
	s_sub_co_i32 s9, s12, s9
	s_mul_i32 s7, s7, s4
	s_wait_alu 0xfffe
	s_mul_i32 s5, s9, s5
	s_mov_b32 s63, 0
	s_wait_alu 0xfffe
	s_add_co_i32 s0, s5, s3
	v_mbcnt_lo_u32_b32 v16, -1, 0
	s_add_co_i32 s62, s0, s7
	v_dual_mov_b32 v34, s24 :: v_dual_add_nc_u32 v1, 2, v0
	s_add_nc_u64 s[58:59], s[20:21], s[62:63]
	s_and_b32 s37, s11, 0xffff
	v_add_co_u32 v9, s4, s58, v15
	s_wait_alu 0xfffe
	s_lshl_b32 s39, s37, 2
	v_add_co_ci_u32_e64 v10, null, s59, 0, s4
	s_wait_alu 0xfffe
	s_cvt_f32_u32 s4, s39
	v_cmp_gt_u32_e32 vcc_lo, 32, v0
	v_cmp_gt_i32_e64 s3, 4, v16
	v_max_u32_e32 v3, s36, v1
	v_lshlrev_b64_e64 v[1:2], v16, -1
	s_add_co_i32 s43, s37, -1
	s_wait_alu 0xfffe
	v_rcp_iflag_f32_e32 v4, s4
	s_bfe_u32 s5, s11, 0xb0005
	s_and_b32 s47, vcc_lo, s3
	s_add_co_i32 s10, s43, s36
	s_cmp_gt_u32 s36, 0xc00
	v_not_b32_e32 v19, v1
	v_lshrrev_b32_e32 v1, 1, v0
	s_mul_u64 s[30:31], s[50:51], s[18:19]
	s_cselect_b32 s51, -1, 0
	s_cmp_gt_u32 s37, 31
	s_mul_u64 s[60:61], s[52:53], s[16:17]
	s_cselect_b32 s60, -1, 0
	s_movk_i32 s4, 0x1f0
	s_cmp_lt_u32 ttmp9, s8
	s_wait_alu 0xfffe
	v_and_or_b32 v20, v1, s4, 0xc00
	s_cselect_b32 s62, 12, 18
	s_add_co_i32 s4, s5, -1
	v_readfirstlane_b32 s6, v4
	s_wait_alu 0xfffe
	s_and_b32 s4, s4, 0xffff
	s_bfe_u32 s70, s37, 0x30005
	s_wait_alu 0xfffe
	s_cmp_gt_u32 s4, 6
	v_xad_u32 v2, v0, -1, v3
	s_cselect_b32 s71, -1, 0
	s_and_b32 s72, s5, 0x7f8
	s_mul_f32 s5, s6, 0x4f7ffffe
	s_cvt_f32_u32 s6, s37
	s_cmp_lg_u32 s70, 0
	v_dual_mov_b32 v18, 0 :: v_dual_lshlrev_b32 v17, 2, v0
	s_wait_alu 0xfffe
	s_cvt_u32_f32 s5, s5
	s_cselect_b32 s73, -1, 0
	s_sub_co_i32 s7, 0, s39
	v_rcp_iflag_f32_e32 v4, s6
	s_wait_alu 0xfffe
	s_mul_i32 s7, s7, s5
	v_add_nc_u32_e32 v3, -4, v2
	s_wait_alu 0xfffe
	s_mul_hi_u32 s6, s5, s7
	v_mad_co_u64_u32 v[13:14], null, s38, v17, s[38:39]
	s_wait_alu 0xfffe
	s_add_co_i32 s64, s5, s6
	v_mov_b32_e32 v14, 0
	s_mul_hi_u32 s5, s36, s64
	v_lshrrev_b32_e32 v5, 2, v3
	s_wait_alu 0xfffe
	s_mul_i32 s5, s5, s39
	v_readfirstlane_b32 s6, v4
	s_wait_alu 0xfffe
	s_sub_co_i32 s5, s36, s5
	v_dual_mov_b32 v32, 0 :: v_dual_add_nc_u32 v1, 1, v5
	s_wait_alu 0xfffe
	s_sub_co_i32 s7, s5, s39
	s_cmp_ge_u32 s5, s39
	s_mul_f32 s6, s6, 0x4f7ffffe
	s_wait_alu 0xfffe
	s_cselect_b32 s7, s7, s5
	v_dual_mov_b32 v31, 0 :: v_dual_and_b32 v4, 3, v1
	s_wait_alu 0xfffe
	s_sub_co_i32 s8, s7, s39
	s_cmp_ge_u32 s7, s39
	s_cvt_u32_f32 s9, s6
	s_wait_alu 0xfffe
	s_cselect_b32 s11, s8, s7
	s_sub_co_i32 s6, 0, s37
	s_sub_co_i32 s78, s36, s11
	s_wait_alu 0xfffe
	s_mul_i32 s7, s6, s9
	v_add_nc_u32_e32 v24, s78, v0
	s_wait_alu 0xfffe
	s_mul_hi_u32 s8, s9, s7
	v_and_b32_e32 v23, 0x7ffffffc, v1
	s_wait_alu 0xfffe
	s_add_co_i32 s66, s9, s8
	v_and_b32_e32 v21, -4, v2
	s_mul_hi_u32 s8, s10, s66
	v_mul_lo_u32 v1, v24, s38
	s_wait_alu 0xfffe
	s_mul_i32 s8, s8, s37
	v_cmp_lt_u32_e64 s4, 31, v2
	s_wait_alu 0xfffe
	s_sub_co_i32 s8, s10, s8
	v_cmp_lt_u32_e64 s5, 11, v3
	s_wait_alu 0xfffe
	s_sub_co_i32 s9, s8, s37
	s_cmp_ge_u32 s8, s37
	v_cmp_ne_u32_e64 s7, v2, v21
	s_wait_alu 0xfffe
	s_cselect_b32 s12, s9, s8
	v_or_b32_e32 v2, 2, v17
	s_sub_co_i32 s13, s12, s37
	s_cmp_ge_u32 s12, s37
	v_or_b32_e32 v3, 3, v17
	s_cselect_b32 s12, s13, s12
	v_add_co_u32 v11, s13, s58, v1
	v_add3_u32 v1, s37, s36, v0
	v_mul_lo_u32 v26, s38, v2
	v_mul_lo_u32 v27, s38, v3
	s_sub_co_i32 s79, s10, s12
	v_cmp_gt_u32_e64 s0, s36, v0
	v_subrev_nc_u32_e32 v1, s11, v1
	v_cmp_eq_u32_e64 s1, 0, v16
	v_cmp_gt_u32_e64 s3, 2, v0
	v_dual_mov_b32 v33, 0 :: v_dual_add_nc_u32 v22, v0, v21
	s_delay_alu instid0(VALU_DEP_4)
	v_mul_lo_u32 v29, s38, v1
	v_cmp_ne_u32_e64 s6, 0, v4
	v_cmp_gt_u32_e64 s8, s78, v17
	v_cmp_gt_u32_e64 s9, s36, v24
	v_add_co_ci_u32_e64 v12, null, s59, 0, s13
	s_wait_alu 0xfffe
	v_cmp_gt_u32_e64 s10, s79, v0
	v_lshlrev_b32_e32 v25, 2, v4
	v_lshlrev_b32_e32 v28, 2, v15
	v_lshl_or_b32 v30, v16, 2, 0xc00
	s_mul_i32 s53, s38, s37
	s_mov_b32 s74, s38
	s_mov_b32 s75, s38
	;; [unrolled: 1-line block ×7, first 2 shown]
	s_lshl_b32 s80, s53, 2
	s_add_nc_u64 s[68:69], s[14:15], s[62:63]
	s_mov_b32 s81, 0
                                        ; implicit-def: $sgpr85
                                        ; implicit-def: $sgpr87
                                        ; implicit-def: $sgpr82
                                        ; implicit-def: $sgpr84
                                        ; implicit-def: $sgpr86
                                        ; implicit-def: $sgpr83
	s_branch .LBB74_11
.LBB74_8:                               ;   in Loop: Header=BB74_11 Depth=1
	s_wait_alu 0xfffe
	s_or_b32 exec_lo, exec_lo, s15
	s_delay_alu instid0(SALU_CYCLE_1)
	s_and_b32 s12, s12, exec_lo
	s_and_not1_b32 s17, s17, exec_lo
	s_and_not1_b32 s16, s16, exec_lo
	s_or_not1_b32 s14, s14, exec_lo
.LBB74_9:                               ;   in Loop: Header=BB74_11 Depth=1
	s_wait_alu 0xfffe
	s_or_b32 exec_lo, exec_lo, s11
	s_delay_alu instid0(SALU_CYCLE_1)
	s_and_not1_b32 s11, s83, exec_lo
	s_and_b32 s12, s12, exec_lo
	s_and_not1_b32 s15, s84, exec_lo
	s_wait_alu 0xfffe
	s_or_b32 s83, s11, s12
	s_and_not1_b32 s11, s86, exec_lo
	s_and_b32 s12, s17, exec_lo
	s_and_b32 s16, s16, exec_lo
	s_wait_alu 0xfffe
	s_or_b32 s86, s11, s12
	s_or_b32 s84, s15, s16
	s_or_not1_b32 s15, s14, exec_lo
.LBB74_10:                              ;   in Loop: Header=BB74_11 Depth=1
	s_wait_alu 0xfffe
	s_or_b32 exec_lo, exec_lo, s13
	s_delay_alu instid0(SALU_CYCLE_1)
	s_and_b32 s11, exec_lo, s15
	v_mov_b32_e32 v34, v2
	s_wait_alu 0xfffe
	s_or_b32 s81, s11, s81
	s_and_not1_b32 s11, s82, exec_lo
	s_and_b32 s12, s83, exec_lo
	s_and_not1_b32 s13, s87, exec_lo
	s_wait_alu 0xfffe
	s_or_b32 s82, s11, s12
	s_and_b32 s11, s86, exec_lo
	s_and_not1_b32 s12, s85, exec_lo
	s_and_b32 s14, s84, exec_lo
	s_wait_alu 0xfffe
	s_or_b32 s87, s13, s11
	s_or_b32 s85, s12, s14
	s_mov_b32 s88, s22
	s_and_not1_b32 exec_lo, exec_lo, s81
	s_cbranch_execz .LBB74_246
.LBB74_11:                              ; =>This Loop Header: Depth=1
                                        ;     Child Loop BB74_16 Depth 2
                                        ;     Child Loop BB74_37 Depth 2
	;; [unrolled: 1-line block ×18, first 2 shown]
	ds_load_b64 v[1:2], v18 offset:4104
	s_wait_dscnt 0x0
	v_readfirstlane_b32 s62, v1
	s_cmp_lg_u32 s62, 0
	s_cbranch_scc1 .LBB74_56
; %bb.12:                               ;   in Loop: Header=BB74_11 Depth=1
	s_and_b32 vcc_lo, exec_lo, s51
	s_wait_alu 0xfffe
	s_cbranch_vccz .LBB74_24
; %bb.13:                               ;   in Loop: Header=BB74_11 Depth=1
	v_cmp_gt_u32_e32 vcc_lo, 0xc01, v2
	s_mov_b32 s13, 0
	s_mov_b32 s11, 0
	s_cbranch_vccz .LBB74_25
; %bb.14:                               ;   in Loop: Header=BB74_11 Depth=1
	global_load_u8 v2, v[9:10], off
	s_load_u16 s14, s[68:69], 0x0
	v_mov_b32_e32 v3, v0
	s_mov_b32 s15, 0
	s_wait_kmcnt 0x0
	v_add_nc_u32_e32 v1, s14, v0
	s_mul_i32 s16, s38, s14
	s_delay_alu instid0(VALU_DEP_1)
	v_mul_lo_u32 v1, s38, v1
	s_branch .LBB74_16
.LBB74_15:                              ;   in Loop: Header=BB74_16 Depth=2
	s_wait_alu 0xfffe
	s_or_b32 exec_lo, exec_lo, s12
	v_dual_mov_b32 v2, v4 :: v_dual_add_nc_u32 v1, s16, v1
	s_and_not1_b32 exec_lo, exec_lo, s15
	s_cbranch_execz .LBB74_31
.LBB74_16:                              ;   Parent Loop BB74_11 Depth=1
                                        ; =>  This Inner Loop Header: Depth=2
	v_dual_mov_b32 v4, 0 :: v_dual_add_nc_u32 v3, s14, v3
	s_wait_dscnt 0x0
	v_mov_b32_e32 v5, 0
	s_mov_b32 s12, exec_lo
	s_delay_alu instid0(VALU_DEP_2)
	v_cmp_le_u32_e32 vcc_lo, s36, v3
	v_cmpx_gt_u32_e64 s36, v3
	s_cbranch_execz .LBB74_18
; %bb.17:                               ;   in Loop: Header=BB74_16 Depth=2
	global_load_u8 v4, v1, s[58:59]
.LBB74_18:                              ;   in Loop: Header=BB74_16 Depth=2
	s_wait_alu 0xfffe
	s_or_b32 exec_lo, exec_lo, s12
	s_wait_loadcnt 0x0
	v_and_b32_e32 v6, v2, v32
	s_delay_alu instid0(VALU_DEP_1) | instskip(NEXT) | instid1(VALU_DEP_1)
	v_and_b32_e32 v6, 0xff, v6
	v_cmp_eq_u32_e64 s11, v6, v14
	s_cmp_lg_u32 s11, 0
	s_cselect_b32 s12, -1, 0
	s_wait_alu 0xfffe
	s_and_b32 s12, s1, s12
	s_wait_alu 0xfffe
	s_and_saveexec_b32 s17, s12
	s_cbranch_execz .LBB74_22
; %bb.19:                               ;   in Loop: Header=BB74_16 Depth=2
	s_mov_b32 s20, exec_lo
	s_bcnt1_i32_b32 s18, s11
	s_wait_alu 0xfffe
	v_mbcnt_lo_u32_b32 v5, s20, 0
	s_mov_b32 s19, exec_lo
                                        ; implicit-def: $vgpr6
	s_delay_alu instid0(VALU_DEP_1)
	v_cmpx_eq_u32_e32 0, v5
; %bb.20:                               ;   in Loop: Header=BB74_16 Depth=2
	s_bcnt1_i32_b32 s12, s20
	s_wait_alu 0xfffe
	s_mul_i32 s12, s18, s12
	s_wait_alu 0xfffe
	v_mov_b32_e32 v6, s12
	ds_add_rtn_u32 v6, v18, v6 offset:4112
; %bb.21:                               ;   in Loop: Header=BB74_16 Depth=2
	s_or_b32 exec_lo, exec_lo, s19
	s_wait_dscnt 0x0
	v_readfirstlane_b32 s12, v6
	s_wait_alu 0xf1ff
	s_delay_alu instid0(VALU_DEP_1)
	v_mad_u32_u24 v5, s18, v5, s12
.LBB74_22:                              ;   in Loop: Header=BB74_16 Depth=2
	s_wait_alu 0xfffe
	s_or_b32 exec_lo, exec_lo, s17
	ds_bpermute_b32 v5, v18, v5
	s_and_b32 s12, exec_lo, vcc_lo
	s_wait_alu 0xfffe
	s_or_b32 s15, s12, s15
	s_and_saveexec_b32 s12, s11
	s_cbranch_execz .LBB74_15
; %bb.23:                               ;   in Loop: Header=BB74_16 Depth=2
	v_and_b32_e32 v6, s11, v19
	s_wait_dscnt 0x0
	s_delay_alu instid0(VALU_DEP_1)
	v_bcnt_u32_b32 v5, v6, v5
	ds_store_b8 v5, v2
	s_branch .LBB74_15
.LBB74_24:                              ;   in Loop: Header=BB74_11 Depth=1
	s_mov_b32 s13, -1
	s_mov_b32 s11, 0
.LBB74_25:                              ;   in Loop: Header=BB74_11 Depth=1
	s_wait_alu 0xfffe
	s_and_b32 vcc_lo, exec_lo, s13
	s_wait_alu 0xfffe
	s_cbranch_vccz .LBB74_54
.LBB74_26:                              ;   in Loop: Header=BB74_11 Depth=1
	s_and_saveexec_b32 s12, s0
	s_cbranch_execz .LBB74_51
; %bb.27:                               ;   in Loop: Header=BB74_11 Depth=1
	global_load_u8 v35, v[9:10], off
	s_load_u16 s14, s[68:69], 0x0
	s_mov_b32 s13, exec_lo
	s_wait_kmcnt 0x0
	v_dual_mov_b32 v2, v0 :: v_dual_add_nc_u32 v1, s14, v0
	s_delay_alu instid0(VALU_DEP_1)
	v_cmpx_gt_u32_e64 s36, v1
	s_cbranch_execz .LBB74_50
; %bb.28:                               ;   in Loop: Header=BB74_11 Depth=1
	s_mov_b32 s11, 0
	s_mul_i32 s15, s38, s14
                                        ; implicit-def: $vgpr2
                                        ; implicit-def: $vgpr5
                                        ; implicit-def: $vgpr3
                                        ; implicit-def: $vgpr4
	s_and_saveexec_b32 s16, s4
	s_wait_alu 0xfffe
	s_xor_b32 s16, exec_lo, s16
	s_cbranch_execnz .LBB74_34
; %bb.29:                               ;   in Loop: Header=BB74_11 Depth=1
	s_wait_alu 0xfffe
	s_and_not1_saveexec_b32 s16, s16
	s_cbranch_execnz .LBB74_45
.LBB74_30:                              ;   in Loop: Header=BB74_11 Depth=1
	s_wait_alu 0xfffe
	s_or_b32 exec_lo, exec_lo, s16
	s_and_saveexec_b32 s15, s11
	s_cbranch_execnz .LBB74_46
	s_branch .LBB74_49
.LBB74_31:                              ;   in Loop: Header=BB74_11 Depth=1
	s_or_b32 exec_lo, exec_lo, s15
	s_wait_dscnt 0x0
	s_barrier_signal -1
	s_barrier_wait -1
	global_inv scope:SCOPE_SE
	s_and_saveexec_b32 s11, s2
	s_cbranch_execz .LBB74_33
; %bb.32:                               ;   in Loop: Header=BB74_11 Depth=1
	ds_load_b32 v1, v18 offset:4112
	s_wait_dscnt 0x0
	ds_store_b32 v18, v1 offset:4104
.LBB74_33:                              ;   in Loop: Header=BB74_11 Depth=1
	s_wait_alu 0xfffe
	s_or_b32 exec_lo, exec_lo, s11
	s_wait_loadcnt_dscnt 0x0
	s_barrier_signal -1
	s_mov_b32 s11, -1
	s_barrier_wait -1
	s_and_b32 vcc_lo, exec_lo, s13
	s_wait_alu 0xfffe
	s_cbranch_vccnz .LBB74_26
	s_branch .LBB74_54
.LBB74_34:                              ;   in Loop: Header=BB74_11 Depth=1
	v_add_nc_u32_e32 v2, s14, v1
	s_cvt_f32_u32 s11, s14
	s_wait_alu 0xfffe
	s_delay_alu instid0(SALU_CYCLE_2) | instskip(NEXT) | instid1(VALU_DEP_1)
	v_rcp_iflag_f32_e32 v3, s11
	v_max_u32_e32 v2, s36, v2
	s_lshl_b32 s11, s14, 1
	s_delay_alu instid0(VALU_DEP_1) | instskip(NEXT) | instid1(TRANS32_DEP_1)
	v_sub_nc_u32_e32 v2, v2, v0
	v_readfirstlane_b32 s17, v3
	s_wait_alu 0xfffe
	s_delay_alu instid0(VALU_DEP_2) | instskip(SKIP_3) | instid1(VALU_DEP_1)
	v_cmp_ne_u32_e32 vcc_lo, s11, v2
	s_mul_f32 s17, s17, 0x4f7ffffe
	s_wait_alu 0xfffd
	v_cndmask_b32_e64 v3, 0, 1, vcc_lo
	v_or_b32_e32 v3, s11, v3
	s_wait_alu 0xfffe
	s_cvt_u32_f32 s11, s17
	s_sub_co_i32 s17, 0, s14
	s_wait_alu 0xfffe
	s_delay_alu instid0(SALU_CYCLE_1)
	s_mul_i32 s17, s17, s11
	v_sub_nc_u32_e32 v2, v2, v3
	s_wait_alu 0xfffe
	s_mul_hi_u32 s17, s11, s17
	s_wait_alu 0xfffe
	s_add_co_i32 s11, s11, s17
	s_not_b32 s17, s15
	s_wait_alu 0xfffe
	v_mul_hi_u32 v3, v2, s11
	s_delay_alu instid0(VALU_DEP_1) | instskip(NEXT) | instid1(VALU_DEP_1)
	v_mul_lo_u32 v4, v3, s14
	v_sub_nc_u32_e32 v2, v2, v4
	v_add_nc_u32_e32 v4, 1, v3
	s_delay_alu instid0(VALU_DEP_2) | instskip(SKIP_2) | instid1(VALU_DEP_1)
	v_subrev_nc_u32_e32 v5, s14, v2
	v_cmp_le_u32_e64 s11, s14, v2
	s_wait_alu 0xf1ff
	v_cndmask_b32_e64 v3, v3, v4, s11
	s_delay_alu instid0(VALU_DEP_3) | instskip(NEXT) | instid1(VALU_DEP_2)
	v_cndmask_b32_e64 v2, v2, v5, s11
	v_add_nc_u32_e32 v4, 1, v3
	s_delay_alu instid0(VALU_DEP_2) | instskip(SKIP_1) | instid1(VALU_DEP_1)
	v_cmp_le_u32_e64 s11, s14, v2
	s_wait_alu 0xf1ff
	v_cndmask_b32_e64 v2, v3, v4, s11
	v_mul_lo_u32 v3, s38, v1
	s_abs_i32 s11, s15
	s_delay_alu instid0(VALU_DEP_2) | instskip(SKIP_1) | instid1(VALU_DEP_1)
	v_add_co_ci_u32_e64 v2, null, 0, v2, vcc_lo
	s_wait_alu 0xfffe
	v_mul_hi_u32 v4, s11, v2
	v_mul_lo_u32 v2, s11, v2
	s_ashr_i32 s11, s17, 31
	s_cmp_eq_u32 s14, 1
	s_wait_alu 0xfffe
	v_xor_b32_e32 v3, s11, v3
	s_cselect_b32 s17, -1, 0
	s_delay_alu instid0(VALU_DEP_3) | instskip(NEXT) | instid1(VALU_DEP_2)
	v_cmp_eq_u32_e32 vcc_lo, 0, v4
	v_cmp_le_u32_e64 s11, v2, v3
	v_mov_b32_e32 v3, v0
                                        ; implicit-def: $vgpr2
	s_wait_alu 0xfffe
	s_and_b32 s17, vcc_lo, s17
	s_wait_alu 0xfffe
	s_and_b32 s18, s17, s11
	s_mov_b32 s17, -1
	s_wait_alu 0xfffe
	s_and_saveexec_b32 s11, s18
	s_cbranch_execz .LBB74_44
; %bb.35:                               ;   in Loop: Header=BB74_11 Depth=1
	v_add_nc_u32_e32 v4, 3, v1
	v_dual_mov_b32 v38, 0 :: v_dual_add_nc_u32 v3, 2, v1
	v_add_nc_u32_e32 v2, 1, v1
	s_wait_loadcnt 0x0
	v_lshlrev_b32_e32 v36, 24, v35
	v_dual_mov_b32 v8, v4 :: v_dual_mov_b32 v5, v1
	s_delay_alu instid0(VALU_DEP_3)
	v_dual_mov_b32 v7, v3 :: v_dual_mov_b32 v6, v2
                                        ; implicit-def: $vgpr35
	s_and_saveexec_b32 s17, s5
	s_cbranch_execz .LBB74_39
; %bb.36:                               ;   in Loop: Header=BB74_11 Depth=1
	v_dual_mov_b32 v37, v23 :: v_dual_mov_b32 v8, v4
	v_dual_mov_b32 v7, v3 :: v_dual_mov_b32 v6, v2
	v_mov_b32_e32 v5, v1
	s_mov_b32 s18, 0
	s_mov_b32 s19, 0
.LBB74_37:                              ;   Parent Loop BB74_11 Depth=1
                                        ; =>  This Inner Loop Header: Depth=2
	s_delay_alu instid0(VALU_DEP_1)
	v_mul_lo_u32 v2, v5, s74
	v_mul_lo_u32 v38, v6, s75
	v_add_nc_u32_e32 v3, 4, v5
	v_mul_lo_u32 v35, v7, s76
	v_add_nc_u32_e32 v39, 4, v6
	;; [unrolled: 2-line block ×3, first 2 shown]
	v_mul_lo_u32 v53, v3, s74
	v_add_co_u32 v2, s20, s58, v2
	v_add_nc_u32_e32 v41, 4, v8
	v_add_nc_u32_e32 v42, 8, v5
	v_mul_lo_u32 v52, v39, s75
	s_wait_alu 0xf1ff
	v_add_co_ci_u32_e64 v3, null, s59, 0, s20
	v_add_co_u32 v38, s20, s58, v38
	v_add_nc_u32_e32 v43, 8, v6
	v_add_nc_u32_e32 v44, 8, v7
	v_mul_lo_u32 v51, v40, s76
	s_wait_alu 0xf1ff
	v_add_co_ci_u32_e64 v39, null, s59, 0, s20
	v_add_co_u32 v40, s20, s58, v35
	v_add_nc_u32_e32 v45, 8, v8
	v_add_nc_u32_e32 v46, 12, v5
	v_mul_lo_u32 v50, v41, s77
	v_mul_lo_u32 v55, v42, s74
	s_wait_alu 0xf1ff
	v_add_co_ci_u32_e64 v41, null, s59, 0, s20
	v_add_co_u32 v42, s20, s58, v4
	v_add_nc_u32_e32 v47, 12, v6
	v_add_nc_u32_e32 v48, 12, v7
	v_mul_lo_u32 v56, v44, s76
	v_mul_lo_u32 v54, v43, s75
	s_wait_alu 0xf1ff
	v_add_co_ci_u32_e64 v43, null, s59, 0, s20
	v_add_co_u32 v44, s20, s58, v53
	v_add_nc_u32_e32 v49, 12, v8
	v_mul_lo_u32 v58, v45, s77
	v_mul_lo_u32 v60, v46, s74
	s_wait_alu 0xf1ff
	v_add_co_ci_u32_e64 v45, null, s59, 0, s20
	v_add_co_u32 v46, s20, s58, v52
	v_mul_lo_u32 v64, v48, s76
	v_mul_lo_u32 v62, v47, s75
	s_wait_alu 0xf1ff
	v_add_co_ci_u32_e64 v47, null, s59, 0, s20
	v_add_co_u32 v48, s20, s58, v51
	v_mul_lo_u32 v66, v49, s77
	s_wait_alu 0xf1ff
	v_add_co_ci_u32_e64 v49, null, s59, 0, s20
	v_add_co_u32 v50, s20, s58, v50
	s_wait_alu 0xf1ff
	v_add_co_ci_u32_e64 v51, null, s59, 0, s20
	v_add_co_u32 v52, s20, s58, v55
	;; [unrolled: 3-line block ×9, first 2 shown]
	s_wait_alu 0xf1ff
	v_add_co_ci_u32_e64 v67, null, s59, 0, s20
	s_clause 0xf
	global_load_u8 v4, v[40:41], off
	global_load_u8 v40, v[42:43], off
	;; [unrolled: 1-line block ×16, first 2 shown]
	v_add_nc_u32_e32 v37, -4, v37
	s_wait_alu 0xfffe
	v_add_nc_u32_e32 v51, s19, v0
	s_add_co_i32 s19, s19, 16
	v_add_nc_u32_e32 v8, 16, v8
	v_add_nc_u32_e32 v7, 16, v7
	v_cmp_eq_u32_e32 vcc_lo, 0, v37
	v_add_nc_u32_e32 v6, 16, v6
	s_wait_alu 0xfffe
	v_dual_mov_b32 v38, s19 :: v_dual_add_nc_u32 v5, 16, v5
	s_or_b32 s18, vcc_lo, s18
	s_wait_loadcnt 0x9
	v_perm_b32 v4, v39, v4, 0xc0c0004
	s_wait_loadcnt 0x8
	v_perm_b32 v2, v36, v2, 0xc0c0007
	v_perm_b32 v36, v40, v41, 0xc0c0004
	;; [unrolled: 1-line block ×3, first 2 shown]
	s_wait_loadcnt 0x7
	v_perm_b32 v3, v43, v3, 0xc0c0004
	s_wait_loadcnt 0x4
	v_perm_b32 v41, v47, v45, 0xc0c0004
	v_lshl_or_b32 v39, v4, 16, v2
	s_wait_loadcnt 0x2
	v_perm_b32 v44, v48, v49, 0xc0c0004
	s_wait_loadcnt 0x1
	v_perm_b32 v43, v50, v48, 0xc0c0004
	v_perm_b32 v42, v46, v50, 0xc0c0004
	s_wait_loadcnt 0x0
	v_perm_b32 v45, v49, v35, 0xc0c0004
	v_lshl_or_b32 v40, v40, 16, v36
	v_lshl_or_b32 v41, v41, 16, v3
	;; [unrolled: 1-line block ×3, first 2 shown]
	s_delay_alu instid0(VALU_DEP_4)
	v_lshl_or_b32 v36, v45, 16, v43
	ds_store_b128 v51, v[39:42]
	s_wait_alu 0xfffe
	s_and_not1_b32 exec_lo, exec_lo, s18
	s_cbranch_execnz .LBB74_37
; %bb.38:                               ;   in Loop: Header=BB74_11 Depth=1
	s_or_b32 exec_lo, exec_lo, s18
.LBB74_39:                              ;   in Loop: Header=BB74_11 Depth=1
	s_wait_alu 0xfffe
	s_or_b32 exec_lo, exec_lo, s17
	s_and_saveexec_b32 s17, s6
	s_cbranch_execz .LBB74_43
; %bb.40:                               ;   in Loop: Header=BB74_11 Depth=1
	v_dual_mov_b32 v3, v25 :: v_dual_add_nc_u32 v2, v0, v38
	s_mov_b32 s18, 0
.LBB74_41:                              ;   Parent Loop BB74_11 Depth=1
                                        ; =>  This Inner Loop Header: Depth=2
	v_mul_lo_u32 v4, v5, s74
	v_mul_lo_u32 v35, v6, s75
	v_mul_lo_u32 v41, v7, s76
	v_mul_lo_u32 v43, v8, s77
	v_add_nc_u32_e32 v3, -4, v3
	v_add_nc_u32_e32 v8, 4, v8
	v_add_nc_u32_e32 v6, 4, v6
	;; [unrolled: 1-line block ×3, first 2 shown]
	v_add_co_u32 v37, s19, s58, v4
	s_wait_alu 0xf1ff
	v_add_co_ci_u32_e64 v38, null, s59, 0, s19
	v_add_co_u32 v39, s19, s58, v35
	s_wait_alu 0xf1ff
	v_add_co_ci_u32_e64 v40, null, s59, 0, s19
	;; [unrolled: 3-line block ×4, first 2 shown]
	s_clause 0x3
	global_load_u8 v4, v[39:40], off
	global_load_u8 v39, v[41:42], off
	;; [unrolled: 1-line block ×4, first 2 shown]
	v_cmp_eq_u32_e32 vcc_lo, 0, v3
	s_wait_alu 0xfffe
	s_or_b32 s18, vcc_lo, s18
	s_wait_loadcnt 0x2
	v_perm_b32 v38, v4, v39, 0xc0c0004
	s_wait_loadcnt 0x1
	v_perm_b32 v36, v36, v37, 0xc0c0007
	v_perm_b32 v4, v37, v4, 0xc0c0004
	s_wait_loadcnt 0x0
	v_perm_b32 v37, v39, v35, 0xc0c0004
	s_delay_alu instid0(VALU_DEP_3) | instskip(NEXT) | instid1(VALU_DEP_2)
	v_lshl_or_b32 v36, v38, 16, v36
	v_lshl_or_b32 v4, v37, 16, v4
	v_add_nc_u32_e32 v7, 4, v7
	ds_store_b32 v2, v36
	v_add_nc_u32_e32 v2, 4, v2
	v_mov_b32_e32 v36, v4
	s_wait_alu 0xfffe
	s_and_not1_b32 exec_lo, exec_lo, s18
	s_cbranch_execnz .LBB74_41
; %bb.42:                               ;   in Loop: Header=BB74_11 Depth=1
	s_or_b32 exec_lo, exec_lo, s18
.LBB74_43:                              ;   in Loop: Header=BB74_11 Depth=1
	s_wait_alu 0xfffe
	s_or_b32 exec_lo, exec_lo, s17
	v_add_nc_u32_e32 v1, v1, v21
	s_or_not1_b32 s17, s7, exec_lo
	s_delay_alu instid0(VALU_DEP_1)
	v_dual_mov_b32 v3, v22 :: v_dual_add_nc_u32 v2, -1, v1
.LBB74_44:                              ;   in Loop: Header=BB74_11 Depth=1
	s_wait_alu 0xfffe
	s_or_b32 exec_lo, exec_lo, s11
	s_wait_loadcnt 0x0
	v_dual_mov_b32 v4, s15 :: v_dual_mov_b32 v5, v35
	s_and_b32 s11, s17, exec_lo
	s_and_not1_saveexec_b32 s16, s16
	s_cbranch_execz .LBB74_30
.LBB74_45:                              ;   in Loop: Header=BB74_11 Depth=1
	s_wait_loadcnt 0x0
	s_wait_alu 0xfffe
	v_dual_mov_b32 v4, s15 :: v_dual_mov_b32 v5, v35
	v_mov_b32_e32 v3, v0
	s_or_b32 s11, s11, exec_lo
	s_or_b32 exec_lo, exec_lo, s16
	s_wait_alu 0xfffe
	s_and_saveexec_b32 s15, s11
	s_cbranch_execz .LBB74_49
.LBB74_46:                              ;   in Loop: Header=BB74_11 Depth=1
	v_mul_lo_u32 v2, s38, v1
	s_mov_b32 s16, 0
	s_sub_co_i32 s11, 0, s14
.LBB74_47:                              ;   Parent Loop BB74_11 Depth=1
                                        ; =>  This Inner Loop Header: Depth=2
	s_wait_loadcnt 0x0
	global_load_u8 v35, v2, s[58:59]
	v_mov_b32_e32 v6, v1
	ds_store_b8 v3, v5
	s_wait_loadcnt 0x0
	v_dual_mov_b32 v5, v35 :: v_dual_add_nc_u32 v2, v2, v4
	v_add_nc_u32_e32 v1, s14, v6
	v_mov_b32_e32 v3, v6
	s_delay_alu instid0(VALU_DEP_2)
	v_cmp_le_u32_e32 vcc_lo, s36, v1
	s_wait_alu 0xfffe
	s_or_b32 s16, vcc_lo, s16
	s_wait_alu 0xfffe
	s_and_not1_b32 exec_lo, exec_lo, s16
	s_cbranch_execnz .LBB74_47
; %bb.48:                               ;   in Loop: Header=BB74_11 Depth=1
	s_or_b32 exec_lo, exec_lo, s16
	v_add_nc_u32_e32 v2, s11, v1
.LBB74_49:                              ;   in Loop: Header=BB74_11 Depth=1
	s_wait_alu 0xfffe
	s_or_b32 exec_lo, exec_lo, s15
.LBB74_50:                              ;   in Loop: Header=BB74_11 Depth=1
	s_wait_alu 0xfffe
	s_or_b32 exec_lo, exec_lo, s13
	s_wait_loadcnt 0x0
	ds_store_b8 v2, v35
.LBB74_51:                              ;   in Loop: Header=BB74_11 Depth=1
	s_wait_alu 0xfffe
	s_or_b32 exec_lo, exec_lo, s12
	s_wait_loadcnt_dscnt 0x0
	s_barrier_signal -1
	s_barrier_wait -1
	global_inv scope:SCOPE_SE
	s_and_saveexec_b32 s11, s2
; %bb.52:                               ;   in Loop: Header=BB74_11 Depth=1
	v_mov_b32_e32 v1, s36
	ds_store_b32 v18, v1 offset:4104
; %bb.53:                               ;   in Loop: Header=BB74_11 Depth=1
	s_wait_alu 0xfffe
	s_or_b32 exec_lo, exec_lo, s11
	s_mov_b32 s11, -1
	s_wait_loadcnt_dscnt 0x0
	s_barrier_signal -1
	s_barrier_wait -1
.LBB74_54:                              ;   in Loop: Header=BB74_11 Depth=1
	s_wait_alu 0xfffe
	s_and_b32 vcc_lo, exec_lo, s11
	s_mov_b32 s62, 0
	s_wait_alu 0xfffe
	s_cbranch_vccz .LBB74_56
; %bb.55:                               ;   in Loop: Header=BB74_11 Depth=1
	s_wait_loadcnt 0x0
	global_inv scope:SCOPE_SE
	ds_load_b32 v1, v18 offset:4104
	s_wait_dscnt 0x0
	v_readfirstlane_b32 s62, v1
.LBB74_56:                              ;   in Loop: Header=BB74_11 Depth=1
	s_delay_alu instid0(VALU_DEP_1)
	s_cmp_lt_i32 s62, 1
	s_mov_b32 s11, -1
                                        ; implicit-def: $vgpr4
	s_cbranch_scc1 .LBB74_66
; %bb.57:                               ;   in Loop: Header=BB74_11 Depth=1
	s_wait_alu 0xfffe
	s_and_b32 vcc_lo, exec_lo, s11
	s_wait_alu 0xfffe
	s_cbranch_vccnz .LBB74_77
.LBB74_58:                              ;   in Loop: Header=BB74_11 Depth=1
	v_lshlrev_b32_e32 v5, 7, v31
	s_and_saveexec_b32 s11, s1
.LBB74_59:                              ;   in Loop: Header=BB74_11 Depth=1
	s_delay_alu instid0(VALU_DEP_1)
	v_lshl_add_u32 v6, v5, 2, v20
	ds_store_b128 v6, v[1:4]
.LBB74_60:                              ;   in Loop: Header=BB74_11 Depth=1
	s_wait_alu 0xfffe
	s_or_b32 exec_lo, exec_lo, s11
	s_wait_loadcnt_dscnt 0x0
	s_barrier_signal -1
	s_barrier_wait -1
	global_inv scope:SCOPE_SE
	s_and_saveexec_b32 s11, s47
	s_cbranch_execz .LBB74_90
; %bb.61:                               ;   in Loop: Header=BB74_11 Depth=1
	v_mov_b32_e32 v1, 0
	s_and_not1_b32 vcc_lo, exec_lo, s60
	s_wait_alu 0xfffe
	s_cbranch_vccnz .LBB74_89
; %bb.62:                               ;   in Loop: Header=BB74_11 Depth=1
	s_and_not1_b32 vcc_lo, exec_lo, s71
	s_wait_alu 0xfffe
	s_cbranch_vccnz .LBB74_86
; %bb.63:                               ;   in Loop: Header=BB74_11 Depth=1
	v_lshl_add_u32 v2, v31, 9, v30
	v_mov_b32_e32 v1, 0
	s_mov_b32 s12, 0
.LBB74_64:                              ;   Parent Loop BB74_11 Depth=1
                                        ; =>  This Inner Loop Header: Depth=2
	ds_load_2addr_b32 v[3:4], v2 offset1:4
	ds_load_2addr_b32 v[6:7], v2 offset0:8 offset1:12
	ds_load_2addr_b32 v[35:36], v2 offset0:16 offset1:20
	;; [unrolled: 1-line block ×3, first 2 shown]
	v_add_nc_u32_e32 v2, 0x80, v2
	s_wait_alu 0xfffe
	s_add_co_i32 s12, s12, 8
	s_wait_alu 0xfffe
	s_cmp_eq_u32 s72, s12
	s_wait_dscnt 0x3
	v_add3_u32 v1, v3, v1, v4
	s_wait_dscnt 0x2
	s_delay_alu instid0(VALU_DEP_1) | instskip(SKIP_1) | instid1(VALU_DEP_1)
	v_add3_u32 v1, v6, v1, v7
	s_wait_dscnt 0x1
	v_add3_u32 v1, v35, v1, v36
	s_wait_dscnt 0x0
	s_delay_alu instid0(VALU_DEP_1)
	v_add3_u32 v1, v37, v1, v38
	s_cbranch_scc0 .LBB74_64
; %bb.65:                               ;   in Loop: Header=BB74_11 Depth=1
	s_mov_b32 s12, s72
	s_and_not1_b32 vcc_lo, exec_lo, s73
	s_wait_alu 0xfffe
	s_cbranch_vccz .LBB74_87
	s_branch .LBB74_89
.LBB74_66:                              ;   in Loop: Header=BB74_11 Depth=1
	v_dual_mov_b32 v1, 0 :: v_dual_mov_b32 v2, 0
	v_dual_mov_b32 v3, 0 :: v_dual_mov_b32 v4, 0
	s_and_saveexec_b32 s89, s8
	s_cbranch_execz .LBB74_70
; %bb.67:                               ;   in Loop: Header=BB74_11 Depth=1
	v_mov_b32_e32 v5, v17
	s_mov_b32 s90, 0
	s_mov_b32 s91, 0
	;; [unrolled: 1-line block ×6, first 2 shown]
.LBB74_68:                              ;   Parent Loop BB74_11 Depth=1
                                        ; =>  This Inner Loop Header: Depth=2
	s_wait_alu 0xfffe
	v_add_nc_u32_e32 v1, s91, v28
	v_add_nc_u32_e32 v2, s91, v13
	;; [unrolled: 1-line block ×5, first 2 shown]
	s_clause 0x3
	global_load_u8 v1, v1, s[58:59]
	global_load_u8 v2, v2, s[58:59]
	;; [unrolled: 1-line block ×4, first 2 shown]
	s_add_co_i32 s91, s91, s80
	v_cmp_le_u32_e32 vcc_lo, s78, v5
	s_wait_loadcnt 0x3
	v_and_b32_e32 v6, v32, v1
	v_bfe_u32 v1, v1, s88, 2
	s_wait_loadcnt 0x2
	v_and_b32_e32 v7, v32, v2
	v_bfe_u32 v2, v2, s88, 2
	;; [unrolled: 3-line block ×3, first 2 shown]
	v_cmp_eq_u32_e64 s11, v6, v14
	v_cmp_eq_u32_e64 s15, 0, v1
	s_wait_loadcnt 0x0
	v_and_b32_e32 v35, v32, v4
	v_bfe_u32 v4, v4, s88, 2
	v_cmp_eq_u32_e64 s12, v7, v14
	v_cmp_eq_u32_e64 s16, 0, v2
	;; [unrolled: 1-line block ×4, first 2 shown]
	s_and_b32 s15, s11, s15
	v_cmp_eq_u32_e64 s14, v35, v14
	v_cmp_eq_u32_e64 s18, 0, v4
	;; [unrolled: 1-line block ×5, first 2 shown]
	s_wait_alu 0xfffe
	v_cndmask_b32_e64 v1, 0, 1, s15
	s_and_b32 s15, s12, s16
	v_cmp_eq_u32_e64 s20, 1, v2
	v_cmp_eq_u32_e64 s24, 2, v2
	v_cmp_eq_u32_e64 s28, 3, v2
	s_wait_alu 0xfffe
	v_cndmask_b32_e64 v2, 0, 1, s15
	s_and_b32 s15, s13, s17
	v_cmp_eq_u32_e64 s21, 1, v3
	v_cmp_eq_u32_e64 s25, 2, v3
	v_cmp_eq_u32_e64 s29, 3, v3
	;; [unrolled: 6-line block ×3, first 2 shown]
	s_wait_alu 0xfffe
	v_cndmask_b32_e64 v4, 0, 1, s15
	s_and_b32 s15, s11, s19
	s_wait_alu 0xfffe
	v_cndmask_b32_e64 v6, 0, 1, s15
	s_and_b32 s15, s12, s20
	s_wait_alu 0xfffe
	v_cndmask_b32_e64 v7, 0, 1, s15
	s_and_b32 s15, s13, s21
	s_wait_alu 0xfffe
	v_cndmask_b32_e64 v8, 0, 1, s15
	s_and_b32 s15, s14, s22
	v_cmp_ne_u32_e64 s16, 0, v7
	s_wait_alu 0xfffe
	v_cndmask_b32_e64 v35, 0, 1, s15
	s_and_b32 s15, s11, s23
	s_and_b32 s11, s11, s27
	s_wait_alu 0xfffe
	v_cndmask_b32_e64 v36, 0, 1, s15
	s_and_b32 s15, s12, s24
	v_cndmask_b32_e64 v40, 0, 1, s11
	s_and_b32 s11, s12, s28
	s_wait_alu 0xfffe
	v_cndmask_b32_e64 v37, 0, 1, s15
	s_and_b32 s15, s13, s25
	v_cndmask_b32_e64 v41, 0, 1, s11
	;; [unrolled: 5-line block ×3, first 2 shown]
	s_and_b32 s11, s14, s30
	s_wait_alu 0xfffe
	v_cndmask_b32_e64 v39, 0, 1, s15
	v_cndmask_b32_e64 v43, 0, 1, s11
	v_cmp_ne_u32_e64 s11, 0, v1
	v_cmp_ne_u32_e64 s15, 0, v6
	;; [unrolled: 1-line block ×11, first 2 shown]
	s_bcnt1_i32_b32 s11, s11
	s_bcnt1_i32_b32 s15, s15
	;; [unrolled: 1-line block ×4, first 2 shown]
	v_cmp_ne_u32_e64 s14, 0, v4
	v_cmp_ne_u32_e64 s18, 0, v35
	;; [unrolled: 1-line block ×4, first 2 shown]
	s_bcnt1_i32_b32 s12, s12
	s_bcnt1_i32_b32 s16, s16
	s_bcnt1_i32_b32 s20, s20
	s_bcnt1_i32_b32 s24, s24
	s_wait_alu 0xfffe
	s_add_co_i32 s11, s11, s95
	s_add_co_i32 s15, s15, s94
	s_add_co_i32 s19, s19, s93
	s_add_co_i32 s23, s23, s92
	s_bcnt1_i32_b32 s13, s13
	s_bcnt1_i32_b32 s17, s17
	s_bcnt1_i32_b32 s21, s21
	s_bcnt1_i32_b32 s25, s25
	s_wait_alu 0xfffe
	s_add_co_i32 s11, s11, s12
	s_add_co_i32 s12, s15, s16
	s_add_co_i32 s15, s19, s20
	s_add_co_i32 s16, s23, s24
	;; [unrolled: 9-line block ×3, first 2 shown]
	s_wait_alu 0xfffe
	s_add_co_i32 s95, s11, s14
	s_add_co_i32 s94, s12, s18
	;; [unrolled: 1-line block ×4, first 2 shown]
	s_wait_alu 0xfffe
	v_dual_mov_b32 v1, s95 :: v_dual_mov_b32 v2, s94
	v_dual_mov_b32 v3, s93 :: v_dual_mov_b32 v4, s92
	s_or_b32 s90, vcc_lo, s90
	s_wait_alu 0xfffe
	s_and_not1_b32 exec_lo, exec_lo, s90
	s_cbranch_execnz .LBB74_68
; %bb.69:                               ;   in Loop: Header=BB74_11 Depth=1
	s_or_b32 exec_lo, exec_lo, s90
.LBB74_70:                              ;   in Loop: Header=BB74_11 Depth=1
	s_wait_alu 0xfffe
	s_or_b32 exec_lo, exec_lo, s89
	s_and_saveexec_b32 s15, s9
	s_cbranch_execz .LBB74_76
; %bb.71:                               ;   in Loop: Header=BB74_11 Depth=1
	global_load_u8 v8, v[11:12], off
	v_dual_mov_b32 v5, v29 :: v_dual_mov_b32 v6, v24
	s_mov_b32 s16, 0
	s_branch .LBB74_73
.LBB74_72:                              ;   in Loop: Header=BB74_73 Depth=2
	s_wait_alu 0xfffe
	s_or_b32 exec_lo, exec_lo, s12
	s_wait_loadcnt 0x0
	v_and_b32_e32 v8, 0xff, v8
	s_and_b32 s12, exec_lo, vcc_lo
	v_add_nc_u32_e32 v5, s53, v5
	s_wait_alu 0xfffe
	s_or_b32 s16, s12, s16
	v_and_b32_e32 v35, v32, v8
	v_bfe_u32 v8, v8, s88, 2
	s_delay_alu instid0(VALU_DEP_2) | instskip(NEXT) | instid1(VALU_DEP_2)
	v_cmp_eq_u32_e32 vcc_lo, v35, v14
	v_cmp_eq_u32_e64 s11, 0, v8
	v_cmp_eq_u32_e64 s12, 1, v8
	;; [unrolled: 1-line block ×4, first 2 shown]
	s_and_b32 s11, vcc_lo, s11
	s_wait_alu 0xfffe
	v_cndmask_b32_e64 v8, 0, 1, s11
	s_and_b32 s11, vcc_lo, s12
	s_wait_alu 0xfffe
	v_cndmask_b32_e64 v35, 0, 1, s11
	;; [unrolled: 3-line block ×3, first 2 shown]
	s_and_b32 s11, vcc_lo, s14
	v_cmp_ne_u32_e32 vcc_lo, 0, v8
	s_wait_alu 0xfffe
	v_cndmask_b32_e64 v37, 0, 1, s11
	v_cmp_ne_u32_e64 s11, 0, v35
	v_cmp_ne_u32_e64 s12, 0, v36
	v_mov_b32_e32 v8, v7
	s_bcnt1_i32_b32 s14, vcc_lo
	v_cmp_ne_u32_e64 s13, 0, v37
	s_bcnt1_i32_b32 s11, s11
	s_bcnt1_i32_b32 s12, s12
	s_wait_alu 0xfffe
	v_add_nc_u32_e32 v1, s14, v1
	v_add_nc_u32_e32 v2, s11, v2
	s_bcnt1_i32_b32 s13, s13
	v_add_nc_u32_e32 v3, s12, v3
	s_wait_alu 0xfffe
	v_add_nc_u32_e32 v4, s13, v4
	s_and_not1_b32 exec_lo, exec_lo, s16
	s_cbranch_execz .LBB74_75
.LBB74_73:                              ;   Parent Loop BB74_11 Depth=1
                                        ; =>  This Inner Loop Header: Depth=2
	s_delay_alu instid0(VALU_DEP_1) | instskip(SKIP_1) | instid1(VALU_DEP_1)
	v_dual_mov_b32 v7, 0 :: v_dual_add_nc_u32 v6, s37, v6
	s_mov_b32 s12, exec_lo
	v_cmp_le_u32_e32 vcc_lo, s36, v6
	v_cmpx_gt_u32_e64 s36, v6
	s_cbranch_execz .LBB74_72
; %bb.74:                               ;   in Loop: Header=BB74_73 Depth=2
	global_load_u8 v7, v5, s[58:59]
	s_branch .LBB74_72
.LBB74_75:                              ;   in Loop: Header=BB74_11 Depth=1
	s_or_b32 exec_lo, exec_lo, s16
.LBB74_76:                              ;   in Loop: Header=BB74_11 Depth=1
	s_wait_alu 0xfffe
	s_or_b32 exec_lo, exec_lo, s15
	s_branch .LBB74_58
.LBB74_77:                              ;   in Loop: Header=BB74_11 Depth=1
	s_mul_u64 s[12:13], s[62:63], s[64:65]
	v_dual_mov_b32 v1, 0 :: v_dual_mov_b32 v2, 0
	s_wait_alu 0xfffe
	s_mul_i32 s11, s13, s39
	v_dual_mov_b32 v3, 0 :: v_dual_mov_b32 v4, 0
	s_wait_alu 0xfffe
	s_sub_co_i32 s11, s62, s11
	s_mov_b32 s90, exec_lo
	s_wait_alu 0xfffe
	s_sub_co_i32 s12, s11, s39
	s_cmp_ge_u32 s11, s39
	s_wait_alu 0xfffe
	s_cselect_b32 s11, s12, s11
	s_wait_alu 0xfffe
	s_sub_co_i32 s12, s11, s39
	s_cmp_ge_u32 s11, s39
	s_wait_alu 0xfffe
	s_cselect_b32 s11, s12, s11
	s_wait_alu 0xfffe
	s_sub_co_i32 s89, s62, s11
	s_wait_alu 0xfffe
	v_cmpx_gt_u32_e64 s89, v17
	s_cbranch_execz .LBB74_81
; %bb.78:                               ;   in Loop: Header=BB74_11 Depth=1
	v_mov_b32_e32 v5, v17
	s_mov_b32 s91, 0
	s_mov_b32 s92, 0
	;; [unrolled: 1-line block ×5, first 2 shown]
.LBB74_79:                              ;   Parent Loop BB74_11 Depth=1
                                        ; =>  This Inner Loop Header: Depth=2
	ds_load_b32 v1, v5
	s_wait_dscnt 0x0
	v_and_b32_e32 v2, 0xff, v1
	v_bfe_u32 v3, v1, 8, 8
	v_bfe_u32 v4, v1, 16, 8
	v_lshrrev_b32_e32 v1, 24, v1
	s_delay_alu instid0(VALU_DEP_4)
	v_and_b32_e32 v6, v32, v2
	v_bfe_u32 v2, v2, s88, 2
	v_and_b32_e32 v7, v32, v3
	v_bfe_u32 v3, v3, s88, 2
	;; [unrolled: 2-line block ×3, first 2 shown]
	v_cmp_eq_u32_e64 s11, v6, v14
	v_cmp_eq_u32_e64 s15, 0, v2
	v_and_b32_e32 v35, v32, v1
	v_bfe_u32 v1, v1, s88, 2
	v_cmp_eq_u32_e64 s12, v7, v14
	v_cmp_eq_u32_e64 s16, 0, v3
	;; [unrolled: 1-line block ×4, first 2 shown]
	s_and_b32 s15, s11, s15
	v_cmp_eq_u32_e64 s14, v35, v14
	v_cmp_eq_u32_e64 s18, 0, v1
	v_cmp_eq_u32_e64 s22, 1, v1
	v_cmp_eq_u32_e64 s26, 2, v1
	v_cmp_eq_u32_e64 s30, 3, v1
	s_wait_alu 0xfffe
	v_cndmask_b32_e64 v1, 0, 1, s15
	s_and_b32 s15, s12, s16
	v_cmp_eq_u32_e64 s19, 1, v2
	v_cmp_eq_u32_e64 s23, 2, v2
	v_cmp_eq_u32_e64 s27, 3, v2
	s_wait_alu 0xfffe
	v_cndmask_b32_e64 v2, 0, 1, s15
	s_and_b32 s15, s13, s17
	v_cmp_eq_u32_e64 s20, 1, v3
	v_cmp_eq_u32_e64 s24, 2, v3
	v_cmp_eq_u32_e64 s28, 3, v3
	;; [unrolled: 6-line block ×3, first 2 shown]
	s_wait_alu 0xfffe
	v_cndmask_b32_e64 v4, 0, 1, s15
	s_and_b32 s15, s11, s19
	s_wait_alu 0xfffe
	v_cndmask_b32_e64 v6, 0, 1, s15
	s_and_b32 s15, s12, s20
	;; [unrolled: 3-line block ×4, first 2 shown]
	v_cmp_ne_u32_e64 s16, 0, v7
	s_wait_alu 0xfffe
	v_cndmask_b32_e64 v35, 0, 1, s15
	s_and_b32 s15, s11, s23
	s_and_b32 s11, s11, s27
	s_wait_alu 0xfffe
	v_cndmask_b32_e64 v36, 0, 1, s15
	s_and_b32 s15, s12, s24
	v_cndmask_b32_e64 v40, 0, 1, s11
	s_and_b32 s11, s12, s28
	s_wait_alu 0xfffe
	v_cndmask_b32_e64 v37, 0, 1, s15
	s_and_b32 s15, s13, s25
	v_cndmask_b32_e64 v41, 0, 1, s11
	;; [unrolled: 5-line block ×3, first 2 shown]
	s_and_b32 s11, s14, s30
	s_wait_alu 0xfffe
	v_cndmask_b32_e64 v39, 0, 1, s15
	v_cndmask_b32_e64 v43, 0, 1, s11
	v_cmp_ne_u32_e64 s11, 0, v1
	v_cmp_ne_u32_e64 s15, 0, v6
	;; [unrolled: 1-line block ×6, first 2 shown]
	s_bcnt1_i32_b32 s11, s11
	s_bcnt1_i32_b32 s15, s15
	v_cmp_ne_u32_e64 s18, 0, v35
	v_cmp_ne_u32_e64 s20, 0, v37
	;; [unrolled: 1-line block ×3, first 2 shown]
	s_bcnt1_i32_b32 s12, s12
	s_bcnt1_i32_b32 s16, s16
	s_wait_alu 0xfffe
	s_add_co_i32 s11, s11, s95
	s_add_co_i32 s15, s15, s94
	v_cmp_ne_u32_e64 s13, 0, v3
	v_cmp_ne_u32_e64 s21, 0, v38
	;; [unrolled: 1-line block ×3, first 2 shown]
	s_bcnt1_i32_b32 s17, s17
	s_wait_alu 0xfffe
	s_add_co_i32 s11, s11, s12
	s_add_co_i32 s12, s15, s16
	s_bcnt1_i32_b32 s19, s19
	s_bcnt1_i32_b32 s23, s23
	v_cmp_ne_u32_e64 s14, 0, v4
	v_cmp_ne_u32_e64 s22, 0, v39
	;; [unrolled: 1-line block ×3, first 2 shown]
	s_bcnt1_i32_b32 s18, s18
	s_wait_alu 0xfffe
	s_add_co_i32 s12, s12, s17
	s_bcnt1_i32_b32 s20, s20
	s_bcnt1_i32_b32 s24, s24
	s_add_co_i32 s19, s19, s93
	s_add_co_i32 s23, s23, s92
	s_wait_alu 0xfffe
	s_add_co_i32 s94, s12, s18
	s_wait_alu 0xfffe
	v_dual_mov_b32 v2, s94 :: v_dual_add_nc_u32 v5, s39, v5
	s_bcnt1_i32_b32 s13, s13
	s_bcnt1_i32_b32 s21, s21
	;; [unrolled: 1-line block ×3, first 2 shown]
	s_add_co_i32 s15, s19, s20
	s_add_co_i32 s16, s23, s24
	s_bcnt1_i32_b32 s14, s14
	s_bcnt1_i32_b32 s22, s22
	;; [unrolled: 1-line block ×3, first 2 shown]
	s_wait_alu 0xfffe
	s_add_co_i32 s11, s11, s13
	s_add_co_i32 s13, s15, s21
	;; [unrolled: 1-line block ×3, first 2 shown]
	v_cmp_le_u32_e32 vcc_lo, s89, v5
	s_wait_alu 0xfffe
	s_add_co_i32 s95, s11, s14
	s_add_co_i32 s93, s13, s22
	;; [unrolled: 1-line block ×3, first 2 shown]
	s_wait_alu 0xfffe
	v_mov_b32_e32 v1, s95
	v_dual_mov_b32 v3, s93 :: v_dual_mov_b32 v4, s92
	s_or_b32 s91, vcc_lo, s91
	s_wait_alu 0xfffe
	s_and_not1_b32 exec_lo, exec_lo, s91
	s_cbranch_execnz .LBB74_79
; %bb.80:                               ;   in Loop: Header=BB74_11 Depth=1
	s_or_b32 exec_lo, exec_lo, s91
.LBB74_81:                              ;   in Loop: Header=BB74_11 Depth=1
	s_delay_alu instid0(SALU_CYCLE_1) | instskip(SKIP_2) | instid1(VALU_DEP_1)
	s_or_b32 exec_lo, exec_lo, s90
	v_add_nc_u32_e32 v5, s89, v0
	s_mov_b32 s16, exec_lo
	v_cmpx_gt_u32_e64 s62, v5
	s_cbranch_execz .LBB74_85
; %bb.82:                               ;   in Loop: Header=BB74_11 Depth=1
	s_mov_b32 s17, 0
.LBB74_83:                              ;   Parent Loop BB74_11 Depth=1
                                        ; =>  This Inner Loop Header: Depth=2
	ds_load_u8 v6, v5
	v_add_nc_u32_e32 v5, s37, v5
	s_delay_alu instid0(VALU_DEP_1) | instskip(SKIP_3) | instid1(VALU_DEP_2)
	v_cmp_le_u32_e32 vcc_lo, s62, v5
	s_wait_dscnt 0x0
	v_and_b32_e32 v7, v32, v6
	v_bfe_u32 v6, v6, s88, 2
	v_cmp_eq_u32_e64 s11, v7, v14
	s_delay_alu instid0(VALU_DEP_2)
	v_cmp_eq_u32_e64 s12, 0, v6
	v_cmp_eq_u32_e64 s13, 1, v6
	;; [unrolled: 1-line block ×4, first 2 shown]
	s_and_b32 s12, s11, s12
	s_wait_alu 0xfffe
	v_cndmask_b32_e64 v6, 0, 1, s12
	s_and_b32 s12, s11, s13
	s_wait_alu 0xfffe
	v_cndmask_b32_e64 v7, 0, 1, s12
	s_and_b32 s12, s11, s14
	s_and_b32 s11, s11, s15
	s_wait_alu 0xfffe
	v_cndmask_b32_e64 v8, 0, 1, s12
	v_cndmask_b32_e64 v35, 0, 1, s11
	v_cmp_ne_u32_e64 s11, 0, v6
	v_cmp_ne_u32_e64 s12, 0, v7
	s_delay_alu instid0(VALU_DEP_4) | instskip(NEXT) | instid1(VALU_DEP_4)
	v_cmp_ne_u32_e64 s13, 0, v8
	v_cmp_ne_u32_e64 s14, 0, v35
	s_bcnt1_i32_b32 s11, s11
	s_bcnt1_i32_b32 s12, s12
	s_wait_alu 0xfffe
	v_add_nc_u32_e32 v1, s11, v1
	s_bcnt1_i32_b32 s13, s13
	s_bcnt1_i32_b32 s14, s14
	v_add_nc_u32_e32 v2, s12, v2
	s_wait_alu 0xfffe
	v_add_nc_u32_e32 v3, s13, v3
	v_add_nc_u32_e32 v4, s14, v4
	s_or_b32 s17, vcc_lo, s17
	s_wait_alu 0xfffe
	s_and_not1_b32 exec_lo, exec_lo, s17
	s_cbranch_execnz .LBB74_83
; %bb.84:                               ;   in Loop: Header=BB74_11 Depth=1
	s_or_b32 exec_lo, exec_lo, s17
.LBB74_85:                              ;   in Loop: Header=BB74_11 Depth=1
	s_wait_alu 0xfffe
	s_or_b32 exec_lo, exec_lo, s16
	v_lshlrev_b32_e32 v5, 7, v31
	s_and_saveexec_b32 s11, s1
	s_cbranch_execnz .LBB74_59
	s_branch .LBB74_60
.LBB74_86:                              ;   in Loop: Header=BB74_11 Depth=1
	v_mov_b32_e32 v1, 0
	s_mov_b32 s12, 0
	s_and_not1_b32 vcc_lo, exec_lo, s73
	s_wait_alu 0xfffe
	s_cbranch_vccnz .LBB74_89
.LBB74_87:                              ;   in Loop: Header=BB74_11 Depth=1
	v_lshlrev_b32_e32 v2, 9, v31
	s_lshl_b32 s12, s12, 4
	s_wait_alu 0xfffe
	s_delay_alu instid0(VALU_DEP_1)
	v_add3_u32 v2, v2, s12, v30
	s_mov_b32 s12, s70
.LBB74_88:                              ;   Parent Loop BB74_11 Depth=1
                                        ; =>  This Inner Loop Header: Depth=2
	ds_load_b32 v3, v2
	v_add_nc_u32_e32 v2, 16, v2
	s_wait_alu 0xfffe
	s_add_co_i32 s12, s12, -1
	s_wait_alu 0xfffe
	s_cmp_lg_u32 s12, 0
	s_wait_dscnt 0x0
	v_add_nc_u32_e32 v1, v3, v1
	s_cbranch_scc1 .LBB74_88
.LBB74_89:                              ;   in Loop: Header=BB74_11 Depth=1
	v_add_lshl_u32 v2, v5, v16, 2
	ds_store_b32 v2, v1 offset:3072
.LBB74_90:                              ;   in Loop: Header=BB74_11 Depth=1
	s_wait_alu 0xfffe
	s_or_b32 exec_lo, exec_lo, s11
	v_lshlrev_b32_e32 v1, 2, v5
	s_wait_loadcnt_dscnt 0x0
	s_barrier_signal -1
	s_barrier_wait -1
	global_inv scope:SCOPE_SE
	ds_load_b128 v[1:4], v1 offset:3072
	s_lshl_b32 s12, 3, s88
	v_cmp_eq_u32_e32 vcc_lo, 1, v34
	s_wait_alu 0xfffe
	s_not_b32 s19, s12
	s_mov_b32 s15, -1
	s_mov_b32 s23, -1
                                        ; implicit-def: $sgpr20
                                        ; implicit-def: $sgpr17
	s_wait_dscnt 0x0
	v_readfirstlane_b32 s14, v1
	v_readfirstlane_b32 s21, v2
	;; [unrolled: 1-line block ×4, first 2 shown]
	s_cmp_eq_u32 s14, 1
	s_cselect_b32 s13, -1, 0
	s_wait_alu 0xfffe
	s_and_b32 s16, s13, vcc_lo
	s_wait_alu 0xfffe
	s_and_saveexec_b32 s13, s16
	s_cbranch_execz .LBB74_116
; %bb.91:                               ;   in Loop: Header=BB74_11 Depth=1
	ds_load_b32 v1, v18 offset:4104
	s_wait_loadcnt_dscnt 0x0
	s_barrier_signal -1
	s_barrier_wait -1
	global_inv scope:SCOPE_SE
	v_readfirstlane_b32 s23, v1
	s_and_saveexec_b32 s17, s3
; %bb.92:                               ;   in Loop: Header=BB74_11 Depth=1
	ds_store_b8 v0, v18 offset:3072
; %bb.93:                               ;   in Loop: Header=BB74_11 Depth=1
	s_wait_alu 0xfffe
	s_or_b32 exec_lo, exec_lo, s17
	v_and_b32_e32 v14, s19, v14
	v_or_b32_e32 v32, s12, v32
	s_mov_b32 s17, -1
	s_mov_b32 s20, 0
	s_cmp_eq_u32 s23, 0
	s_mov_b32 s22, 0
	s_mov_b32 s24, -1
	s_wait_loadcnt_dscnt 0x0
	s_barrier_signal -1
	s_barrier_wait -1
	global_inv scope:SCOPE_SE
                                        ; implicit-def: $vgpr33
	s_cbranch_scc1 .LBB74_104
; %bb.94:                               ;   in Loop: Header=BB74_11 Depth=1
	s_add_co_i32 s62, s23, s43
                                        ; implicit-def: $vgpr33
	s_wait_alu 0xfffe
	s_mul_u64 s[24:25], s[62:63], s[66:67]
	s_wait_alu 0xfffe
	s_mul_i32 s22, s25, s37
	s_mov_b32 s25, exec_lo
	s_wait_alu 0xfffe
	s_sub_co_i32 s22, s62, s22
	s_wait_alu 0xfffe
	s_sub_co_i32 s24, s22, s37
	s_cmp_ge_u32 s22, s37
	s_wait_alu 0xfffe
	s_cselect_b32 s22, s24, s22
	s_wait_alu 0xfffe
	s_sub_co_i32 s24, s22, s37
	s_cmp_ge_u32 s22, s37
	s_wait_alu 0xfffe
	s_cselect_b32 s22, s24, s22
	s_mov_b32 s24, 0
	s_wait_alu 0xfffe
	s_sub_co_i32 s26, s62, s22
	s_mov_b32 s22, 0
	s_wait_alu 0xfffe
	v_cmpx_gt_u32_e64 s26, v0
	s_cbranch_execz .LBB74_103
; %bb.95:                               ;   in Loop: Header=BB74_11 Depth=1
	v_mov_b32_e32 v1, v0
                                        ; implicit-def: $sgpr27
	s_branch .LBB74_98
.LBB74_96:                              ;   in Loop: Header=BB74_98 Depth=2
	s_wait_alu 0xfffe
	s_or_b32 exec_lo, exec_lo, s28
	s_wait_loadcnt_dscnt 0x0
	s_barrier_signal -1
	s_barrier_wait -1
	global_inv scope:SCOPE_SE
	ds_load_u16 v2, v18 offset:3072
	s_mov_b32 s29, -1
	s_mov_b32 s28, -1
	s_wait_loadcnt_dscnt 0x0
	s_barrier_signal -1
	s_barrier_wait -1
	global_inv scope:SCOPE_SE
	v_and_b32_e32 v3, 0xff, v2
	s_delay_alu instid0(VALU_DEP_1)
	v_cmp_ne_u32_e32 vcc_lo, 0, v3
	s_cbranch_vccz .LBB74_101
.LBB74_97:                              ;   in Loop: Header=BB74_98 Depth=2
	s_wait_alu 0xfffe
	s_and_b32 s29, exec_lo, s29
	s_wait_alu 0xfffe
	s_or_b32 s22, s29, s22
	s_and_not1_b32 s27, s27, exec_lo
	s_and_b32 s28, s28, exec_lo
	s_wait_alu 0xfffe
	s_or_b32 s27, s27, s28
	s_and_not1_b32 exec_lo, exec_lo, s22
	s_cbranch_execz .LBB74_102
.LBB74_98:                              ;   Parent Loop BB74_11 Depth=1
                                        ; =>  This Inner Loop Header: Depth=2
	s_mov_b32 s28, exec_lo
	s_delay_alu instid0(VALU_DEP_1)
	v_cmpx_gt_u32_e64 s23, v1
	s_cbranch_execz .LBB74_96
; %bb.99:                               ;   in Loop: Header=BB74_98 Depth=2
	ds_load_u8 v2, v1
	s_wait_dscnt 0x0
	v_and_b32_e32 v3, v2, v32
	s_delay_alu instid0(VALU_DEP_1) | instskip(NEXT) | instid1(VALU_DEP_1)
	v_and_b32_e32 v3, 0xff, v3
	v_cmp_eq_u32_e32 vcc_lo, v3, v14
	s_and_b32 exec_lo, exec_lo, vcc_lo
	s_cbranch_execz .LBB74_96
; %bb.100:                              ;   in Loop: Header=BB74_98 Depth=2
	v_lshlrev_b16 v2, 8, v2
	s_delay_alu instid0(VALU_DEP_1)
	v_or_b32_e32 v2, 1, v2
	ds_store_b16 v18, v2 offset:3072
	s_branch .LBB74_96
.LBB74_101:                             ;   in Loop: Header=BB74_98 Depth=2
	v_add_nc_u32_e32 v1, s37, v1
	s_mov_b32 s28, 0
	s_delay_alu instid0(VALU_DEP_1)
	v_cmp_le_u32_e32 vcc_lo, s26, v1
	s_or_not1_b32 s29, vcc_lo, exec_lo
	s_branch .LBB74_97
.LBB74_102:                             ;   in Loop: Header=BB74_11 Depth=1
	s_or_b32 exec_lo, exec_lo, s22
	v_and_b32_e32 v1, 0xffff, v2
	s_wait_alu 0xfffe
	s_and_b32 s22, s27, exec_lo
	s_delay_alu instid0(VALU_DEP_1)
	v_lshrrev_b32_e32 v33, 8, v1
.LBB74_103:                             ;   in Loop: Header=BB74_11 Depth=1
	s_or_b32 exec_lo, exec_lo, s25
.LBB74_104:                             ;   in Loop: Header=BB74_11 Depth=1
	s_wait_alu 0xfffe
	s_and_b32 vcc_lo, exec_lo, s24
	s_wait_alu 0xfffe
	s_cbranch_vccz .LBB74_115
; %bb.105:                              ;   in Loop: Header=BB74_11 Depth=1
                                        ; implicit-def: $vgpr33
	s_and_saveexec_b32 s17, s10
	s_cbranch_execz .LBB74_114
; %bb.106:                              ;   in Loop: Header=BB74_11 Depth=1
	v_dual_mov_b32 v1, v15 :: v_dual_mov_b32 v2, v0
	s_mov_b32 s23, 0
                                        ; implicit-def: $sgpr20
	s_branch .LBB74_109
.LBB74_107:                             ;   in Loop: Header=BB74_109 Depth=2
	s_wait_alu 0xfffe
	s_or_b32 exec_lo, exec_lo, s24
	s_wait_loadcnt_dscnt 0x0
	s_barrier_signal -1
	s_barrier_wait -1
	global_inv scope:SCOPE_SE
	ds_load_u16 v3, v18 offset:3072
	s_mov_b32 s24, -1
	s_mov_b32 s25, -1
	s_wait_loadcnt_dscnt 0x0
	s_barrier_signal -1
	s_barrier_wait -1
	global_inv scope:SCOPE_SE
	v_and_b32_e32 v4, 0xff, v3
	s_delay_alu instid0(VALU_DEP_1)
	v_cmp_ne_u32_e32 vcc_lo, 0, v4
	s_cbranch_vccz .LBB74_112
.LBB74_108:                             ;   in Loop: Header=BB74_109 Depth=2
	s_wait_alu 0xfffe
	s_and_b32 s24, exec_lo, s24
	s_wait_alu 0xfffe
	s_or_b32 s23, s24, s23
	s_and_not1_b32 s20, s20, exec_lo
	s_and_b32 s24, s25, exec_lo
	s_wait_alu 0xfffe
	s_or_b32 s20, s20, s24
	s_and_not1_b32 exec_lo, exec_lo, s23
	s_cbranch_execz .LBB74_113
.LBB74_109:                             ;   Parent Loop BB74_11 Depth=1
                                        ; =>  This Inner Loop Header: Depth=2
	s_mov_b32 s24, exec_lo
	s_delay_alu instid0(VALU_DEP_1)
	v_cmpx_gt_u32_e64 s36, v2
	s_cbranch_execz .LBB74_107
; %bb.110:                              ;   in Loop: Header=BB74_109 Depth=2
	global_load_u8 v3, v1, s[58:59]
	s_wait_loadcnt 0x0
	v_and_b32_e32 v4, v3, v32
	s_delay_alu instid0(VALU_DEP_1) | instskip(NEXT) | instid1(VALU_DEP_1)
	v_and_b32_e32 v4, 0xff, v4
	v_cmp_eq_u32_e32 vcc_lo, v4, v14
	s_and_b32 exec_lo, exec_lo, vcc_lo
	s_cbranch_execz .LBB74_107
; %bb.111:                              ;   in Loop: Header=BB74_109 Depth=2
	v_lshlrev_b16 v3, 8, v3
	s_delay_alu instid0(VALU_DEP_1)
	v_or_b32_e32 v3, 1, v3
	ds_store_b16 v18, v3 offset:3072
	s_branch .LBB74_107
.LBB74_112:                             ;   in Loop: Header=BB74_109 Depth=2
	v_add_nc_u32_e32 v2, s37, v2
	v_add_nc_u32_e32 v1, s53, v1
	s_mov_b32 s25, 0
	s_delay_alu instid0(VALU_DEP_2)
	v_cmp_le_u32_e32 vcc_lo, s79, v2
	s_or_not1_b32 s24, vcc_lo, exec_lo
	s_branch .LBB74_108
.LBB74_113:                             ;   in Loop: Header=BB74_11 Depth=1
	s_or_b32 exec_lo, exec_lo, s23
	v_and_b32_e32 v1, 0xffff, v3
	s_and_not1_b32 s22, s22, exec_lo
	s_wait_alu 0xfffe
	s_and_b32 s20, s20, exec_lo
	s_wait_alu 0xfffe
	s_or_b32 s22, s22, s20
	v_lshrrev_b32_e32 v33, 8, v1
.LBB74_114:                             ;   in Loop: Header=BB74_11 Depth=1
	s_wait_alu 0xfffe
	s_or_b32 exec_lo, exec_lo, s17
	s_mov_b32 s17, 0
	s_mov_b32 s20, -1
.LBB74_115:                             ;   in Loop: Header=BB74_11 Depth=1
	s_or_not1_b32 s23, s22, exec_lo
.LBB74_116:                             ;   in Loop: Header=BB74_11 Depth=1
	s_wait_alu 0xfffe
	s_or_b32 exec_lo, exec_lo, s13
	v_readfirstlane_b32 s22, v0
	s_and_not1_b32 s13, s86, exec_lo
	s_and_b32 s20, s20, exec_lo
	s_and_not1_b32 s24, s84, exec_lo
	s_and_b32 s17, s17, exec_lo
	s_and_not1_b32 s83, s83, exec_lo
	s_wait_alu 0xfffe
	s_or_b32 s86, s13, s20
	s_or_b32 s84, s24, s17
                                        ; implicit-def: $vgpr2
	s_and_saveexec_b32 s13, s23
	s_cbranch_execz .LBB74_10
; %bb.117:                              ;   in Loop: Header=BB74_11 Depth=1
	v_dual_mov_b32 v2, 1 :: v_dual_mov_b32 v1, 1
	s_xor_b32 s16, s16, -1
	s_mov_b32 s22, 0
	s_wait_alu 0xfffe
	s_and_saveexec_b32 s15, s16
	s_cbranch_execz .LBB74_126
; %bb.118:                              ;   in Loop: Header=BB74_11 Depth=1
	s_mov_b32 s16, exec_lo
	v_cmpx_ge_u32_e64 s14, v34
	s_wait_alu 0xfffe
	s_xor_b32 s16, exec_lo, s16
	s_cbranch_execz .LBB74_123
; %bb.119:                              ;   in Loop: Header=BB74_11 Depth=1
	ds_load_b32 v1, v18 offset:4104
	v_and_b32_e32 v14, s19, v14
	v_or_b32_e32 v32, s12, v32
	s_wait_dscnt 0x0
	v_cmp_ne_u32_e32 vcc_lo, 0, v1
	s_cbranch_vccnz .LBB74_123
; %bb.120:                              ;   in Loop: Header=BB74_11 Depth=1
	s_and_saveexec_b32 s17, s2
; %bb.121:                              ;   in Loop: Header=BB74_11 Depth=1
	v_mov_b32_e32 v1, s14
	ds_store_b32 v18, v1 offset:4108
; %bb.122:                              ;   in Loop: Header=BB74_11 Depth=1
	s_wait_alu 0xfffe
	s_or_b32 exec_lo, exec_lo, s17
	s_wait_loadcnt_dscnt 0x0
	s_barrier_signal -1
	s_barrier_wait -1
	global_inv scope:SCOPE_SE
.LBB74_123:                             ;   in Loop: Header=BB74_11 Depth=1
	s_wait_alu 0xfffe
	s_or_saveexec_b32 s16, s16
	v_mov_b32_e32 v1, 8
	s_mov_b32 s17, 0
	s_wait_alu 0xfffe
	s_xor_b32 exec_lo, exec_lo, s16
; %bb.124:                              ;   in Loop: Header=BB74_11 Depth=1
	v_subrev_nc_u32_e32 v34, s14, v34
	v_mov_b32_e32 v1, 0
	s_mov_b32 s17, exec_lo
; %bb.125:                              ;   in Loop: Header=BB74_11 Depth=1
	s_or_b32 exec_lo, exec_lo, s16
	s_delay_alu instid0(VALU_DEP_2)
	v_mov_b32_e32 v2, v34
	s_wait_alu 0xfffe
	s_and_b32 s22, s17, exec_lo
.LBB74_126:                             ;   in Loop: Header=BB74_11 Depth=1
	s_wait_alu 0xfffe
	s_or_b32 exec_lo, exec_lo, s15
	s_mov_b32 s14, -1
	s_mov_b32 s20, -1
                                        ; implicit-def: $sgpr16
                                        ; implicit-def: $sgpr17
	s_and_saveexec_b32 s15, s22
	s_wait_alu 0xfffe
	s_xor_b32 s15, exec_lo, s15
	s_cbranch_execz .LBB74_243
; %bb.127:                              ;   in Loop: Header=BB74_11 Depth=1
	v_cmp_eq_u32_e32 vcc_lo, 1, v2
	s_cmp_eq_u32 s21, 1
	s_mov_b32 s23, -1
	s_cselect_b32 s16, -1, 0
                                        ; implicit-def: $sgpr17
	s_wait_alu 0xfffe
	s_and_b32 s22, s16, vcc_lo
                                        ; implicit-def: $sgpr16
	s_wait_alu 0xfffe
	s_and_saveexec_b32 s20, s22
	s_cbranch_execz .LBB74_153
; %bb.128:                              ;   in Loop: Header=BB74_11 Depth=1
	ds_load_b32 v3, v18 offset:4104
	s_wait_loadcnt_dscnt 0x0
	s_barrier_signal -1
	s_barrier_wait -1
	global_inv scope:SCOPE_SE
	v_readfirstlane_b32 s24, v3
	s_and_saveexec_b32 s16, s3
; %bb.129:                              ;   in Loop: Header=BB74_11 Depth=1
	ds_store_b8 v0, v18 offset:3072
; %bb.130:                              ;   in Loop: Header=BB74_11 Depth=1
	s_wait_alu 0xfffe
	s_or_b32 exec_lo, exec_lo, s16
	s_lshl_b32 s16, 1, s88
	v_or_b32_e32 v32, s12, v32
	s_wait_alu 0xfffe
	v_and_or_b32 v14, v14, s19, s16
	s_mov_b32 s16, -1
	s_mov_b32 s17, 0
	s_cmp_eq_u32 s24, 0
	s_mov_b32 s23, 0
	s_mov_b32 s25, -1
	s_wait_loadcnt_dscnt 0x0
	s_barrier_signal -1
	s_barrier_wait -1
	global_inv scope:SCOPE_SE
                                        ; implicit-def: $vgpr33
	s_cbranch_scc1 .LBB74_141
; %bb.131:                              ;   in Loop: Header=BB74_11 Depth=1
	s_add_co_i32 s62, s24, s43
                                        ; implicit-def: $vgpr33
	s_wait_alu 0xfffe
	s_mul_u64 s[26:27], s[62:63], s[66:67]
	s_mov_b32 s26, exec_lo
	s_wait_alu 0xfffe
	s_mul_i32 s23, s27, s37
	s_wait_alu 0xfffe
	s_sub_co_i32 s23, s62, s23
	s_wait_alu 0xfffe
	s_sub_co_i32 s25, s23, s37
	s_cmp_ge_u32 s23, s37
	s_wait_alu 0xfffe
	s_cselect_b32 s23, s25, s23
	s_wait_alu 0xfffe
	s_sub_co_i32 s25, s23, s37
	s_cmp_ge_u32 s23, s37
	s_wait_alu 0xfffe
	s_cselect_b32 s23, s25, s23
	s_mov_b32 s25, 0
	s_wait_alu 0xfffe
	s_sub_co_i32 s27, s62, s23
	s_mov_b32 s23, 0
	s_wait_alu 0xfffe
	v_cmpx_gt_u32_e64 s27, v0
	s_cbranch_execz .LBB74_140
; %bb.132:                              ;   in Loop: Header=BB74_11 Depth=1
	v_mov_b32_e32 v3, v0
                                        ; implicit-def: $sgpr28
	s_branch .LBB74_135
.LBB74_133:                             ;   in Loop: Header=BB74_135 Depth=2
	s_wait_alu 0xfffe
	s_or_b32 exec_lo, exec_lo, s29
	s_wait_loadcnt_dscnt 0x0
	s_barrier_signal -1
	s_barrier_wait -1
	global_inv scope:SCOPE_SE
	ds_load_u16 v4, v18 offset:3072
	s_mov_b32 s30, -1
	s_mov_b32 s29, -1
	s_wait_loadcnt_dscnt 0x0
	s_barrier_signal -1
	s_barrier_wait -1
	global_inv scope:SCOPE_SE
	v_and_b32_e32 v5, 0xff, v4
	s_delay_alu instid0(VALU_DEP_1)
	v_cmp_ne_u32_e32 vcc_lo, 0, v5
	s_cbranch_vccz .LBB74_138
.LBB74_134:                             ;   in Loop: Header=BB74_135 Depth=2
	s_wait_alu 0xfffe
	s_and_b32 s30, exec_lo, s30
	s_wait_alu 0xfffe
	s_or_b32 s23, s30, s23
	s_and_not1_b32 s28, s28, exec_lo
	s_and_b32 s29, s29, exec_lo
	s_wait_alu 0xfffe
	s_or_b32 s28, s28, s29
	s_and_not1_b32 exec_lo, exec_lo, s23
	s_cbranch_execz .LBB74_139
.LBB74_135:                             ;   Parent Loop BB74_11 Depth=1
                                        ; =>  This Inner Loop Header: Depth=2
	s_mov_b32 s29, exec_lo
	s_delay_alu instid0(VALU_DEP_1)
	v_cmpx_gt_u32_e64 s24, v3
	s_cbranch_execz .LBB74_133
; %bb.136:                              ;   in Loop: Header=BB74_135 Depth=2
	ds_load_u8 v4, v3
	s_wait_dscnt 0x0
	v_and_b32_e32 v5, v4, v32
	s_delay_alu instid0(VALU_DEP_1) | instskip(NEXT) | instid1(VALU_DEP_1)
	v_and_b32_e32 v5, 0xff, v5
	v_cmp_eq_u32_e32 vcc_lo, v5, v14
	s_and_b32 exec_lo, exec_lo, vcc_lo
	s_cbranch_execz .LBB74_133
; %bb.137:                              ;   in Loop: Header=BB74_135 Depth=2
	v_lshlrev_b16 v4, 8, v4
	s_delay_alu instid0(VALU_DEP_1)
	v_or_b32_e32 v4, 1, v4
	ds_store_b16 v18, v4 offset:3072
	s_branch .LBB74_133
.LBB74_138:                             ;   in Loop: Header=BB74_135 Depth=2
	v_add_nc_u32_e32 v3, s37, v3
	s_mov_b32 s29, 0
	s_delay_alu instid0(VALU_DEP_1)
	v_cmp_le_u32_e32 vcc_lo, s27, v3
	s_or_not1_b32 s30, vcc_lo, exec_lo
	s_branch .LBB74_134
.LBB74_139:                             ;   in Loop: Header=BB74_11 Depth=1
	s_or_b32 exec_lo, exec_lo, s23
	v_and_b32_e32 v3, 0xffff, v4
	s_wait_alu 0xfffe
	s_and_b32 s23, s28, exec_lo
	s_delay_alu instid0(VALU_DEP_1)
	v_lshrrev_b32_e32 v33, 8, v3
.LBB74_140:                             ;   in Loop: Header=BB74_11 Depth=1
	s_or_b32 exec_lo, exec_lo, s26
.LBB74_141:                             ;   in Loop: Header=BB74_11 Depth=1
	s_wait_alu 0xfffe
	s_and_b32 vcc_lo, exec_lo, s25
	s_wait_alu 0xfffe
	s_cbranch_vccz .LBB74_152
; %bb.142:                              ;   in Loop: Header=BB74_11 Depth=1
                                        ; implicit-def: $vgpr33
	s_and_saveexec_b32 s16, s10
	s_cbranch_execz .LBB74_151
; %bb.143:                              ;   in Loop: Header=BB74_11 Depth=1
	v_dual_mov_b32 v3, v15 :: v_dual_mov_b32 v4, v0
	s_mov_b32 s17, 0
                                        ; implicit-def: $sgpr24
	s_branch .LBB74_146
.LBB74_144:                             ;   in Loop: Header=BB74_146 Depth=2
	s_wait_alu 0xfffe
	s_or_b32 exec_lo, exec_lo, s25
	s_wait_loadcnt_dscnt 0x0
	s_barrier_signal -1
	s_barrier_wait -1
	global_inv scope:SCOPE_SE
	ds_load_u16 v5, v18 offset:3072
	s_mov_b32 s25, -1
	s_mov_b32 s26, -1
	s_wait_loadcnt_dscnt 0x0
	s_barrier_signal -1
	s_barrier_wait -1
	global_inv scope:SCOPE_SE
	v_and_b32_e32 v6, 0xff, v5
	s_delay_alu instid0(VALU_DEP_1)
	v_cmp_eq_u32_e32 vcc_lo, 0, v6
	s_cbranch_vccnz .LBB74_149
.LBB74_145:                             ;   in Loop: Header=BB74_146 Depth=2
	s_wait_alu 0xfffe
	s_and_b32 s25, exec_lo, s25
	s_wait_alu 0xfffe
	s_or_b32 s17, s25, s17
	s_and_not1_b32 s24, s24, exec_lo
	s_and_b32 s25, s26, exec_lo
	s_wait_alu 0xfffe
	s_or_b32 s24, s24, s25
	s_and_not1_b32 exec_lo, exec_lo, s17
	s_cbranch_execz .LBB74_150
.LBB74_146:                             ;   Parent Loop BB74_11 Depth=1
                                        ; =>  This Inner Loop Header: Depth=2
	s_mov_b32 s25, exec_lo
	s_delay_alu instid0(VALU_DEP_1)
	v_cmpx_gt_u32_e64 s36, v4
	s_cbranch_execz .LBB74_144
; %bb.147:                              ;   in Loop: Header=BB74_146 Depth=2
	global_load_u8 v5, v3, s[58:59]
	s_wait_loadcnt 0x0
	v_and_b32_e32 v6, v5, v32
	s_delay_alu instid0(VALU_DEP_1) | instskip(NEXT) | instid1(VALU_DEP_1)
	v_and_b32_e32 v6, 0xff, v6
	v_cmp_eq_u32_e32 vcc_lo, v6, v14
	s_and_b32 exec_lo, exec_lo, vcc_lo
	s_cbranch_execz .LBB74_144
; %bb.148:                              ;   in Loop: Header=BB74_146 Depth=2
	v_lshlrev_b16 v5, 8, v5
	s_delay_alu instid0(VALU_DEP_1)
	v_or_b32_e32 v5, 1, v5
	ds_store_b16 v18, v5 offset:3072
	s_branch .LBB74_144
.LBB74_149:                             ;   in Loop: Header=BB74_146 Depth=2
	v_add_nc_u32_e32 v4, s37, v4
	v_add_nc_u32_e32 v3, s53, v3
	s_mov_b32 s26, 0
	s_delay_alu instid0(VALU_DEP_2)
	v_cmp_le_u32_e32 vcc_lo, s79, v4
	s_or_not1_b32 s25, vcc_lo, exec_lo
	s_branch .LBB74_145
.LBB74_150:                             ;   in Loop: Header=BB74_11 Depth=1
	s_or_b32 exec_lo, exec_lo, s17
	v_and_b32_e32 v3, 0xffff, v5
	s_and_not1_b32 s17, s23, exec_lo
	s_wait_alu 0xfffe
	s_and_b32 s23, s24, exec_lo
	s_wait_alu 0xfffe
	s_or_b32 s23, s17, s23
	v_lshrrev_b32_e32 v33, 8, v3
.LBB74_151:                             ;   in Loop: Header=BB74_11 Depth=1
	s_wait_alu 0xfffe
	s_or_b32 exec_lo, exec_lo, s16
	s_mov_b32 s16, 0
	s_mov_b32 s17, -1
.LBB74_152:                             ;   in Loop: Header=BB74_11 Depth=1
	s_or_not1_b32 s23, s23, exec_lo
.LBB74_153:                             ;   in Loop: Header=BB74_11 Depth=1
	s_wait_alu 0xfffe
	s_or_b32 exec_lo, exec_lo, s20
	s_mov_b32 s24, 0
	s_and_saveexec_b32 s20, s23
	s_cbranch_execz .LBB74_242
; %bb.154:                              ;   in Loop: Header=BB74_11 Depth=1
	v_mov_b32_e32 v3, 1
	v_mov_b32_e32 v1, 1
	s_xor_b32 s23, s22, -1
	s_mov_b32 s25, 0
	s_wait_alu 0xfffe
	s_and_saveexec_b32 s22, s23
	s_cbranch_execz .LBB74_163
; %bb.155:                              ;   in Loop: Header=BB74_11 Depth=1
	s_mov_b32 s23, exec_lo
	v_cmpx_ge_u32_e64 s21, v2
	s_wait_alu 0xfffe
	s_xor_b32 s23, exec_lo, s23
	s_cbranch_execz .LBB74_160
; %bb.156:                              ;   in Loop: Header=BB74_11 Depth=1
	ds_load_b32 v1, v18 offset:4104
	s_lshl_b32 s24, 1, s88
	v_or_b32_e32 v32, s12, v32
	s_wait_alu 0xfffe
	v_and_or_b32 v14, v14, s19, s24
	s_wait_dscnt 0x0
	v_cmp_ne_u32_e32 vcc_lo, 0, v1
	s_cbranch_vccnz .LBB74_160
; %bb.157:                              ;   in Loop: Header=BB74_11 Depth=1
	s_and_saveexec_b32 s24, s2
; %bb.158:                              ;   in Loop: Header=BB74_11 Depth=1
	v_mov_b32_e32 v1, s21
	ds_store_b32 v18, v1 offset:4108
; %bb.159:                              ;   in Loop: Header=BB74_11 Depth=1
	s_wait_alu 0xfffe
	s_or_b32 exec_lo, exec_lo, s24
	s_wait_loadcnt_dscnt 0x0
	s_barrier_signal -1
	s_barrier_wait -1
	global_inv scope:SCOPE_SE
.LBB74_160:                             ;   in Loop: Header=BB74_11 Depth=1
	s_wait_alu 0xfffe
	s_or_saveexec_b32 s23, s23
	v_mov_b32_e32 v1, 8
	s_mov_b32 s24, 0
	s_wait_alu 0xfffe
	s_xor_b32 exec_lo, exec_lo, s23
; %bb.161:                              ;   in Loop: Header=BB74_11 Depth=1
	v_subrev_nc_u32_e32 v2, s21, v2
	v_mov_b32_e32 v1, 0
	s_mov_b32 s24, exec_lo
; %bb.162:                              ;   in Loop: Header=BB74_11 Depth=1
	s_or_b32 exec_lo, exec_lo, s23
	s_delay_alu instid0(VALU_DEP_2)
	v_mov_b32_e32 v3, v2
	s_wait_alu 0xfffe
	s_and_b32 s25, s24, exec_lo
.LBB74_163:                             ;   in Loop: Header=BB74_11 Depth=1
	s_wait_alu 0xfffe
	s_or_b32 exec_lo, exec_lo, s22
	s_mov_b32 s24, -1
                                        ; implicit-def: $sgpr22
                                        ; implicit-def: $sgpr23
	s_and_saveexec_b32 s21, s25
	s_cbranch_execz .LBB74_241
; %bb.164:                              ;   in Loop: Header=BB74_11 Depth=1
	v_cmp_eq_u32_e32 vcc_lo, 1, v3
	s_cmp_eq_u32 s18, 1
	s_mov_b32 s26, -1
	s_cselect_b32 s22, -1, 0
                                        ; implicit-def: $sgpr23
	s_wait_alu 0xfffe
	s_and_b32 s25, s22, vcc_lo
                                        ; implicit-def: $sgpr22
	s_wait_alu 0xfffe
	s_and_saveexec_b32 s24, s25
	s_cbranch_execz .LBB74_190
; %bb.165:                              ;   in Loop: Header=BB74_11 Depth=1
	ds_load_b32 v2, v18 offset:4104
	s_wait_loadcnt_dscnt 0x0
	s_barrier_signal -1
	s_barrier_wait -1
	global_inv scope:SCOPE_SE
	v_readfirstlane_b32 s27, v2
	s_and_saveexec_b32 s22, s3
; %bb.166:                              ;   in Loop: Header=BB74_11 Depth=1
	ds_store_b8 v0, v18 offset:3072
; %bb.167:                              ;   in Loop: Header=BB74_11 Depth=1
	s_wait_alu 0xfffe
	s_or_b32 exec_lo, exec_lo, s22
	s_lshl_b32 s22, 2, s88
	v_or_b32_e32 v32, s12, v32
	s_wait_alu 0xfffe
	v_and_or_b32 v14, v14, s19, s22
	s_mov_b32 s22, -1
	s_mov_b32 s23, 0
	s_cmp_eq_u32 s27, 0
	s_mov_b32 s26, 0
	s_mov_b32 s28, -1
	s_wait_loadcnt_dscnt 0x0
	s_barrier_signal -1
	s_barrier_wait -1
	global_inv scope:SCOPE_SE
                                        ; implicit-def: $vgpr33
	s_cbranch_scc1 .LBB74_178
; %bb.168:                              ;   in Loop: Header=BB74_11 Depth=1
	s_add_co_i32 s62, s27, s43
                                        ; implicit-def: $vgpr33
	s_wait_alu 0xfffe
	s_mul_u64 s[28:29], s[62:63], s[66:67]
	s_wait_alu 0xfffe
	s_mul_i32 s26, s29, s37
	s_mov_b32 s29, exec_lo
	s_wait_alu 0xfffe
	s_sub_co_i32 s26, s62, s26
	s_wait_alu 0xfffe
	s_sub_co_i32 s28, s26, s37
	s_cmp_ge_u32 s26, s37
	s_wait_alu 0xfffe
	s_cselect_b32 s26, s28, s26
	s_wait_alu 0xfffe
	s_sub_co_i32 s28, s26, s37
	s_cmp_ge_u32 s26, s37
	s_wait_alu 0xfffe
	s_cselect_b32 s26, s28, s26
	s_mov_b32 s28, 0
	s_wait_alu 0xfffe
	s_sub_co_i32 s30, s62, s26
	s_mov_b32 s26, 0
	s_wait_alu 0xfffe
	v_cmpx_gt_u32_e64 s30, v0
	s_cbranch_execz .LBB74_177
; %bb.169:                              ;   in Loop: Header=BB74_11 Depth=1
	v_mov_b32_e32 v2, v0
                                        ; implicit-def: $sgpr62
	s_branch .LBB74_172
.LBB74_170:                             ;   in Loop: Header=BB74_172 Depth=2
	s_wait_alu 0xfffe
	s_or_b32 exec_lo, exec_lo, s89
	s_wait_loadcnt_dscnt 0x0
	s_barrier_signal -1
	s_barrier_wait -1
	global_inv scope:SCOPE_SE
	ds_load_u16 v4, v18 offset:3072
	s_mov_b32 s90, -1
	s_mov_b32 s89, -1
	s_wait_loadcnt_dscnt 0x0
	s_barrier_signal -1
	s_barrier_wait -1
	global_inv scope:SCOPE_SE
	v_and_b32_e32 v5, 0xff, v4
	s_delay_alu instid0(VALU_DEP_1)
	v_cmp_ne_u32_e32 vcc_lo, 0, v5
	s_cbranch_vccz .LBB74_175
.LBB74_171:                             ;   in Loop: Header=BB74_172 Depth=2
	s_wait_alu 0xfffe
	s_and_b32 s90, exec_lo, s90
	s_wait_alu 0xfffe
	s_or_b32 s26, s90, s26
	s_and_not1_b32 s62, s62, exec_lo
	s_and_b32 s89, s89, exec_lo
	s_wait_alu 0xfffe
	s_or_b32 s62, s62, s89
	s_and_not1_b32 exec_lo, exec_lo, s26
	s_cbranch_execz .LBB74_176
.LBB74_172:                             ;   Parent Loop BB74_11 Depth=1
                                        ; =>  This Inner Loop Header: Depth=2
	s_mov_b32 s89, exec_lo
	s_delay_alu instid0(VALU_DEP_1)
	v_cmpx_gt_u32_e64 s27, v2
	s_cbranch_execz .LBB74_170
; %bb.173:                              ;   in Loop: Header=BB74_172 Depth=2
	ds_load_u8 v4, v2
	s_wait_dscnt 0x0
	v_and_b32_e32 v5, v4, v32
	s_delay_alu instid0(VALU_DEP_1) | instskip(NEXT) | instid1(VALU_DEP_1)
	v_and_b32_e32 v5, 0xff, v5
	v_cmp_eq_u32_e32 vcc_lo, v5, v14
	s_and_b32 exec_lo, exec_lo, vcc_lo
	s_cbranch_execz .LBB74_170
; %bb.174:                              ;   in Loop: Header=BB74_172 Depth=2
	v_lshlrev_b16 v4, 8, v4
	s_delay_alu instid0(VALU_DEP_1)
	v_or_b32_e32 v4, 1, v4
	ds_store_b16 v18, v4 offset:3072
	s_branch .LBB74_170
.LBB74_175:                             ;   in Loop: Header=BB74_172 Depth=2
	v_add_nc_u32_e32 v2, s37, v2
	s_mov_b32 s89, 0
	s_delay_alu instid0(VALU_DEP_1)
	v_cmp_le_u32_e32 vcc_lo, s30, v2
	s_or_not1_b32 s90, vcc_lo, exec_lo
	s_branch .LBB74_171
.LBB74_176:                             ;   in Loop: Header=BB74_11 Depth=1
	s_or_b32 exec_lo, exec_lo, s26
	v_and_b32_e32 v2, 0xffff, v4
	s_wait_alu 0xfffe
	s_and_b32 s26, s62, exec_lo
	s_delay_alu instid0(VALU_DEP_1)
	v_lshrrev_b32_e32 v33, 8, v2
.LBB74_177:                             ;   in Loop: Header=BB74_11 Depth=1
	s_or_b32 exec_lo, exec_lo, s29
.LBB74_178:                             ;   in Loop: Header=BB74_11 Depth=1
	s_wait_alu 0xfffe
	s_and_b32 vcc_lo, exec_lo, s28
	s_wait_alu 0xfffe
	s_cbranch_vccz .LBB74_189
; %bb.179:                              ;   in Loop: Header=BB74_11 Depth=1
                                        ; implicit-def: $vgpr33
	s_and_saveexec_b32 s22, s10
	s_cbranch_execz .LBB74_188
; %bb.180:                              ;   in Loop: Header=BB74_11 Depth=1
	v_mov_b32_e32 v2, v15
	v_mov_b32_e32 v4, v0
	s_mov_b32 s23, 0
                                        ; implicit-def: $sgpr27
	s_branch .LBB74_183
.LBB74_181:                             ;   in Loop: Header=BB74_183 Depth=2
	s_wait_alu 0xfffe
	s_or_b32 exec_lo, exec_lo, s28
	s_wait_loadcnt_dscnt 0x0
	s_barrier_signal -1
	s_barrier_wait -1
	global_inv scope:SCOPE_SE
	ds_load_u16 v5, v18 offset:3072
	s_mov_b32 s28, -1
	s_mov_b32 s29, -1
	s_wait_loadcnt_dscnt 0x0
	s_barrier_signal -1
	s_barrier_wait -1
	global_inv scope:SCOPE_SE
	v_and_b32_e32 v6, 0xff, v5
	s_delay_alu instid0(VALU_DEP_1)
	v_cmp_eq_u32_e32 vcc_lo, 0, v6
	s_cbranch_vccnz .LBB74_186
.LBB74_182:                             ;   in Loop: Header=BB74_183 Depth=2
	s_wait_alu 0xfffe
	s_and_b32 s28, exec_lo, s28
	s_wait_alu 0xfffe
	s_or_b32 s23, s28, s23
	s_and_not1_b32 s27, s27, exec_lo
	s_and_b32 s28, s29, exec_lo
	s_wait_alu 0xfffe
	s_or_b32 s27, s27, s28
	s_and_not1_b32 exec_lo, exec_lo, s23
	s_cbranch_execz .LBB74_187
.LBB74_183:                             ;   Parent Loop BB74_11 Depth=1
                                        ; =>  This Inner Loop Header: Depth=2
	s_mov_b32 s28, exec_lo
	s_delay_alu instid0(VALU_DEP_1)
	v_cmpx_gt_u32_e64 s36, v4
	s_cbranch_execz .LBB74_181
; %bb.184:                              ;   in Loop: Header=BB74_183 Depth=2
	global_load_u8 v5, v2, s[58:59]
	s_wait_loadcnt 0x0
	v_and_b32_e32 v6, v5, v32
	s_delay_alu instid0(VALU_DEP_1) | instskip(NEXT) | instid1(VALU_DEP_1)
	v_and_b32_e32 v6, 0xff, v6
	v_cmp_eq_u32_e32 vcc_lo, v6, v14
	s_and_b32 exec_lo, exec_lo, vcc_lo
	s_cbranch_execz .LBB74_181
; %bb.185:                              ;   in Loop: Header=BB74_183 Depth=2
	v_lshlrev_b16 v5, 8, v5
	s_delay_alu instid0(VALU_DEP_1)
	v_or_b32_e32 v5, 1, v5
	ds_store_b16 v18, v5 offset:3072
	s_branch .LBB74_181
.LBB74_186:                             ;   in Loop: Header=BB74_183 Depth=2
	v_add_nc_u32_e32 v4, s37, v4
	v_add_nc_u32_e32 v2, s53, v2
	s_mov_b32 s29, 0
	s_delay_alu instid0(VALU_DEP_2)
	v_cmp_le_u32_e32 vcc_lo, s79, v4
	s_or_not1_b32 s28, vcc_lo, exec_lo
	s_branch .LBB74_182
.LBB74_187:                             ;   in Loop: Header=BB74_11 Depth=1
	s_or_b32 exec_lo, exec_lo, s23
	v_and_b32_e32 v2, 0xffff, v5
	s_and_not1_b32 s23, s26, exec_lo
	s_wait_alu 0xfffe
	s_and_b32 s26, s27, exec_lo
	s_wait_alu 0xfffe
	s_or_b32 s26, s23, s26
	v_lshrrev_b32_e32 v33, 8, v2
.LBB74_188:                             ;   in Loop: Header=BB74_11 Depth=1
	s_wait_alu 0xfffe
	s_or_b32 exec_lo, exec_lo, s22
	s_mov_b32 s22, 0
	s_mov_b32 s23, -1
.LBB74_189:                             ;   in Loop: Header=BB74_11 Depth=1
	s_or_not1_b32 s26, s26, exec_lo
.LBB74_190:                             ;   in Loop: Header=BB74_11 Depth=1
	s_wait_alu 0xfffe
	s_or_b32 exec_lo, exec_lo, s24
	s_mov_b32 s27, 0
	s_and_saveexec_b32 s24, s26
	s_cbranch_execz .LBB74_240
; %bb.191:                              ;   in Loop: Header=BB74_11 Depth=1
	v_dual_mov_b32 v2, 1 :: v_dual_mov_b32 v1, 1
	s_xor_b32 s26, s25, -1
	s_wait_alu 0xfffe
	s_and_saveexec_b32 s25, s26
	s_cbranch_execz .LBB74_200
; %bb.192:                              ;   in Loop: Header=BB74_11 Depth=1
	s_mov_b32 s26, exec_lo
	v_cmpx_ge_u32_e64 s18, v3
	s_wait_alu 0xfffe
	s_xor_b32 s26, exec_lo, s26
	s_cbranch_execz .LBB74_197
; %bb.193:                              ;   in Loop: Header=BB74_11 Depth=1
	ds_load_b32 v1, v18 offset:4104
	s_lshl_b32 s27, 2, s88
	v_or_b32_e32 v32, s12, v32
	s_wait_alu 0xfffe
	v_and_or_b32 v14, v14, s19, s27
	s_wait_dscnt 0x0
	v_cmp_ne_u32_e32 vcc_lo, 0, v1
	s_cbranch_vccnz .LBB74_197
; %bb.194:                              ;   in Loop: Header=BB74_11 Depth=1
	s_and_saveexec_b32 s19, s2
; %bb.195:                              ;   in Loop: Header=BB74_11 Depth=1
	v_mov_b32_e32 v1, s18
	ds_store_b32 v18, v1 offset:4108
; %bb.196:                              ;   in Loop: Header=BB74_11 Depth=1
	s_wait_alu 0xfffe
	s_or_b32 exec_lo, exec_lo, s19
	s_wait_loadcnt_dscnt 0x0
	s_barrier_signal -1
	s_barrier_wait -1
	global_inv scope:SCOPE_SE
.LBB74_197:                             ;   in Loop: Header=BB74_11 Depth=1
	s_wait_alu 0xfffe
	s_or_saveexec_b32 s19, s26
	v_mov_b32_e32 v1, 8
	s_mov_b32 s26, 0
	s_wait_alu 0xfffe
	s_xor_b32 exec_lo, exec_lo, s19
; %bb.198:                              ;   in Loop: Header=BB74_11 Depth=1
	v_subrev_nc_u32_e32 v3, s18, v3
	v_mov_b32_e32 v1, 0
	s_mov_b32 s26, exec_lo
; %bb.199:                              ;   in Loop: Header=BB74_11 Depth=1
	s_or_b32 exec_lo, exec_lo, s19
	s_delay_alu instid0(VALU_DEP_2)
	v_mov_b32_e32 v2, v3
	s_wait_alu 0xfffe
	s_and_b32 s27, s26, exec_lo
.LBB74_200:                             ;   in Loop: Header=BB74_11 Depth=1
	s_wait_alu 0xfffe
	s_or_b32 exec_lo, exec_lo, s25
	s_mov_b32 s19, -1
                                        ; implicit-def: $sgpr26
                                        ; implicit-def: $sgpr25
	s_and_saveexec_b32 s18, s27
	s_cbranch_execz .LBB74_239
; %bb.201:                              ;   in Loop: Header=BB74_11 Depth=1
	v_cmp_eq_u32_e32 vcc_lo, 1, v2
	s_cmp_eq_u32 s11, 1
	s_mov_b32 s28, -1
	s_cselect_b32 s19, -1, 0
                                        ; implicit-def: $sgpr26
                                        ; implicit-def: $sgpr25
	s_wait_alu 0xfffe
	s_and_b32 s19, s19, vcc_lo
	s_wait_alu 0xfffe
	s_and_saveexec_b32 s27, s19
	s_cbranch_execz .LBB74_227
; %bb.202:                              ;   in Loop: Header=BB74_11 Depth=1
	ds_load_b32 v3, v18 offset:4104
	s_wait_loadcnt_dscnt 0x0
	s_barrier_signal -1
	s_barrier_wait -1
	global_inv scope:SCOPE_SE
	v_readfirstlane_b32 s29, v3
	s_and_saveexec_b32 s25, s3
; %bb.203:                              ;   in Loop: Header=BB74_11 Depth=1
	ds_store_b8 v0, v18 offset:3072
; %bb.204:                              ;   in Loop: Header=BB74_11 Depth=1
	s_wait_alu 0xfffe
	s_or_b32 exec_lo, exec_lo, s25
	v_or_b32_e32 v14, s12, v14
	v_or_b32_e32 v32, s12, v32
	s_mov_b32 s25, -1
	s_mov_b32 s26, 0
	s_cmp_eq_u32 s29, 0
	s_mov_b32 s28, 0
	s_mov_b32 s30, -1
	s_wait_loadcnt_dscnt 0x0
	s_barrier_signal -1
	s_barrier_wait -1
	global_inv scope:SCOPE_SE
                                        ; implicit-def: $vgpr33
	s_cbranch_scc1 .LBB74_215
; %bb.205:                              ;   in Loop: Header=BB74_11 Depth=1
	s_add_co_i32 s62, s29, s43
                                        ; implicit-def: $vgpr33
	s_wait_alu 0xfffe
	s_mul_u64 s[90:91], s[62:63], s[66:67]
	s_wait_alu 0xfffe
	s_mul_i32 s28, s91, s37
	s_wait_alu 0xfffe
	s_sub_co_i32 s28, s62, s28
	s_wait_alu 0xfffe
	s_sub_co_i32 s30, s28, s37
	s_cmp_ge_u32 s28, s37
	s_wait_alu 0xfffe
	s_cselect_b32 s28, s30, s28
	s_wait_alu 0xfffe
	s_sub_co_i32 s30, s28, s37
	s_cmp_ge_u32 s28, s37
	s_wait_alu 0xfffe
	s_cselect_b32 s28, s30, s28
	s_mov_b32 s30, 0
	s_wait_alu 0xfffe
	s_sub_co_i32 s89, s62, s28
	s_mov_b32 s28, 0
	s_mov_b32 s62, exec_lo
	s_wait_alu 0xfffe
	v_cmpx_gt_u32_e64 s89, v0
	s_cbranch_execz .LBB74_214
; %bb.206:                              ;   in Loop: Header=BB74_11 Depth=1
	v_mov_b32_e32 v3, v0
                                        ; implicit-def: $sgpr90
	s_branch .LBB74_209
.LBB74_207:                             ;   in Loop: Header=BB74_209 Depth=2
	s_wait_alu 0xfffe
	s_or_b32 exec_lo, exec_lo, s91
	s_wait_loadcnt_dscnt 0x0
	s_barrier_signal -1
	s_barrier_wait -1
	global_inv scope:SCOPE_SE
	ds_load_u16 v4, v18 offset:3072
	s_mov_b32 s92, -1
	s_mov_b32 s91, -1
	s_wait_loadcnt_dscnt 0x0
	s_barrier_signal -1
	s_barrier_wait -1
	global_inv scope:SCOPE_SE
	v_and_b32_e32 v5, 0xff, v4
	s_delay_alu instid0(VALU_DEP_1)
	v_cmp_ne_u32_e32 vcc_lo, 0, v5
	s_cbranch_vccz .LBB74_212
.LBB74_208:                             ;   in Loop: Header=BB74_209 Depth=2
	s_wait_alu 0xfffe
	s_and_b32 s92, exec_lo, s92
	s_wait_alu 0xfffe
	s_or_b32 s28, s92, s28
	s_and_not1_b32 s90, s90, exec_lo
	s_and_b32 s91, s91, exec_lo
	s_wait_alu 0xfffe
	s_or_b32 s90, s90, s91
	s_and_not1_b32 exec_lo, exec_lo, s28
	s_cbranch_execz .LBB74_213
.LBB74_209:                             ;   Parent Loop BB74_11 Depth=1
                                        ; =>  This Inner Loop Header: Depth=2
	s_mov_b32 s91, exec_lo
	s_delay_alu instid0(VALU_DEP_1)
	v_cmpx_gt_u32_e64 s29, v3
	s_cbranch_execz .LBB74_207
; %bb.210:                              ;   in Loop: Header=BB74_209 Depth=2
	ds_load_u8 v4, v3
	s_wait_dscnt 0x0
	v_and_b32_e32 v5, v4, v32
	s_delay_alu instid0(VALU_DEP_1) | instskip(NEXT) | instid1(VALU_DEP_1)
	v_and_b32_e32 v5, 0xff, v5
	v_cmp_eq_u32_e32 vcc_lo, v5, v14
	s_and_b32 exec_lo, exec_lo, vcc_lo
	s_cbranch_execz .LBB74_207
; %bb.211:                              ;   in Loop: Header=BB74_209 Depth=2
	v_lshlrev_b16 v4, 8, v4
	s_delay_alu instid0(VALU_DEP_1)
	v_or_b32_e32 v4, 1, v4
	ds_store_b16 v18, v4 offset:3072
	s_branch .LBB74_207
.LBB74_212:                             ;   in Loop: Header=BB74_209 Depth=2
	v_add_nc_u32_e32 v3, s37, v3
	s_mov_b32 s91, 0
	s_delay_alu instid0(VALU_DEP_1)
	v_cmp_le_u32_e32 vcc_lo, s89, v3
	s_or_not1_b32 s92, vcc_lo, exec_lo
	s_branch .LBB74_208
.LBB74_213:                             ;   in Loop: Header=BB74_11 Depth=1
	s_or_b32 exec_lo, exec_lo, s28
	v_and_b32_e32 v3, 0xffff, v4
	s_wait_alu 0xfffe
	s_and_b32 s28, s90, exec_lo
	s_delay_alu instid0(VALU_DEP_1)
	v_lshrrev_b32_e32 v33, 8, v3
.LBB74_214:                             ;   in Loop: Header=BB74_11 Depth=1
	s_or_b32 exec_lo, exec_lo, s62
.LBB74_215:                             ;   in Loop: Header=BB74_11 Depth=1
	s_wait_alu 0xfffe
	s_and_b32 vcc_lo, exec_lo, s30
	s_wait_alu 0xfffe
	s_cbranch_vccz .LBB74_226
; %bb.216:                              ;   in Loop: Header=BB74_11 Depth=1
                                        ; implicit-def: $vgpr33
	s_and_saveexec_b32 s25, s10
	s_cbranch_execz .LBB74_225
; %bb.217:                              ;   in Loop: Header=BB74_11 Depth=1
	v_dual_mov_b32 v3, v15 :: v_dual_mov_b32 v4, v0
	s_mov_b32 s26, 0
                                        ; implicit-def: $sgpr29
	s_branch .LBB74_220
.LBB74_218:                             ;   in Loop: Header=BB74_220 Depth=2
	s_wait_alu 0xfffe
	s_or_b32 exec_lo, exec_lo, s30
	s_wait_loadcnt_dscnt 0x0
	s_barrier_signal -1
	s_barrier_wait -1
	global_inv scope:SCOPE_SE
	ds_load_u16 v5, v18 offset:3072
	s_mov_b32 s30, -1
	s_mov_b32 s62, -1
	s_wait_loadcnt_dscnt 0x0
	s_barrier_signal -1
	s_barrier_wait -1
	global_inv scope:SCOPE_SE
	v_and_b32_e32 v6, 0xff, v5
	s_delay_alu instid0(VALU_DEP_1)
	v_cmp_eq_u32_e32 vcc_lo, 0, v6
	s_cbranch_vccnz .LBB74_223
.LBB74_219:                             ;   in Loop: Header=BB74_220 Depth=2
	s_wait_alu 0xfffe
	s_and_b32 s30, exec_lo, s30
	s_wait_alu 0xfffe
	s_or_b32 s26, s30, s26
	s_and_not1_b32 s29, s29, exec_lo
	s_and_b32 s30, s62, exec_lo
	s_wait_alu 0xfffe
	s_or_b32 s29, s29, s30
	s_and_not1_b32 exec_lo, exec_lo, s26
	s_cbranch_execz .LBB74_224
.LBB74_220:                             ;   Parent Loop BB74_11 Depth=1
                                        ; =>  This Inner Loop Header: Depth=2
	s_mov_b32 s30, exec_lo
	s_delay_alu instid0(VALU_DEP_1)
	v_cmpx_gt_u32_e64 s36, v4
	s_cbranch_execz .LBB74_218
; %bb.221:                              ;   in Loop: Header=BB74_220 Depth=2
	global_load_u8 v5, v3, s[58:59]
	s_wait_loadcnt 0x0
	v_and_b32_e32 v6, v5, v32
	s_delay_alu instid0(VALU_DEP_1) | instskip(NEXT) | instid1(VALU_DEP_1)
	v_and_b32_e32 v6, 0xff, v6
	v_cmp_eq_u32_e32 vcc_lo, v6, v14
	s_and_b32 exec_lo, exec_lo, vcc_lo
	s_cbranch_execz .LBB74_218
; %bb.222:                              ;   in Loop: Header=BB74_220 Depth=2
	v_lshlrev_b16 v5, 8, v5
	s_delay_alu instid0(VALU_DEP_1)
	v_or_b32_e32 v5, 1, v5
	ds_store_b16 v18, v5 offset:3072
	s_branch .LBB74_218
.LBB74_223:                             ;   in Loop: Header=BB74_220 Depth=2
	v_add_nc_u32_e32 v4, s37, v4
	v_add_nc_u32_e32 v3, s53, v3
	s_mov_b32 s62, 0
	s_delay_alu instid0(VALU_DEP_2)
	v_cmp_le_u32_e32 vcc_lo, s79, v4
	s_or_not1_b32 s30, vcc_lo, exec_lo
	s_branch .LBB74_219
.LBB74_224:                             ;   in Loop: Header=BB74_11 Depth=1
	s_or_b32 exec_lo, exec_lo, s26
	v_and_b32_e32 v3, 0xffff, v5
	s_and_not1_b32 s26, s28, exec_lo
	s_wait_alu 0xfffe
	s_and_b32 s28, s29, exec_lo
	s_wait_alu 0xfffe
	s_or_b32 s28, s26, s28
	v_lshrrev_b32_e32 v33, 8, v3
.LBB74_225:                             ;   in Loop: Header=BB74_11 Depth=1
	s_wait_alu 0xfffe
	s_or_b32 exec_lo, exec_lo, s25
	s_mov_b32 s25, 0
	s_mov_b32 s26, -1
.LBB74_226:                             ;   in Loop: Header=BB74_11 Depth=1
	s_or_not1_b32 s28, s28, exec_lo
.LBB74_227:                             ;   in Loop: Header=BB74_11 Depth=1
	s_wait_alu 0xfffe
	s_or_b32 exec_lo, exec_lo, s27
	s_mov_b32 s29, 0
	s_and_saveexec_b32 s27, s28
	s_cbranch_execz .LBB74_238
; %bb.228:                              ;   in Loop: Header=BB74_11 Depth=1
	v_mov_b32_e32 v1, 1
	v_mov_b32_e32 v3, 1
	s_xor_b32 s28, s19, -1
	s_wait_alu 0xfffe
	s_and_saveexec_b32 s19, s28
	s_cbranch_execz .LBB74_237
; %bb.229:                              ;   in Loop: Header=BB74_11 Depth=1
	s_mov_b32 s28, exec_lo
	v_cmpx_ge_u32_e64 s11, v2
	s_wait_alu 0xfffe
	s_xor_b32 s28, exec_lo, s28
	s_cbranch_execz .LBB74_234
; %bb.230:                              ;   in Loop: Header=BB74_11 Depth=1
	ds_load_b32 v1, v18 offset:4104
	v_or_b32_e32 v14, s12, v14
	v_or_b32_e32 v32, s12, v32
	s_wait_dscnt 0x0
	v_cmp_ne_u32_e32 vcc_lo, 0, v1
	s_cbranch_vccnz .LBB74_234
; %bb.231:                              ;   in Loop: Header=BB74_11 Depth=1
	s_and_saveexec_b32 s12, s2
; %bb.232:                              ;   in Loop: Header=BB74_11 Depth=1
	v_mov_b32_e32 v1, s11
	ds_store_b32 v18, v1 offset:4108
; %bb.233:                              ;   in Loop: Header=BB74_11 Depth=1
	s_wait_alu 0xfffe
	s_or_b32 exec_lo, exec_lo, s12
	s_wait_loadcnt_dscnt 0x0
	s_barrier_signal -1
	s_barrier_wait -1
	global_inv scope:SCOPE_SE
.LBB74_234:                             ;   in Loop: Header=BB74_11 Depth=1
	s_wait_alu 0xfffe
	s_and_not1_saveexec_b32 s12, s28
; %bb.235:                              ;   in Loop: Header=BB74_11 Depth=1
	v_subrev_nc_u32_e32 v2, s11, v2
; %bb.236:                              ;   in Loop: Header=BB74_11 Depth=1
	s_wait_alu 0xfffe
	s_or_b32 exec_lo, exec_lo, s12
	v_mov_b32_e32 v1, 8
	s_delay_alu instid0(VALU_DEP_2)
	v_mov_b32_e32 v3, v2
.LBB74_237:                             ;   in Loop: Header=BB74_11 Depth=1
	s_wait_alu 0xfffe
	s_or_b32 exec_lo, exec_lo, s19
	s_delay_alu instid0(VALU_DEP_1)
	v_mov_b32_e32 v2, v3
	s_mov_b32 s29, exec_lo
.LBB74_238:                             ;   in Loop: Header=BB74_11 Depth=1
	s_wait_alu 0xfffe
	s_or_b32 exec_lo, exec_lo, s27
	s_delay_alu instid0(SALU_CYCLE_1)
	s_or_not1_b32 s19, s29, exec_lo
.LBB74_239:                             ;   in Loop: Header=BB74_11 Depth=1
	s_wait_alu 0xfffe
	s_or_b32 exec_lo, exec_lo, s18
	v_mov_b32_e32 v3, v2
	s_and_not1_b32 s11, s23, exec_lo
	s_and_b32 s12, s26, exec_lo
	s_and_not1_b32 s18, s22, exec_lo
	s_and_b32 s22, s25, exec_lo
	s_wait_alu 0xfffe
	s_or_b32 s23, s11, s12
	s_or_b32 s22, s18, s22
	s_and_b32 s27, s19, exec_lo
.LBB74_240:                             ;   in Loop: Header=BB74_11 Depth=1
	s_wait_alu 0xfffe
	s_or_b32 exec_lo, exec_lo, s24
	s_delay_alu instid0(SALU_CYCLE_1)
	s_or_not1_b32 s24, s27, exec_lo
.LBB74_241:                             ;   in Loop: Header=BB74_11 Depth=1
	s_wait_alu 0xfffe
	s_or_b32 exec_lo, exec_lo, s21
	v_mov_b32_e32 v2, v3
	s_and_not1_b32 s11, s17, exec_lo
	s_and_b32 s12, s23, exec_lo
	s_and_not1_b32 s16, s16, exec_lo
	s_and_b32 s18, s22, exec_lo
	s_wait_alu 0xfffe
	s_or_b32 s17, s11, s12
	s_or_b32 s16, s16, s18
	s_and_b32 s24, s24, exec_lo
.LBB74_242:                             ;   in Loop: Header=BB74_11 Depth=1
	s_wait_alu 0xfffe
	s_or_b32 exec_lo, exec_lo, s20
	s_delay_alu instid0(SALU_CYCLE_1)
	s_or_not1_b32 s20, s24, exec_lo
.LBB74_243:                             ;   in Loop: Header=BB74_11 Depth=1
	s_wait_alu 0xfffe
	s_or_b32 exec_lo, exec_lo, s15
	s_mov_b32 s12, 0
                                        ; implicit-def: $sgpr22
	s_and_saveexec_b32 s11, s20
	s_wait_alu 0xfffe
	s_xor_b32 s11, exec_lo, s11
	s_cbranch_execz .LBB74_9
; %bb.244:                              ;   in Loop: Header=BB74_11 Depth=1
	v_and_b32_e32 v1, 7, v1
	s_mov_b32 s14, -1
	s_mov_b32 s12, -1
	s_mov_b32 s15, exec_lo
                                        ; implicit-def: $sgpr22
	s_delay_alu instid0(VALU_DEP_1)
	v_cmpx_eq_u32_e32 0, v1
	s_cbranch_execz .LBB74_8
; %bb.245:                              ;   in Loop: Header=BB74_11 Depth=1
	s_add_co_i32 s22, s88, -2
	s_cmp_eq_u32 s88, 0
	v_xor_b32_e32 v31, 1, v31
	s_cselect_b32 s14, -1, 0
	s_xor_b32 s12, exec_lo, -1
	s_wait_alu 0xfffe
	s_or_not1_b32 s14, s14, exec_lo
	s_branch .LBB74_8
.LBB74_246:
	s_or_b32 exec_lo, exec_lo, s81
	s_xor_b32 s4, s87, -1
	s_xor_b32 s1, s85, -1
	;; [unrolled: 1-line block ×3, first 2 shown]
	s_mov_b32 s2, 0
	s_and_saveexec_b32 s5, s1
	s_wait_alu 0xfffe
	s_xor_b32 s1, exec_lo, s5
	s_cbranch_execnz .LBB74_251
; %bb.247:
	s_and_not1_saveexec_b32 s0, s1
	s_cbranch_execnz .LBB74_264
.LBB74_248:
	s_or_b32 exec_lo, exec_lo, s0
	s_wait_alu 0xfffe
	s_and_saveexec_b32 s0, s2
.LBB74_249:
	; divergent unreachable
.LBB74_250:
	s_endpgm
.LBB74_251:
	s_and_saveexec_b32 s2, s4
	s_wait_alu 0xfffe
	s_xor_b32 s2, exec_lo, s2
	s_cbranch_execz .LBB74_262
; %bb.252:
	s_and_saveexec_b32 s4, s3
	s_wait_alu 0xfffe
	s_xor_b32 s3, exec_lo, s4
; %bb.253:
	v_mov_b32_e32 v33, v14
; %bb.254:
	s_wait_alu 0xfffe
	s_or_b32 exec_lo, exec_lo, s3
	s_mul_i32 s4, s61, s48
	s_mul_i32 s3, s52, s49
	s_wait_alu 0xfffe
	s_sub_co_i32 s4, s52, s4
	s_sub_co_i32 s3, s33, s3
	s_add_co_i32 s5, s61, 1
	s_wait_alu 0xfffe
	s_sub_co_i32 s6, s4, s48
	s_cmp_ge_u32 s4, s48
	s_wait_kmcnt 0x0
	s_mul_i32 s3, s3, s46
	s_cselect_b32 s5, s5, s61
	s_wait_alu 0xfffe
	s_cselect_b32 s4, s6, s4
	s_add_co_i32 s6, s5, 1
	s_wait_alu 0xfffe
	s_cmp_ge_u32 s4, s48
	s_cselect_b32 s4, s6, s5
	s_wait_alu 0xfffe
	s_mul_i32 s5, s4, s48
	s_mul_i32 s4, s4, s44
	s_wait_alu 0xfffe
	s_sub_co_i32 s5, s52, s5
	s_wait_alu 0xfffe
	s_mul_i32 s5, s5, s45
	s_wait_alu 0xfffe
	s_add_co_i32 s3, s5, s3
	s_wait_alu 0xfffe
	s_add_co_i32 s3, s3, s4
	s_wait_alu 0xfffe
	v_mov_b32_e32 v1, s3
	global_store_b8 v1, v33, s[56:57]
	s_and_saveexec_b32 s3, s0
	s_cbranch_execz .LBB74_261
; %bb.255:
	v_and_b32_e32 v2, 0xff, v33
	s_mov_b32 s0, 0
                                        ; implicit-def: $sgpr4
                                        ; implicit-def: $sgpr6
                                        ; implicit-def: $sgpr5
	s_branch .LBB74_257
.LBB74_256:                             ;   in Loop: Header=BB74_257 Depth=1
	s_wait_alu 0xfffe
	s_or_b32 exec_lo, exec_lo, s7
	s_delay_alu instid0(SALU_CYCLE_1)
	s_and_b32 s7, exec_lo, s6
	s_wait_alu 0xfffe
	s_or_b32 s0, s7, s0
	s_and_not1_b32 s4, s4, exec_lo
	s_and_b32 s7, s5, exec_lo
	s_wait_alu 0xfffe
	s_or_b32 s4, s4, s7
	s_and_not1_b32 exec_lo, exec_lo, s0
	s_cbranch_execz .LBB74_259
.LBB74_257:                             ; =>This Inner Loop Header: Depth=1
	global_load_u8 v3, v15, s[58:59]
	v_mov_b32_e32 v1, v0
	s_or_b32 s5, s5, exec_lo
	s_or_b32 s6, s6, exec_lo
	s_mov_b32 s7, exec_lo
                                        ; implicit-def: $vgpr0
	s_wait_loadcnt 0x0
	v_cmpx_ne_u16_e64 v3, v2
	s_cbranch_execz .LBB74_256
; %bb.258:                              ;   in Loop: Header=BB74_257 Depth=1
	v_add_nc_u32_e32 v0, s37, v1
	v_add_nc_u32_e32 v15, s53, v15
	s_wait_alu 0xfffe
	s_and_not1_b32 s6, s6, exec_lo
	s_and_not1_b32 s5, s5, exec_lo
	v_cmp_le_u32_e32 vcc_lo, s36, v0
	s_and_b32 s8, vcc_lo, exec_lo
	s_wait_alu 0xfffe
	s_or_b32 s6, s6, s8
	s_branch .LBB74_256
.LBB74_259:
	s_or_b32 exec_lo, exec_lo, s0
	s_wait_alu 0xfffe
	s_and_saveexec_b32 s0, s4
	s_delay_alu instid0(SALU_CYCLE_1)
	s_xor_b32 s0, exec_lo, s0
	s_cbranch_execz .LBB74_261
; %bb.260:
	s_mul_i32 s4, s31, s34
	s_mul_i32 s0, s50, s35
	s_wait_alu 0xfffe
	s_sub_co_i32 s4, s50, s4
	s_sub_co_i32 s0, s33, s0
	s_add_co_i32 s5, s31, 1
	s_wait_alu 0xfffe
	s_sub_co_i32 s6, s4, s34
	s_cmp_ge_u32 s4, s34
	s_mul_i32 s0, s0, s42
	s_cselect_b32 s5, s5, s31
	s_wait_alu 0xfffe
	s_cselect_b32 s4, s6, s4
	s_add_co_i32 s6, s5, 1
	s_wait_alu 0xfffe
	s_cmp_ge_u32 s4, s34
	v_mov_b32_e32 v2, 0
	s_cselect_b32 s4, s6, s5
	s_wait_alu 0xfffe
	s_mul_i32 s5, s4, s34
	s_mul_i32 s4, s4, s40
	s_wait_alu 0xfffe
	s_sub_co_i32 s5, s50, s5
	s_wait_alu 0xfffe
	s_mul_i32 s5, s5, s41
	s_wait_alu 0xfffe
	s_add_co_i32 s0, s5, s0
	s_mov_b32 s5, 0
	s_add_co_i32 s4, s0, s4
	s_wait_alu 0xfffe
	s_lshl_b64 s[4:5], s[4:5], 3
	s_wait_alu 0xfffe
	s_add_nc_u64 s[4:5], s[54:55], s[4:5]
	global_store_b64 v2, v[1:2], s[4:5]
.LBB74_261:
	s_wait_alu 0xfffe
	s_or_b32 exec_lo, exec_lo, s3
.LBB74_262:
	s_wait_alu 0xfffe
	s_or_saveexec_b32 s0, s2
	s_mov_b32 s2, 0
	s_xor_b32 exec_lo, exec_lo, s0
	s_cbranch_execnz .LBB74_265
.LBB74_263:
	s_or_b32 exec_lo, exec_lo, s0
	s_wait_alu 0xfffe
	s_and_b32 s2, s2, exec_lo
	s_and_not1_saveexec_b32 s0, s1
	s_cbranch_execz .LBB74_248
.LBB74_264:
	s_wait_alu 0xfffe
	s_or_b32 s2, s2, exec_lo
	s_trap 2
	s_or_b32 exec_lo, exec_lo, s0
	s_wait_alu 0xfffe
	s_and_saveexec_b32 s0, s2
	s_cbranch_execnz .LBB74_249
	s_branch .LBB74_250
.LBB74_265:
	s_mov_b32 s2, exec_lo
	s_trap 2
	s_branch .LBB74_263
	.section	.rodata,"a",@progbits
	.p2align	6, 0x0
	.amdhsa_kernel _ZN2at6native12_GLOBAL__N_112gatherMedianIhjLi3EEEvNS_4cuda6detail10TensorInfoIT_T0_EENS5_IlS7_EENS5_IKS6_S7_EES7_S7_S7_b
		.amdhsa_group_segment_fixed_size 4120
		.amdhsa_private_segment_fixed_size 0
		.amdhsa_kernarg_size 920
		.amdhsa_user_sgpr_count 2
		.amdhsa_user_sgpr_dispatch_ptr 0
		.amdhsa_user_sgpr_queue_ptr 0
		.amdhsa_user_sgpr_kernarg_segment_ptr 1
		.amdhsa_user_sgpr_dispatch_id 0
		.amdhsa_user_sgpr_private_segment_size 0
		.amdhsa_wavefront_size32 1
		.amdhsa_uses_dynamic_stack 0
		.amdhsa_enable_private_segment 0
		.amdhsa_system_sgpr_workgroup_id_x 1
		.amdhsa_system_sgpr_workgroup_id_y 1
		.amdhsa_system_sgpr_workgroup_id_z 1
		.amdhsa_system_sgpr_workgroup_info 0
		.amdhsa_system_vgpr_workitem_id 0
		.amdhsa_next_free_vgpr 68
		.amdhsa_next_free_sgpr 96
		.amdhsa_reserve_vcc 1
		.amdhsa_float_round_mode_32 0
		.amdhsa_float_round_mode_16_64 0
		.amdhsa_float_denorm_mode_32 3
		.amdhsa_float_denorm_mode_16_64 3
		.amdhsa_fp16_overflow 0
		.amdhsa_workgroup_processor_mode 1
		.amdhsa_memory_ordered 1
		.amdhsa_forward_progress 1
		.amdhsa_inst_pref_size 102
		.amdhsa_round_robin_scheduling 0
		.amdhsa_exception_fp_ieee_invalid_op 0
		.amdhsa_exception_fp_denorm_src 0
		.amdhsa_exception_fp_ieee_div_zero 0
		.amdhsa_exception_fp_ieee_overflow 0
		.amdhsa_exception_fp_ieee_underflow 0
		.amdhsa_exception_fp_ieee_inexact 0
		.amdhsa_exception_int_div_zero 0
	.end_amdhsa_kernel
	.section	.text._ZN2at6native12_GLOBAL__N_112gatherMedianIhjLi3EEEvNS_4cuda6detail10TensorInfoIT_T0_EENS5_IlS7_EENS5_IKS6_S7_EES7_S7_S7_b,"axG",@progbits,_ZN2at6native12_GLOBAL__N_112gatherMedianIhjLi3EEEvNS_4cuda6detail10TensorInfoIT_T0_EENS5_IlS7_EENS5_IKS6_S7_EES7_S7_S7_b,comdat
.Lfunc_end74:
	.size	_ZN2at6native12_GLOBAL__N_112gatherMedianIhjLi3EEEvNS_4cuda6detail10TensorInfoIT_T0_EENS5_IlS7_EENS5_IKS6_S7_EES7_S7_S7_b, .Lfunc_end74-_ZN2at6native12_GLOBAL__N_112gatherMedianIhjLi3EEEvNS_4cuda6detail10TensorInfoIT_T0_EENS5_IlS7_EENS5_IKS6_S7_EES7_S7_S7_b
                                        ; -- End function
	.set _ZN2at6native12_GLOBAL__N_112gatherMedianIhjLi3EEEvNS_4cuda6detail10TensorInfoIT_T0_EENS5_IlS7_EENS5_IKS6_S7_EES7_S7_S7_b.num_vgpr, 68
	.set _ZN2at6native12_GLOBAL__N_112gatherMedianIhjLi3EEEvNS_4cuda6detail10TensorInfoIT_T0_EENS5_IlS7_EENS5_IKS6_S7_EES7_S7_S7_b.num_agpr, 0
	.set _ZN2at6native12_GLOBAL__N_112gatherMedianIhjLi3EEEvNS_4cuda6detail10TensorInfoIT_T0_EENS5_IlS7_EENS5_IKS6_S7_EES7_S7_S7_b.numbered_sgpr, 96
	.set _ZN2at6native12_GLOBAL__N_112gatherMedianIhjLi3EEEvNS_4cuda6detail10TensorInfoIT_T0_EENS5_IlS7_EENS5_IKS6_S7_EES7_S7_S7_b.num_named_barrier, 0
	.set _ZN2at6native12_GLOBAL__N_112gatherMedianIhjLi3EEEvNS_4cuda6detail10TensorInfoIT_T0_EENS5_IlS7_EENS5_IKS6_S7_EES7_S7_S7_b.private_seg_size, 0
	.set _ZN2at6native12_GLOBAL__N_112gatherMedianIhjLi3EEEvNS_4cuda6detail10TensorInfoIT_T0_EENS5_IlS7_EENS5_IKS6_S7_EES7_S7_S7_b.uses_vcc, 1
	.set _ZN2at6native12_GLOBAL__N_112gatherMedianIhjLi3EEEvNS_4cuda6detail10TensorInfoIT_T0_EENS5_IlS7_EENS5_IKS6_S7_EES7_S7_S7_b.uses_flat_scratch, 0
	.set _ZN2at6native12_GLOBAL__N_112gatherMedianIhjLi3EEEvNS_4cuda6detail10TensorInfoIT_T0_EENS5_IlS7_EENS5_IKS6_S7_EES7_S7_S7_b.has_dyn_sized_stack, 0
	.set _ZN2at6native12_GLOBAL__N_112gatherMedianIhjLi3EEEvNS_4cuda6detail10TensorInfoIT_T0_EENS5_IlS7_EENS5_IKS6_S7_EES7_S7_S7_b.has_recursion, 0
	.set _ZN2at6native12_GLOBAL__N_112gatherMedianIhjLi3EEEvNS_4cuda6detail10TensorInfoIT_T0_EENS5_IlS7_EENS5_IKS6_S7_EES7_S7_S7_b.has_indirect_call, 0
	.section	.AMDGPU.csdata,"",@progbits
; Kernel info:
; codeLenInByte = 13044
; TotalNumSgprs: 98
; NumVgprs: 68
; ScratchSize: 0
; MemoryBound: 0
; FloatMode: 240
; IeeeMode: 1
; LDSByteSize: 4120 bytes/workgroup (compile time only)
; SGPRBlocks: 0
; VGPRBlocks: 8
; NumSGPRsForWavesPerEU: 98
; NumVGPRsForWavesPerEU: 68
; Occupancy: 16
; WaveLimiterHint : 1
; COMPUTE_PGM_RSRC2:SCRATCH_EN: 0
; COMPUTE_PGM_RSRC2:USER_SGPR: 2
; COMPUTE_PGM_RSRC2:TRAP_HANDLER: 0
; COMPUTE_PGM_RSRC2:TGID_X_EN: 1
; COMPUTE_PGM_RSRC2:TGID_Y_EN: 1
; COMPUTE_PGM_RSRC2:TGID_Z_EN: 1
; COMPUTE_PGM_RSRC2:TIDIG_COMP_CNT: 0
	.section	.text._ZN2at6native12_GLOBAL__N_112gatherMedianIhjLin1EEEvNS_4cuda6detail10TensorInfoIT_T0_EENS5_IlS7_EENS5_IKS6_S7_EES7_S7_S7_b,"axG",@progbits,_ZN2at6native12_GLOBAL__N_112gatherMedianIhjLin1EEEvNS_4cuda6detail10TensorInfoIT_T0_EENS5_IlS7_EENS5_IKS6_S7_EES7_S7_S7_b,comdat
	.globl	_ZN2at6native12_GLOBAL__N_112gatherMedianIhjLin1EEEvNS_4cuda6detail10TensorInfoIT_T0_EENS5_IlS7_EENS5_IKS6_S7_EES7_S7_S7_b ; -- Begin function _ZN2at6native12_GLOBAL__N_112gatherMedianIhjLin1EEEvNS_4cuda6detail10TensorInfoIT_T0_EENS5_IlS7_EENS5_IKS6_S7_EES7_S7_S7_b
	.p2align	8
	.type	_ZN2at6native12_GLOBAL__N_112gatherMedianIhjLin1EEEvNS_4cuda6detail10TensorInfoIT_T0_EENS5_IlS7_EENS5_IKS6_S7_EES7_S7_S7_b,@function
_ZN2at6native12_GLOBAL__N_112gatherMedianIhjLin1EEEvNS_4cuda6detail10TensorInfoIT_T0_EENS5_IlS7_EENS5_IKS6_S7_EES7_S7_S7_b: ; @_ZN2at6native12_GLOBAL__N_112gatherMedianIhjLin1EEEvNS_4cuda6detail10TensorInfoIT_T0_EENS5_IlS7_EENS5_IKS6_S7_EES7_S7_S7_b
; %bb.0:
	s_clause 0x1
	s_load_b64 s[4:5], s[0:1], 0x298
	s_load_b128 s[36:39], s[0:1], 0x288
	s_lshr_b32 s2, ttmp7, 16
	s_and_b32 s3, ttmp7, 0xffff
	s_wait_kmcnt 0x0
	s_mul_i32 s2, s5, s2
	s_delay_alu instid0(SALU_CYCLE_1) | instskip(NEXT) | instid1(SALU_CYCLE_1)
	s_add_co_i32 s2, s2, s3
	s_mul_i32 s2, s2, s4
	s_delay_alu instid0(SALU_CYCLE_1) | instskip(NEXT) | instid1(SALU_CYCLE_1)
	s_add_co_i32 s5, s2, ttmp9
	s_cmp_ge_u32 s5, s37
	s_cbranch_scc1 .LBB75_259
; %bb.1:
	s_load_b32 s2, s[0:1], 0xd0
	s_mov_b32 s31, 0
	s_mov_b32 s33, s5
	s_wait_kmcnt 0x0
	s_cmp_lt_i32 s2, 2
	s_cbranch_scc1 .LBB75_4
; %bb.2:
	s_add_co_i32 s30, s2, -1
	s_mov_b32 s33, s5
	s_lshl_b64 s[6:7], s[30:31], 2
	s_delay_alu instid0(SALU_CYCLE_1)
	s_add_nc_u64 s[8:9], s[0:1], s[6:7]
	s_add_co_i32 s6, s2, 1
	s_add_nc_u64 s[2:3], s[8:9], 8
.LBB75_3:                               ; =>This Inner Loop Header: Depth=1
	s_clause 0x1
	s_load_b32 s7, s[2:3], 0x0
	s_load_b32 s8, s[2:3], 0x64
	s_mov_b32 s11, s33
	s_add_nc_u64 s[2:3], s[2:3], -4
	s_wait_kmcnt 0x0
	s_cvt_f32_u32 s9, s7
	s_sub_co_i32 s10, 0, s7
	s_wait_alu 0xfffe
	s_delay_alu instid0(SALU_CYCLE_1) | instskip(NEXT) | instid1(TRANS32_DEP_1)
	v_rcp_iflag_f32_e32 v1, s9
	v_readfirstlane_b32 s9, v1
	s_mul_f32 s9, s9, 0x4f7ffffe
	s_wait_alu 0xfffe
	s_delay_alu instid0(SALU_CYCLE_2) | instskip(SKIP_1) | instid1(SALU_CYCLE_2)
	s_cvt_u32_f32 s9, s9
	s_wait_alu 0xfffe
	s_mul_i32 s10, s10, s9
	s_delay_alu instid0(SALU_CYCLE_1) | instskip(NEXT) | instid1(SALU_CYCLE_1)
	s_mul_hi_u32 s10, s9, s10
	s_add_co_i32 s9, s9, s10
	s_wait_alu 0xfffe
	s_mul_hi_u32 s9, s33, s9
	s_wait_alu 0xfffe
	s_mul_i32 s10, s9, s7
	s_add_co_i32 s12, s9, 1
	s_sub_co_i32 s10, s33, s10
	s_delay_alu instid0(SALU_CYCLE_1)
	s_sub_co_i32 s13, s10, s7
	s_cmp_ge_u32 s10, s7
	s_cselect_b32 s9, s12, s9
	s_cselect_b32 s10, s13, s10
	s_wait_alu 0xfffe
	s_add_co_i32 s12, s9, 1
	s_cmp_ge_u32 s10, s7
	s_cselect_b32 s33, s12, s9
	s_add_co_i32 s6, s6, -1
	s_mul_i32 s7, s33, s7
	s_delay_alu instid0(SALU_CYCLE_1) | instskip(NEXT) | instid1(SALU_CYCLE_1)
	s_sub_co_i32 s7, s11, s7
	s_mul_i32 s7, s8, s7
	s_delay_alu instid0(SALU_CYCLE_1)
	s_add_co_i32 s31, s7, s31
	s_cmp_gt_u32 s6, 2
	s_cbranch_scc1 .LBB75_3
.LBB75_4:
	s_load_b32 s6, s[0:1], 0x1a8
	s_add_nc_u64 s[12:13], s[0:1], 0x298
	s_add_nc_u64 s[2:3], s[0:1], 0xd8
	s_mov_b32 s35, 0
	s_mov_b32 s34, s5
	s_wait_kmcnt 0x0
	s_cmp_lt_i32 s6, 2
	s_cbranch_scc1 .LBB75_7
; %bb.5:
	s_add_co_i32 s34, s6, -1
	s_delay_alu instid0(SALU_CYCLE_1)
	s_lshl_b64 s[8:9], s[34:35], 2
	s_mov_b32 s34, s5
	s_wait_alu 0xfffe
	s_add_nc_u64 s[10:11], s[2:3], s[8:9]
	s_add_co_i32 s8, s6, 1
	s_add_nc_u64 s[6:7], s[10:11], 8
.LBB75_6:                               ; =>This Inner Loop Header: Depth=1
	s_clause 0x1
	s_load_b32 s9, s[6:7], 0x0
	s_load_b32 s10, s[6:7], 0x64
	s_mov_b32 s15, s34
	s_add_nc_u64 s[6:7], s[6:7], -4
	s_wait_kmcnt 0x0
	s_cvt_f32_u32 s11, s9
	s_sub_co_i32 s14, 0, s9
	s_wait_alu 0xfffe
	s_delay_alu instid0(SALU_CYCLE_1) | instskip(NEXT) | instid1(TRANS32_DEP_1)
	v_rcp_iflag_f32_e32 v1, s11
	v_readfirstlane_b32 s11, v1
	s_mul_f32 s11, s11, 0x4f7ffffe
	s_wait_alu 0xfffe
	s_delay_alu instid0(SALU_CYCLE_2) | instskip(SKIP_1) | instid1(SALU_CYCLE_2)
	s_cvt_u32_f32 s11, s11
	s_wait_alu 0xfffe
	s_mul_i32 s14, s14, s11
	s_delay_alu instid0(SALU_CYCLE_1) | instskip(NEXT) | instid1(SALU_CYCLE_1)
	s_mul_hi_u32 s14, s11, s14
	s_add_co_i32 s11, s11, s14
	s_wait_alu 0xfffe
	s_mul_hi_u32 s11, s34, s11
	s_wait_alu 0xfffe
	s_mul_i32 s14, s11, s9
	s_add_co_i32 s16, s11, 1
	s_sub_co_i32 s14, s34, s14
	s_delay_alu instid0(SALU_CYCLE_1)
	s_sub_co_i32 s17, s14, s9
	s_cmp_ge_u32 s14, s9
	s_cselect_b32 s11, s16, s11
	s_cselect_b32 s14, s17, s14
	s_wait_alu 0xfffe
	s_add_co_i32 s16, s11, 1
	s_cmp_ge_u32 s14, s9
	s_cselect_b32 s34, s16, s11
	s_add_co_i32 s8, s8, -1
	s_mul_i32 s9, s34, s9
	s_wait_alu 0xfffe
	s_sub_co_i32 s9, s15, s9
	s_wait_alu 0xfffe
	s_mul_i32 s9, s10, s9
	s_wait_alu 0xfffe
	s_add_co_i32 s35, s9, s35
	s_cmp_gt_u32 s8, 2
	s_cbranch_scc1 .LBB75_6
.LBB75_7:
	s_clause 0x1
	s_load_b32 s54, s[0:1], 0x6c
	s_load_b32 s8, s[0:1], 0x280
	s_mov_b32 s7, 0
	s_wait_kmcnt 0x0
	s_cmp_lt_i32 s8, 2
	s_cbranch_scc1 .LBB75_10
; %bb.8:
	s_add_co_i32 s6, s8, -1
	s_add_nc_u64 s[10:11], s[0:1], 0x1b0
	s_lshl_b64 s[14:15], s[6:7], 2
	s_add_co_i32 s6, s8, 1
	s_wait_alu 0xfffe
	s_add_nc_u64 s[10:11], s[10:11], s[14:15]
	s_wait_alu 0xfffe
	s_add_nc_u64 s[8:9], s[10:11], 8
.LBB75_9:                               ; =>This Inner Loop Header: Depth=1
	s_clause 0x1
	s_load_b32 s10, s[8:9], 0x0
	s_load_b32 s11, s[8:9], 0x64
	s_mov_b32 s16, s5
	s_add_nc_u64 s[8:9], s[8:9], -4
	s_wait_kmcnt 0x0
	s_cvt_f32_u32 s14, s10
	s_sub_co_i32 s15, 0, s10
	s_wait_alu 0xfffe
	s_delay_alu instid0(SALU_CYCLE_1) | instskip(NEXT) | instid1(TRANS32_DEP_1)
	v_rcp_iflag_f32_e32 v1, s14
	v_readfirstlane_b32 s14, v1
	s_mul_f32 s14, s14, 0x4f7ffffe
	s_wait_alu 0xfffe
	s_delay_alu instid0(SALU_CYCLE_2) | instskip(SKIP_1) | instid1(SALU_CYCLE_2)
	s_cvt_u32_f32 s14, s14
	s_wait_alu 0xfffe
	s_mul_i32 s15, s15, s14
	s_wait_alu 0xfffe
	s_mul_hi_u32 s15, s14, s15
	s_wait_alu 0xfffe
	s_add_co_i32 s14, s14, s15
	s_wait_alu 0xfffe
	s_mul_hi_u32 s5, s5, s14
	s_delay_alu instid0(SALU_CYCLE_1)
	s_mul_i32 s14, s5, s10
	s_add_co_i32 s15, s5, 1
	s_wait_alu 0xfffe
	s_sub_co_i32 s14, s16, s14
	s_wait_alu 0xfffe
	s_sub_co_i32 s17, s14, s10
	s_cmp_ge_u32 s14, s10
	s_cselect_b32 s5, s15, s5
	s_cselect_b32 s14, s17, s14
	s_add_co_i32 s15, s5, 1
	s_wait_alu 0xfffe
	s_cmp_ge_u32 s14, s10
	s_cselect_b32 s5, s15, s5
	s_add_co_i32 s6, s6, -1
	s_mul_i32 s10, s5, s10
	s_wait_alu 0xfffe
	s_sub_co_i32 s10, s16, s10
	s_wait_alu 0xfffe
	s_mul_i32 s10, s11, s10
	s_wait_alu 0xfffe
	s_add_co_i32 s7, s10, s7
	s_cmp_gt_u32 s6, 2
	s_cbranch_scc1 .LBB75_9
.LBB75_10:
	s_load_b32 s55, s[2:3], 0x6c
	v_cmp_eq_u32_e64 s2, 0, v0
	s_and_saveexec_b32 s3, s2
; %bb.11:
	v_mov_b32_e32 v1, 0
	s_delay_alu instid0(VALU_DEP_1)
	v_mov_b32_e32 v2, v1
	ds_store_b64 v1, v[1:2] offset:4096
; %bb.12:
	s_or_b32 exec_lo, exec_lo, s3
	v_mov_b32_e32 v1, 0
	s_wait_dscnt 0x0
	s_barrier_signal -1
	s_barrier_wait -1
	global_inv scope:SCOPE_SE
	s_wait_loadcnt 0x0
	s_barrier_signal -1
	s_barrier_wait -1
	global_inv scope:SCOPE_SE
	ds_load_b64 v[1:2], v1 offset:4096
	s_bitcmp1_b32 s39, 0
	s_mov_b32 s11, s36
	s_cselect_b32 s6, -1, 0
	s_wait_dscnt 0x0
	v_readfirstlane_b32 s8, v1
	v_readfirstlane_b32 s9, v2
	s_wait_alu 0xf1ff
	s_delay_alu instid0(VALU_DEP_1) | instskip(SKIP_1) | instid1(SALU_CYCLE_1)
	v_cmp_lt_i64_e64 s3, s[8:9], 1
	s_or_b32 s3, s6, s3
	s_and_not1_b32 vcc_lo, exec_lo, s3
	s_cbranch_vccnz .LBB75_14
; %bb.13:
	s_not_b64 s[8:9], s[8:9]
	s_mov_b32 s37, 0
	s_wait_alu 0xfffe
	s_add_nc_u64 s[8:9], s[8:9], s[36:37]
	s_mov_b32 s11, s37
	s_wait_alu 0xfffe
	s_lshr_b32 s10, s9, 31
	s_wait_alu 0xfffe
	s_add_nc_u64 s[8:9], s[8:9], s[10:11]
	s_wait_alu 0xfffe
	s_lshr_b64 s[8:9], s[8:9], 1
	s_wait_alu 0xfffe
	s_add_co_i32 s11, s8, 1
.LBB75_14:
	s_clause 0x2
	s_load_b64 s[42:43], s[0:1], 0x0
	s_load_b32 s3, s[0:1], 0x21c
	s_load_b64 s[8:9], s[0:1], 0x1b0
	s_and_saveexec_b32 s6, s2
	s_cbranch_execz .LBB75_16
; %bb.15:
	v_dual_mov_b32 v1, 0 :: v_dual_mov_b32 v2, s36
	ds_store_b32 v1, v1 offset:4112
	ds_store_b64 v1, v[1:2] offset:4104
.LBB75_16:
	s_or_b32 exec_lo, exec_lo, s6
	s_wait_loadcnt_dscnt 0x0
	s_barrier_signal -1
	s_barrier_wait -1
	global_inv scope:SCOPE_SE
	s_load_b32 s6, s[12:13], 0xc
	s_load_b64 s[40:41], s[0:1], 0xd8
	v_mul_lo_u32 v15, s38, v0
	s_wait_kmcnt 0x0
	s_mul_i32 s5, s3, s5
	s_mov_b32 s47, 0
	s_add_co_i32 s46, s5, s7
	v_mbcnt_lo_u32_b32 v16, -1, 0
	s_add_nc_u64 s[44:45], s[8:9], s[46:47]
	v_dual_mov_b32 v34, s11 :: v_dual_add_nc_u32 v1, 2, v0
	v_cmp_gt_u32_e32 vcc_lo, 32, v0
	s_delay_alu instid0(VALU_DEP_3) | instskip(SKIP_1) | instid1(VALU_DEP_4)
	v_cmp_gt_i32_e64 s3, 4, v16
	v_dual_mov_b32 v18, 0 :: v_dual_lshlrev_b32 v17, 2, v0
	v_max_u32_e32 v3, s36, v1
	v_lshlrev_b64_e64 v[1:2], v16, -1
	s_and_b32 s39, vcc_lo, s3
	v_cmp_gt_u32_e64 s0, s36, v0
	s_wait_alu 0xfffe
	v_mad_co_u64_u32 v[13:14], null, s38, v17, s[38:39]
	s_and_b32 s37, s6, 0xffff
	s_bfe_u32 s5, s6, 0xb0005
	s_wait_alu 0xfffe
	s_lshl_b32 s57, s37, 2
	v_add_co_u32 v9, s6, s44, v15
	s_delay_alu instid0(VALU_DEP_1)
	v_add_co_ci_u32_e64 v10, null, s45, 0, s6
	s_cvt_f32_u32 s6, s57
	s_add_co_i32 s56, s37, -1
	v_not_b32_e32 v19, v1
	s_add_co_i32 s10, s56, s36
	s_wait_alu 0xfffe
	v_rcp_iflag_f32_e32 v4, s6
	s_cmp_gt_u32 s36, 0xc00
	v_lshrrev_b32_e32 v1, 1, v0
	s_cselect_b32 s58, -1, 0
	s_cmp_gt_u32 s37, 31
	s_movk_i32 s6, 0x1f0
	s_cselect_b32 s59, -1, 0
	s_cmp_lt_u32 ttmp9, s4
	s_wait_alu 0xfffe
	v_and_or_b32 v20, v1, s6, 0xc00
	s_cselect_b32 s46, 12, 18
	s_add_co_i32 s4, s5, -1
	v_readfirstlane_b32 s6, v4
	s_and_b32 s4, s4, 0xffff
	s_bfe_u32 s61, s37, 0x30005
	s_cmp_gt_u32 s4, 6
	v_xad_u32 v2, v0, -1, v3
	s_cselect_b32 s62, -1, 0
	s_and_b32 s63, s5, 0x7f8
	s_mul_f32 s5, s6, 0x4f7ffffe
	s_cvt_f32_u32 s6, s37
	s_cmp_lg_u32 s61, 0
	v_dual_mov_b32 v14, 0 :: v_dual_add_nc_u32 v3, -4, v2
	s_cvt_u32_f32 s5, s5
	s_cselect_b32 s64, -1, 0
	s_sub_co_i32 s7, 0, s57
	s_wait_alu 0xfffe
	v_rcp_iflag_f32_e32 v4, s6
	s_mul_i32 s7, s7, s5
	v_lshrrev_b32_e32 v5, 2, v3
	s_wait_alu 0xfffe
	s_mul_hi_u32 s6, s5, s7
	v_mov_b32_e32 v32, 0
	s_wait_alu 0xfffe
	s_add_co_i32 s48, s5, s6
	v_and_b32_e32 v21, -4, v2
	s_mul_hi_u32 s5, s36, s48
	v_add_nc_u32_e32 v1, 1, v5
	s_mul_i32 s5, s5, s57
	v_readfirstlane_b32 s6, v4
	s_sub_co_i32 s5, s36, s5
	v_cmp_lt_u32_e64 s4, 31, v2
	s_sub_co_i32 s7, s5, s57
	s_cmp_ge_u32 s5, s57
	s_mul_f32 s6, s6, 0x4f7ffffe
	s_wait_alu 0xfffe
	s_cselect_b32 s7, s7, s5
	v_dual_mov_b32 v31, 0 :: v_dual_and_b32 v4, 3, v1
	s_wait_alu 0xfffe
	s_sub_co_i32 s8, s7, s57
	s_cmp_ge_u32 s7, s57
	s_cvt_u32_f32 s9, s6
	s_wait_alu 0xfffe
	s_cselect_b32 s14, s8, s7
	s_sub_co_i32 s6, 0, s37
	s_wait_alu 0xfffe
	s_sub_co_i32 s69, s36, s14
	s_mul_i32 s7, s6, s9
	v_add_nc_u32_e32 v24, s69, v0
	s_wait_alu 0xfffe
	s_mul_hi_u32 s8, s9, s7
	v_and_b32_e32 v23, 0x7ffffffc, v1
	s_wait_alu 0xfffe
	s_add_co_i32 s50, s9, s8
	v_cmp_lt_u32_e64 s5, 11, v3
	s_mul_hi_u32 s8, s10, s50
	v_mul_lo_u32 v1, v24, s38
	s_wait_alu 0xfffe
	s_mul_i32 s8, s8, s37
	v_cmp_ne_u32_e64 s7, v2, v21
	s_wait_alu 0xfffe
	s_sub_co_i32 s8, s10, s8
	v_or_b32_e32 v2, 2, v17
	s_wait_alu 0xfffe
	s_sub_co_i32 s9, s8, s37
	s_cmp_ge_u32 s8, s37
	v_or_b32_e32 v3, 3, v17
	s_wait_alu 0xfffe
	s_cselect_b32 s15, s9, s8
	v_mul_lo_u32 v26, s38, v2
	s_wait_alu 0xfffe
	s_sub_co_i32 s16, s15, s37
	s_cmp_ge_u32 s15, s37
	v_mul_lo_u32 v27, s38, v3
	s_cselect_b32 s15, s16, s15
	v_add_co_u32 v11, s16, s44, v1
	v_add3_u32 v1, s37, s36, v0
	s_wait_alu 0xfffe
	s_sub_co_i32 s70, s10, s15
	v_cmp_gt_u32_e64 s1, 2, v0
	v_cmp_eq_u32_e64 s3, 0, v16
	v_dual_mov_b32 v33, 0 :: v_dual_add_nc_u32 v22, v0, v21
	v_subrev_nc_u32_e32 v1, s14, v1
	v_cmp_ne_u32_e64 s6, 0, v4
	v_cmp_gt_u32_e64 s8, s69, v17
	v_cmp_gt_u32_e64 s9, s36, v24
	v_add_co_ci_u32_e64 v12, null, s45, 0, s16
	v_mul_lo_u32 v29, s38, v1
	v_cmp_gt_u32_e64 s10, s70, v0
	v_lshlrev_b32_e32 v25, 2, v4
	v_lshlrev_b32_e32 v28, 2, v15
	v_lshl_or_b32 v30, v16, 2, 0xc00
	s_mul_i32 s60, s38, s37
	s_mov_b32 s65, s38
	s_mov_b32 s66, s38
	;; [unrolled: 1-line block ×7, first 2 shown]
	s_lshl_b32 s71, s60, 2
	s_add_nc_u64 s[52:53], s[12:13], s[46:47]
	s_mov_b32 s72, 0
                                        ; implicit-def: $sgpr76
                                        ; implicit-def: $sgpr78
                                        ; implicit-def: $sgpr73
                                        ; implicit-def: $sgpr75
                                        ; implicit-def: $sgpr77
                                        ; implicit-def: $sgpr74
	s_branch .LBB75_20
.LBB75_17:                              ;   in Loop: Header=BB75_20 Depth=1
	s_wait_alu 0xfffe
	s_or_b32 exec_lo, exec_lo, s15
	s_delay_alu instid0(SALU_CYCLE_1)
	s_and_b32 s12, s12, exec_lo
	s_and_not1_b32 s17, s17, exec_lo
	s_and_not1_b32 s16, s16, exec_lo
	s_or_not1_b32 s14, s14, exec_lo
.LBB75_18:                              ;   in Loop: Header=BB75_20 Depth=1
	s_wait_alu 0xfffe
	s_or_b32 exec_lo, exec_lo, s11
	s_delay_alu instid0(SALU_CYCLE_1)
	s_and_not1_b32 s11, s74, exec_lo
	s_and_b32 s12, s12, exec_lo
	s_and_not1_b32 s15, s75, exec_lo
	s_wait_alu 0xfffe
	s_or_b32 s74, s11, s12
	s_and_not1_b32 s11, s77, exec_lo
	s_and_b32 s12, s17, exec_lo
	s_and_b32 s16, s16, exec_lo
	s_wait_alu 0xfffe
	s_or_b32 s77, s11, s12
	s_or_b32 s75, s15, s16
	s_or_not1_b32 s15, s14, exec_lo
.LBB75_19:                              ;   in Loop: Header=BB75_20 Depth=1
	s_wait_alu 0xfffe
	s_or_b32 exec_lo, exec_lo, s13
	s_delay_alu instid0(SALU_CYCLE_1)
	s_and_b32 s11, exec_lo, s15
	v_mov_b32_e32 v34, v2
	s_wait_alu 0xfffe
	s_or_b32 s72, s11, s72
	s_and_not1_b32 s11, s73, exec_lo
	s_and_b32 s12, s74, exec_lo
	s_and_not1_b32 s13, s78, exec_lo
	s_wait_alu 0xfffe
	s_or_b32 s73, s11, s12
	s_and_b32 s11, s77, exec_lo
	s_and_not1_b32 s12, s76, exec_lo
	s_and_b32 s14, s75, exec_lo
	s_wait_alu 0xfffe
	s_or_b32 s78, s13, s11
	s_or_b32 s76, s12, s14
	s_mov_b32 s79, s22
	s_and_not1_b32 exec_lo, exec_lo, s72
	s_cbranch_execz .LBB75_255
.LBB75_20:                              ; =>This Loop Header: Depth=1
                                        ;     Child Loop BB75_25 Depth 2
                                        ;     Child Loop BB75_46 Depth 2
                                        ;     Child Loop BB75_50 Depth 2
                                        ;     Child Loop BB75_56 Depth 2
                                        ;     Child Loop BB75_88 Depth 2
                                        ;     Child Loop BB75_92 Depth 2
                                        ;     Child Loop BB75_77 Depth 2
                                        ;     Child Loop BB75_82 Depth 2
                                        ;     Child Loop BB75_73 Depth 2
                                        ;     Child Loop BB75_97 Depth 2
                                        ;     Child Loop BB75_107 Depth 2
                                        ;     Child Loop BB75_118 Depth 2
                                        ;     Child Loop BB75_144 Depth 2
                                        ;     Child Loop BB75_155 Depth 2
                                        ;     Child Loop BB75_181 Depth 2
                                        ;     Child Loop BB75_192 Depth 2
                                        ;     Child Loop BB75_218 Depth 2
                                        ;     Child Loop BB75_229 Depth 2
	ds_load_b64 v[1:2], v18 offset:4104
	s_wait_dscnt 0x0
	v_readfirstlane_b32 s46, v1
	s_cmp_lg_u32 s46, 0
	s_cbranch_scc1 .LBB75_65
; %bb.21:                               ;   in Loop: Header=BB75_20 Depth=1
	s_and_b32 vcc_lo, exec_lo, s58
	s_wait_alu 0xfffe
	s_cbranch_vccz .LBB75_33
; %bb.22:                               ;   in Loop: Header=BB75_20 Depth=1
	v_cmp_gt_u32_e32 vcc_lo, 0xc01, v2
	s_mov_b32 s13, 0
	s_mov_b32 s11, 0
	s_cbranch_vccz .LBB75_34
; %bb.23:                               ;   in Loop: Header=BB75_20 Depth=1
	global_load_u8 v2, v[9:10], off
	s_load_u16 s14, s[52:53], 0x0
	v_mov_b32_e32 v3, v0
	s_mov_b32 s15, 0
	s_wait_kmcnt 0x0
	v_add_nc_u32_e32 v1, s14, v0
	s_mul_i32 s16, s38, s14
	s_delay_alu instid0(VALU_DEP_1)
	v_mul_lo_u32 v1, s38, v1
	s_branch .LBB75_25
.LBB75_24:                              ;   in Loop: Header=BB75_25 Depth=2
	s_wait_alu 0xfffe
	s_or_b32 exec_lo, exec_lo, s12
	v_dual_mov_b32 v2, v4 :: v_dual_add_nc_u32 v1, s16, v1
	s_and_not1_b32 exec_lo, exec_lo, s15
	s_cbranch_execz .LBB75_40
.LBB75_25:                              ;   Parent Loop BB75_20 Depth=1
                                        ; =>  This Inner Loop Header: Depth=2
	v_dual_mov_b32 v4, 0 :: v_dual_add_nc_u32 v3, s14, v3
	s_wait_dscnt 0x0
	v_mov_b32_e32 v5, 0
	s_mov_b32 s12, exec_lo
	s_delay_alu instid0(VALU_DEP_2)
	v_cmp_le_u32_e32 vcc_lo, s36, v3
	v_cmpx_gt_u32_e64 s36, v3
	s_cbranch_execz .LBB75_27
; %bb.26:                               ;   in Loop: Header=BB75_25 Depth=2
	global_load_u8 v4, v1, s[44:45]
.LBB75_27:                              ;   in Loop: Header=BB75_25 Depth=2
	s_wait_alu 0xfffe
	s_or_b32 exec_lo, exec_lo, s12
	s_wait_loadcnt 0x0
	v_and_b32_e32 v6, v2, v32
	s_delay_alu instid0(VALU_DEP_1) | instskip(NEXT) | instid1(VALU_DEP_1)
	v_and_b32_e32 v6, 0xff, v6
	v_cmp_eq_u32_e64 s11, v6, v14
	s_cmp_lg_u32 s11, 0
	s_cselect_b32 s12, -1, 0
	s_wait_alu 0xfffe
	s_and_b32 s12, s3, s12
	s_wait_alu 0xfffe
	s_and_saveexec_b32 s17, s12
	s_cbranch_execz .LBB75_31
; %bb.28:                               ;   in Loop: Header=BB75_25 Depth=2
	s_mov_b32 s20, exec_lo
	s_bcnt1_i32_b32 s18, s11
	s_wait_alu 0xfffe
	v_mbcnt_lo_u32_b32 v5, s20, 0
	s_mov_b32 s19, exec_lo
                                        ; implicit-def: $vgpr6
	s_delay_alu instid0(VALU_DEP_1)
	v_cmpx_eq_u32_e32 0, v5
; %bb.29:                               ;   in Loop: Header=BB75_25 Depth=2
	s_bcnt1_i32_b32 s12, s20
	s_wait_alu 0xfffe
	s_mul_i32 s12, s18, s12
	s_wait_alu 0xfffe
	v_mov_b32_e32 v6, s12
	ds_add_rtn_u32 v6, v18, v6 offset:4112
; %bb.30:                               ;   in Loop: Header=BB75_25 Depth=2
	s_or_b32 exec_lo, exec_lo, s19
	s_wait_dscnt 0x0
	v_readfirstlane_b32 s12, v6
	s_wait_alu 0xf1ff
	s_delay_alu instid0(VALU_DEP_1)
	v_mad_u32_u24 v5, s18, v5, s12
.LBB75_31:                              ;   in Loop: Header=BB75_25 Depth=2
	s_wait_alu 0xfffe
	s_or_b32 exec_lo, exec_lo, s17
	ds_bpermute_b32 v5, v18, v5
	s_and_b32 s12, exec_lo, vcc_lo
	s_wait_alu 0xfffe
	s_or_b32 s15, s12, s15
	s_and_saveexec_b32 s12, s11
	s_cbranch_execz .LBB75_24
; %bb.32:                               ;   in Loop: Header=BB75_25 Depth=2
	v_and_b32_e32 v6, s11, v19
	s_wait_dscnt 0x0
	s_delay_alu instid0(VALU_DEP_1)
	v_bcnt_u32_b32 v5, v6, v5
	ds_store_b8 v5, v2
	s_branch .LBB75_24
.LBB75_33:                              ;   in Loop: Header=BB75_20 Depth=1
	s_mov_b32 s13, -1
	s_mov_b32 s11, 0
.LBB75_34:                              ;   in Loop: Header=BB75_20 Depth=1
	s_wait_alu 0xfffe
	s_and_b32 vcc_lo, exec_lo, s13
	s_wait_alu 0xfffe
	s_cbranch_vccz .LBB75_63
.LBB75_35:                              ;   in Loop: Header=BB75_20 Depth=1
	s_and_saveexec_b32 s12, s0
	s_cbranch_execz .LBB75_60
; %bb.36:                               ;   in Loop: Header=BB75_20 Depth=1
	global_load_u8 v35, v[9:10], off
	s_load_u16 s14, s[52:53], 0x0
	s_mov_b32 s13, exec_lo
	s_wait_kmcnt 0x0
	v_dual_mov_b32 v2, v0 :: v_dual_add_nc_u32 v1, s14, v0
	s_delay_alu instid0(VALU_DEP_1)
	v_cmpx_gt_u32_e64 s36, v1
	s_cbranch_execz .LBB75_59
; %bb.37:                               ;   in Loop: Header=BB75_20 Depth=1
	s_mov_b32 s11, 0
	s_mul_i32 s15, s38, s14
                                        ; implicit-def: $vgpr2
                                        ; implicit-def: $vgpr5
                                        ; implicit-def: $vgpr3
                                        ; implicit-def: $vgpr4
	s_and_saveexec_b32 s16, s4
	s_wait_alu 0xfffe
	s_xor_b32 s16, exec_lo, s16
	s_cbranch_execnz .LBB75_43
; %bb.38:                               ;   in Loop: Header=BB75_20 Depth=1
	s_wait_alu 0xfffe
	s_and_not1_saveexec_b32 s16, s16
	s_cbranch_execnz .LBB75_54
.LBB75_39:                              ;   in Loop: Header=BB75_20 Depth=1
	s_wait_alu 0xfffe
	s_or_b32 exec_lo, exec_lo, s16
	s_and_saveexec_b32 s15, s11
	s_cbranch_execnz .LBB75_55
	s_branch .LBB75_58
.LBB75_40:                              ;   in Loop: Header=BB75_20 Depth=1
	s_or_b32 exec_lo, exec_lo, s15
	s_wait_dscnt 0x0
	s_barrier_signal -1
	s_barrier_wait -1
	global_inv scope:SCOPE_SE
	s_and_saveexec_b32 s11, s2
	s_cbranch_execz .LBB75_42
; %bb.41:                               ;   in Loop: Header=BB75_20 Depth=1
	ds_load_b32 v1, v18 offset:4112
	s_wait_dscnt 0x0
	ds_store_b32 v18, v1 offset:4104
.LBB75_42:                              ;   in Loop: Header=BB75_20 Depth=1
	s_wait_alu 0xfffe
	s_or_b32 exec_lo, exec_lo, s11
	s_wait_loadcnt_dscnt 0x0
	s_barrier_signal -1
	s_mov_b32 s11, -1
	s_barrier_wait -1
	s_and_b32 vcc_lo, exec_lo, s13
	s_wait_alu 0xfffe
	s_cbranch_vccnz .LBB75_35
	s_branch .LBB75_63
.LBB75_43:                              ;   in Loop: Header=BB75_20 Depth=1
	v_add_nc_u32_e32 v2, s14, v1
	s_cvt_f32_u32 s11, s14
	s_wait_alu 0xfffe
	s_delay_alu instid0(SALU_CYCLE_2) | instskip(NEXT) | instid1(VALU_DEP_1)
	v_rcp_iflag_f32_e32 v3, s11
	v_max_u32_e32 v2, s36, v2
	s_lshl_b32 s11, s14, 1
	s_delay_alu instid0(VALU_DEP_1) | instskip(NEXT) | instid1(TRANS32_DEP_1)
	v_sub_nc_u32_e32 v2, v2, v0
	v_readfirstlane_b32 s17, v3
	s_wait_alu 0xfffe
	s_delay_alu instid0(VALU_DEP_2) | instskip(SKIP_3) | instid1(VALU_DEP_1)
	v_cmp_ne_u32_e32 vcc_lo, s11, v2
	s_mul_f32 s17, s17, 0x4f7ffffe
	s_wait_alu 0xfffd
	v_cndmask_b32_e64 v3, 0, 1, vcc_lo
	v_or_b32_e32 v3, s11, v3
	s_wait_alu 0xfffe
	s_cvt_u32_f32 s11, s17
	s_sub_co_i32 s17, 0, s14
	s_wait_alu 0xfffe
	s_delay_alu instid0(SALU_CYCLE_1)
	s_mul_i32 s17, s17, s11
	v_sub_nc_u32_e32 v2, v2, v3
	s_wait_alu 0xfffe
	s_mul_hi_u32 s17, s11, s17
	s_wait_alu 0xfffe
	s_add_co_i32 s11, s11, s17
	s_not_b32 s17, s15
	s_wait_alu 0xfffe
	v_mul_hi_u32 v3, v2, s11
	s_delay_alu instid0(VALU_DEP_1) | instskip(NEXT) | instid1(VALU_DEP_1)
	v_mul_lo_u32 v4, v3, s14
	v_sub_nc_u32_e32 v2, v2, v4
	v_add_nc_u32_e32 v4, 1, v3
	s_delay_alu instid0(VALU_DEP_2) | instskip(SKIP_2) | instid1(VALU_DEP_1)
	v_subrev_nc_u32_e32 v5, s14, v2
	v_cmp_le_u32_e64 s11, s14, v2
	s_wait_alu 0xf1ff
	v_cndmask_b32_e64 v3, v3, v4, s11
	s_delay_alu instid0(VALU_DEP_3) | instskip(NEXT) | instid1(VALU_DEP_2)
	v_cndmask_b32_e64 v2, v2, v5, s11
	v_add_nc_u32_e32 v4, 1, v3
	s_delay_alu instid0(VALU_DEP_2) | instskip(SKIP_1) | instid1(VALU_DEP_1)
	v_cmp_le_u32_e64 s11, s14, v2
	s_wait_alu 0xf1ff
	v_cndmask_b32_e64 v2, v3, v4, s11
	v_mul_lo_u32 v3, s38, v1
	s_abs_i32 s11, s15
	s_delay_alu instid0(VALU_DEP_2) | instskip(SKIP_1) | instid1(VALU_DEP_1)
	v_add_co_ci_u32_e64 v2, null, 0, v2, vcc_lo
	s_wait_alu 0xfffe
	v_mul_hi_u32 v4, s11, v2
	v_mul_lo_u32 v2, s11, v2
	s_ashr_i32 s11, s17, 31
	s_cmp_eq_u32 s14, 1
	s_wait_alu 0xfffe
	v_xor_b32_e32 v3, s11, v3
	s_cselect_b32 s17, -1, 0
	s_delay_alu instid0(VALU_DEP_3) | instskip(NEXT) | instid1(VALU_DEP_2)
	v_cmp_eq_u32_e32 vcc_lo, 0, v4
	v_cmp_le_u32_e64 s11, v2, v3
	v_mov_b32_e32 v3, v0
                                        ; implicit-def: $vgpr2
	s_wait_alu 0xfffe
	s_and_b32 s17, vcc_lo, s17
	s_wait_alu 0xfffe
	s_and_b32 s18, s17, s11
	s_mov_b32 s17, -1
	s_wait_alu 0xfffe
	s_and_saveexec_b32 s11, s18
	s_cbranch_execz .LBB75_53
; %bb.44:                               ;   in Loop: Header=BB75_20 Depth=1
	v_add_nc_u32_e32 v4, 3, v1
	v_dual_mov_b32 v38, 0 :: v_dual_add_nc_u32 v3, 2, v1
	v_add_nc_u32_e32 v2, 1, v1
	s_wait_loadcnt 0x0
	v_lshlrev_b32_e32 v36, 24, v35
	v_dual_mov_b32 v8, v4 :: v_dual_mov_b32 v5, v1
	s_delay_alu instid0(VALU_DEP_3)
	v_dual_mov_b32 v7, v3 :: v_dual_mov_b32 v6, v2
                                        ; implicit-def: $vgpr35
	s_and_saveexec_b32 s17, s5
	s_cbranch_execz .LBB75_48
; %bb.45:                               ;   in Loop: Header=BB75_20 Depth=1
	v_dual_mov_b32 v37, v23 :: v_dual_mov_b32 v8, v4
	v_dual_mov_b32 v7, v3 :: v_dual_mov_b32 v6, v2
	v_mov_b32_e32 v5, v1
	s_mov_b32 s18, 0
	s_mov_b32 s19, 0
.LBB75_46:                              ;   Parent Loop BB75_20 Depth=1
                                        ; =>  This Inner Loop Header: Depth=2
	s_delay_alu instid0(VALU_DEP_1)
	v_mul_lo_u32 v2, v5, s65
	v_mul_lo_u32 v38, v6, s66
	v_add_nc_u32_e32 v3, 4, v5
	v_mul_lo_u32 v35, v7, s67
	v_add_nc_u32_e32 v39, 4, v6
	;; [unrolled: 2-line block ×3, first 2 shown]
	v_mul_lo_u32 v53, v3, s65
	v_add_co_u32 v2, s20, s44, v2
	v_add_nc_u32_e32 v41, 4, v8
	v_add_nc_u32_e32 v42, 8, v5
	v_mul_lo_u32 v52, v39, s66
	s_wait_alu 0xf1ff
	v_add_co_ci_u32_e64 v3, null, s45, 0, s20
	v_add_co_u32 v38, s20, s44, v38
	v_add_nc_u32_e32 v43, 8, v6
	v_add_nc_u32_e32 v44, 8, v7
	v_mul_lo_u32 v51, v40, s67
	s_wait_alu 0xf1ff
	v_add_co_ci_u32_e64 v39, null, s45, 0, s20
	v_add_co_u32 v40, s20, s44, v35
	v_add_nc_u32_e32 v45, 8, v8
	v_add_nc_u32_e32 v46, 12, v5
	v_mul_lo_u32 v50, v41, s68
	v_mul_lo_u32 v55, v42, s65
	s_wait_alu 0xf1ff
	v_add_co_ci_u32_e64 v41, null, s45, 0, s20
	v_add_co_u32 v42, s20, s44, v4
	v_add_nc_u32_e32 v47, 12, v6
	v_add_nc_u32_e32 v48, 12, v7
	v_mul_lo_u32 v56, v44, s67
	v_mul_lo_u32 v54, v43, s66
	s_wait_alu 0xf1ff
	v_add_co_ci_u32_e64 v43, null, s45, 0, s20
	v_add_co_u32 v44, s20, s44, v53
	v_add_nc_u32_e32 v49, 12, v8
	v_mul_lo_u32 v58, v45, s68
	v_mul_lo_u32 v60, v46, s65
	s_wait_alu 0xf1ff
	v_add_co_ci_u32_e64 v45, null, s45, 0, s20
	v_add_co_u32 v46, s20, s44, v52
	v_mul_lo_u32 v64, v48, s67
	v_mul_lo_u32 v62, v47, s66
	s_wait_alu 0xf1ff
	v_add_co_ci_u32_e64 v47, null, s45, 0, s20
	v_add_co_u32 v48, s20, s44, v51
	v_mul_lo_u32 v66, v49, s68
	s_wait_alu 0xf1ff
	v_add_co_ci_u32_e64 v49, null, s45, 0, s20
	v_add_co_u32 v50, s20, s44, v50
	s_wait_alu 0xf1ff
	v_add_co_ci_u32_e64 v51, null, s45, 0, s20
	v_add_co_u32 v52, s20, s44, v55
	;; [unrolled: 3-line block ×9, first 2 shown]
	s_wait_alu 0xf1ff
	v_add_co_ci_u32_e64 v67, null, s45, 0, s20
	s_clause 0xf
	global_load_u8 v4, v[40:41], off
	global_load_u8 v40, v[42:43], off
	;; [unrolled: 1-line block ×16, first 2 shown]
	v_add_nc_u32_e32 v37, -4, v37
	s_wait_alu 0xfffe
	v_add_nc_u32_e32 v51, s19, v0
	s_add_co_i32 s19, s19, 16
	v_add_nc_u32_e32 v8, 16, v8
	v_add_nc_u32_e32 v7, 16, v7
	v_cmp_eq_u32_e32 vcc_lo, 0, v37
	v_add_nc_u32_e32 v6, 16, v6
	s_wait_alu 0xfffe
	v_dual_mov_b32 v38, s19 :: v_dual_add_nc_u32 v5, 16, v5
	s_or_b32 s18, vcc_lo, s18
	s_wait_loadcnt 0x9
	v_perm_b32 v4, v39, v4, 0xc0c0004
	s_wait_loadcnt 0x8
	v_perm_b32 v2, v36, v2, 0xc0c0007
	v_perm_b32 v36, v40, v41, 0xc0c0004
	;; [unrolled: 1-line block ×3, first 2 shown]
	s_wait_loadcnt 0x7
	v_perm_b32 v3, v43, v3, 0xc0c0004
	s_wait_loadcnt 0x4
	v_perm_b32 v41, v47, v45, 0xc0c0004
	v_lshl_or_b32 v39, v4, 16, v2
	s_wait_loadcnt 0x2
	v_perm_b32 v44, v48, v49, 0xc0c0004
	s_wait_loadcnt 0x1
	v_perm_b32 v43, v50, v48, 0xc0c0004
	v_perm_b32 v42, v46, v50, 0xc0c0004
	s_wait_loadcnt 0x0
	v_perm_b32 v45, v49, v35, 0xc0c0004
	v_lshl_or_b32 v40, v40, 16, v36
	v_lshl_or_b32 v41, v41, 16, v3
	;; [unrolled: 1-line block ×3, first 2 shown]
	s_delay_alu instid0(VALU_DEP_4)
	v_lshl_or_b32 v36, v45, 16, v43
	ds_store_b128 v51, v[39:42]
	s_wait_alu 0xfffe
	s_and_not1_b32 exec_lo, exec_lo, s18
	s_cbranch_execnz .LBB75_46
; %bb.47:                               ;   in Loop: Header=BB75_20 Depth=1
	s_or_b32 exec_lo, exec_lo, s18
.LBB75_48:                              ;   in Loop: Header=BB75_20 Depth=1
	s_wait_alu 0xfffe
	s_or_b32 exec_lo, exec_lo, s17
	s_and_saveexec_b32 s17, s6
	s_cbranch_execz .LBB75_52
; %bb.49:                               ;   in Loop: Header=BB75_20 Depth=1
	v_dual_mov_b32 v3, v25 :: v_dual_add_nc_u32 v2, v0, v38
	s_mov_b32 s18, 0
.LBB75_50:                              ;   Parent Loop BB75_20 Depth=1
                                        ; =>  This Inner Loop Header: Depth=2
	v_mul_lo_u32 v4, v5, s65
	v_mul_lo_u32 v35, v6, s66
	;; [unrolled: 1-line block ×4, first 2 shown]
	v_add_nc_u32_e32 v3, -4, v3
	v_add_nc_u32_e32 v8, 4, v8
	v_add_nc_u32_e32 v6, 4, v6
	;; [unrolled: 1-line block ×3, first 2 shown]
	v_add_co_u32 v37, s19, s44, v4
	s_wait_alu 0xf1ff
	v_add_co_ci_u32_e64 v38, null, s45, 0, s19
	v_add_co_u32 v39, s19, s44, v35
	s_wait_alu 0xf1ff
	v_add_co_ci_u32_e64 v40, null, s45, 0, s19
	;; [unrolled: 3-line block ×4, first 2 shown]
	s_clause 0x3
	global_load_u8 v4, v[39:40], off
	global_load_u8 v39, v[41:42], off
	;; [unrolled: 1-line block ×4, first 2 shown]
	v_cmp_eq_u32_e32 vcc_lo, 0, v3
	s_wait_alu 0xfffe
	s_or_b32 s18, vcc_lo, s18
	s_wait_loadcnt 0x2
	v_perm_b32 v38, v4, v39, 0xc0c0004
	s_wait_loadcnt 0x1
	v_perm_b32 v36, v36, v37, 0xc0c0007
	v_perm_b32 v4, v37, v4, 0xc0c0004
	s_wait_loadcnt 0x0
	v_perm_b32 v37, v39, v35, 0xc0c0004
	s_delay_alu instid0(VALU_DEP_3) | instskip(NEXT) | instid1(VALU_DEP_2)
	v_lshl_or_b32 v36, v38, 16, v36
	v_lshl_or_b32 v4, v37, 16, v4
	v_add_nc_u32_e32 v7, 4, v7
	ds_store_b32 v2, v36
	v_add_nc_u32_e32 v2, 4, v2
	v_mov_b32_e32 v36, v4
	s_wait_alu 0xfffe
	s_and_not1_b32 exec_lo, exec_lo, s18
	s_cbranch_execnz .LBB75_50
; %bb.51:                               ;   in Loop: Header=BB75_20 Depth=1
	s_or_b32 exec_lo, exec_lo, s18
.LBB75_52:                              ;   in Loop: Header=BB75_20 Depth=1
	s_wait_alu 0xfffe
	s_or_b32 exec_lo, exec_lo, s17
	v_add_nc_u32_e32 v1, v1, v21
	s_or_not1_b32 s17, s7, exec_lo
	s_delay_alu instid0(VALU_DEP_1)
	v_dual_mov_b32 v3, v22 :: v_dual_add_nc_u32 v2, -1, v1
.LBB75_53:                              ;   in Loop: Header=BB75_20 Depth=1
	s_wait_alu 0xfffe
	s_or_b32 exec_lo, exec_lo, s11
	s_wait_loadcnt 0x0
	v_dual_mov_b32 v4, s15 :: v_dual_mov_b32 v5, v35
	s_and_b32 s11, s17, exec_lo
	s_and_not1_saveexec_b32 s16, s16
	s_cbranch_execz .LBB75_39
.LBB75_54:                              ;   in Loop: Header=BB75_20 Depth=1
	s_wait_loadcnt 0x0
	v_dual_mov_b32 v4, s15 :: v_dual_mov_b32 v5, v35
	v_mov_b32_e32 v3, v0
	s_wait_alu 0xfffe
	s_or_b32 s11, s11, exec_lo
	s_or_b32 exec_lo, exec_lo, s16
	s_wait_alu 0xfffe
	s_and_saveexec_b32 s15, s11
	s_cbranch_execz .LBB75_58
.LBB75_55:                              ;   in Loop: Header=BB75_20 Depth=1
	v_mul_lo_u32 v2, s38, v1
	s_mov_b32 s16, 0
	s_sub_co_i32 s11, 0, s14
.LBB75_56:                              ;   Parent Loop BB75_20 Depth=1
                                        ; =>  This Inner Loop Header: Depth=2
	s_wait_loadcnt 0x0
	global_load_u8 v35, v2, s[44:45]
	v_mov_b32_e32 v6, v1
	ds_store_b8 v3, v5
	s_wait_loadcnt 0x0
	v_dual_mov_b32 v5, v35 :: v_dual_add_nc_u32 v2, v2, v4
	v_add_nc_u32_e32 v1, s14, v6
	v_mov_b32_e32 v3, v6
	s_delay_alu instid0(VALU_DEP_2)
	v_cmp_le_u32_e32 vcc_lo, s36, v1
	s_wait_alu 0xfffe
	s_or_b32 s16, vcc_lo, s16
	s_wait_alu 0xfffe
	s_and_not1_b32 exec_lo, exec_lo, s16
	s_cbranch_execnz .LBB75_56
; %bb.57:                               ;   in Loop: Header=BB75_20 Depth=1
	s_or_b32 exec_lo, exec_lo, s16
	v_add_nc_u32_e32 v2, s11, v1
.LBB75_58:                              ;   in Loop: Header=BB75_20 Depth=1
	s_wait_alu 0xfffe
	s_or_b32 exec_lo, exec_lo, s15
.LBB75_59:                              ;   in Loop: Header=BB75_20 Depth=1
	s_wait_alu 0xfffe
	s_or_b32 exec_lo, exec_lo, s13
	s_wait_loadcnt 0x0
	ds_store_b8 v2, v35
.LBB75_60:                              ;   in Loop: Header=BB75_20 Depth=1
	s_wait_alu 0xfffe
	s_or_b32 exec_lo, exec_lo, s12
	s_wait_loadcnt_dscnt 0x0
	s_barrier_signal -1
	s_barrier_wait -1
	global_inv scope:SCOPE_SE
	s_and_saveexec_b32 s11, s2
; %bb.61:                               ;   in Loop: Header=BB75_20 Depth=1
	v_mov_b32_e32 v1, s36
	ds_store_b32 v18, v1 offset:4104
; %bb.62:                               ;   in Loop: Header=BB75_20 Depth=1
	s_wait_alu 0xfffe
	s_or_b32 exec_lo, exec_lo, s11
	s_mov_b32 s11, -1
	s_wait_loadcnt_dscnt 0x0
	s_barrier_signal -1
	s_barrier_wait -1
.LBB75_63:                              ;   in Loop: Header=BB75_20 Depth=1
	s_wait_alu 0xfffe
	s_and_b32 vcc_lo, exec_lo, s11
	s_mov_b32 s46, 0
	s_wait_alu 0xfffe
	s_cbranch_vccz .LBB75_65
; %bb.64:                               ;   in Loop: Header=BB75_20 Depth=1
	s_wait_loadcnt 0x0
	global_inv scope:SCOPE_SE
	ds_load_b32 v1, v18 offset:4104
	s_wait_dscnt 0x0
	v_readfirstlane_b32 s46, v1
.LBB75_65:                              ;   in Loop: Header=BB75_20 Depth=1
	s_delay_alu instid0(VALU_DEP_1)
	s_cmp_lt_i32 s46, 1
	s_mov_b32 s11, -1
                                        ; implicit-def: $vgpr4
	s_cbranch_scc1 .LBB75_75
; %bb.66:                               ;   in Loop: Header=BB75_20 Depth=1
	s_wait_alu 0xfffe
	s_and_b32 vcc_lo, exec_lo, s11
	s_wait_alu 0xfffe
	s_cbranch_vccnz .LBB75_86
.LBB75_67:                              ;   in Loop: Header=BB75_20 Depth=1
	v_lshlrev_b32_e32 v5, 7, v31
	s_and_saveexec_b32 s11, s3
.LBB75_68:                              ;   in Loop: Header=BB75_20 Depth=1
	s_delay_alu instid0(VALU_DEP_1)
	v_lshl_add_u32 v6, v5, 2, v20
	ds_store_b128 v6, v[1:4]
.LBB75_69:                              ;   in Loop: Header=BB75_20 Depth=1
	s_wait_alu 0xfffe
	s_or_b32 exec_lo, exec_lo, s11
	s_wait_loadcnt_dscnt 0x0
	s_barrier_signal -1
	s_barrier_wait -1
	global_inv scope:SCOPE_SE
	s_and_saveexec_b32 s11, s39
	s_cbranch_execz .LBB75_99
; %bb.70:                               ;   in Loop: Header=BB75_20 Depth=1
	v_mov_b32_e32 v1, 0
	s_and_not1_b32 vcc_lo, exec_lo, s59
	s_wait_alu 0xfffe
	s_cbranch_vccnz .LBB75_98
; %bb.71:                               ;   in Loop: Header=BB75_20 Depth=1
	s_and_not1_b32 vcc_lo, exec_lo, s62
	s_wait_alu 0xfffe
	s_cbranch_vccnz .LBB75_95
; %bb.72:                               ;   in Loop: Header=BB75_20 Depth=1
	v_lshl_add_u32 v2, v31, 9, v30
	v_mov_b32_e32 v1, 0
	s_mov_b32 s12, 0
.LBB75_73:                              ;   Parent Loop BB75_20 Depth=1
                                        ; =>  This Inner Loop Header: Depth=2
	ds_load_2addr_b32 v[3:4], v2 offset1:4
	ds_load_2addr_b32 v[6:7], v2 offset0:8 offset1:12
	ds_load_2addr_b32 v[35:36], v2 offset0:16 offset1:20
	ds_load_2addr_b32 v[37:38], v2 offset0:24 offset1:28
	v_add_nc_u32_e32 v2, 0x80, v2
	s_wait_alu 0xfffe
	s_add_co_i32 s12, s12, 8
	s_wait_alu 0xfffe
	s_cmp_eq_u32 s63, s12
	s_wait_dscnt 0x3
	v_add3_u32 v1, v3, v1, v4
	s_wait_dscnt 0x2
	s_delay_alu instid0(VALU_DEP_1) | instskip(SKIP_1) | instid1(VALU_DEP_1)
	v_add3_u32 v1, v6, v1, v7
	s_wait_dscnt 0x1
	v_add3_u32 v1, v35, v1, v36
	s_wait_dscnt 0x0
	s_delay_alu instid0(VALU_DEP_1)
	v_add3_u32 v1, v37, v1, v38
	s_cbranch_scc0 .LBB75_73
; %bb.74:                               ;   in Loop: Header=BB75_20 Depth=1
	s_mov_b32 s12, s63
	s_and_not1_b32 vcc_lo, exec_lo, s64
	s_wait_alu 0xfffe
	s_cbranch_vccz .LBB75_96
	s_branch .LBB75_98
.LBB75_75:                              ;   in Loop: Header=BB75_20 Depth=1
	v_dual_mov_b32 v1, 0 :: v_dual_mov_b32 v2, 0
	v_dual_mov_b32 v3, 0 :: v_dual_mov_b32 v4, 0
	s_and_saveexec_b32 s80, s8
	s_cbranch_execz .LBB75_79
; %bb.76:                               ;   in Loop: Header=BB75_20 Depth=1
	v_mov_b32_e32 v5, v17
	s_mov_b32 s81, 0
	s_mov_b32 s82, 0
	s_mov_b32 s83, 0
	s_mov_b32 s84, 0
	s_mov_b32 s85, 0
	s_mov_b32 s86, 0
.LBB75_77:                              ;   Parent Loop BB75_20 Depth=1
                                        ; =>  This Inner Loop Header: Depth=2
	s_wait_alu 0xfffe
	v_add_nc_u32_e32 v1, s82, v28
	v_add_nc_u32_e32 v2, s82, v13
	;; [unrolled: 1-line block ×5, first 2 shown]
	s_clause 0x3
	global_load_u8 v1, v1, s[44:45]
	global_load_u8 v2, v2, s[44:45]
	;; [unrolled: 1-line block ×4, first 2 shown]
	s_add_co_i32 s82, s82, s71
	v_cmp_le_u32_e32 vcc_lo, s69, v5
	s_wait_loadcnt 0x3
	v_and_b32_e32 v6, v32, v1
	v_bfe_u32 v1, v1, s79, 2
	s_wait_loadcnt 0x2
	v_and_b32_e32 v7, v32, v2
	v_bfe_u32 v2, v2, s79, 2
	;; [unrolled: 3-line block ×3, first 2 shown]
	v_cmp_eq_u32_e64 s11, v6, v14
	v_cmp_eq_u32_e64 s15, 0, v1
	s_wait_loadcnt 0x0
	v_and_b32_e32 v35, v32, v4
	v_bfe_u32 v4, v4, s79, 2
	v_cmp_eq_u32_e64 s12, v7, v14
	v_cmp_eq_u32_e64 s16, 0, v2
	;; [unrolled: 1-line block ×4, first 2 shown]
	s_and_b32 s15, s11, s15
	v_cmp_eq_u32_e64 s14, v35, v14
	v_cmp_eq_u32_e64 s18, 0, v4
	;; [unrolled: 1-line block ×5, first 2 shown]
	s_wait_alu 0xfffe
	v_cndmask_b32_e64 v1, 0, 1, s15
	s_and_b32 s15, s12, s16
	v_cmp_eq_u32_e64 s20, 1, v2
	v_cmp_eq_u32_e64 s24, 2, v2
	v_cmp_eq_u32_e64 s28, 3, v2
	s_wait_alu 0xfffe
	v_cndmask_b32_e64 v2, 0, 1, s15
	s_and_b32 s15, s13, s17
	v_cmp_eq_u32_e64 s21, 1, v3
	v_cmp_eq_u32_e64 s25, 2, v3
	v_cmp_eq_u32_e64 s29, 3, v3
	;; [unrolled: 6-line block ×3, first 2 shown]
	s_wait_alu 0xfffe
	v_cndmask_b32_e64 v4, 0, 1, s15
	s_and_b32 s15, s11, s19
	s_wait_alu 0xfffe
	v_cndmask_b32_e64 v6, 0, 1, s15
	s_and_b32 s15, s12, s20
	;; [unrolled: 3-line block ×4, first 2 shown]
	v_cmp_ne_u32_e64 s16, 0, v7
	s_wait_alu 0xfffe
	v_cndmask_b32_e64 v35, 0, 1, s15
	s_and_b32 s15, s11, s23
	s_and_b32 s11, s11, s27
	s_wait_alu 0xfffe
	v_cndmask_b32_e64 v36, 0, 1, s15
	s_and_b32 s15, s12, s24
	v_cndmask_b32_e64 v40, 0, 1, s11
	s_and_b32 s11, s12, s28
	s_wait_alu 0xfffe
	v_cndmask_b32_e64 v37, 0, 1, s15
	s_and_b32 s15, s13, s25
	v_cndmask_b32_e64 v41, 0, 1, s11
	;; [unrolled: 5-line block ×3, first 2 shown]
	s_and_b32 s11, s14, s30
	s_wait_alu 0xfffe
	v_cndmask_b32_e64 v39, 0, 1, s15
	v_cndmask_b32_e64 v43, 0, 1, s11
	v_cmp_ne_u32_e64 s11, 0, v1
	v_cmp_ne_u32_e64 s15, 0, v6
	;; [unrolled: 1-line block ×11, first 2 shown]
	s_bcnt1_i32_b32 s11, s11
	s_bcnt1_i32_b32 s15, s15
	;; [unrolled: 1-line block ×4, first 2 shown]
	v_cmp_ne_u32_e64 s14, 0, v4
	v_cmp_ne_u32_e64 s18, 0, v35
	;; [unrolled: 1-line block ×4, first 2 shown]
	s_bcnt1_i32_b32 s12, s12
	s_bcnt1_i32_b32 s16, s16
	s_bcnt1_i32_b32 s20, s20
	s_bcnt1_i32_b32 s24, s24
	s_wait_alu 0xfffe
	s_add_co_i32 s11, s11, s86
	s_add_co_i32 s15, s15, s85
	s_add_co_i32 s19, s19, s84
	s_add_co_i32 s23, s23, s83
	s_bcnt1_i32_b32 s13, s13
	s_bcnt1_i32_b32 s17, s17
	s_bcnt1_i32_b32 s21, s21
	s_bcnt1_i32_b32 s25, s25
	s_wait_alu 0xfffe
	s_add_co_i32 s11, s11, s12
	s_add_co_i32 s12, s15, s16
	s_add_co_i32 s15, s19, s20
	s_add_co_i32 s16, s23, s24
	;; [unrolled: 9-line block ×3, first 2 shown]
	s_wait_alu 0xfffe
	s_add_co_i32 s86, s11, s14
	s_add_co_i32 s85, s12, s18
	;; [unrolled: 1-line block ×4, first 2 shown]
	s_wait_alu 0xfffe
	v_dual_mov_b32 v1, s86 :: v_dual_mov_b32 v2, s85
	v_dual_mov_b32 v3, s84 :: v_dual_mov_b32 v4, s83
	s_or_b32 s81, vcc_lo, s81
	s_wait_alu 0xfffe
	s_and_not1_b32 exec_lo, exec_lo, s81
	s_cbranch_execnz .LBB75_77
; %bb.78:                               ;   in Loop: Header=BB75_20 Depth=1
	s_or_b32 exec_lo, exec_lo, s81
.LBB75_79:                              ;   in Loop: Header=BB75_20 Depth=1
	s_wait_alu 0xfffe
	s_or_b32 exec_lo, exec_lo, s80
	s_and_saveexec_b32 s15, s9
	s_cbranch_execz .LBB75_85
; %bb.80:                               ;   in Loop: Header=BB75_20 Depth=1
	global_load_u8 v8, v[11:12], off
	v_dual_mov_b32 v5, v29 :: v_dual_mov_b32 v6, v24
	s_mov_b32 s16, 0
	s_branch .LBB75_82
.LBB75_81:                              ;   in Loop: Header=BB75_82 Depth=2
	s_wait_alu 0xfffe
	s_or_b32 exec_lo, exec_lo, s12
	s_wait_loadcnt 0x0
	v_and_b32_e32 v8, 0xff, v8
	s_and_b32 s12, exec_lo, vcc_lo
	v_add_nc_u32_e32 v5, s60, v5
	s_wait_alu 0xfffe
	s_or_b32 s16, s12, s16
	v_and_b32_e32 v35, v32, v8
	v_bfe_u32 v8, v8, s79, 2
	s_delay_alu instid0(VALU_DEP_2) | instskip(NEXT) | instid1(VALU_DEP_2)
	v_cmp_eq_u32_e32 vcc_lo, v35, v14
	v_cmp_eq_u32_e64 s11, 0, v8
	v_cmp_eq_u32_e64 s12, 1, v8
	;; [unrolled: 1-line block ×4, first 2 shown]
	s_and_b32 s11, vcc_lo, s11
	s_wait_alu 0xfffe
	v_cndmask_b32_e64 v8, 0, 1, s11
	s_and_b32 s11, vcc_lo, s12
	s_wait_alu 0xfffe
	v_cndmask_b32_e64 v35, 0, 1, s11
	;; [unrolled: 3-line block ×3, first 2 shown]
	s_and_b32 s11, vcc_lo, s14
	v_cmp_ne_u32_e32 vcc_lo, 0, v8
	s_wait_alu 0xfffe
	v_cndmask_b32_e64 v37, 0, 1, s11
	v_cmp_ne_u32_e64 s11, 0, v35
	v_cmp_ne_u32_e64 s12, 0, v36
	v_mov_b32_e32 v8, v7
	s_bcnt1_i32_b32 s14, vcc_lo
	v_cmp_ne_u32_e64 s13, 0, v37
	s_bcnt1_i32_b32 s11, s11
	s_bcnt1_i32_b32 s12, s12
	s_wait_alu 0xfffe
	v_add_nc_u32_e32 v1, s14, v1
	v_add_nc_u32_e32 v2, s11, v2
	s_bcnt1_i32_b32 s13, s13
	v_add_nc_u32_e32 v3, s12, v3
	s_wait_alu 0xfffe
	v_add_nc_u32_e32 v4, s13, v4
	s_and_not1_b32 exec_lo, exec_lo, s16
	s_cbranch_execz .LBB75_84
.LBB75_82:                              ;   Parent Loop BB75_20 Depth=1
                                        ; =>  This Inner Loop Header: Depth=2
	s_delay_alu instid0(VALU_DEP_1) | instskip(SKIP_1) | instid1(VALU_DEP_1)
	v_dual_mov_b32 v7, 0 :: v_dual_add_nc_u32 v6, s37, v6
	s_mov_b32 s12, exec_lo
	v_cmp_le_u32_e32 vcc_lo, s36, v6
	v_cmpx_gt_u32_e64 s36, v6
	s_cbranch_execz .LBB75_81
; %bb.83:                               ;   in Loop: Header=BB75_82 Depth=2
	global_load_u8 v7, v5, s[44:45]
	s_branch .LBB75_81
.LBB75_84:                              ;   in Loop: Header=BB75_20 Depth=1
	s_or_b32 exec_lo, exec_lo, s16
.LBB75_85:                              ;   in Loop: Header=BB75_20 Depth=1
	s_wait_alu 0xfffe
	s_or_b32 exec_lo, exec_lo, s15
	s_branch .LBB75_67
.LBB75_86:                              ;   in Loop: Header=BB75_20 Depth=1
	s_mul_u64 s[12:13], s[46:47], s[48:49]
	v_dual_mov_b32 v1, 0 :: v_dual_mov_b32 v2, 0
	s_wait_alu 0xfffe
	s_mul_i32 s11, s13, s57
	v_dual_mov_b32 v3, 0 :: v_dual_mov_b32 v4, 0
	s_wait_alu 0xfffe
	s_sub_co_i32 s11, s46, s11
	s_mov_b32 s81, exec_lo
	s_wait_alu 0xfffe
	s_sub_co_i32 s12, s11, s57
	s_cmp_ge_u32 s11, s57
	s_wait_alu 0xfffe
	s_cselect_b32 s11, s12, s11
	s_wait_alu 0xfffe
	s_sub_co_i32 s12, s11, s57
	s_cmp_ge_u32 s11, s57
	s_wait_alu 0xfffe
	s_cselect_b32 s11, s12, s11
	s_wait_alu 0xfffe
	s_sub_co_i32 s80, s46, s11
	s_wait_alu 0xfffe
	v_cmpx_gt_u32_e64 s80, v17
	s_cbranch_execz .LBB75_90
; %bb.87:                               ;   in Loop: Header=BB75_20 Depth=1
	v_mov_b32_e32 v5, v17
	s_mov_b32 s82, 0
	s_mov_b32 s83, 0
	;; [unrolled: 1-line block ×5, first 2 shown]
.LBB75_88:                              ;   Parent Loop BB75_20 Depth=1
                                        ; =>  This Inner Loop Header: Depth=2
	ds_load_b32 v1, v5
	s_wait_dscnt 0x0
	v_and_b32_e32 v2, 0xff, v1
	v_bfe_u32 v3, v1, 8, 8
	v_bfe_u32 v4, v1, 16, 8
	v_lshrrev_b32_e32 v1, 24, v1
	s_delay_alu instid0(VALU_DEP_4)
	v_and_b32_e32 v6, v32, v2
	v_bfe_u32 v2, v2, s79, 2
	v_and_b32_e32 v7, v32, v3
	v_bfe_u32 v3, v3, s79, 2
	;; [unrolled: 2-line block ×3, first 2 shown]
	v_cmp_eq_u32_e64 s11, v6, v14
	v_cmp_eq_u32_e64 s15, 0, v2
	v_and_b32_e32 v35, v32, v1
	v_bfe_u32 v1, v1, s79, 2
	v_cmp_eq_u32_e64 s12, v7, v14
	v_cmp_eq_u32_e64 s16, 0, v3
	;; [unrolled: 1-line block ×4, first 2 shown]
	s_and_b32 s15, s11, s15
	v_cmp_eq_u32_e64 s14, v35, v14
	v_cmp_eq_u32_e64 s18, 0, v1
	;; [unrolled: 1-line block ×5, first 2 shown]
	s_wait_alu 0xfffe
	v_cndmask_b32_e64 v1, 0, 1, s15
	s_and_b32 s15, s12, s16
	v_cmp_eq_u32_e64 s19, 1, v2
	v_cmp_eq_u32_e64 s23, 2, v2
	v_cmp_eq_u32_e64 s27, 3, v2
	s_wait_alu 0xfffe
	v_cndmask_b32_e64 v2, 0, 1, s15
	s_and_b32 s15, s13, s17
	v_cmp_eq_u32_e64 s20, 1, v3
	v_cmp_eq_u32_e64 s24, 2, v3
	v_cmp_eq_u32_e64 s28, 3, v3
	;; [unrolled: 6-line block ×3, first 2 shown]
	s_wait_alu 0xfffe
	v_cndmask_b32_e64 v4, 0, 1, s15
	s_and_b32 s15, s11, s19
	s_wait_alu 0xfffe
	v_cndmask_b32_e64 v6, 0, 1, s15
	s_and_b32 s15, s12, s20
	;; [unrolled: 3-line block ×4, first 2 shown]
	v_cmp_ne_u32_e64 s16, 0, v7
	s_wait_alu 0xfffe
	v_cndmask_b32_e64 v35, 0, 1, s15
	s_and_b32 s15, s11, s23
	s_and_b32 s11, s11, s27
	s_wait_alu 0xfffe
	v_cndmask_b32_e64 v36, 0, 1, s15
	s_and_b32 s15, s12, s24
	v_cndmask_b32_e64 v40, 0, 1, s11
	s_and_b32 s11, s12, s28
	s_wait_alu 0xfffe
	v_cndmask_b32_e64 v37, 0, 1, s15
	s_and_b32 s15, s13, s25
	v_cndmask_b32_e64 v41, 0, 1, s11
	;; [unrolled: 5-line block ×3, first 2 shown]
	s_and_b32 s11, s14, s30
	s_wait_alu 0xfffe
	v_cndmask_b32_e64 v39, 0, 1, s15
	v_cndmask_b32_e64 v43, 0, 1, s11
	v_cmp_ne_u32_e64 s11, 0, v1
	v_cmp_ne_u32_e64 s15, 0, v6
	;; [unrolled: 1-line block ×6, first 2 shown]
	s_bcnt1_i32_b32 s11, s11
	s_bcnt1_i32_b32 s15, s15
	v_cmp_ne_u32_e64 s18, 0, v35
	v_cmp_ne_u32_e64 s20, 0, v37
	;; [unrolled: 1-line block ×3, first 2 shown]
	s_bcnt1_i32_b32 s12, s12
	s_bcnt1_i32_b32 s16, s16
	s_wait_alu 0xfffe
	s_add_co_i32 s11, s11, s86
	s_add_co_i32 s15, s15, s85
	v_cmp_ne_u32_e64 s13, 0, v3
	v_cmp_ne_u32_e64 s21, 0, v38
	v_cmp_ne_u32_e64 s25, 0, v42
	s_bcnt1_i32_b32 s17, s17
	s_wait_alu 0xfffe
	s_add_co_i32 s11, s11, s12
	s_add_co_i32 s12, s15, s16
	s_bcnt1_i32_b32 s19, s19
	s_bcnt1_i32_b32 s23, s23
	v_cmp_ne_u32_e64 s14, 0, v4
	v_cmp_ne_u32_e64 s22, 0, v39
	;; [unrolled: 1-line block ×3, first 2 shown]
	s_bcnt1_i32_b32 s18, s18
	s_wait_alu 0xfffe
	s_add_co_i32 s12, s12, s17
	s_bcnt1_i32_b32 s20, s20
	s_bcnt1_i32_b32 s24, s24
	s_add_co_i32 s19, s19, s84
	s_add_co_i32 s23, s23, s83
	s_wait_alu 0xfffe
	s_add_co_i32 s85, s12, s18
	s_wait_alu 0xfffe
	v_dual_mov_b32 v2, s85 :: v_dual_add_nc_u32 v5, s57, v5
	s_bcnt1_i32_b32 s13, s13
	s_bcnt1_i32_b32 s21, s21
	;; [unrolled: 1-line block ×3, first 2 shown]
	s_add_co_i32 s15, s19, s20
	s_add_co_i32 s16, s23, s24
	s_bcnt1_i32_b32 s14, s14
	s_bcnt1_i32_b32 s22, s22
	;; [unrolled: 1-line block ×3, first 2 shown]
	s_wait_alu 0xfffe
	s_add_co_i32 s11, s11, s13
	s_add_co_i32 s13, s15, s21
	;; [unrolled: 1-line block ×3, first 2 shown]
	v_cmp_le_u32_e32 vcc_lo, s80, v5
	s_wait_alu 0xfffe
	s_add_co_i32 s86, s11, s14
	s_add_co_i32 s84, s13, s22
	;; [unrolled: 1-line block ×3, first 2 shown]
	s_wait_alu 0xfffe
	v_mov_b32_e32 v1, s86
	v_dual_mov_b32 v3, s84 :: v_dual_mov_b32 v4, s83
	s_or_b32 s82, vcc_lo, s82
	s_wait_alu 0xfffe
	s_and_not1_b32 exec_lo, exec_lo, s82
	s_cbranch_execnz .LBB75_88
; %bb.89:                               ;   in Loop: Header=BB75_20 Depth=1
	s_or_b32 exec_lo, exec_lo, s82
.LBB75_90:                              ;   in Loop: Header=BB75_20 Depth=1
	s_delay_alu instid0(SALU_CYCLE_1) | instskip(SKIP_2) | instid1(VALU_DEP_1)
	s_or_b32 exec_lo, exec_lo, s81
	v_add_nc_u32_e32 v5, s80, v0
	s_mov_b32 s16, exec_lo
	v_cmpx_gt_u32_e64 s46, v5
	s_cbranch_execz .LBB75_94
; %bb.91:                               ;   in Loop: Header=BB75_20 Depth=1
	s_mov_b32 s17, 0
.LBB75_92:                              ;   Parent Loop BB75_20 Depth=1
                                        ; =>  This Inner Loop Header: Depth=2
	ds_load_u8 v6, v5
	v_add_nc_u32_e32 v5, s37, v5
	s_delay_alu instid0(VALU_DEP_1) | instskip(SKIP_3) | instid1(VALU_DEP_2)
	v_cmp_le_u32_e32 vcc_lo, s46, v5
	s_wait_dscnt 0x0
	v_and_b32_e32 v7, v32, v6
	v_bfe_u32 v6, v6, s79, 2
	v_cmp_eq_u32_e64 s11, v7, v14
	s_delay_alu instid0(VALU_DEP_2)
	v_cmp_eq_u32_e64 s12, 0, v6
	v_cmp_eq_u32_e64 s13, 1, v6
	;; [unrolled: 1-line block ×4, first 2 shown]
	s_and_b32 s12, s11, s12
	s_wait_alu 0xfffe
	v_cndmask_b32_e64 v6, 0, 1, s12
	s_and_b32 s12, s11, s13
	s_wait_alu 0xfffe
	v_cndmask_b32_e64 v7, 0, 1, s12
	s_and_b32 s12, s11, s14
	s_and_b32 s11, s11, s15
	s_wait_alu 0xfffe
	v_cndmask_b32_e64 v8, 0, 1, s12
	v_cndmask_b32_e64 v35, 0, 1, s11
	v_cmp_ne_u32_e64 s11, 0, v6
	v_cmp_ne_u32_e64 s12, 0, v7
	s_delay_alu instid0(VALU_DEP_4) | instskip(NEXT) | instid1(VALU_DEP_4)
	v_cmp_ne_u32_e64 s13, 0, v8
	v_cmp_ne_u32_e64 s14, 0, v35
	s_bcnt1_i32_b32 s11, s11
	s_bcnt1_i32_b32 s12, s12
	s_wait_alu 0xfffe
	v_add_nc_u32_e32 v1, s11, v1
	s_bcnt1_i32_b32 s13, s13
	s_bcnt1_i32_b32 s14, s14
	v_add_nc_u32_e32 v2, s12, v2
	s_wait_alu 0xfffe
	v_add_nc_u32_e32 v3, s13, v3
	v_add_nc_u32_e32 v4, s14, v4
	s_or_b32 s17, vcc_lo, s17
	s_wait_alu 0xfffe
	s_and_not1_b32 exec_lo, exec_lo, s17
	s_cbranch_execnz .LBB75_92
; %bb.93:                               ;   in Loop: Header=BB75_20 Depth=1
	s_or_b32 exec_lo, exec_lo, s17
.LBB75_94:                              ;   in Loop: Header=BB75_20 Depth=1
	s_wait_alu 0xfffe
	s_or_b32 exec_lo, exec_lo, s16
	v_lshlrev_b32_e32 v5, 7, v31
	s_and_saveexec_b32 s11, s3
	s_cbranch_execnz .LBB75_68
	s_branch .LBB75_69
.LBB75_95:                              ;   in Loop: Header=BB75_20 Depth=1
	v_mov_b32_e32 v1, 0
	s_mov_b32 s12, 0
	s_and_not1_b32 vcc_lo, exec_lo, s64
	s_wait_alu 0xfffe
	s_cbranch_vccnz .LBB75_98
.LBB75_96:                              ;   in Loop: Header=BB75_20 Depth=1
	v_lshlrev_b32_e32 v2, 9, v31
	s_lshl_b32 s12, s12, 4
	s_wait_alu 0xfffe
	s_delay_alu instid0(VALU_DEP_1)
	v_add3_u32 v2, v2, s12, v30
	s_mov_b32 s12, s61
.LBB75_97:                              ;   Parent Loop BB75_20 Depth=1
                                        ; =>  This Inner Loop Header: Depth=2
	ds_load_b32 v3, v2
	v_add_nc_u32_e32 v2, 16, v2
	s_wait_alu 0xfffe
	s_add_co_i32 s12, s12, -1
	s_wait_alu 0xfffe
	s_cmp_lg_u32 s12, 0
	s_wait_dscnt 0x0
	v_add_nc_u32_e32 v1, v3, v1
	s_cbranch_scc1 .LBB75_97
.LBB75_98:                              ;   in Loop: Header=BB75_20 Depth=1
	v_add_lshl_u32 v2, v5, v16, 2
	ds_store_b32 v2, v1 offset:3072
.LBB75_99:                              ;   in Loop: Header=BB75_20 Depth=1
	s_wait_alu 0xfffe
	s_or_b32 exec_lo, exec_lo, s11
	v_lshlrev_b32_e32 v1, 2, v5
	s_wait_loadcnt_dscnt 0x0
	s_barrier_signal -1
	s_barrier_wait -1
	global_inv scope:SCOPE_SE
	ds_load_b128 v[1:4], v1 offset:3072
	s_lshl_b32 s12, 3, s79
	v_cmp_eq_u32_e32 vcc_lo, 1, v34
	s_wait_alu 0xfffe
	s_not_b32 s19, s12
	s_mov_b32 s15, -1
	s_mov_b32 s23, -1
                                        ; implicit-def: $sgpr20
                                        ; implicit-def: $sgpr17
	s_wait_dscnt 0x0
	v_readfirstlane_b32 s14, v1
	v_readfirstlane_b32 s21, v2
	;; [unrolled: 1-line block ×4, first 2 shown]
	s_cmp_eq_u32 s14, 1
	s_cselect_b32 s13, -1, 0
	s_wait_alu 0xfffe
	s_and_b32 s16, s13, vcc_lo
	s_wait_alu 0xfffe
	s_and_saveexec_b32 s13, s16
	s_cbranch_execz .LBB75_125
; %bb.100:                              ;   in Loop: Header=BB75_20 Depth=1
	ds_load_b32 v1, v18 offset:4104
	s_wait_loadcnt_dscnt 0x0
	s_barrier_signal -1
	s_barrier_wait -1
	global_inv scope:SCOPE_SE
	v_readfirstlane_b32 s23, v1
	s_and_saveexec_b32 s17, s1
; %bb.101:                              ;   in Loop: Header=BB75_20 Depth=1
	ds_store_b8 v0, v18 offset:3072
; %bb.102:                              ;   in Loop: Header=BB75_20 Depth=1
	s_wait_alu 0xfffe
	s_or_b32 exec_lo, exec_lo, s17
	v_and_b32_e32 v14, s19, v14
	v_or_b32_e32 v32, s12, v32
	s_mov_b32 s17, -1
	s_mov_b32 s20, 0
	s_cmp_eq_u32 s23, 0
	s_mov_b32 s22, 0
	s_mov_b32 s24, -1
	s_wait_loadcnt_dscnt 0x0
	s_barrier_signal -1
	s_barrier_wait -1
	global_inv scope:SCOPE_SE
                                        ; implicit-def: $vgpr33
	s_cbranch_scc1 .LBB75_113
; %bb.103:                              ;   in Loop: Header=BB75_20 Depth=1
	s_add_co_i32 s46, s23, s56
                                        ; implicit-def: $vgpr33
	s_wait_alu 0xfffe
	s_mul_u64 s[24:25], s[46:47], s[50:51]
	s_wait_alu 0xfffe
	s_mul_i32 s22, s25, s37
	s_mov_b32 s25, exec_lo
	s_wait_alu 0xfffe
	s_sub_co_i32 s22, s46, s22
	s_wait_alu 0xfffe
	s_sub_co_i32 s24, s22, s37
	s_cmp_ge_u32 s22, s37
	s_wait_alu 0xfffe
	s_cselect_b32 s22, s24, s22
	s_wait_alu 0xfffe
	s_sub_co_i32 s24, s22, s37
	s_cmp_ge_u32 s22, s37
	s_wait_alu 0xfffe
	s_cselect_b32 s22, s24, s22
	s_mov_b32 s24, 0
	s_wait_alu 0xfffe
	s_sub_co_i32 s26, s46, s22
	s_mov_b32 s22, 0
	s_wait_alu 0xfffe
	v_cmpx_gt_u32_e64 s26, v0
	s_cbranch_execz .LBB75_112
; %bb.104:                              ;   in Loop: Header=BB75_20 Depth=1
	v_mov_b32_e32 v1, v0
                                        ; implicit-def: $sgpr27
	s_branch .LBB75_107
.LBB75_105:                             ;   in Loop: Header=BB75_107 Depth=2
	s_wait_alu 0xfffe
	s_or_b32 exec_lo, exec_lo, s28
	s_wait_loadcnt_dscnt 0x0
	s_barrier_signal -1
	s_barrier_wait -1
	global_inv scope:SCOPE_SE
	ds_load_u16 v2, v18 offset:3072
	s_mov_b32 s29, -1
	s_mov_b32 s28, -1
	s_wait_loadcnt_dscnt 0x0
	s_barrier_signal -1
	s_barrier_wait -1
	global_inv scope:SCOPE_SE
	v_and_b32_e32 v3, 0xff, v2
	s_delay_alu instid0(VALU_DEP_1)
	v_cmp_ne_u32_e32 vcc_lo, 0, v3
	s_cbranch_vccz .LBB75_110
.LBB75_106:                             ;   in Loop: Header=BB75_107 Depth=2
	s_wait_alu 0xfffe
	s_and_b32 s29, exec_lo, s29
	s_wait_alu 0xfffe
	s_or_b32 s22, s29, s22
	s_and_not1_b32 s27, s27, exec_lo
	s_and_b32 s28, s28, exec_lo
	s_wait_alu 0xfffe
	s_or_b32 s27, s27, s28
	s_and_not1_b32 exec_lo, exec_lo, s22
	s_cbranch_execz .LBB75_111
.LBB75_107:                             ;   Parent Loop BB75_20 Depth=1
                                        ; =>  This Inner Loop Header: Depth=2
	s_mov_b32 s28, exec_lo
	s_delay_alu instid0(VALU_DEP_1)
	v_cmpx_gt_u32_e64 s23, v1
	s_cbranch_execz .LBB75_105
; %bb.108:                              ;   in Loop: Header=BB75_107 Depth=2
	ds_load_u8 v2, v1
	s_wait_dscnt 0x0
	v_and_b32_e32 v3, v2, v32
	s_delay_alu instid0(VALU_DEP_1) | instskip(NEXT) | instid1(VALU_DEP_1)
	v_and_b32_e32 v3, 0xff, v3
	v_cmp_eq_u32_e32 vcc_lo, v3, v14
	s_and_b32 exec_lo, exec_lo, vcc_lo
	s_cbranch_execz .LBB75_105
; %bb.109:                              ;   in Loop: Header=BB75_107 Depth=2
	v_lshlrev_b16 v2, 8, v2
	s_delay_alu instid0(VALU_DEP_1)
	v_or_b32_e32 v2, 1, v2
	ds_store_b16 v18, v2 offset:3072
	s_branch .LBB75_105
.LBB75_110:                             ;   in Loop: Header=BB75_107 Depth=2
	v_add_nc_u32_e32 v1, s37, v1
	s_mov_b32 s28, 0
	s_delay_alu instid0(VALU_DEP_1)
	v_cmp_le_u32_e32 vcc_lo, s26, v1
	s_or_not1_b32 s29, vcc_lo, exec_lo
	s_branch .LBB75_106
.LBB75_111:                             ;   in Loop: Header=BB75_20 Depth=1
	s_or_b32 exec_lo, exec_lo, s22
	v_and_b32_e32 v1, 0xffff, v2
	s_wait_alu 0xfffe
	s_and_b32 s22, s27, exec_lo
	s_delay_alu instid0(VALU_DEP_1)
	v_lshrrev_b32_e32 v33, 8, v1
.LBB75_112:                             ;   in Loop: Header=BB75_20 Depth=1
	s_or_b32 exec_lo, exec_lo, s25
.LBB75_113:                             ;   in Loop: Header=BB75_20 Depth=1
	s_wait_alu 0xfffe
	s_and_b32 vcc_lo, exec_lo, s24
	s_wait_alu 0xfffe
	s_cbranch_vccz .LBB75_124
; %bb.114:                              ;   in Loop: Header=BB75_20 Depth=1
                                        ; implicit-def: $vgpr33
	s_and_saveexec_b32 s17, s10
	s_cbranch_execz .LBB75_123
; %bb.115:                              ;   in Loop: Header=BB75_20 Depth=1
	v_dual_mov_b32 v1, v15 :: v_dual_mov_b32 v2, v0
	s_mov_b32 s23, 0
                                        ; implicit-def: $sgpr20
	s_branch .LBB75_118
.LBB75_116:                             ;   in Loop: Header=BB75_118 Depth=2
	s_wait_alu 0xfffe
	s_or_b32 exec_lo, exec_lo, s24
	s_wait_loadcnt_dscnt 0x0
	s_barrier_signal -1
	s_barrier_wait -1
	global_inv scope:SCOPE_SE
	ds_load_u16 v3, v18 offset:3072
	s_mov_b32 s24, -1
	s_mov_b32 s25, -1
	s_wait_loadcnt_dscnt 0x0
	s_barrier_signal -1
	s_barrier_wait -1
	global_inv scope:SCOPE_SE
	v_and_b32_e32 v4, 0xff, v3
	s_delay_alu instid0(VALU_DEP_1)
	v_cmp_ne_u32_e32 vcc_lo, 0, v4
	s_cbranch_vccz .LBB75_121
.LBB75_117:                             ;   in Loop: Header=BB75_118 Depth=2
	s_wait_alu 0xfffe
	s_and_b32 s24, exec_lo, s24
	s_wait_alu 0xfffe
	s_or_b32 s23, s24, s23
	s_and_not1_b32 s20, s20, exec_lo
	s_and_b32 s24, s25, exec_lo
	s_wait_alu 0xfffe
	s_or_b32 s20, s20, s24
	s_and_not1_b32 exec_lo, exec_lo, s23
	s_cbranch_execz .LBB75_122
.LBB75_118:                             ;   Parent Loop BB75_20 Depth=1
                                        ; =>  This Inner Loop Header: Depth=2
	s_mov_b32 s24, exec_lo
	s_delay_alu instid0(VALU_DEP_1)
	v_cmpx_gt_u32_e64 s36, v2
	s_cbranch_execz .LBB75_116
; %bb.119:                              ;   in Loop: Header=BB75_118 Depth=2
	global_load_u8 v3, v1, s[44:45]
	s_wait_loadcnt 0x0
	v_and_b32_e32 v4, v3, v32
	s_delay_alu instid0(VALU_DEP_1) | instskip(NEXT) | instid1(VALU_DEP_1)
	v_and_b32_e32 v4, 0xff, v4
	v_cmp_eq_u32_e32 vcc_lo, v4, v14
	s_and_b32 exec_lo, exec_lo, vcc_lo
	s_cbranch_execz .LBB75_116
; %bb.120:                              ;   in Loop: Header=BB75_118 Depth=2
	v_lshlrev_b16 v3, 8, v3
	s_delay_alu instid0(VALU_DEP_1)
	v_or_b32_e32 v3, 1, v3
	ds_store_b16 v18, v3 offset:3072
	s_branch .LBB75_116
.LBB75_121:                             ;   in Loop: Header=BB75_118 Depth=2
	v_add_nc_u32_e32 v2, s37, v2
	v_add_nc_u32_e32 v1, s60, v1
	s_mov_b32 s25, 0
	s_delay_alu instid0(VALU_DEP_2)
	v_cmp_le_u32_e32 vcc_lo, s70, v2
	s_or_not1_b32 s24, vcc_lo, exec_lo
	s_branch .LBB75_117
.LBB75_122:                             ;   in Loop: Header=BB75_20 Depth=1
	s_or_b32 exec_lo, exec_lo, s23
	v_and_b32_e32 v1, 0xffff, v3
	s_and_not1_b32 s22, s22, exec_lo
	s_wait_alu 0xfffe
	s_and_b32 s20, s20, exec_lo
	s_wait_alu 0xfffe
	s_or_b32 s22, s22, s20
	v_lshrrev_b32_e32 v33, 8, v1
.LBB75_123:                             ;   in Loop: Header=BB75_20 Depth=1
	s_wait_alu 0xfffe
	s_or_b32 exec_lo, exec_lo, s17
	s_mov_b32 s17, 0
	s_mov_b32 s20, -1
.LBB75_124:                             ;   in Loop: Header=BB75_20 Depth=1
	s_or_not1_b32 s23, s22, exec_lo
.LBB75_125:                             ;   in Loop: Header=BB75_20 Depth=1
	s_wait_alu 0xfffe
	s_or_b32 exec_lo, exec_lo, s13
	v_readfirstlane_b32 s22, v0
	s_and_not1_b32 s13, s77, exec_lo
	s_and_b32 s20, s20, exec_lo
	s_and_not1_b32 s24, s75, exec_lo
	s_and_b32 s17, s17, exec_lo
	s_and_not1_b32 s74, s74, exec_lo
	s_wait_alu 0xfffe
	s_or_b32 s77, s13, s20
	s_or_b32 s75, s24, s17
                                        ; implicit-def: $vgpr2
	s_and_saveexec_b32 s13, s23
	s_cbranch_execz .LBB75_19
; %bb.126:                              ;   in Loop: Header=BB75_20 Depth=1
	v_dual_mov_b32 v2, 1 :: v_dual_mov_b32 v1, 1
	s_xor_b32 s16, s16, -1
	s_mov_b32 s22, 0
	s_wait_alu 0xfffe
	s_and_saveexec_b32 s15, s16
	s_cbranch_execz .LBB75_135
; %bb.127:                              ;   in Loop: Header=BB75_20 Depth=1
	s_mov_b32 s16, exec_lo
	v_cmpx_ge_u32_e64 s14, v34
	s_wait_alu 0xfffe
	s_xor_b32 s16, exec_lo, s16
	s_cbranch_execz .LBB75_132
; %bb.128:                              ;   in Loop: Header=BB75_20 Depth=1
	ds_load_b32 v1, v18 offset:4104
	v_and_b32_e32 v14, s19, v14
	v_or_b32_e32 v32, s12, v32
	s_wait_dscnt 0x0
	v_cmp_ne_u32_e32 vcc_lo, 0, v1
	s_cbranch_vccnz .LBB75_132
; %bb.129:                              ;   in Loop: Header=BB75_20 Depth=1
	s_and_saveexec_b32 s17, s2
; %bb.130:                              ;   in Loop: Header=BB75_20 Depth=1
	v_mov_b32_e32 v1, s14
	ds_store_b32 v18, v1 offset:4108
; %bb.131:                              ;   in Loop: Header=BB75_20 Depth=1
	s_wait_alu 0xfffe
	s_or_b32 exec_lo, exec_lo, s17
	s_wait_loadcnt_dscnt 0x0
	s_barrier_signal -1
	s_barrier_wait -1
	global_inv scope:SCOPE_SE
.LBB75_132:                             ;   in Loop: Header=BB75_20 Depth=1
	s_wait_alu 0xfffe
	s_or_saveexec_b32 s16, s16
	v_mov_b32_e32 v1, 8
	s_mov_b32 s17, 0
	s_wait_alu 0xfffe
	s_xor_b32 exec_lo, exec_lo, s16
; %bb.133:                              ;   in Loop: Header=BB75_20 Depth=1
	v_subrev_nc_u32_e32 v34, s14, v34
	v_mov_b32_e32 v1, 0
	s_mov_b32 s17, exec_lo
; %bb.134:                              ;   in Loop: Header=BB75_20 Depth=1
	s_or_b32 exec_lo, exec_lo, s16
	s_delay_alu instid0(VALU_DEP_2)
	v_mov_b32_e32 v2, v34
	s_wait_alu 0xfffe
	s_and_b32 s22, s17, exec_lo
.LBB75_135:                             ;   in Loop: Header=BB75_20 Depth=1
	s_wait_alu 0xfffe
	s_or_b32 exec_lo, exec_lo, s15
	s_mov_b32 s14, -1
	s_mov_b32 s20, -1
                                        ; implicit-def: $sgpr16
                                        ; implicit-def: $sgpr17
	s_and_saveexec_b32 s15, s22
	s_wait_alu 0xfffe
	s_xor_b32 s15, exec_lo, s15
	s_cbranch_execz .LBB75_252
; %bb.136:                              ;   in Loop: Header=BB75_20 Depth=1
	v_cmp_eq_u32_e32 vcc_lo, 1, v2
	s_cmp_eq_u32 s21, 1
	s_mov_b32 s23, -1
	s_cselect_b32 s16, -1, 0
                                        ; implicit-def: $sgpr17
	s_wait_alu 0xfffe
	s_and_b32 s22, s16, vcc_lo
                                        ; implicit-def: $sgpr16
	s_wait_alu 0xfffe
	s_and_saveexec_b32 s20, s22
	s_cbranch_execz .LBB75_162
; %bb.137:                              ;   in Loop: Header=BB75_20 Depth=1
	ds_load_b32 v3, v18 offset:4104
	s_wait_loadcnt_dscnt 0x0
	s_barrier_signal -1
	s_barrier_wait -1
	global_inv scope:SCOPE_SE
	v_readfirstlane_b32 s24, v3
	s_and_saveexec_b32 s16, s1
; %bb.138:                              ;   in Loop: Header=BB75_20 Depth=1
	ds_store_b8 v0, v18 offset:3072
; %bb.139:                              ;   in Loop: Header=BB75_20 Depth=1
	s_wait_alu 0xfffe
	s_or_b32 exec_lo, exec_lo, s16
	s_lshl_b32 s16, 1, s79
	v_or_b32_e32 v32, s12, v32
	s_wait_alu 0xfffe
	v_and_or_b32 v14, v14, s19, s16
	s_mov_b32 s16, -1
	s_mov_b32 s17, 0
	s_cmp_eq_u32 s24, 0
	s_mov_b32 s23, 0
	s_mov_b32 s25, -1
	s_wait_loadcnt_dscnt 0x0
	s_barrier_signal -1
	s_barrier_wait -1
	global_inv scope:SCOPE_SE
                                        ; implicit-def: $vgpr33
	s_cbranch_scc1 .LBB75_150
; %bb.140:                              ;   in Loop: Header=BB75_20 Depth=1
	s_add_co_i32 s46, s24, s56
                                        ; implicit-def: $vgpr33
	s_wait_alu 0xfffe
	s_mul_u64 s[26:27], s[46:47], s[50:51]
	s_mov_b32 s26, exec_lo
	s_wait_alu 0xfffe
	s_mul_i32 s23, s27, s37
	s_wait_alu 0xfffe
	s_sub_co_i32 s23, s46, s23
	s_wait_alu 0xfffe
	s_sub_co_i32 s25, s23, s37
	s_cmp_ge_u32 s23, s37
	s_wait_alu 0xfffe
	s_cselect_b32 s23, s25, s23
	s_wait_alu 0xfffe
	s_sub_co_i32 s25, s23, s37
	s_cmp_ge_u32 s23, s37
	s_wait_alu 0xfffe
	s_cselect_b32 s23, s25, s23
	s_mov_b32 s25, 0
	s_wait_alu 0xfffe
	s_sub_co_i32 s27, s46, s23
	s_mov_b32 s23, 0
	s_wait_alu 0xfffe
	v_cmpx_gt_u32_e64 s27, v0
	s_cbranch_execz .LBB75_149
; %bb.141:                              ;   in Loop: Header=BB75_20 Depth=1
	v_mov_b32_e32 v3, v0
                                        ; implicit-def: $sgpr28
	s_branch .LBB75_144
.LBB75_142:                             ;   in Loop: Header=BB75_144 Depth=2
	s_wait_alu 0xfffe
	s_or_b32 exec_lo, exec_lo, s29
	s_wait_loadcnt_dscnt 0x0
	s_barrier_signal -1
	s_barrier_wait -1
	global_inv scope:SCOPE_SE
	ds_load_u16 v4, v18 offset:3072
	s_mov_b32 s30, -1
	s_mov_b32 s29, -1
	s_wait_loadcnt_dscnt 0x0
	s_barrier_signal -1
	s_barrier_wait -1
	global_inv scope:SCOPE_SE
	v_and_b32_e32 v5, 0xff, v4
	s_delay_alu instid0(VALU_DEP_1)
	v_cmp_ne_u32_e32 vcc_lo, 0, v5
	s_cbranch_vccz .LBB75_147
.LBB75_143:                             ;   in Loop: Header=BB75_144 Depth=2
	s_wait_alu 0xfffe
	s_and_b32 s30, exec_lo, s30
	s_wait_alu 0xfffe
	s_or_b32 s23, s30, s23
	s_and_not1_b32 s28, s28, exec_lo
	s_and_b32 s29, s29, exec_lo
	s_wait_alu 0xfffe
	s_or_b32 s28, s28, s29
	s_and_not1_b32 exec_lo, exec_lo, s23
	s_cbranch_execz .LBB75_148
.LBB75_144:                             ;   Parent Loop BB75_20 Depth=1
                                        ; =>  This Inner Loop Header: Depth=2
	s_mov_b32 s29, exec_lo
	s_delay_alu instid0(VALU_DEP_1)
	v_cmpx_gt_u32_e64 s24, v3
	s_cbranch_execz .LBB75_142
; %bb.145:                              ;   in Loop: Header=BB75_144 Depth=2
	ds_load_u8 v4, v3
	s_wait_dscnt 0x0
	v_and_b32_e32 v5, v4, v32
	s_delay_alu instid0(VALU_DEP_1) | instskip(NEXT) | instid1(VALU_DEP_1)
	v_and_b32_e32 v5, 0xff, v5
	v_cmp_eq_u32_e32 vcc_lo, v5, v14
	s_and_b32 exec_lo, exec_lo, vcc_lo
	s_cbranch_execz .LBB75_142
; %bb.146:                              ;   in Loop: Header=BB75_144 Depth=2
	v_lshlrev_b16 v4, 8, v4
	s_delay_alu instid0(VALU_DEP_1)
	v_or_b32_e32 v4, 1, v4
	ds_store_b16 v18, v4 offset:3072
	s_branch .LBB75_142
.LBB75_147:                             ;   in Loop: Header=BB75_144 Depth=2
	v_add_nc_u32_e32 v3, s37, v3
	s_mov_b32 s29, 0
	s_delay_alu instid0(VALU_DEP_1)
	v_cmp_le_u32_e32 vcc_lo, s27, v3
	s_or_not1_b32 s30, vcc_lo, exec_lo
	s_branch .LBB75_143
.LBB75_148:                             ;   in Loop: Header=BB75_20 Depth=1
	s_or_b32 exec_lo, exec_lo, s23
	v_and_b32_e32 v3, 0xffff, v4
	s_wait_alu 0xfffe
	s_and_b32 s23, s28, exec_lo
	s_delay_alu instid0(VALU_DEP_1)
	v_lshrrev_b32_e32 v33, 8, v3
.LBB75_149:                             ;   in Loop: Header=BB75_20 Depth=1
	s_or_b32 exec_lo, exec_lo, s26
.LBB75_150:                             ;   in Loop: Header=BB75_20 Depth=1
	s_wait_alu 0xfffe
	s_and_b32 vcc_lo, exec_lo, s25
	s_wait_alu 0xfffe
	s_cbranch_vccz .LBB75_161
; %bb.151:                              ;   in Loop: Header=BB75_20 Depth=1
                                        ; implicit-def: $vgpr33
	s_and_saveexec_b32 s16, s10
	s_cbranch_execz .LBB75_160
; %bb.152:                              ;   in Loop: Header=BB75_20 Depth=1
	v_dual_mov_b32 v3, v15 :: v_dual_mov_b32 v4, v0
	s_mov_b32 s17, 0
                                        ; implicit-def: $sgpr24
	s_branch .LBB75_155
.LBB75_153:                             ;   in Loop: Header=BB75_155 Depth=2
	s_wait_alu 0xfffe
	s_or_b32 exec_lo, exec_lo, s25
	s_wait_loadcnt_dscnt 0x0
	s_barrier_signal -1
	s_barrier_wait -1
	global_inv scope:SCOPE_SE
	ds_load_u16 v5, v18 offset:3072
	s_mov_b32 s25, -1
	s_mov_b32 s26, -1
	s_wait_loadcnt_dscnt 0x0
	s_barrier_signal -1
	s_barrier_wait -1
	global_inv scope:SCOPE_SE
	v_and_b32_e32 v6, 0xff, v5
	s_delay_alu instid0(VALU_DEP_1)
	v_cmp_eq_u32_e32 vcc_lo, 0, v6
	s_cbranch_vccnz .LBB75_158
.LBB75_154:                             ;   in Loop: Header=BB75_155 Depth=2
	s_wait_alu 0xfffe
	s_and_b32 s25, exec_lo, s25
	s_wait_alu 0xfffe
	s_or_b32 s17, s25, s17
	s_and_not1_b32 s24, s24, exec_lo
	s_and_b32 s25, s26, exec_lo
	s_wait_alu 0xfffe
	s_or_b32 s24, s24, s25
	s_and_not1_b32 exec_lo, exec_lo, s17
	s_cbranch_execz .LBB75_159
.LBB75_155:                             ;   Parent Loop BB75_20 Depth=1
                                        ; =>  This Inner Loop Header: Depth=2
	s_mov_b32 s25, exec_lo
	s_delay_alu instid0(VALU_DEP_1)
	v_cmpx_gt_u32_e64 s36, v4
	s_cbranch_execz .LBB75_153
; %bb.156:                              ;   in Loop: Header=BB75_155 Depth=2
	global_load_u8 v5, v3, s[44:45]
	s_wait_loadcnt 0x0
	v_and_b32_e32 v6, v5, v32
	s_delay_alu instid0(VALU_DEP_1) | instskip(NEXT) | instid1(VALU_DEP_1)
	v_and_b32_e32 v6, 0xff, v6
	v_cmp_eq_u32_e32 vcc_lo, v6, v14
	s_and_b32 exec_lo, exec_lo, vcc_lo
	s_cbranch_execz .LBB75_153
; %bb.157:                              ;   in Loop: Header=BB75_155 Depth=2
	v_lshlrev_b16 v5, 8, v5
	s_delay_alu instid0(VALU_DEP_1)
	v_or_b32_e32 v5, 1, v5
	ds_store_b16 v18, v5 offset:3072
	s_branch .LBB75_153
.LBB75_158:                             ;   in Loop: Header=BB75_155 Depth=2
	v_add_nc_u32_e32 v4, s37, v4
	v_add_nc_u32_e32 v3, s60, v3
	s_mov_b32 s26, 0
	s_delay_alu instid0(VALU_DEP_2)
	v_cmp_le_u32_e32 vcc_lo, s70, v4
	s_or_not1_b32 s25, vcc_lo, exec_lo
	s_branch .LBB75_154
.LBB75_159:                             ;   in Loop: Header=BB75_20 Depth=1
	s_or_b32 exec_lo, exec_lo, s17
	v_and_b32_e32 v3, 0xffff, v5
	s_and_not1_b32 s17, s23, exec_lo
	s_wait_alu 0xfffe
	s_and_b32 s23, s24, exec_lo
	s_wait_alu 0xfffe
	s_or_b32 s23, s17, s23
	v_lshrrev_b32_e32 v33, 8, v3
.LBB75_160:                             ;   in Loop: Header=BB75_20 Depth=1
	s_wait_alu 0xfffe
	s_or_b32 exec_lo, exec_lo, s16
	s_mov_b32 s16, 0
	s_mov_b32 s17, -1
.LBB75_161:                             ;   in Loop: Header=BB75_20 Depth=1
	s_or_not1_b32 s23, s23, exec_lo
.LBB75_162:                             ;   in Loop: Header=BB75_20 Depth=1
	s_wait_alu 0xfffe
	s_or_b32 exec_lo, exec_lo, s20
	s_mov_b32 s24, 0
	s_and_saveexec_b32 s20, s23
	s_cbranch_execz .LBB75_251
; %bb.163:                              ;   in Loop: Header=BB75_20 Depth=1
	v_mov_b32_e32 v3, 1
	v_mov_b32_e32 v1, 1
	s_xor_b32 s23, s22, -1
	s_mov_b32 s25, 0
	s_wait_alu 0xfffe
	s_and_saveexec_b32 s22, s23
	s_cbranch_execz .LBB75_172
; %bb.164:                              ;   in Loop: Header=BB75_20 Depth=1
	s_mov_b32 s23, exec_lo
	v_cmpx_ge_u32_e64 s21, v2
	s_wait_alu 0xfffe
	s_xor_b32 s23, exec_lo, s23
	s_cbranch_execz .LBB75_169
; %bb.165:                              ;   in Loop: Header=BB75_20 Depth=1
	ds_load_b32 v1, v18 offset:4104
	s_lshl_b32 s24, 1, s79
	v_or_b32_e32 v32, s12, v32
	s_wait_alu 0xfffe
	v_and_or_b32 v14, v14, s19, s24
	s_wait_dscnt 0x0
	v_cmp_ne_u32_e32 vcc_lo, 0, v1
	s_cbranch_vccnz .LBB75_169
; %bb.166:                              ;   in Loop: Header=BB75_20 Depth=1
	s_and_saveexec_b32 s24, s2
; %bb.167:                              ;   in Loop: Header=BB75_20 Depth=1
	v_mov_b32_e32 v1, s21
	ds_store_b32 v18, v1 offset:4108
; %bb.168:                              ;   in Loop: Header=BB75_20 Depth=1
	s_wait_alu 0xfffe
	s_or_b32 exec_lo, exec_lo, s24
	s_wait_loadcnt_dscnt 0x0
	s_barrier_signal -1
	s_barrier_wait -1
	global_inv scope:SCOPE_SE
.LBB75_169:                             ;   in Loop: Header=BB75_20 Depth=1
	s_wait_alu 0xfffe
	s_or_saveexec_b32 s23, s23
	v_mov_b32_e32 v1, 8
	s_mov_b32 s24, 0
	s_wait_alu 0xfffe
	s_xor_b32 exec_lo, exec_lo, s23
; %bb.170:                              ;   in Loop: Header=BB75_20 Depth=1
	v_subrev_nc_u32_e32 v2, s21, v2
	v_mov_b32_e32 v1, 0
	s_mov_b32 s24, exec_lo
; %bb.171:                              ;   in Loop: Header=BB75_20 Depth=1
	s_or_b32 exec_lo, exec_lo, s23
	s_delay_alu instid0(VALU_DEP_2)
	v_mov_b32_e32 v3, v2
	s_wait_alu 0xfffe
	s_and_b32 s25, s24, exec_lo
.LBB75_172:                             ;   in Loop: Header=BB75_20 Depth=1
	s_wait_alu 0xfffe
	s_or_b32 exec_lo, exec_lo, s22
	s_mov_b32 s24, -1
                                        ; implicit-def: $sgpr22
                                        ; implicit-def: $sgpr23
	s_and_saveexec_b32 s21, s25
	s_cbranch_execz .LBB75_250
; %bb.173:                              ;   in Loop: Header=BB75_20 Depth=1
	v_cmp_eq_u32_e32 vcc_lo, 1, v3
	s_cmp_eq_u32 s18, 1
	s_mov_b32 s26, -1
	s_cselect_b32 s22, -1, 0
                                        ; implicit-def: $sgpr23
	s_wait_alu 0xfffe
	s_and_b32 s25, s22, vcc_lo
                                        ; implicit-def: $sgpr22
	s_wait_alu 0xfffe
	s_and_saveexec_b32 s24, s25
	s_cbranch_execz .LBB75_199
; %bb.174:                              ;   in Loop: Header=BB75_20 Depth=1
	ds_load_b32 v2, v18 offset:4104
	s_wait_loadcnt_dscnt 0x0
	s_barrier_signal -1
	s_barrier_wait -1
	global_inv scope:SCOPE_SE
	v_readfirstlane_b32 s27, v2
	s_and_saveexec_b32 s22, s1
; %bb.175:                              ;   in Loop: Header=BB75_20 Depth=1
	ds_store_b8 v0, v18 offset:3072
; %bb.176:                              ;   in Loop: Header=BB75_20 Depth=1
	s_wait_alu 0xfffe
	s_or_b32 exec_lo, exec_lo, s22
	s_lshl_b32 s22, 2, s79
	v_or_b32_e32 v32, s12, v32
	s_wait_alu 0xfffe
	v_and_or_b32 v14, v14, s19, s22
	s_mov_b32 s22, -1
	s_mov_b32 s23, 0
	s_cmp_eq_u32 s27, 0
	s_mov_b32 s26, 0
	s_mov_b32 s28, -1
	s_wait_loadcnt_dscnt 0x0
	s_barrier_signal -1
	s_barrier_wait -1
	global_inv scope:SCOPE_SE
                                        ; implicit-def: $vgpr33
	s_cbranch_scc1 .LBB75_187
; %bb.177:                              ;   in Loop: Header=BB75_20 Depth=1
	s_add_co_i32 s46, s27, s56
                                        ; implicit-def: $vgpr33
	s_wait_alu 0xfffe
	s_mul_u64 s[28:29], s[46:47], s[50:51]
	s_wait_alu 0xfffe
	s_mul_i32 s26, s29, s37
	s_mov_b32 s29, exec_lo
	s_wait_alu 0xfffe
	s_sub_co_i32 s26, s46, s26
	s_wait_alu 0xfffe
	s_sub_co_i32 s28, s26, s37
	s_cmp_ge_u32 s26, s37
	s_wait_alu 0xfffe
	s_cselect_b32 s26, s28, s26
	s_wait_alu 0xfffe
	s_sub_co_i32 s28, s26, s37
	s_cmp_ge_u32 s26, s37
	s_wait_alu 0xfffe
	s_cselect_b32 s26, s28, s26
	s_mov_b32 s28, 0
	s_wait_alu 0xfffe
	s_sub_co_i32 s30, s46, s26
	s_mov_b32 s26, 0
	s_wait_alu 0xfffe
	v_cmpx_gt_u32_e64 s30, v0
	s_cbranch_execz .LBB75_186
; %bb.178:                              ;   in Loop: Header=BB75_20 Depth=1
	v_mov_b32_e32 v2, v0
                                        ; implicit-def: $sgpr46
	s_branch .LBB75_181
.LBB75_179:                             ;   in Loop: Header=BB75_181 Depth=2
	s_wait_alu 0xfffe
	s_or_b32 exec_lo, exec_lo, s80
	s_wait_loadcnt_dscnt 0x0
	s_barrier_signal -1
	s_barrier_wait -1
	global_inv scope:SCOPE_SE
	ds_load_u16 v4, v18 offset:3072
	s_mov_b32 s81, -1
	s_mov_b32 s80, -1
	s_wait_loadcnt_dscnt 0x0
	s_barrier_signal -1
	s_barrier_wait -1
	global_inv scope:SCOPE_SE
	v_and_b32_e32 v5, 0xff, v4
	s_delay_alu instid0(VALU_DEP_1)
	v_cmp_ne_u32_e32 vcc_lo, 0, v5
	s_cbranch_vccz .LBB75_184
.LBB75_180:                             ;   in Loop: Header=BB75_181 Depth=2
	s_wait_alu 0xfffe
	s_and_b32 s81, exec_lo, s81
	s_wait_alu 0xfffe
	s_or_b32 s26, s81, s26
	s_and_not1_b32 s46, s46, exec_lo
	s_and_b32 s80, s80, exec_lo
	s_wait_alu 0xfffe
	s_or_b32 s46, s46, s80
	s_and_not1_b32 exec_lo, exec_lo, s26
	s_cbranch_execz .LBB75_185
.LBB75_181:                             ;   Parent Loop BB75_20 Depth=1
                                        ; =>  This Inner Loop Header: Depth=2
	s_mov_b32 s80, exec_lo
	s_delay_alu instid0(VALU_DEP_1)
	v_cmpx_gt_u32_e64 s27, v2
	s_cbranch_execz .LBB75_179
; %bb.182:                              ;   in Loop: Header=BB75_181 Depth=2
	ds_load_u8 v4, v2
	s_wait_dscnt 0x0
	v_and_b32_e32 v5, v4, v32
	s_delay_alu instid0(VALU_DEP_1) | instskip(NEXT) | instid1(VALU_DEP_1)
	v_and_b32_e32 v5, 0xff, v5
	v_cmp_eq_u32_e32 vcc_lo, v5, v14
	s_and_b32 exec_lo, exec_lo, vcc_lo
	s_cbranch_execz .LBB75_179
; %bb.183:                              ;   in Loop: Header=BB75_181 Depth=2
	v_lshlrev_b16 v4, 8, v4
	s_delay_alu instid0(VALU_DEP_1)
	v_or_b32_e32 v4, 1, v4
	ds_store_b16 v18, v4 offset:3072
	s_branch .LBB75_179
.LBB75_184:                             ;   in Loop: Header=BB75_181 Depth=2
	v_add_nc_u32_e32 v2, s37, v2
	s_mov_b32 s80, 0
	s_delay_alu instid0(VALU_DEP_1)
	v_cmp_le_u32_e32 vcc_lo, s30, v2
	s_or_not1_b32 s81, vcc_lo, exec_lo
	s_branch .LBB75_180
.LBB75_185:                             ;   in Loop: Header=BB75_20 Depth=1
	s_or_b32 exec_lo, exec_lo, s26
	v_and_b32_e32 v2, 0xffff, v4
	s_wait_alu 0xfffe
	s_and_b32 s26, s46, exec_lo
	s_delay_alu instid0(VALU_DEP_1)
	v_lshrrev_b32_e32 v33, 8, v2
.LBB75_186:                             ;   in Loop: Header=BB75_20 Depth=1
	s_or_b32 exec_lo, exec_lo, s29
.LBB75_187:                             ;   in Loop: Header=BB75_20 Depth=1
	s_wait_alu 0xfffe
	s_and_b32 vcc_lo, exec_lo, s28
	s_wait_alu 0xfffe
	s_cbranch_vccz .LBB75_198
; %bb.188:                              ;   in Loop: Header=BB75_20 Depth=1
                                        ; implicit-def: $vgpr33
	s_and_saveexec_b32 s22, s10
	s_cbranch_execz .LBB75_197
; %bb.189:                              ;   in Loop: Header=BB75_20 Depth=1
	v_mov_b32_e32 v2, v15
	v_mov_b32_e32 v4, v0
	s_mov_b32 s23, 0
                                        ; implicit-def: $sgpr27
	s_branch .LBB75_192
.LBB75_190:                             ;   in Loop: Header=BB75_192 Depth=2
	s_wait_alu 0xfffe
	s_or_b32 exec_lo, exec_lo, s28
	s_wait_loadcnt_dscnt 0x0
	s_barrier_signal -1
	s_barrier_wait -1
	global_inv scope:SCOPE_SE
	ds_load_u16 v5, v18 offset:3072
	s_mov_b32 s28, -1
	s_mov_b32 s29, -1
	s_wait_loadcnt_dscnt 0x0
	s_barrier_signal -1
	s_barrier_wait -1
	global_inv scope:SCOPE_SE
	v_and_b32_e32 v6, 0xff, v5
	s_delay_alu instid0(VALU_DEP_1)
	v_cmp_eq_u32_e32 vcc_lo, 0, v6
	s_cbranch_vccnz .LBB75_195
.LBB75_191:                             ;   in Loop: Header=BB75_192 Depth=2
	s_wait_alu 0xfffe
	s_and_b32 s28, exec_lo, s28
	s_wait_alu 0xfffe
	s_or_b32 s23, s28, s23
	s_and_not1_b32 s27, s27, exec_lo
	s_and_b32 s28, s29, exec_lo
	s_wait_alu 0xfffe
	s_or_b32 s27, s27, s28
	s_and_not1_b32 exec_lo, exec_lo, s23
	s_cbranch_execz .LBB75_196
.LBB75_192:                             ;   Parent Loop BB75_20 Depth=1
                                        ; =>  This Inner Loop Header: Depth=2
	s_mov_b32 s28, exec_lo
	s_delay_alu instid0(VALU_DEP_1)
	v_cmpx_gt_u32_e64 s36, v4
	s_cbranch_execz .LBB75_190
; %bb.193:                              ;   in Loop: Header=BB75_192 Depth=2
	global_load_u8 v5, v2, s[44:45]
	s_wait_loadcnt 0x0
	v_and_b32_e32 v6, v5, v32
	s_delay_alu instid0(VALU_DEP_1) | instskip(NEXT) | instid1(VALU_DEP_1)
	v_and_b32_e32 v6, 0xff, v6
	v_cmp_eq_u32_e32 vcc_lo, v6, v14
	s_and_b32 exec_lo, exec_lo, vcc_lo
	s_cbranch_execz .LBB75_190
; %bb.194:                              ;   in Loop: Header=BB75_192 Depth=2
	v_lshlrev_b16 v5, 8, v5
	s_delay_alu instid0(VALU_DEP_1)
	v_or_b32_e32 v5, 1, v5
	ds_store_b16 v18, v5 offset:3072
	s_branch .LBB75_190
.LBB75_195:                             ;   in Loop: Header=BB75_192 Depth=2
	v_add_nc_u32_e32 v4, s37, v4
	v_add_nc_u32_e32 v2, s60, v2
	s_mov_b32 s29, 0
	s_delay_alu instid0(VALU_DEP_2)
	v_cmp_le_u32_e32 vcc_lo, s70, v4
	s_or_not1_b32 s28, vcc_lo, exec_lo
	s_branch .LBB75_191
.LBB75_196:                             ;   in Loop: Header=BB75_20 Depth=1
	s_or_b32 exec_lo, exec_lo, s23
	v_and_b32_e32 v2, 0xffff, v5
	s_and_not1_b32 s23, s26, exec_lo
	s_wait_alu 0xfffe
	s_and_b32 s26, s27, exec_lo
	s_wait_alu 0xfffe
	s_or_b32 s26, s23, s26
	v_lshrrev_b32_e32 v33, 8, v2
.LBB75_197:                             ;   in Loop: Header=BB75_20 Depth=1
	s_wait_alu 0xfffe
	s_or_b32 exec_lo, exec_lo, s22
	s_mov_b32 s22, 0
	s_mov_b32 s23, -1
.LBB75_198:                             ;   in Loop: Header=BB75_20 Depth=1
	s_or_not1_b32 s26, s26, exec_lo
.LBB75_199:                             ;   in Loop: Header=BB75_20 Depth=1
	s_wait_alu 0xfffe
	s_or_b32 exec_lo, exec_lo, s24
	s_mov_b32 s27, 0
	s_and_saveexec_b32 s24, s26
	s_cbranch_execz .LBB75_249
; %bb.200:                              ;   in Loop: Header=BB75_20 Depth=1
	v_dual_mov_b32 v2, 1 :: v_dual_mov_b32 v1, 1
	s_xor_b32 s26, s25, -1
	s_wait_alu 0xfffe
	s_and_saveexec_b32 s25, s26
	s_cbranch_execz .LBB75_209
; %bb.201:                              ;   in Loop: Header=BB75_20 Depth=1
	s_mov_b32 s26, exec_lo
	v_cmpx_ge_u32_e64 s18, v3
	s_wait_alu 0xfffe
	s_xor_b32 s26, exec_lo, s26
	s_cbranch_execz .LBB75_206
; %bb.202:                              ;   in Loop: Header=BB75_20 Depth=1
	ds_load_b32 v1, v18 offset:4104
	s_lshl_b32 s27, 2, s79
	v_or_b32_e32 v32, s12, v32
	s_wait_alu 0xfffe
	v_and_or_b32 v14, v14, s19, s27
	s_wait_dscnt 0x0
	v_cmp_ne_u32_e32 vcc_lo, 0, v1
	s_cbranch_vccnz .LBB75_206
; %bb.203:                              ;   in Loop: Header=BB75_20 Depth=1
	s_and_saveexec_b32 s19, s2
; %bb.204:                              ;   in Loop: Header=BB75_20 Depth=1
	v_mov_b32_e32 v1, s18
	ds_store_b32 v18, v1 offset:4108
; %bb.205:                              ;   in Loop: Header=BB75_20 Depth=1
	s_wait_alu 0xfffe
	s_or_b32 exec_lo, exec_lo, s19
	s_wait_loadcnt_dscnt 0x0
	s_barrier_signal -1
	s_barrier_wait -1
	global_inv scope:SCOPE_SE
.LBB75_206:                             ;   in Loop: Header=BB75_20 Depth=1
	s_wait_alu 0xfffe
	s_or_saveexec_b32 s19, s26
	v_mov_b32_e32 v1, 8
	s_mov_b32 s26, 0
	s_wait_alu 0xfffe
	s_xor_b32 exec_lo, exec_lo, s19
; %bb.207:                              ;   in Loop: Header=BB75_20 Depth=1
	v_subrev_nc_u32_e32 v3, s18, v3
	v_mov_b32_e32 v1, 0
	s_mov_b32 s26, exec_lo
; %bb.208:                              ;   in Loop: Header=BB75_20 Depth=1
	s_or_b32 exec_lo, exec_lo, s19
	s_delay_alu instid0(VALU_DEP_2)
	v_mov_b32_e32 v2, v3
	s_wait_alu 0xfffe
	s_and_b32 s27, s26, exec_lo
.LBB75_209:                             ;   in Loop: Header=BB75_20 Depth=1
	s_wait_alu 0xfffe
	s_or_b32 exec_lo, exec_lo, s25
	s_mov_b32 s19, -1
                                        ; implicit-def: $sgpr26
                                        ; implicit-def: $sgpr25
	s_and_saveexec_b32 s18, s27
	s_cbranch_execz .LBB75_248
; %bb.210:                              ;   in Loop: Header=BB75_20 Depth=1
	v_cmp_eq_u32_e32 vcc_lo, 1, v2
	s_cmp_eq_u32 s11, 1
	s_mov_b32 s28, -1
	s_cselect_b32 s19, -1, 0
                                        ; implicit-def: $sgpr26
                                        ; implicit-def: $sgpr25
	s_wait_alu 0xfffe
	s_and_b32 s19, s19, vcc_lo
	s_wait_alu 0xfffe
	s_and_saveexec_b32 s27, s19
	s_cbranch_execz .LBB75_236
; %bb.211:                              ;   in Loop: Header=BB75_20 Depth=1
	ds_load_b32 v3, v18 offset:4104
	s_wait_loadcnt_dscnt 0x0
	s_barrier_signal -1
	s_barrier_wait -1
	global_inv scope:SCOPE_SE
	v_readfirstlane_b32 s29, v3
	s_and_saveexec_b32 s25, s1
; %bb.212:                              ;   in Loop: Header=BB75_20 Depth=1
	ds_store_b8 v0, v18 offset:3072
; %bb.213:                              ;   in Loop: Header=BB75_20 Depth=1
	s_wait_alu 0xfffe
	s_or_b32 exec_lo, exec_lo, s25
	v_or_b32_e32 v14, s12, v14
	v_or_b32_e32 v32, s12, v32
	s_mov_b32 s25, -1
	s_mov_b32 s26, 0
	s_cmp_eq_u32 s29, 0
	s_mov_b32 s28, 0
	s_mov_b32 s30, -1
	s_wait_loadcnt_dscnt 0x0
	s_barrier_signal -1
	s_barrier_wait -1
	global_inv scope:SCOPE_SE
                                        ; implicit-def: $vgpr33
	s_cbranch_scc1 .LBB75_224
; %bb.214:                              ;   in Loop: Header=BB75_20 Depth=1
	s_add_co_i32 s46, s29, s56
                                        ; implicit-def: $vgpr33
	s_wait_alu 0xfffe
	s_mul_u64 s[80:81], s[46:47], s[50:51]
	s_wait_alu 0xfffe
	s_mul_i32 s28, s81, s37
	s_wait_alu 0xfffe
	s_sub_co_i32 s28, s46, s28
	s_wait_alu 0xfffe
	s_sub_co_i32 s30, s28, s37
	s_cmp_ge_u32 s28, s37
	s_wait_alu 0xfffe
	s_cselect_b32 s28, s30, s28
	s_wait_alu 0xfffe
	s_sub_co_i32 s30, s28, s37
	s_cmp_ge_u32 s28, s37
	s_wait_alu 0xfffe
	s_cselect_b32 s28, s30, s28
	s_mov_b32 s30, 0
	s_wait_alu 0xfffe
	s_sub_co_i32 s80, s46, s28
	s_mov_b32 s28, 0
	s_mov_b32 s46, exec_lo
	s_wait_alu 0xfffe
	v_cmpx_gt_u32_e64 s80, v0
	s_cbranch_execz .LBB75_223
; %bb.215:                              ;   in Loop: Header=BB75_20 Depth=1
	v_mov_b32_e32 v3, v0
                                        ; implicit-def: $sgpr81
	s_branch .LBB75_218
.LBB75_216:                             ;   in Loop: Header=BB75_218 Depth=2
	s_wait_alu 0xfffe
	s_or_b32 exec_lo, exec_lo, s82
	s_wait_loadcnt_dscnt 0x0
	s_barrier_signal -1
	s_barrier_wait -1
	global_inv scope:SCOPE_SE
	ds_load_u16 v4, v18 offset:3072
	s_mov_b32 s83, -1
	s_mov_b32 s82, -1
	s_wait_loadcnt_dscnt 0x0
	s_barrier_signal -1
	s_barrier_wait -1
	global_inv scope:SCOPE_SE
	v_and_b32_e32 v5, 0xff, v4
	s_delay_alu instid0(VALU_DEP_1)
	v_cmp_ne_u32_e32 vcc_lo, 0, v5
	s_cbranch_vccz .LBB75_221
.LBB75_217:                             ;   in Loop: Header=BB75_218 Depth=2
	s_wait_alu 0xfffe
	s_and_b32 s83, exec_lo, s83
	s_wait_alu 0xfffe
	s_or_b32 s28, s83, s28
	s_and_not1_b32 s81, s81, exec_lo
	s_and_b32 s82, s82, exec_lo
	s_wait_alu 0xfffe
	s_or_b32 s81, s81, s82
	s_and_not1_b32 exec_lo, exec_lo, s28
	s_cbranch_execz .LBB75_222
.LBB75_218:                             ;   Parent Loop BB75_20 Depth=1
                                        ; =>  This Inner Loop Header: Depth=2
	s_mov_b32 s82, exec_lo
	s_delay_alu instid0(VALU_DEP_1)
	v_cmpx_gt_u32_e64 s29, v3
	s_cbranch_execz .LBB75_216
; %bb.219:                              ;   in Loop: Header=BB75_218 Depth=2
	ds_load_u8 v4, v3
	s_wait_dscnt 0x0
	v_and_b32_e32 v5, v4, v32
	s_delay_alu instid0(VALU_DEP_1) | instskip(NEXT) | instid1(VALU_DEP_1)
	v_and_b32_e32 v5, 0xff, v5
	v_cmp_eq_u32_e32 vcc_lo, v5, v14
	s_and_b32 exec_lo, exec_lo, vcc_lo
	s_cbranch_execz .LBB75_216
; %bb.220:                              ;   in Loop: Header=BB75_218 Depth=2
	v_lshlrev_b16 v4, 8, v4
	s_delay_alu instid0(VALU_DEP_1)
	v_or_b32_e32 v4, 1, v4
	ds_store_b16 v18, v4 offset:3072
	s_branch .LBB75_216
.LBB75_221:                             ;   in Loop: Header=BB75_218 Depth=2
	v_add_nc_u32_e32 v3, s37, v3
	s_mov_b32 s82, 0
	s_delay_alu instid0(VALU_DEP_1)
	v_cmp_le_u32_e32 vcc_lo, s80, v3
	s_or_not1_b32 s83, vcc_lo, exec_lo
	s_branch .LBB75_217
.LBB75_222:                             ;   in Loop: Header=BB75_20 Depth=1
	s_or_b32 exec_lo, exec_lo, s28
	v_and_b32_e32 v3, 0xffff, v4
	s_wait_alu 0xfffe
	s_and_b32 s28, s81, exec_lo
	s_delay_alu instid0(VALU_DEP_1)
	v_lshrrev_b32_e32 v33, 8, v3
.LBB75_223:                             ;   in Loop: Header=BB75_20 Depth=1
	s_or_b32 exec_lo, exec_lo, s46
.LBB75_224:                             ;   in Loop: Header=BB75_20 Depth=1
	s_wait_alu 0xfffe
	s_and_b32 vcc_lo, exec_lo, s30
	s_wait_alu 0xfffe
	s_cbranch_vccz .LBB75_235
; %bb.225:                              ;   in Loop: Header=BB75_20 Depth=1
                                        ; implicit-def: $vgpr33
	s_and_saveexec_b32 s25, s10
	s_cbranch_execz .LBB75_234
; %bb.226:                              ;   in Loop: Header=BB75_20 Depth=1
	v_dual_mov_b32 v3, v15 :: v_dual_mov_b32 v4, v0
	s_mov_b32 s26, 0
                                        ; implicit-def: $sgpr29
	s_branch .LBB75_229
.LBB75_227:                             ;   in Loop: Header=BB75_229 Depth=2
	s_wait_alu 0xfffe
	s_or_b32 exec_lo, exec_lo, s30
	s_wait_loadcnt_dscnt 0x0
	s_barrier_signal -1
	s_barrier_wait -1
	global_inv scope:SCOPE_SE
	ds_load_u16 v5, v18 offset:3072
	s_mov_b32 s30, -1
	s_mov_b32 s46, -1
	s_wait_loadcnt_dscnt 0x0
	s_barrier_signal -1
	s_barrier_wait -1
	global_inv scope:SCOPE_SE
	v_and_b32_e32 v6, 0xff, v5
	s_delay_alu instid0(VALU_DEP_1)
	v_cmp_eq_u32_e32 vcc_lo, 0, v6
	s_cbranch_vccnz .LBB75_232
.LBB75_228:                             ;   in Loop: Header=BB75_229 Depth=2
	s_wait_alu 0xfffe
	s_and_b32 s30, exec_lo, s30
	s_wait_alu 0xfffe
	s_or_b32 s26, s30, s26
	s_and_not1_b32 s29, s29, exec_lo
	s_and_b32 s30, s46, exec_lo
	s_wait_alu 0xfffe
	s_or_b32 s29, s29, s30
	s_and_not1_b32 exec_lo, exec_lo, s26
	s_cbranch_execz .LBB75_233
.LBB75_229:                             ;   Parent Loop BB75_20 Depth=1
                                        ; =>  This Inner Loop Header: Depth=2
	s_mov_b32 s30, exec_lo
	s_delay_alu instid0(VALU_DEP_1)
	v_cmpx_gt_u32_e64 s36, v4
	s_cbranch_execz .LBB75_227
; %bb.230:                              ;   in Loop: Header=BB75_229 Depth=2
	global_load_u8 v5, v3, s[44:45]
	s_wait_loadcnt 0x0
	v_and_b32_e32 v6, v5, v32
	s_delay_alu instid0(VALU_DEP_1) | instskip(NEXT) | instid1(VALU_DEP_1)
	v_and_b32_e32 v6, 0xff, v6
	v_cmp_eq_u32_e32 vcc_lo, v6, v14
	s_and_b32 exec_lo, exec_lo, vcc_lo
	s_cbranch_execz .LBB75_227
; %bb.231:                              ;   in Loop: Header=BB75_229 Depth=2
	v_lshlrev_b16 v5, 8, v5
	s_delay_alu instid0(VALU_DEP_1)
	v_or_b32_e32 v5, 1, v5
	ds_store_b16 v18, v5 offset:3072
	s_branch .LBB75_227
.LBB75_232:                             ;   in Loop: Header=BB75_229 Depth=2
	v_add_nc_u32_e32 v4, s37, v4
	v_add_nc_u32_e32 v3, s60, v3
	s_mov_b32 s46, 0
	s_delay_alu instid0(VALU_DEP_2)
	v_cmp_le_u32_e32 vcc_lo, s70, v4
	s_or_not1_b32 s30, vcc_lo, exec_lo
	s_branch .LBB75_228
.LBB75_233:                             ;   in Loop: Header=BB75_20 Depth=1
	s_or_b32 exec_lo, exec_lo, s26
	v_and_b32_e32 v3, 0xffff, v5
	s_and_not1_b32 s26, s28, exec_lo
	s_wait_alu 0xfffe
	s_and_b32 s28, s29, exec_lo
	s_wait_alu 0xfffe
	s_or_b32 s28, s26, s28
	v_lshrrev_b32_e32 v33, 8, v3
.LBB75_234:                             ;   in Loop: Header=BB75_20 Depth=1
	s_wait_alu 0xfffe
	s_or_b32 exec_lo, exec_lo, s25
	s_mov_b32 s25, 0
	s_mov_b32 s26, -1
.LBB75_235:                             ;   in Loop: Header=BB75_20 Depth=1
	s_or_not1_b32 s28, s28, exec_lo
.LBB75_236:                             ;   in Loop: Header=BB75_20 Depth=1
	s_wait_alu 0xfffe
	s_or_b32 exec_lo, exec_lo, s27
	s_mov_b32 s29, 0
	s_and_saveexec_b32 s27, s28
	s_cbranch_execz .LBB75_247
; %bb.237:                              ;   in Loop: Header=BB75_20 Depth=1
	v_mov_b32_e32 v1, 1
	v_mov_b32_e32 v3, 1
	s_xor_b32 s28, s19, -1
	s_wait_alu 0xfffe
	s_and_saveexec_b32 s19, s28
	s_cbranch_execz .LBB75_246
; %bb.238:                              ;   in Loop: Header=BB75_20 Depth=1
	s_mov_b32 s28, exec_lo
	v_cmpx_ge_u32_e64 s11, v2
	s_wait_alu 0xfffe
	s_xor_b32 s28, exec_lo, s28
	s_cbranch_execz .LBB75_243
; %bb.239:                              ;   in Loop: Header=BB75_20 Depth=1
	ds_load_b32 v1, v18 offset:4104
	v_or_b32_e32 v14, s12, v14
	v_or_b32_e32 v32, s12, v32
	s_wait_dscnt 0x0
	v_cmp_ne_u32_e32 vcc_lo, 0, v1
	s_cbranch_vccnz .LBB75_243
; %bb.240:                              ;   in Loop: Header=BB75_20 Depth=1
	s_and_saveexec_b32 s12, s2
; %bb.241:                              ;   in Loop: Header=BB75_20 Depth=1
	v_mov_b32_e32 v1, s11
	ds_store_b32 v18, v1 offset:4108
; %bb.242:                              ;   in Loop: Header=BB75_20 Depth=1
	s_wait_alu 0xfffe
	s_or_b32 exec_lo, exec_lo, s12
	s_wait_loadcnt_dscnt 0x0
	s_barrier_signal -1
	s_barrier_wait -1
	global_inv scope:SCOPE_SE
.LBB75_243:                             ;   in Loop: Header=BB75_20 Depth=1
	s_wait_alu 0xfffe
	s_and_not1_saveexec_b32 s12, s28
; %bb.244:                              ;   in Loop: Header=BB75_20 Depth=1
	v_subrev_nc_u32_e32 v2, s11, v2
; %bb.245:                              ;   in Loop: Header=BB75_20 Depth=1
	s_wait_alu 0xfffe
	s_or_b32 exec_lo, exec_lo, s12
	v_mov_b32_e32 v1, 8
	s_delay_alu instid0(VALU_DEP_2)
	v_mov_b32_e32 v3, v2
.LBB75_246:                             ;   in Loop: Header=BB75_20 Depth=1
	s_wait_alu 0xfffe
	s_or_b32 exec_lo, exec_lo, s19
	s_delay_alu instid0(VALU_DEP_1)
	v_mov_b32_e32 v2, v3
	s_mov_b32 s29, exec_lo
.LBB75_247:                             ;   in Loop: Header=BB75_20 Depth=1
	s_wait_alu 0xfffe
	s_or_b32 exec_lo, exec_lo, s27
	s_delay_alu instid0(SALU_CYCLE_1)
	s_or_not1_b32 s19, s29, exec_lo
.LBB75_248:                             ;   in Loop: Header=BB75_20 Depth=1
	s_wait_alu 0xfffe
	s_or_b32 exec_lo, exec_lo, s18
	v_mov_b32_e32 v3, v2
	s_and_not1_b32 s11, s23, exec_lo
	s_and_b32 s12, s26, exec_lo
	s_and_not1_b32 s18, s22, exec_lo
	s_and_b32 s22, s25, exec_lo
	s_wait_alu 0xfffe
	s_or_b32 s23, s11, s12
	s_or_b32 s22, s18, s22
	s_and_b32 s27, s19, exec_lo
.LBB75_249:                             ;   in Loop: Header=BB75_20 Depth=1
	s_wait_alu 0xfffe
	s_or_b32 exec_lo, exec_lo, s24
	s_delay_alu instid0(SALU_CYCLE_1)
	s_or_not1_b32 s24, s27, exec_lo
.LBB75_250:                             ;   in Loop: Header=BB75_20 Depth=1
	s_wait_alu 0xfffe
	s_or_b32 exec_lo, exec_lo, s21
	v_mov_b32_e32 v2, v3
	s_and_not1_b32 s11, s17, exec_lo
	s_and_b32 s12, s23, exec_lo
	s_and_not1_b32 s16, s16, exec_lo
	s_and_b32 s18, s22, exec_lo
	s_wait_alu 0xfffe
	s_or_b32 s17, s11, s12
	s_or_b32 s16, s16, s18
	s_and_b32 s24, s24, exec_lo
.LBB75_251:                             ;   in Loop: Header=BB75_20 Depth=1
	s_wait_alu 0xfffe
	s_or_b32 exec_lo, exec_lo, s20
	s_delay_alu instid0(SALU_CYCLE_1)
	s_or_not1_b32 s20, s24, exec_lo
.LBB75_252:                             ;   in Loop: Header=BB75_20 Depth=1
	s_wait_alu 0xfffe
	s_or_b32 exec_lo, exec_lo, s15
	s_mov_b32 s12, 0
                                        ; implicit-def: $sgpr22
	s_and_saveexec_b32 s11, s20
	s_wait_alu 0xfffe
	s_xor_b32 s11, exec_lo, s11
	s_cbranch_execz .LBB75_18
; %bb.253:                              ;   in Loop: Header=BB75_20 Depth=1
	v_and_b32_e32 v1, 7, v1
	s_mov_b32 s14, -1
	s_mov_b32 s12, -1
	s_mov_b32 s15, exec_lo
                                        ; implicit-def: $sgpr22
	s_delay_alu instid0(VALU_DEP_1)
	v_cmpx_eq_u32_e32 0, v1
	s_cbranch_execz .LBB75_17
; %bb.254:                              ;   in Loop: Header=BB75_20 Depth=1
	s_add_co_i32 s22, s79, -2
	s_cmp_eq_u32 s79, 0
	v_xor_b32_e32 v31, 1, v31
	s_cselect_b32 s14, -1, 0
	s_xor_b32 s12, exec_lo, -1
	s_wait_alu 0xfffe
	s_or_not1_b32 s14, s14, exec_lo
	s_branch .LBB75_17
.LBB75_255:
	s_or_b32 exec_lo, exec_lo, s72
	s_wait_alu 0xfffe
	s_xor_b32 s4, s78, -1
	s_xor_b32 s1, s76, -1
	;; [unrolled: 1-line block ×3, first 2 shown]
	s_mov_b32 s2, 0
	s_and_saveexec_b32 s5, s1
	s_delay_alu instid0(SALU_CYCLE_1)
	s_xor_b32 s1, exec_lo, s5
	s_cbranch_execnz .LBB75_260
; %bb.256:
	s_and_not1_saveexec_b32 s0, s1
	s_cbranch_execnz .LBB75_273
.LBB75_257:
	s_or_b32 exec_lo, exec_lo, s0
	s_wait_alu 0xfffe
	s_and_saveexec_b32 s0, s2
.LBB75_258:
	; divergent unreachable
.LBB75_259:
	s_endpgm
.LBB75_260:
	s_and_saveexec_b32 s2, s4
	s_delay_alu instid0(SALU_CYCLE_1)
	s_xor_b32 s2, exec_lo, s2
	s_cbranch_execz .LBB75_271
; %bb.261:
	s_and_saveexec_b32 s4, s3
	s_delay_alu instid0(SALU_CYCLE_1)
	s_xor_b32 s3, exec_lo, s4
; %bb.262:
	v_mov_b32_e32 v33, v14
; %bb.263:
	s_or_b32 exec_lo, exec_lo, s3
	s_mul_i32 s3, s54, s33
	s_delay_alu instid0(SALU_CYCLE_1) | instskip(NEXT) | instid1(SALU_CYCLE_1)
	s_add_co_i32 s3, s3, s31
	v_mov_b32_e32 v1, s3
	global_store_b8 v1, v33, s[42:43]
	s_and_saveexec_b32 s3, s0
	s_cbranch_execz .LBB75_270
; %bb.264:
	v_and_b32_e32 v2, 0xff, v33
	s_mov_b32 s0, 0
                                        ; implicit-def: $sgpr4
                                        ; implicit-def: $sgpr6
                                        ; implicit-def: $sgpr5
	s_branch .LBB75_266
.LBB75_265:                             ;   in Loop: Header=BB75_266 Depth=1
	s_wait_alu 0xfffe
	s_or_b32 exec_lo, exec_lo, s7
	s_delay_alu instid0(SALU_CYCLE_1)
	s_and_b32 s7, exec_lo, s6
	s_wait_alu 0xfffe
	s_or_b32 s0, s7, s0
	s_and_not1_b32 s4, s4, exec_lo
	s_and_b32 s7, s5, exec_lo
	s_wait_alu 0xfffe
	s_or_b32 s4, s4, s7
	s_and_not1_b32 exec_lo, exec_lo, s0
	s_cbranch_execz .LBB75_268
.LBB75_266:                             ; =>This Inner Loop Header: Depth=1
	global_load_u8 v3, v15, s[44:45]
	v_mov_b32_e32 v1, v0
	s_or_b32 s5, s5, exec_lo
	s_or_b32 s6, s6, exec_lo
	s_mov_b32 s7, exec_lo
                                        ; implicit-def: $vgpr0
	s_wait_loadcnt 0x0
	v_cmpx_ne_u16_e64 v3, v2
	s_cbranch_execz .LBB75_265
; %bb.267:                              ;   in Loop: Header=BB75_266 Depth=1
	v_add_nc_u32_e32 v0, s37, v1
	v_add_nc_u32_e32 v15, s60, v15
	s_wait_alu 0xfffe
	s_and_not1_b32 s6, s6, exec_lo
	s_and_not1_b32 s5, s5, exec_lo
	v_cmp_le_u32_e32 vcc_lo, s36, v0
	s_and_b32 s8, vcc_lo, exec_lo
	s_wait_alu 0xfffe
	s_or_b32 s6, s6, s8
	s_branch .LBB75_265
.LBB75_268:
	s_or_b32 exec_lo, exec_lo, s0
	s_and_saveexec_b32 s0, s4
	s_delay_alu instid0(SALU_CYCLE_1)
	s_xor_b32 s0, exec_lo, s0
	s_cbranch_execz .LBB75_270
; %bb.269:
	s_mul_i32 s0, s55, s34
	s_mov_b32 s5, 0
	s_add_co_i32 s4, s0, s35
	v_mov_b32_e32 v2, 0
	s_lshl_b64 s[4:5], s[4:5], 3
	s_delay_alu instid0(SALU_CYCLE_1)
	s_add_nc_u64 s[4:5], s[40:41], s[4:5]
	global_store_b64 v2, v[1:2], s[4:5]
.LBB75_270:
	s_wait_alu 0xfffe
	s_or_b32 exec_lo, exec_lo, s3
.LBB75_271:
	s_or_saveexec_b32 s0, s2
	s_mov_b32 s2, 0
	s_xor_b32 exec_lo, exec_lo, s0
	s_cbranch_execnz .LBB75_274
.LBB75_272:
	s_or_b32 exec_lo, exec_lo, s0
	s_wait_alu 0xfffe
	s_and_b32 s2, s2, exec_lo
	s_and_not1_saveexec_b32 s0, s1
	s_cbranch_execz .LBB75_257
.LBB75_273:
	s_wait_alu 0xfffe
	s_or_b32 s2, s2, exec_lo
	s_trap 2
	s_or_b32 exec_lo, exec_lo, s0
	s_wait_alu 0xfffe
	s_and_saveexec_b32 s0, s2
	s_cbranch_execnz .LBB75_258
	s_branch .LBB75_259
.LBB75_274:
	s_mov_b32 s2, exec_lo
	s_trap 2
	s_branch .LBB75_272
	.section	.rodata,"a",@progbits
	.p2align	6, 0x0
	.amdhsa_kernel _ZN2at6native12_GLOBAL__N_112gatherMedianIhjLin1EEEvNS_4cuda6detail10TensorInfoIT_T0_EENS5_IlS7_EENS5_IKS6_S7_EES7_S7_S7_b
		.amdhsa_group_segment_fixed_size 4120
		.amdhsa_private_segment_fixed_size 0
		.amdhsa_kernarg_size 920
		.amdhsa_user_sgpr_count 2
		.amdhsa_user_sgpr_dispatch_ptr 0
		.amdhsa_user_sgpr_queue_ptr 0
		.amdhsa_user_sgpr_kernarg_segment_ptr 1
		.amdhsa_user_sgpr_dispatch_id 0
		.amdhsa_user_sgpr_private_segment_size 0
		.amdhsa_wavefront_size32 1
		.amdhsa_uses_dynamic_stack 0
		.amdhsa_enable_private_segment 0
		.amdhsa_system_sgpr_workgroup_id_x 1
		.amdhsa_system_sgpr_workgroup_id_y 1
		.amdhsa_system_sgpr_workgroup_id_z 1
		.amdhsa_system_sgpr_workgroup_info 0
		.amdhsa_system_vgpr_workitem_id 0
		.amdhsa_next_free_vgpr 68
		.amdhsa_next_free_sgpr 87
		.amdhsa_reserve_vcc 1
		.amdhsa_float_round_mode_32 0
		.amdhsa_float_round_mode_16_64 0
		.amdhsa_float_denorm_mode_32 3
		.amdhsa_float_denorm_mode_16_64 3
		.amdhsa_fp16_overflow 0
		.amdhsa_workgroup_processor_mode 1
		.amdhsa_memory_ordered 1
		.amdhsa_forward_progress 1
		.amdhsa_inst_pref_size 101
		.amdhsa_round_robin_scheduling 0
		.amdhsa_exception_fp_ieee_invalid_op 0
		.amdhsa_exception_fp_denorm_src 0
		.amdhsa_exception_fp_ieee_div_zero 0
		.amdhsa_exception_fp_ieee_overflow 0
		.amdhsa_exception_fp_ieee_underflow 0
		.amdhsa_exception_fp_ieee_inexact 0
		.amdhsa_exception_int_div_zero 0
	.end_amdhsa_kernel
	.section	.text._ZN2at6native12_GLOBAL__N_112gatherMedianIhjLin1EEEvNS_4cuda6detail10TensorInfoIT_T0_EENS5_IlS7_EENS5_IKS6_S7_EES7_S7_S7_b,"axG",@progbits,_ZN2at6native12_GLOBAL__N_112gatherMedianIhjLin1EEEvNS_4cuda6detail10TensorInfoIT_T0_EENS5_IlS7_EENS5_IKS6_S7_EES7_S7_S7_b,comdat
.Lfunc_end75:
	.size	_ZN2at6native12_GLOBAL__N_112gatherMedianIhjLin1EEEvNS_4cuda6detail10TensorInfoIT_T0_EENS5_IlS7_EENS5_IKS6_S7_EES7_S7_S7_b, .Lfunc_end75-_ZN2at6native12_GLOBAL__N_112gatherMedianIhjLin1EEEvNS_4cuda6detail10TensorInfoIT_T0_EENS5_IlS7_EENS5_IKS6_S7_EES7_S7_S7_b
                                        ; -- End function
	.set _ZN2at6native12_GLOBAL__N_112gatherMedianIhjLin1EEEvNS_4cuda6detail10TensorInfoIT_T0_EENS5_IlS7_EENS5_IKS6_S7_EES7_S7_S7_b.num_vgpr, 68
	.set _ZN2at6native12_GLOBAL__N_112gatherMedianIhjLin1EEEvNS_4cuda6detail10TensorInfoIT_T0_EENS5_IlS7_EENS5_IKS6_S7_EES7_S7_S7_b.num_agpr, 0
	.set _ZN2at6native12_GLOBAL__N_112gatherMedianIhjLin1EEEvNS_4cuda6detail10TensorInfoIT_T0_EENS5_IlS7_EENS5_IKS6_S7_EES7_S7_S7_b.numbered_sgpr, 87
	.set _ZN2at6native12_GLOBAL__N_112gatherMedianIhjLin1EEEvNS_4cuda6detail10TensorInfoIT_T0_EENS5_IlS7_EENS5_IKS6_S7_EES7_S7_S7_b.num_named_barrier, 0
	.set _ZN2at6native12_GLOBAL__N_112gatherMedianIhjLin1EEEvNS_4cuda6detail10TensorInfoIT_T0_EENS5_IlS7_EENS5_IKS6_S7_EES7_S7_S7_b.private_seg_size, 0
	.set _ZN2at6native12_GLOBAL__N_112gatherMedianIhjLin1EEEvNS_4cuda6detail10TensorInfoIT_T0_EENS5_IlS7_EENS5_IKS6_S7_EES7_S7_S7_b.uses_vcc, 1
	.set _ZN2at6native12_GLOBAL__N_112gatherMedianIhjLin1EEEvNS_4cuda6detail10TensorInfoIT_T0_EENS5_IlS7_EENS5_IKS6_S7_EES7_S7_S7_b.uses_flat_scratch, 0
	.set _ZN2at6native12_GLOBAL__N_112gatherMedianIhjLin1EEEvNS_4cuda6detail10TensorInfoIT_T0_EENS5_IlS7_EENS5_IKS6_S7_EES7_S7_S7_b.has_dyn_sized_stack, 0
	.set _ZN2at6native12_GLOBAL__N_112gatherMedianIhjLin1EEEvNS_4cuda6detail10TensorInfoIT_T0_EENS5_IlS7_EENS5_IKS6_S7_EES7_S7_S7_b.has_recursion, 0
	.set _ZN2at6native12_GLOBAL__N_112gatherMedianIhjLin1EEEvNS_4cuda6detail10TensorInfoIT_T0_EENS5_IlS7_EENS5_IKS6_S7_EES7_S7_S7_b.has_indirect_call, 0
	.section	.AMDGPU.csdata,"",@progbits
; Kernel info:
; codeLenInByte = 12916
; TotalNumSgprs: 89
; NumVgprs: 68
; ScratchSize: 0
; MemoryBound: 0
; FloatMode: 240
; IeeeMode: 1
; LDSByteSize: 4120 bytes/workgroup (compile time only)
; SGPRBlocks: 0
; VGPRBlocks: 8
; NumSGPRsForWavesPerEU: 89
; NumVGPRsForWavesPerEU: 68
; Occupancy: 16
; WaveLimiterHint : 1
; COMPUTE_PGM_RSRC2:SCRATCH_EN: 0
; COMPUTE_PGM_RSRC2:USER_SGPR: 2
; COMPUTE_PGM_RSRC2:TRAP_HANDLER: 0
; COMPUTE_PGM_RSRC2:TGID_X_EN: 1
; COMPUTE_PGM_RSRC2:TGID_Y_EN: 1
; COMPUTE_PGM_RSRC2:TGID_Z_EN: 1
; COMPUTE_PGM_RSRC2:TIDIG_COMP_CNT: 0
	.section	.text._ZN2at6native12_GLOBAL__N_112gatherMedianIhmLi1EEEvNS_4cuda6detail10TensorInfoIT_T0_EENS5_IlS7_EENS5_IKS6_S7_EES7_S7_S7_b,"axG",@progbits,_ZN2at6native12_GLOBAL__N_112gatherMedianIhmLi1EEEvNS_4cuda6detail10TensorInfoIT_T0_EENS5_IlS7_EENS5_IKS6_S7_EES7_S7_S7_b,comdat
	.globl	_ZN2at6native12_GLOBAL__N_112gatherMedianIhmLi1EEEvNS_4cuda6detail10TensorInfoIT_T0_EENS5_IlS7_EENS5_IKS6_S7_EES7_S7_S7_b ; -- Begin function _ZN2at6native12_GLOBAL__N_112gatherMedianIhmLi1EEEvNS_4cuda6detail10TensorInfoIT_T0_EENS5_IlS7_EENS5_IKS6_S7_EES7_S7_S7_b
	.p2align	8
	.type	_ZN2at6native12_GLOBAL__N_112gatherMedianIhmLi1EEEvNS_4cuda6detail10TensorInfoIT_T0_EENS5_IlS7_EENS5_IKS6_S7_EES7_S7_S7_b,@function
_ZN2at6native12_GLOBAL__N_112gatherMedianIhmLi1EEEvNS_4cuda6detail10TensorInfoIT_T0_EENS5_IlS7_EENS5_IKS6_S7_EES7_S7_S7_b: ; @_ZN2at6native12_GLOBAL__N_112gatherMedianIhmLi1EEEvNS_4cuda6detail10TensorInfoIT_T0_EENS5_IlS7_EENS5_IKS6_S7_EES7_S7_S7_b
; %bb.0:
	s_clause 0x1
	s_load_b64 s[4:5], s[0:1], 0x500
	s_load_b128 s[28:31], s[0:1], 0x4e0
	s_lshr_b32 s2, ttmp7, 16
	s_and_b32 s3, ttmp7, 0xffff
	s_mov_b32 s27, 0
	s_wait_kmcnt 0x0
	s_mul_i32 s2, s5, s2
	s_delay_alu instid0(SALU_CYCLE_1) | instskip(NEXT) | instid1(SALU_CYCLE_1)
	s_add_co_i32 s2, s2, s3
	s_mul_i32 s2, s2, s4
	s_delay_alu instid0(SALU_CYCLE_1) | instskip(NEXT) | instid1(SALU_CYCLE_1)
	s_add_co_i32 s26, s2, ttmp9
	v_cmp_le_u64_e64 s2, s[30:31], s[26:27]
	s_and_b32 vcc_lo, exec_lo, s2
	s_cbranch_vccnz .LBB76_277
; %bb.1:
	s_load_b64 s[36:37], s[0:1], 0x4f0
	v_cmp_eq_u32_e64 s2, 0, v0
	s_and_saveexec_b32 s3, s2
; %bb.2:
	v_mov_b32_e32 v1, 0
	s_delay_alu instid0(VALU_DEP_1)
	v_mov_b32_e32 v2, v1
	ds_store_b64 v1, v[1:2] offset:5136
; %bb.3:
	s_or_b32 exec_lo, exec_lo, s3
	v_dual_mov_b32 v1, 0 :: v_dual_mov_b32 v26, s28
	s_wait_dscnt 0x0
	s_barrier_signal -1
	s_barrier_wait -1
	global_inv scope:SCOPE_SE
	s_wait_loadcnt 0x0
	s_barrier_signal -1
	s_barrier_wait -1
	global_inv scope:SCOPE_SE
	ds_load_b64 v[1:2], v1 offset:5136
	s_load_b32 s3, s[0:1], 0x4f8
	v_mov_b32_e32 v27, s29
	s_wait_dscnt 0x0
	v_cmp_gt_i64_e32 vcc_lo, 1, v[1:2]
	s_wait_kmcnt 0x0
	s_bitcmp1_b32 s3, 0
	s_cselect_b32 s3, -1, 0
	s_delay_alu instid0(SALU_CYCLE_1) | instskip(NEXT) | instid1(SALU_CYCLE_1)
	s_or_b32 s3, s3, vcc_lo
	s_and_not1_b32 vcc_lo, exec_lo, s3
	s_cbranch_vccnz .LBB76_5
; %bb.4:
	v_not_b32_e32 v1, v1
	v_not_b32_e32 v2, v2
	s_delay_alu instid0(VALU_DEP_2) | instskip(NEXT) | instid1(VALU_DEP_1)
	v_add_co_u32 v1, vcc_lo, s28, v1
	v_add_co_ci_u32_e64 v2, null, s29, v2, vcc_lo
	s_delay_alu instid0(VALU_DEP_1) | instskip(NEXT) | instid1(VALU_DEP_1)
	v_lshrrev_b64 v[1:2], 1, v[1:2]
	v_add_co_u32 v26, vcc_lo, v1, 1
	s_wait_alu 0xfffd
	s_delay_alu instid0(VALU_DEP_2)
	v_add_co_ci_u32_e64 v27, null, 0, v2, vcc_lo
.LBB76_5:
	s_clause 0x1
	s_load_b64 s[10:11], s[0:1], 0x410
	s_load_b64 s[8:9], s[0:1], 0x340
	s_add_nc_u64 s[6:7], s[0:1], 0x500
	s_and_saveexec_b32 s3, s2
	s_cbranch_execz .LBB76_7
; %bb.6:
	v_dual_mov_b32 v1, 0 :: v_dual_mov_b32 v4, s29
	s_delay_alu instid0(VALU_DEP_1)
	v_dual_mov_b32 v3, s28 :: v_dual_mov_b32 v2, v1
	ds_store_b32 v1, v1 offset:5144
	ds_store_b128 v1, v[1:4] offset:5120
.LBB76_7:
	s_or_b32 exec_lo, exec_lo, s3
	v_mad_co_u64_u32 v[4:5], null, s36, v0, 0
	v_mov_b32_e32 v3, 0
	v_mbcnt_lo_u32_b32 v32, -1, 0
	v_cmp_gt_u32_e32 vcc_lo, 32, v0
	s_clause 0x3
	s_load_b64 s[34:35], s[0:1], 0x270
	s_load_b64 s[30:31], s[0:1], 0x1a0
	;; [unrolled: 1-line block ×4, first 2 shown]
	s_wait_kmcnt 0x0
	s_mul_u64 s[0:1], s[10:11], s[26:27]
	s_wait_loadcnt_dscnt 0x0
	v_mov_b32_e32 v2, v5
	v_cmp_gt_i32_e64 s3, 4, v32
	v_mov_b32_e32 v1, v3
	s_add_nc_u64 s[46:47], s[8:9], s[0:1]
	s_barrier_signal -1
	v_mad_co_u64_u32 v[6:7], null, s37, v0, v[2:3]
	v_add_nc_u32_e32 v2, 2, v0
	s_and_b32 s33, vcc_lo, s3
	v_add_co_u32 v12, vcc_lo, s46, v4
	v_lshlrev_b64_e64 v[7:8], v32, -1
	s_barrier_wait -1
	s_wait_alu 0xfffd
	s_delay_alu instid0(VALU_DEP_4)
	v_add_co_ci_u32_e64 v13, null, s47, v6, vcc_lo
	v_cmp_gt_u64_e32 vcc_lo, s[28:29], v[2:3]
	v_dual_mov_b32 v5, v6 :: v_dual_lshlrev_b32 v14, 2, v0
	v_not_b32_e32 v6, v0
	global_inv scope:SCOPE_SE
	s_load_b32 s5, s[6:7], 0xc
	v_cndmask_b32_e64 v2, v2, s28, vcc_lo
	v_not_b32_e32 v33, v7
	v_cndmask_b32_e64 v7, 0, s29, vcc_lo
	v_or_b32_e32 v8, 3, v14
	v_or_b32_e32 v10, 2, v14
	v_add_co_u32 v6, vcc_lo, v2, v6
	v_mov_b32_e32 v15, v3
	s_delay_alu instid0(VALU_DEP_4) | instskip(NEXT) | instid1(VALU_DEP_3)
	v_mad_co_u64_u32 v[19:20], null, s36, v8, 0
	v_and_b32_e32 v16, -4, v6
	s_wait_alu 0xfffd
	v_add_co_ci_u32_e64 v7, null, -1, v7, vcc_lo
	v_mad_co_u64_u32 v[21:22], null, s36, v10, 0
	s_delay_alu instid0(VALU_DEP_3) | instskip(SKIP_1) | instid1(VALU_DEP_3)
	v_add_co_u32 v18, vcc_lo, v16, v0
	s_wait_alu 0xfffd
	v_add_co_ci_u32_e64 v2, null, 0, v7, vcc_lo
	v_dual_mov_b32 v17, v7 :: v_dual_mov_b32 v2, v20
	v_mad_co_u64_u32 v[23:24], null, s36, v14, s[36:37]
	s_wait_kmcnt 0x0
	s_and_b32 s38, s5, 0xffff
	s_bfe_u32 s8, s5, 0xb0005
	v_mad_co_u64_u32 v[8:9], null, s37, v8, v[2:3]
	s_cmp_gt_u32 s38, 31
	s_movk_i32 s5, 0x3e0
	s_cselect_b32 s73, -1, 0
	v_and_or_b32 v34, v0, s5, 0xc00
	s_cmp_lt_u32 ttmp9, s4
	v_cmp_lt_u64_e64 s4, 3, v[6:7]
	v_cmp_ne_u64_e64 s5, v[6:7], v[16:17]
	v_dual_mov_b32 v6, v22 :: v_dual_mov_b32 v7, v24
	s_cselect_b32 s48, 12, 18
	s_add_co_i32 s9, s8, -1
	s_mov_b32 s49, 0
	s_and_b32 s9, s9, 0xffff
	v_mad_co_u64_u32 v[9:10], null, s37, v10, v[6:7]
	v_mad_co_u64_u32 v[6:7], null, s37, v14, v[7:8]
	s_bfe_u32 s80, s38, 0x30005
	v_mul_lo_u32 v38, 0, s36
	s_cmp_gt_u32 s9, 6
	v_cmp_gt_u64_e64 s0, s[28:29], v[0:1]
	v_cmp_lt_u64_e64 s72, 0xc00, s[28:29]
	s_mov_b32 s39, s49
	v_lshlrev_b64_e32 v[24:25], 2, v[4:5]
	v_cmp_eq_u32_e64 s1, 0, v32
	v_cmp_gt_u32_e64 s3, 2, v0
	s_cselect_b32 s81, -1, 0
	s_and_b32 s82, s8, 0x7f8
	v_dual_mov_b32 v22, v8 :: v_dual_mov_b32 v35, v9
	v_dual_mov_b32 v36, v6 :: v_dual_mov_b32 v39, 0
	v_lshl_or_b32 v37, v32, 3, 0xc00
	v_mov_b32_e32 v40, 0
	v_mov_b32_e32 v20, 0
	s_add_nc_u64 s[50:51], s[38:39], -1
	s_cmp_lg_u32 s80, 0
	s_add_nc_u64 s[52:53], s[50:51], s[28:29]
	s_mov_b32 s74, s36
	s_mov_b32 s75, s37
	;; [unrolled: 1-line block ×7, first 2 shown]
	s_cselect_b32 s83, -1, 0
	s_lshl_b64 s[54:55], s[36:37], 2
	s_mul_u64 s[44:45], s[36:37], s[38:39]
	s_add_nc_u64 s[56:57], s[6:7], s[48:49]
	s_mov_b32 s86, 0x4f800000
	s_mov_b32 s85, 0
	;; [unrolled: 1-line block ×3, first 2 shown]
                                        ; implicit-def: $sgpr91
                                        ; implicit-def: $sgpr93
                                        ; implicit-def: $sgpr88
                                        ; implicit-def: $sgpr90
                                        ; implicit-def: $sgpr92
                                        ; implicit-def: $sgpr89
	s_branch .LBB76_11
.LBB76_8:                               ;   in Loop: Header=BB76_11 Depth=1
	s_wait_alu 0xfffe
	s_or_b32 exec_lo, exec_lo, s9
	s_delay_alu instid0(SALU_CYCLE_1)
	s_and_b32 s7, s7, exec_lo
	s_and_not1_b32 s22, s22, exec_lo
	s_and_not1_b32 s21, s21, exec_lo
	s_or_not1_b32 s18, s8, exec_lo
.LBB76_9:                               ;   in Loop: Header=BB76_11 Depth=1
	s_wait_alu 0xfffe
	s_or_b32 exec_lo, exec_lo, s6
	s_delay_alu instid0(SALU_CYCLE_1)
	s_and_not1_b32 s6, s89, exec_lo
	s_and_b32 s7, s7, exec_lo
	s_and_not1_b32 s8, s90, exec_lo
	s_wait_alu 0xfffe
	s_or_b32 s89, s6, s7
	s_and_not1_b32 s6, s92, exec_lo
	s_and_b32 s7, s22, exec_lo
	s_and_b32 s9, s21, exec_lo
	s_wait_alu 0xfffe
	s_or_b32 s92, s6, s7
	s_or_b32 s90, s8, s9
	s_or_not1_b32 s18, s18, exec_lo
.LBB76_10:                              ;   in Loop: Header=BB76_11 Depth=1
	s_wait_alu 0xfffe
	s_or_b32 exec_lo, exec_lo, s17
	s_delay_alu instid0(SALU_CYCLE_1)
	s_and_b32 s6, exec_lo, s18
	v_dual_mov_b32 v27, v9 :: v_dual_mov_b32 v26, v8
	s_wait_alu 0xfffe
	s_or_b32 s85, s6, s85
	s_and_not1_b32 s6, s88, exec_lo
	s_and_b32 s7, s89, exec_lo
	s_and_not1_b32 s8, s93, exec_lo
	s_wait_alu 0xfffe
	s_or_b32 s88, s6, s7
	s_and_b32 s6, s92, exec_lo
	s_and_not1_b32 s7, s91, exec_lo
	s_and_b32 s9, s90, exec_lo
	s_wait_alu 0xfffe
	s_or_b32 s93, s8, s6
	s_or_b32 s91, s7, s9
	s_and_not1_b32 exec_lo, exec_lo, s85
	s_cbranch_execz .LBB76_273
.LBB76_11:                              ; =>This Loop Header: Depth=1
                                        ;     Child Loop BB76_16 Depth 2
                                        ;     Child Loop BB76_30 Depth 2
	;; [unrolled: 1-line block ×17, first 2 shown]
	ds_load_b128 v[4:7], v3 offset:5120
	s_wait_dscnt 0x0
	v_readfirstlane_b32 s59, v5
	v_readfirstlane_b32 s58, v4
	s_cmp_lg_u64 s[58:59], 0
	s_cbranch_scc1 .LBB76_43
; %bb.12:                               ;   in Loop: Header=BB76_11 Depth=1
	s_and_b32 vcc_lo, exec_lo, s72
	s_wait_alu 0xfffe
	s_cbranch_vccz .LBB76_24
; %bb.13:                               ;   in Loop: Header=BB76_11 Depth=1
	v_cmp_gt_u64_e32 vcc_lo, 0xc01, v[6:7]
	s_mov_b32 s8, 0
	s_mov_b32 s6, 0
	s_cbranch_vccz .LBB76_25
; %bb.14:                               ;   in Loop: Header=BB76_11 Depth=1
	global_load_u16 v2, v3, s[56:57]
	global_load_u8 v8, v[12:13], off
	s_mov_b32 s9, 0
	s_wait_loadcnt 0x1
	v_and_b32_e32 v2, 0xffff, v2
	s_delay_alu instid0(VALU_DEP_1) | instskip(SKIP_3) | instid1(VALU_DEP_3)
	v_add_co_u32 v4, s6, v0, v2
	s_wait_alu 0xf1fe
	v_add_co_ci_u32_e64 v5, null, 0, 0, s6
	v_mul_lo_u32 v6, v2, s37
	v_mul_lo_u32 v10, s37, v4
	v_mul_hi_u32 v11, v2, s36
	s_delay_alu instid0(VALU_DEP_4) | instskip(SKIP_2) | instid1(VALU_DEP_2)
	v_mul_lo_u32 v7, s36, v5
	v_mad_co_u64_u32 v[4:5], null, s36, v4, s[46:47]
	v_add_nc_u32_e32 v6, v6, v38
	v_add3_u32 v5, v10, v5, v7
	s_delay_alu instid0(VALU_DEP_2)
	v_dual_mov_b32 v7, v1 :: v_dual_add_nc_u32 v10, v6, v11
	v_mul_lo_u32 v9, v2, s36
	v_mov_b32_e32 v6, v0
	s_branch .LBB76_16
.LBB76_15:                              ;   in Loop: Header=BB76_16 Depth=2
	s_wait_alu 0xfffe
	s_or_b32 exec_lo, exec_lo, s7
	v_add_co_u32 v4, vcc_lo, v4, v9
	s_wait_alu 0xfffd
	v_add_co_ci_u32_e64 v5, null, v5, v10, vcc_lo
	v_mov_b32_e32 v8, v11
	s_and_not1_b32 exec_lo, exec_lo, s9
	s_cbranch_execz .LBB76_140
.LBB76_16:                              ;   Parent Loop BB76_11 Depth=1
                                        ; =>  This Inner Loop Header: Depth=2
	s_delay_alu instid0(VALU_DEP_1)
	v_add_co_u32 v6, vcc_lo, v6, v2
	s_wait_alu 0xfffd
	v_add_co_ci_u32_e64 v7, null, 0, v7, vcc_lo
	s_wait_dscnt 0x0
	v_dual_mov_b32 v28, 0 :: v_dual_mov_b32 v11, 0
	s_mov_b32 s7, exec_lo
	s_delay_alu instid0(VALU_DEP_2)
	v_cmp_le_u64_e32 vcc_lo, s[28:29], v[6:7]
	v_cmpx_gt_u64_e64 s[28:29], v[6:7]
	s_cbranch_execz .LBB76_18
; %bb.17:                               ;   in Loop: Header=BB76_16 Depth=2
	global_load_u8 v11, v[4:5], off
.LBB76_18:                              ;   in Loop: Header=BB76_16 Depth=2
	s_wait_alu 0xfffe
	s_or_b32 exec_lo, exec_lo, s7
	s_wait_loadcnt 0x0
	v_and_b32_e32 v29, v8, v39
	s_delay_alu instid0(VALU_DEP_1) | instskip(NEXT) | instid1(VALU_DEP_1)
	v_and_b32_e32 v29, 0xff, v29
	v_cmp_eq_u32_e64 s6, v29, v20
	s_cmp_lg_u32 s6, 0
	s_cselect_b32 s7, -1, 0
	s_wait_alu 0xfffe
	s_and_b32 s7, s1, s7
	s_wait_alu 0xfffe
	s_and_saveexec_b32 s10, s7
	s_cbranch_execz .LBB76_22
; %bb.19:                               ;   in Loop: Header=BB76_16 Depth=2
	s_mov_b32 s13, exec_lo
	s_bcnt1_i32_b32 s11, s6
	s_wait_alu 0xfffe
	v_mbcnt_lo_u32_b32 v28, s13, 0
	s_mov_b32 s12, exec_lo
                                        ; implicit-def: $vgpr29
	s_delay_alu instid0(VALU_DEP_1)
	v_cmpx_eq_u32_e32 0, v28
; %bb.20:                               ;   in Loop: Header=BB76_16 Depth=2
	s_bcnt1_i32_b32 s7, s13
	s_wait_alu 0xfffe
	s_mul_i32 s7, s11, s7
	s_wait_alu 0xfffe
	v_mov_b32_e32 v29, s7
	ds_add_rtn_u32 v29, v3, v29 offset:5144
; %bb.21:                               ;   in Loop: Header=BB76_16 Depth=2
	s_or_b32 exec_lo, exec_lo, s12
	s_wait_dscnt 0x0
	v_readfirstlane_b32 s7, v29
	s_wait_alu 0xf1ff
	s_delay_alu instid0(VALU_DEP_1)
	v_mad_u32_u24 v28, s11, v28, s7
.LBB76_22:                              ;   in Loop: Header=BB76_16 Depth=2
	s_wait_alu 0xfffe
	s_or_b32 exec_lo, exec_lo, s10
	ds_bpermute_b32 v28, v3, v28
	s_and_b32 s7, exec_lo, vcc_lo
	s_wait_alu 0xfffe
	s_or_b32 s9, s7, s9
	s_and_saveexec_b32 s7, s6
	s_cbranch_execz .LBB76_15
; %bb.23:                               ;   in Loop: Header=BB76_16 Depth=2
	v_and_b32_e32 v29, s6, v33
	s_wait_dscnt 0x0
	s_delay_alu instid0(VALU_DEP_1)
	v_bcnt_u32_b32 v28, v29, v28
	ds_store_b8 v28, v8
	s_branch .LBB76_15
.LBB76_24:                              ;   in Loop: Header=BB76_11 Depth=1
	s_mov_b32 s8, -1
	s_mov_b32 s6, 0
.LBB76_25:                              ;   in Loop: Header=BB76_11 Depth=1
	s_wait_alu 0xfffe
	s_and_b32 vcc_lo, exec_lo, s8
	s_wait_alu 0xfffe
	s_cbranch_vccz .LBB76_41
.LBB76_26:                              ;   in Loop: Header=BB76_11 Depth=1
	s_and_saveexec_b32 s12, s0
	s_cbranch_execz .LBB76_38
; %bb.27:                               ;   in Loop: Header=BB76_11 Depth=1
	global_load_u16 v4, v3, s[56:57]
	global_load_u8 v30, v[12:13], off
	v_mov_b32_e32 v8, v0
	s_mov_b32 s13, exec_lo
	s_wait_loadcnt 0x1
	v_and_b32_e32 v2, 0xffff, v4
	v_readfirstlane_b32 s6, v4
	s_delay_alu instid0(VALU_DEP_2) | instskip(NEXT) | instid1(VALU_DEP_1)
	v_add_nc_u32_e32 v2, v2, v0
	v_cmpx_gt_u64_e64 s[28:29], v[2:3]
	s_cbranch_execz .LBB76_37
; %bb.28:                               ;   in Loop: Header=BB76_11 Depth=1
	s_and_b32 s48, s6, 0xffff
	v_dual_mov_b32 v7, v1 :: v_dual_mov_b32 v6, v0
	s_wait_alu 0xfffe
	s_cmp_eq_u32 s48, 1
	v_dual_mov_b32 v5, v3 :: v_dual_mov_b32 v4, v2
	s_cselect_b32 s6, -1, 0
                                        ; implicit-def: $vgpr8_vgpr9
	s_wait_alu 0xfffe
	s_and_b32 s7, s4, s6
	s_mov_b32 s6, -1
	s_wait_alu 0xfffe
	s_and_saveexec_b32 s8, s7
	s_cbranch_execz .LBB76_32
; %bb.29:                               ;   in Loop: Header=BB76_11 Depth=1
	v_add_co_u32 v8, s6, v2, 3
	s_wait_alu 0xf1ff
	v_add_co_ci_u32_e64 v9, null, 0, 0, s6
	v_add_co_u32 v6, s6, v2, 2
	s_wait_alu 0xf1ff
	v_add_co_ci_u32_e64 v7, null, 0, 0, s6
	;; [unrolled: 3-line block ×3, first 2 shown]
	v_mov_b32_e32 v11, v9
	v_dual_mov_b32 v29, v17 :: v_dual_mov_b32 v10, v8
	s_wait_loadcnt 0x0
	v_dual_mov_b32 v28, v16 :: v_dual_lshlrev_b32 v41, 24, v30
	v_mov_b32_e32 v9, v7
	v_dual_mov_b32 v31, v0 :: v_dual_mov_b32 v8, v6
	v_mov_b32_e32 v7, v5
	v_mov_b32_e32 v6, v4
	;; [unrolled: 1-line block ×4, first 2 shown]
	s_mov_b32 s9, 0
.LBB76_30:                              ;   Parent Loop BB76_11 Depth=1
                                        ; =>  This Inner Loop Header: Depth=2
	v_mul_lo_u32 v51, v7, s74
	v_mul_lo_u32 v52, v6, s75
	v_mad_co_u64_u32 v[44:45], null, v6, s74, 0
	v_mul_lo_u32 v30, v9, s76
	v_mul_lo_u32 v50, v8, s77
	v_mad_co_u64_u32 v[42:43], null, v8, s76, 0
	;; [unrolled: 3-line block ×3, first 2 shown]
	v_mad_co_u64_u32 v[48:49], null, v10, s78, s[46:47]
	v_mul_lo_u32 v55, v10, s79
	v_mul_lo_u32 v56, v11, s78
	v_add3_u32 v51, v45, v52, v51
	v_add3_u32 v30, v43, v50, v30
	;; [unrolled: 1-line block ×3, first 2 shown]
	v_add_co_u32 v50, s7, s46, v44
	v_add_co_u32 v45, s6, s46, v42
	v_add3_u32 v49, v56, v49, v55
	v_add_co_u32 v43, vcc_lo, s46, v46
	s_wait_alu 0xf1ff
	v_add_co_ci_u32_e64 v51, null, s47, v51, s7
	v_add_co_ci_u32_e64 v46, null, s47, v30, s6
	s_wait_alu 0xfffd
	v_add_co_ci_u32_e64 v44, null, s47, v47, vcc_lo
	s_clause 0x3
	global_load_u8 v30, v[48:49], off
	global_load_u8 v42, v[50:51], off
	;; [unrolled: 1-line block ×4, first 2 shown]
	v_add_co_u32 v10, vcc_lo, v10, 4
	s_wait_alu 0xfffd
	v_add_co_ci_u32_e64 v11, null, 0, v11, vcc_lo
	v_add_co_u32 v8, vcc_lo, v8, 4
	s_wait_alu 0xfffd
	v_add_co_ci_u32_e64 v9, null, 0, v9, vcc_lo
	;; [unrolled: 3-line block ×3, first 2 shown]
	v_add_co_u32 v28, vcc_lo, v28, -4
	s_wait_alu 0xfffd
	v_add_co_ci_u32_e64 v29, null, -1, v29, vcc_lo
	v_add_co_u32 v4, vcc_lo, v4, 4
	s_wait_alu 0xfffd
	v_add_co_ci_u32_e64 v5, null, 0, v5, vcc_lo
	s_delay_alu instid0(VALU_DEP_3)
	v_cmp_eq_u64_e64 s6, 0, v[28:29]
	s_wait_alu 0xfffe
	s_or_b32 s9, s6, s9
	s_wait_loadcnt 0x0
	v_perm_b32 v44, v43, v42, 0xc0c0004
	v_perm_b32 v42, v42, v45, 0xc0c0004
	;; [unrolled: 1-line block ×4, first 2 shown]
	s_delay_alu instid0(VALU_DEP_2) | instskip(NEXT) | instid1(VALU_DEP_2)
	v_lshl_or_b32 v41, v42, 16, v41
	v_lshl_or_b32 v42, v43, 16, v44
	ds_store_b32 v31, v41
	v_add_nc_u32_e32 v31, 4, v31
	v_mov_b32_e32 v41, v42
	s_wait_alu 0xfffe
	s_and_not1_b32 exec_lo, exec_lo, s9
	s_cbranch_execnz .LBB76_30
; %bb.31:                               ;   in Loop: Header=BB76_11 Depth=1
	s_or_b32 exec_lo, exec_lo, s9
	v_add_co_u32 v4, vcc_lo, v2, v16
	s_wait_alu 0xfffd
	v_add_co_ci_u32_e64 v5, null, 0, v17, vcc_lo
	v_dual_mov_b32 v6, v18 :: v_dual_mov_b32 v7, v19
	s_delay_alu instid0(VALU_DEP_3)
	v_add_co_u32 v8, vcc_lo, v4, -1
	s_or_not1_b32 s6, s5, exec_lo
	s_wait_alu 0xfffd
	v_add_co_ci_u32_e64 v2, null, -1, v5, vcc_lo
.LBB76_32:                              ;   in Loop: Header=BB76_11 Depth=1
	s_wait_alu 0xfffe
	s_or_b32 exec_lo, exec_lo, s8
	s_and_saveexec_b32 s7, s6
	s_cbranch_execz .LBB76_36
; %bb.33:                               ;   in Loop: Header=BB76_11 Depth=1
	v_mad_co_u64_u32 v[9:10], null, s36, v4, s[46:47]
	v_mul_lo_u32 v2, s36, v5
	v_mul_lo_u32 v7, s37, v4
	s_sub_nc_u64 s[8:9], 0, s[48:49]
	s_mul_u64 s[10:11], s[36:37], s[48:49]
	s_mov_b32 s14, 0
	s_delay_alu instid0(VALU_DEP_1)
	v_add3_u32 v10, v7, v10, v2
.LBB76_34:                              ;   Parent Loop BB76_11 Depth=1
                                        ; =>  This Inner Loop Header: Depth=2
	global_load_u8 v2, v[9:10], off
	v_dual_mov_b32 v8, v5 :: v_dual_mov_b32 v7, v4
	s_wait_alu 0xfffe
	v_add_co_u32 v9, vcc_lo, v9, s10
	s_wait_alu 0xfffd
	v_add_co_ci_u32_e64 v10, null, s11, v10, vcc_lo
	v_add_co_u32 v4, s6, v7, s48
	s_wait_alu 0xf1ff
	v_add_co_ci_u32_e64 v5, null, 0, v8, s6
	s_wait_loadcnt 0x1
	ds_store_b8 v6, v30
	v_mov_b32_e32 v6, v7
	v_mov_b32_e32 v7, v8
	v_cmp_le_u64_e32 vcc_lo, s[28:29], v[4:5]
	v_add_co_u32 v8, s6, s8, v4
	s_wait_alu 0xf1ff
	v_add_co_ci_u32_e64 v7, null, s9, v5, s6
	s_or_b32 s14, vcc_lo, s14
	s_wait_loadcnt 0x0
	v_mov_b32_e32 v30, v2
	s_wait_alu 0xfffe
	s_and_not1_b32 exec_lo, exec_lo, s14
	s_cbranch_execnz .LBB76_34
; %bb.35:                               ;   in Loop: Header=BB76_11 Depth=1
	s_or_b32 exec_lo, exec_lo, s14
	v_mov_b32_e32 v30, v2
.LBB76_36:                              ;   in Loop: Header=BB76_11 Depth=1
	s_wait_alu 0xfffe
	s_or_b32 exec_lo, exec_lo, s7
.LBB76_37:                              ;   in Loop: Header=BB76_11 Depth=1
	s_wait_alu 0xfffe
	s_or_b32 exec_lo, exec_lo, s13
	s_wait_loadcnt 0x0
	ds_store_b8 v8, v30
.LBB76_38:                              ;   in Loop: Header=BB76_11 Depth=1
	s_wait_alu 0xfffe
	s_or_b32 exec_lo, exec_lo, s12
	s_wait_loadcnt_dscnt 0x0
	s_barrier_signal -1
	s_barrier_wait -1
	global_inv scope:SCOPE_SE
	s_and_saveexec_b32 s6, s2
; %bb.39:                               ;   in Loop: Header=BB76_11 Depth=1
	v_dual_mov_b32 v4, s28 :: v_dual_mov_b32 v5, s29
	ds_store_b64 v3, v[4:5] offset:5120
; %bb.40:                               ;   in Loop: Header=BB76_11 Depth=1
	s_wait_alu 0xfffe
	s_or_b32 exec_lo, exec_lo, s6
	s_mov_b32 s6, -1
	s_wait_loadcnt_dscnt 0x0
	s_barrier_signal -1
	s_barrier_wait -1
.LBB76_41:                              ;   in Loop: Header=BB76_11 Depth=1
	s_wait_alu 0xfffe
	s_and_b32 vcc_lo, exec_lo, s6
	s_mov_b64 s[58:59], 0
	s_wait_alu 0xfffe
	s_cbranch_vccz .LBB76_43
; %bb.42:                               ;   in Loop: Header=BB76_11 Depth=1
	s_wait_loadcnt 0x0
	global_inv scope:SCOPE_SE
	ds_load_b64 v[4:5], v3 offset:5120
	s_wait_dscnt 0x0
	v_readfirstlane_b32 s58, v4
.LBB76_43:                              ;   in Loop: Header=BB76_11 Depth=1
	s_delay_alu instid0(VALU_DEP_1)
	s_cmp_lt_i32 s58, 1
	s_mov_b32 s6, -1
                                        ; implicit-def: $vgpr10_vgpr11
                                        ; implicit-def: $vgpr6_vgpr7
	s_cbranch_scc1 .LBB76_53
; %bb.44:                               ;   in Loop: Header=BB76_11 Depth=1
	s_wait_alu 0xfffe
	s_and_b32 vcc_lo, exec_lo, s6
	s_wait_alu 0xfffe
	s_cbranch_vccnz .LBB76_67
.LBB76_45:                              ;   in Loop: Header=BB76_11 Depth=1
	s_lshl_b32 s6, s87, 7
	s_and_saveexec_b32 s7, s1
	s_cbranch_execz .LBB76_47
.LBB76_46:                              ;   in Loop: Header=BB76_11 Depth=1
	s_wait_alu 0xfffe
	v_lshl_add_u32 v2, s6, 3, v34
	ds_store_b128 v2, v[4:7]
	ds_store_b128 v2, v[8:11] offset:16
.LBB76_47:                              ;   in Loop: Header=BB76_11 Depth=1
	s_wait_alu 0xfffe
	s_or_b32 exec_lo, exec_lo, s7
	s_wait_loadcnt_dscnt 0x0
	s_barrier_signal -1
	s_barrier_wait -1
	global_inv scope:SCOPE_SE
	s_and_saveexec_b32 s7, s33
	s_cbranch_execz .LBB76_81
; %bb.48:                               ;   in Loop: Header=BB76_11 Depth=1
	v_mov_b32_e32 v4, 0
	v_mov_b32_e32 v5, 0
	s_and_not1_b32 vcc_lo, exec_lo, s73
	s_wait_alu 0xfffe
	s_cbranch_vccnz .LBB76_80
; %bb.49:                               ;   in Loop: Header=BB76_11 Depth=1
	v_mov_b32_e32 v4, 0
	v_mov_b32_e32 v5, 0
	s_and_not1_b32 vcc_lo, exec_lo, s81
	s_wait_alu 0xfffe
	s_cbranch_vccnz .LBB76_77
; %bb.50:                               ;   in Loop: Header=BB76_11 Depth=1
	v_lshl_add_u32 v2, s87, 10, v37
	s_mov_b32 s8, 0
.LBB76_51:                              ;   Parent Loop BB76_11 Depth=1
                                        ; =>  This Inner Loop Header: Depth=2
	ds_load_2addr_b64 v[6:9], v2 offset1:4
	ds_load_2addr_b64 v[28:31], v2 offset0:8 offset1:12
	ds_load_2addr_b64 v[41:44], v2 offset0:16 offset1:20
	s_wait_alu 0xfffe
	s_add_co_i32 s8, s8, 8
	s_wait_alu 0xfffe
	s_cmp_eq_u32 s82, s8
	s_wait_dscnt 0x2
	v_add_co_u32 v4, vcc_lo, v6, v4
	s_wait_alu 0xfffd
	v_add_co_ci_u32_e64 v5, null, v7, v5, vcc_lo
	s_delay_alu instid0(VALU_DEP_2) | instskip(SKIP_1) | instid1(VALU_DEP_2)
	v_add_co_u32 v8, vcc_lo, v8, v4
	s_wait_alu 0xfffd
	v_add_co_ci_u32_e64 v9, null, v9, v5, vcc_lo
	ds_load_2addr_b64 v[4:7], v2 offset0:24 offset1:28
	s_wait_dscnt 0x2
	v_add_co_u32 v8, vcc_lo, v28, v8
	s_wait_alu 0xfffd
	v_add_co_ci_u32_e64 v9, null, v29, v9, vcc_lo
	v_add_nc_u32_e32 v2, 0x100, v2
	s_delay_alu instid0(VALU_DEP_3) | instskip(SKIP_1) | instid1(VALU_DEP_3)
	v_add_co_u32 v8, vcc_lo, v30, v8
	s_wait_alu 0xfffd
	v_add_co_ci_u32_e64 v9, null, v31, v9, vcc_lo
	s_wait_dscnt 0x1
	s_delay_alu instid0(VALU_DEP_2) | instskip(SKIP_1) | instid1(VALU_DEP_2)
	v_add_co_u32 v8, vcc_lo, v41, v8
	s_wait_alu 0xfffd
	v_add_co_ci_u32_e64 v9, null, v42, v9, vcc_lo
	s_delay_alu instid0(VALU_DEP_2) | instskip(SKIP_1) | instid1(VALU_DEP_2)
	v_add_co_u32 v8, vcc_lo, v43, v8
	s_wait_alu 0xfffd
	v_add_co_ci_u32_e64 v9, null, v44, v9, vcc_lo
	s_wait_dscnt 0x0
	s_delay_alu instid0(VALU_DEP_2) | instskip(SKIP_1) | instid1(VALU_DEP_2)
	v_add_co_u32 v4, vcc_lo, v4, v8
	s_wait_alu 0xfffd
	v_add_co_ci_u32_e64 v5, null, v5, v9, vcc_lo
	s_delay_alu instid0(VALU_DEP_2) | instskip(SKIP_1) | instid1(VALU_DEP_2)
	v_add_co_u32 v4, vcc_lo, v6, v4
	s_wait_alu 0xfffd
	v_add_co_ci_u32_e64 v5, null, v7, v5, vcc_lo
	s_cbranch_scc0 .LBB76_51
; %bb.52:                               ;   in Loop: Header=BB76_11 Depth=1
	s_mov_b32 s8, s82
	s_and_not1_b32 vcc_lo, exec_lo, s83
	s_wait_alu 0xfffe
	s_cbranch_vccz .LBB76_78
	s_branch .LBB76_80
.LBB76_53:                              ;   in Loop: Header=BB76_11 Depth=1
	global_load_u16 v2, v3, s[56:57]
	s_mov_b32 s7, s29
	s_wait_loadcnt 0x0
	v_readfirstlane_b32 s6, v2
	s_wait_alu 0xfffe
	s_and_b32 s8, 0xffff, s6
	s_mov_b32 s6, s49
	s_wait_alu 0xfffe
	s_lshl_b32 s60, s8, 2
	s_cmp_lg_u64 s[6:7], 0
	s_cbranch_scc0 .LBB76_76
; %bb.54:                               ;   in Loop: Header=BB76_11 Depth=1
	s_wait_alu 0xfffe
	s_cvt_f32_u32 s6, s60
	s_mov_b32 s61, s49
	s_wait_alu 0xfffe
	s_sub_nc_u64 s[8:9], 0, s[60:61]
	s_fmamk_f32 s6, s86, 0x0, s6
	s_wait_alu 0xfffe
	s_delay_alu instid0(SALU_CYCLE_2) | instskip(NEXT) | instid1(TRANS32_DEP_1)
	v_s_rcp_f32 s6, s6
	s_mul_f32 s6, s6, 0x5f7ffffc
	s_wait_alu 0xfffe
	s_delay_alu instid0(SALU_CYCLE_2) | instskip(SKIP_1) | instid1(SALU_CYCLE_2)
	s_mul_f32 s7, s6, 0x2f800000
	s_wait_alu 0xfffe
	s_trunc_f32 s7, s7
	s_wait_alu 0xfffe
	s_delay_alu instid0(SALU_CYCLE_2) | instskip(SKIP_2) | instid1(SALU_CYCLE_1)
	s_fmamk_f32 s6, s7, 0xcf800000, s6
	s_cvt_u32_f32 s7, s7
	s_wait_alu 0xfffe
	s_cvt_u32_f32 s6, s6
	s_wait_alu 0xfffe
	s_delay_alu instid0(SALU_CYCLE_2)
	s_mul_u64 s[10:11], s[8:9], s[6:7]
	s_wait_alu 0xfffe
	s_mul_hi_u32 s13, s6, s11
	s_mul_i32 s12, s6, s11
	s_mul_hi_u32 s48, s6, s10
	s_mul_i32 s15, s7, s10
	s_wait_alu 0xfffe
	s_add_nc_u64 s[12:13], s[48:49], s[12:13]
	s_mul_hi_u32 s14, s7, s10
	s_mul_hi_u32 s16, s7, s11
	s_mul_i32 s10, s7, s11
	s_wait_alu 0xfffe
	s_add_co_u32 s11, s12, s15
	s_add_co_ci_u32 s48, s13, s14
	s_add_co_ci_u32 s11, s16, 0
	s_wait_alu 0xfffe
	s_add_nc_u64 s[10:11], s[48:49], s[10:11]
	s_wait_alu 0xfffe
	s_add_co_u32 s6, s6, s10
	s_cselect_b32 s10, -1, 0
	s_wait_alu 0xfffe
	s_cmp_lg_u32 s10, 0
	s_add_co_ci_u32 s7, s7, s11
	s_wait_alu 0xfffe
	s_mul_u64 s[8:9], s[8:9], s[6:7]
	s_wait_alu 0xfffe
	s_mul_hi_u32 s11, s6, s9
	s_mul_i32 s10, s6, s9
	s_mul_hi_u32 s48, s6, s8
	s_mul_i32 s13, s7, s8
	s_wait_alu 0xfffe
	s_add_nc_u64 s[10:11], s[48:49], s[10:11]
	s_mul_hi_u32 s12, s7, s8
	s_mul_hi_u32 s14, s7, s9
	s_mul_i32 s8, s7, s9
	s_wait_alu 0xfffe
	s_add_co_u32 s9, s10, s13
	s_add_co_ci_u32 s48, s11, s12
	s_add_co_ci_u32 s9, s14, 0
	s_wait_alu 0xfffe
	s_add_nc_u64 s[8:9], s[48:49], s[8:9]
	s_wait_alu 0xfffe
	s_add_co_u32 s6, s6, s8
	s_cselect_b32 s8, -1, 0
	s_wait_alu 0xfffe
	s_mul_hi_u32 s48, s28, s6
	s_cmp_lg_u32 s8, 0
	s_mul_hi_u32 s10, s29, s6
	s_add_co_ci_u32 s8, s7, s9
	s_mul_i32 s9, s29, s6
	s_wait_alu 0xfffe
	s_mul_hi_u32 s7, s28, s8
	s_mul_i32 s6, s28, s8
	s_mul_hi_u32 s11, s29, s8
	s_wait_alu 0xfffe
	s_add_nc_u64 s[6:7], s[48:49], s[6:7]
	s_mul_i32 s8, s29, s8
	s_wait_alu 0xfffe
	s_add_co_u32 s6, s6, s9
	s_add_co_ci_u32 s48, s7, s10
	s_add_co_ci_u32 s9, s11, 0
	s_wait_alu 0xfffe
	s_add_nc_u64 s[6:7], s[48:49], s[8:9]
	s_wait_alu 0xfffe
	s_mul_u64 s[6:7], s[60:61], s[6:7]
	s_wait_alu 0xfffe
	s_sub_co_u32 s6, s28, s6
	s_cselect_b32 s8, -1, 0
	s_wait_alu 0xfffe
	s_cmp_lg_u32 s8, 0
	s_sub_co_ci_u32 s7, s29, s7
	s_sub_co_u32 s8, s6, s60
	s_cselect_b32 s9, -1, 0
	s_wait_alu 0xfffe
	s_cmp_lg_u32 s9, 0
	s_sub_co_ci_u32 s9, s7, 0
	;; [unrolled: 5-line block ×3, first 2 shown]
	s_cmp_ge_u32 s8, s60
	s_cselect_b32 s12, -1, 0
	s_cmp_eq_u32 s9, 0
	s_wait_alu 0xfffe
	s_cselect_b32 s12, s12, -1
	s_wait_alu 0xfffe
	s_cmp_lg_u32 s12, 0
	s_cselect_b32 s9, s11, s9
	s_cselect_b32 s8, s10, s8
	s_cmp_ge_u32 s6, s60
	s_cselect_b32 s10, -1, 0
	s_cmp_eq_u32 s7, 0
	s_wait_alu 0xfffe
	s_cselect_b32 s10, s10, -1
	s_wait_alu 0xfffe
	s_cmp_lg_u32 s10, 0
	s_cselect_b32 s7, s9, s7
	s_cselect_b32 s6, s8, s6
	s_cbranch_execnz .LBB76_56
.LBB76_55:                              ;   in Loop: Header=BB76_11 Depth=1
	s_wait_alu 0xfffe
	v_cvt_f32_u32_e32 v4, s60
	s_sub_co_i32 s7, 0, s60
	s_delay_alu instid0(VALU_DEP_1) | instskip(NEXT) | instid1(TRANS32_DEP_1)
	v_rcp_iflag_f32_e32 v4, v4
	v_mul_f32_e32 v4, 0x4f7ffffe, v4
	s_delay_alu instid0(VALU_DEP_1) | instskip(NEXT) | instid1(VALU_DEP_1)
	v_cvt_u32_f32_e32 v4, v4
	v_readfirstlane_b32 s6, v4
	s_wait_alu 0xfffe
	s_mul_i32 s7, s7, s6
	s_wait_alu 0xfffe
	s_mul_hi_u32 s7, s6, s7
	s_wait_alu 0xfffe
	s_add_co_i32 s6, s6, s7
	s_wait_alu 0xfffe
	s_mul_hi_u32 s6, s28, s6
	s_wait_alu 0xfffe
	s_mul_i32 s6, s6, s60
	s_wait_alu 0xfffe
	s_sub_co_i32 s6, s28, s6
	s_wait_alu 0xfffe
	s_sub_co_i32 s7, s6, s60
	s_cmp_ge_u32 s6, s60
	s_wait_alu 0xfffe
	s_cselect_b32 s6, s7, s6
	s_wait_alu 0xfffe
	s_sub_co_i32 s7, s6, s60
	s_cmp_ge_u32 s6, s60
	s_wait_alu 0xfffe
	s_cselect_b32 s48, s7, s6
	s_wait_alu 0xfffe
	s_mov_b64 s[6:7], s[48:49]
.LBB76_56:                              ;   in Loop: Header=BB76_11 Depth=1
	v_mov_b32_e32 v4, 0
	v_dual_mov_b32 v8, 0 :: v_dual_mov_b32 v5, 0
	v_dual_mov_b32 v6, 0 :: v_dual_mov_b32 v9, 0
	;; [unrolled: 1-line block ×3, first 2 shown]
	v_dual_mov_b32 v11, 0 :: v_dual_and_b32 v2, 0xffff, v2
	s_wait_alu 0xfffe
	s_sub_nc_u64 s[62:63], s[28:29], s[6:7]
	s_mov_b32 s59, exec_lo
	s_wait_alu 0xfffe
	v_cmpx_gt_u64_e64 s[62:63], v[14:15]
	s_cbranch_execz .LBB76_60
; %bb.57:                               ;   in Loop: Header=BB76_11 Depth=1
	v_mul_lo_u32 v4, v2, s55
	v_mul_lo_u32 v5, 0, s54
	v_mul_hi_u32 v6, v2, s54
	v_mul_lo_u32 v41, v2, s54
	v_dual_mov_b32 v28, s46 :: v_dual_mov_b32 v31, v15
	v_mov_b32_e32 v30, v14
	s_mov_b64 s[64:65], 0
	v_dual_mov_b32 v29, s47 :: v_dual_add_nc_u32 v4, v4, v5
	s_mov_b32 s61, 0
	s_mov_b64 s[66:67], 0
	s_mov_b64 s[68:69], 0
	;; [unrolled: 1-line block ×3, first 2 shown]
	v_add_nc_u32_e32 v42, v4, v6
.LBB76_58:                              ;   Parent Loop BB76_11 Depth=1
                                        ; =>  This Inner Loop Header: Depth=2
	v_add_co_u32 v4, vcc_lo, v28, v24
	s_wait_alu 0xfffd
	v_add_co_ci_u32_e64 v5, null, v29, v25, vcc_lo
	v_add_co_u32 v6, vcc_lo, v28, v23
	s_wait_alu 0xfffd
	v_add_co_ci_u32_e64 v7, null, v29, v36, vcc_lo
	;; [unrolled: 3-line block ×4, first 2 shown]
	s_clause 0x3
	global_load_u8 v4, v[4:5], off
	global_load_u8 v5, v[6:7], off
	;; [unrolled: 1-line block ×4, first 2 shown]
	v_add_co_u32 v30, vcc_lo, v30, s60
	s_wait_alu 0xfffd
	v_add_co_ci_u32_e64 v31, null, 0, v31, vcc_lo
	v_add_co_u32 v28, vcc_lo, v28, v41
	s_wait_alu 0xfffd
	v_add_co_ci_u32_e64 v29, null, v29, v42, vcc_lo
	s_delay_alu instid0(VALU_DEP_3)
	v_cmp_le_u64_e32 vcc_lo, s[62:63], v[30:31]
	s_wait_loadcnt 0x3
	v_and_b32_e32 v8, v39, v4
	v_bfe_u32 v4, v4, s84, 2
	s_wait_loadcnt 0x2
	v_and_b32_e32 v9, v39, v5
	v_bfe_u32 v5, v5, s84, 2
	;; [unrolled: 3-line block ×3, first 2 shown]
	v_cmp_eq_u32_e64 s6, v8, v20
	v_cmp_eq_u32_e64 s10, 0, v4
	s_wait_loadcnt 0x0
	v_and_b32_e32 v11, v39, v7
	v_bfe_u32 v7, v7, s84, 2
	v_cmp_eq_u32_e64 s7, v9, v20
	v_cmp_eq_u32_e64 s11, 0, v5
	;; [unrolled: 1-line block ×4, first 2 shown]
	s_and_b32 s10, s6, s10
	v_cmp_eq_u32_e64 s9, v11, v20
	v_cmp_eq_u32_e64 s13, 0, v7
	v_cmp_eq_u32_e64 s14, 1, v4
	v_cmp_eq_u32_e64 s18, 2, v4
	v_cmp_eq_u32_e64 s22, 3, v4
	s_wait_alu 0xfffe
	v_cndmask_b32_e64 v4, 0, 1, s10
	s_and_b32 s10, s7, s11
	v_cmp_eq_u32_e64 s15, 1, v5
	v_cmp_eq_u32_e64 s19, 2, v5
	v_cmp_eq_u32_e64 s23, 3, v5
	s_wait_alu 0xfffe
	v_cndmask_b32_e64 v5, 0, 1, s10
	s_and_b32 s10, s8, s12
	v_cmp_eq_u32_e64 s16, 1, v6
	v_cmp_eq_u32_e64 s20, 2, v6
	v_cmp_eq_u32_e64 s24, 3, v6
	;; [unrolled: 6-line block ×3, first 2 shown]
	s_wait_alu 0xfffe
	v_cndmask_b32_e64 v7, 0, 1, s10
	s_and_b32 s10, s6, s14
	s_wait_alu 0xfffe
	v_cndmask_b32_e64 v8, 0, 1, s10
	s_and_b32 s10, s7, s15
	;; [unrolled: 3-line block ×4, first 2 shown]
	v_cmp_ne_u32_e64 s11, 0, v9
	s_wait_alu 0xfffe
	v_cndmask_b32_e64 v11, 0, 1, s10
	s_and_b32 s10, s6, s18
	s_and_b32 s6, s6, s22
	s_wait_alu 0xfffe
	v_cndmask_b32_e64 v43, 0, 1, s10
	v_cndmask_b32_e64 v47, 0, 1, s6
	s_and_b32 s6, s7, s23
	s_and_b32 s10, s7, s19
	s_wait_alu 0xfffe
	v_cndmask_b32_e64 v48, 0, 1, s6
	s_and_b32 s6, s8, s24
	v_cndmask_b32_e64 v44, 0, 1, s10
	s_and_b32 s10, s8, s20
	s_wait_alu 0xfffe
	v_cndmask_b32_e64 v49, 0, 1, s6
	s_and_b32 s6, s9, s25
	v_cndmask_b32_e64 v45, 0, 1, s10
	s_and_b32 s10, s9, s21
	s_wait_alu 0xfffe
	v_cndmask_b32_e64 v50, 0, 1, s6
	v_cmp_ne_u32_e64 s6, 0, v4
	v_cmp_ne_u32_e64 s7, 0, v5
	v_cndmask_b32_e64 v46, 0, 1, s10
	v_cmp_ne_u32_e64 s8, 0, v6
	v_cmp_ne_u32_e64 s10, 0, v8
	;; [unrolled: 1-line block ×6, first 2 shown]
	s_bcnt1_i32_b32 s6, s6
	s_bcnt1_i32_b32 s7, s7
	v_cmp_ne_u32_e64 s13, 0, v11
	v_cmp_ne_u32_e64 s16, 0, v45
	;; [unrolled: 1-line block ×4, first 2 shown]
	s_bcnt1_i32_b32 s8, s8
	s_bcnt1_i32_b32 s10, s10
	;; [unrolled: 1-line block ×3, first 2 shown]
	s_wait_alu 0xfffe
	s_add_co_i32 s6, s7, s6
	v_cmp_ne_u32_e64 s17, 0, v46
	v_cmp_ne_u32_e64 s20, 0, v49
	s_bcnt1_i32_b32 s9, s9
	s_bcnt1_i32_b32 s12, s12
	;; [unrolled: 1-line block ×4, first 2 shown]
	s_add_co_i32 s7, s11, s10
	s_wait_alu 0xfffe
	s_add_co_i32 s6, s6, s8
	v_cmp_ne_u32_e64 s21, 0, v50
	s_bcnt1_i32_b32 s13, s13
	s_bcnt1_i32_b32 s16, s16
	;; [unrolled: 1-line block ×4, first 2 shown]
	s_add_co_i32 s10, s15, s14
	s_add_co_i32 s7, s7, s12
	s_wait_alu 0xfffe
	s_add_co_i32 s48, s6, s9
	s_bcnt1_i32_b32 s17, s17
	s_bcnt1_i32_b32 s20, s20
	s_add_co_i32 s11, s19, s18
	s_add_co_i32 s8, s10, s16
	s_wait_alu 0xfffe
	s_add_nc_u64 s[70:71], s[70:71], s[48:49]
	s_add_co_i32 s48, s7, s13
	s_bcnt1_i32_b32 s21, s21
	s_add_co_i32 s10, s11, s20
	s_wait_alu 0xfffe
	s_add_nc_u64 s[68:69], s[68:69], s[48:49]
	s_add_co_i32 s48, s8, s17
	v_mov_b32_e32 v4, s70
	s_wait_alu 0xfffe
	s_add_nc_u64 s[66:67], s[66:67], s[48:49]
	s_add_co_i32 s48, s10, s21
	v_mov_b32_e32 v6, s68
	s_wait_alu 0xfffe
	s_add_nc_u64 s[64:65], s[64:65], s[48:49]
	v_mov_b32_e32 v5, s71
	v_dual_mov_b32 v7, s69 :: v_dual_mov_b32 v8, s66
	s_wait_alu 0xfffe
	v_dual_mov_b32 v9, s67 :: v_dual_mov_b32 v10, s64
	v_mov_b32_e32 v11, s65
	s_or_b32 s61, vcc_lo, s61
	s_wait_alu 0xfffe
	s_and_not1_b32 exec_lo, exec_lo, s61
	s_cbranch_execnz .LBB76_58
; %bb.59:                               ;   in Loop: Header=BB76_11 Depth=1
	s_or_b32 exec_lo, exec_lo, s61
.LBB76_60:                              ;   in Loop: Header=BB76_11 Depth=1
	s_delay_alu instid0(SALU_CYCLE_1)
	s_or_b32 exec_lo, exec_lo, s59
	v_add_co_u32 v28, s6, s62, v0
	s_wait_alu 0xf1ff
	v_add_co_ci_u32_e64 v29, null, s63, 0, s6
	s_mov_b32 s9, exec_lo
	v_cmpx_gt_u64_e64 s[28:29], v[28:29]
	s_cbranch_execz .LBB76_66
; %bb.61:                               ;   in Loop: Header=BB76_11 Depth=1
	v_mad_co_u64_u32 v[30:31], null, v28, s36, s[46:47]
	v_mul_lo_u32 v41, v28, s37
	v_mul_lo_u32 v42, v29, s36
	s_mov_b32 s10, 0
	s_delay_alu instid0(VALU_DEP_1)
	v_add3_u32 v31, v42, v31, v41
	global_load_u8 v31, v[30:31], off
	s_branch .LBB76_63
.LBB76_62:                              ;   in Loop: Header=BB76_63 Depth=2
	s_wait_alu 0xfffe
	s_or_b32 exec_lo, exec_lo, s7
	s_wait_loadcnt 0x0
	v_and_b32_e32 v31, 0xff, v31
	s_and_b32 s8, exec_lo, vcc_lo
	s_wait_alu 0xfffe
	s_or_b32 s10, s8, s10
	s_delay_alu instid0(VALU_DEP_1) | instskip(SKIP_1) | instid1(VALU_DEP_2)
	v_and_b32_e32 v41, v39, v31
	v_bfe_u32 v31, v31, s84, 2
	v_cmp_eq_u32_e64 s6, v41, v20
	s_delay_alu instid0(VALU_DEP_2)
	v_cmp_eq_u32_e64 s7, 0, v31
	v_cmp_eq_u32_e32 vcc_lo, 1, v31
	v_cmp_eq_u32_e64 s8, 2, v31
	s_and_b32 s7, s6, s7
	s_wait_alu 0xfffe
	v_cndmask_b32_e64 v41, 0, 1, s7
	s_and_b32 s7, s6, vcc_lo
	v_cmp_eq_u32_e32 vcc_lo, 3, v31
	s_wait_alu 0xfffe
	v_cndmask_b32_e64 v42, 0, 1, s7
	s_and_b32 s7, s6, s8
	s_wait_alu 0xfffe
	v_cndmask_b32_e64 v31, 0, 1, s7
	v_cmp_ne_u32_e64 s7, 0, v41
	v_cmp_ne_u32_e64 s8, 0, v42
	s_and_b32 s6, s6, vcc_lo
	s_wait_alu 0xfffe
	v_cndmask_b32_e64 v41, 0, 1, s6
	s_bcnt1_i32_b32 s6, s7
	v_cmp_ne_u32_e32 vcc_lo, 0, v31
	s_bcnt1_i32_b32 s7, s8
	s_wait_alu 0xfffe
	v_add_co_u32 v4, s6, v4, s6
	s_wait_alu 0xf1ff
	v_add_co_ci_u32_e64 v5, null, 0, v5, s6
	v_add_co_u32 v6, s6, v6, s7
	s_wait_alu 0xf1ff
	v_add_co_ci_u32_e64 v7, null, 0, v7, s6
	s_bcnt1_i32_b32 s6, vcc_lo
	v_cmp_ne_u32_e32 vcc_lo, 0, v41
	s_wait_alu 0xfffe
	v_add_co_u32 v8, s6, v8, s6
	s_wait_alu 0xf1ff
	v_add_co_ci_u32_e64 v9, null, 0, v9, s6
	s_bcnt1_i32_b32 s6, vcc_lo
	v_mov_b32_e32 v31, v30
	s_wait_alu 0xfffe
	v_add_co_u32 v10, vcc_lo, v10, s6
	s_wait_alu 0xfffd
	v_add_co_ci_u32_e64 v11, null, 0, v11, vcc_lo
	s_and_not1_b32 exec_lo, exec_lo, s10
	s_cbranch_execz .LBB76_65
.LBB76_63:                              ;   Parent Loop BB76_11 Depth=1
                                        ; =>  This Inner Loop Header: Depth=2
	v_add_co_u32 v28, vcc_lo, v28, v2
	s_wait_alu 0xfffd
	v_add_co_ci_u32_e64 v29, null, 0, v29, vcc_lo
	v_mov_b32_e32 v30, 0
	s_mov_b32 s7, exec_lo
	s_delay_alu instid0(VALU_DEP_2)
	v_cmp_le_u64_e32 vcc_lo, s[28:29], v[28:29]
	v_cmpx_gt_u64_e64 s[28:29], v[28:29]
	s_cbranch_execz .LBB76_62
; %bb.64:                               ;   in Loop: Header=BB76_63 Depth=2
	v_mad_co_u64_u32 v[41:42], null, v28, s36, s[46:47]
	v_mul_lo_u32 v30, v28, s37
	v_mul_lo_u32 v43, v29, s36
	s_delay_alu instid0(VALU_DEP_1)
	v_add3_u32 v42, v43, v42, v30
	global_load_u8 v30, v[41:42], off
	s_branch .LBB76_62
.LBB76_65:                              ;   in Loop: Header=BB76_11 Depth=1
	s_or_b32 exec_lo, exec_lo, s10
.LBB76_66:                              ;   in Loop: Header=BB76_11 Depth=1
	s_wait_alu 0xfffe
	s_or_b32 exec_lo, exec_lo, s9
	s_branch .LBB76_45
.LBB76_67:                              ;   in Loop: Header=BB76_11 Depth=1
	global_load_u16 v2, v3, s[56:57]
	v_mov_b32_e32 v6, 0
	v_mov_b32_e32 v8, 0
	v_dual_mov_b32 v10, 0 :: v_dual_mov_b32 v9, 0
	v_mov_b32_e32 v11, 0
	s_mov_b32 s70, exec_lo
	v_mov_b32_e32 v7, 0
	s_wait_loadcnt 0x0
	v_readfirstlane_b32 s6, v2
	v_and_b32_e32 v2, 0xffff, v2
	s_and_b32 s59, 0xffff, s6
	s_wait_alu 0xfffe
	s_lshl_b32 s69, s59, 2
	s_wait_alu 0xfffe
	s_cvt_f32_u32 s6, s69
	s_sub_co_i32 s7, 0, s69
	s_wait_alu 0xfffe
	s_delay_alu instid0(SALU_CYCLE_1) | instskip(NEXT) | instid1(TRANS32_DEP_1)
	v_rcp_iflag_f32_e32 v4, s6
	v_readfirstlane_b32 s6, v4
	s_mul_f32 s6, s6, 0x4f7ffffe
	s_wait_alu 0xfffe
	s_delay_alu instid0(SALU_CYCLE_2) | instskip(SKIP_1) | instid1(SALU_CYCLE_2)
	s_cvt_u32_f32 s6, s6
	s_wait_alu 0xfffe
	s_mul_i32 s7, s7, s6
	s_wait_alu 0xfffe
	s_mul_hi_u32 s7, s6, s7
	s_wait_alu 0xfffe
	s_add_co_i32 s6, s6, s7
	s_wait_alu 0xfffe
	s_mul_hi_u32 s6, s58, s6
	s_wait_alu 0xfffe
	s_mul_i32 s7, s6, s69
	s_add_co_i32 s8, s6, 1
	s_wait_alu 0xfffe
	s_sub_co_i32 s7, s58, s7
	s_wait_alu 0xfffe
	s_sub_co_i32 s9, s7, s69
	s_cmp_ge_u32 s7, s69
	s_cselect_b32 s6, s8, s6
	s_wait_alu 0xfffe
	s_cselect_b32 s7, s9, s7
	s_add_co_i32 s8, s6, 1
	s_wait_alu 0xfffe
	s_cmp_ge_u32 s7, s69
	s_cselect_b32 s68, s8, s6
	s_wait_alu 0xfffe
	v_mul_hi_u32 v5, s68, v2
	v_mul_lo_u32 v4, s68, v2
	s_delay_alu instid0(VALU_DEP_1) | instskip(SKIP_2) | instid1(VALU_DEP_3)
	v_lshlrev_b64_e32 v[28:29], 2, v[4:5]
	v_mov_b32_e32 v4, 0
	v_mov_b32_e32 v5, 0
	v_cmpx_gt_u64_e64 v[28:29], v[14:15]
	s_cbranch_execz .LBB76_71
; %bb.68:                               ;   in Loop: Header=BB76_11 Depth=1
	v_mov_b32_e32 v31, v15
	v_dual_mov_b32 v41, v14 :: v_dual_mov_b32 v30, v14
	s_mov_b64 s[60:61], 0
	s_mov_b32 s71, 0
	s_mov_b64 s[62:63], 0
	s_mov_b64 s[64:65], 0
	;; [unrolled: 1-line block ×3, first 2 shown]
.LBB76_69:                              ;   Parent Loop BB76_11 Depth=1
                                        ; =>  This Inner Loop Header: Depth=2
	ds_load_b32 v4, v41
	v_add_co_u32 v30, vcc_lo, v30, s69
	s_wait_alu 0xfffd
	v_add_co_ci_u32_e64 v31, null, 0, v31, vcc_lo
	s_delay_alu instid0(VALU_DEP_1)
	v_cmp_ge_u64_e32 vcc_lo, v[30:31], v[28:29]
	s_wait_dscnt 0x0
	v_and_b32_e32 v5, 0xff, v4
	v_bfe_u32 v6, v4, 8, 8
	v_bfe_u32 v7, v4, 16, 8
	v_lshrrev_b32_e32 v4, 24, v4
	s_delay_alu instid0(VALU_DEP_4)
	v_and_b32_e32 v8, v39, v5
	v_bfe_u32 v5, v5, s84, 2
	v_and_b32_e32 v9, v39, v6
	v_bfe_u32 v6, v6, s84, 2
	;; [unrolled: 2-line block ×3, first 2 shown]
	v_cmp_eq_u32_e64 s6, v8, v20
	v_cmp_eq_u32_e64 s10, 0, v5
	v_and_b32_e32 v11, v39, v4
	v_bfe_u32 v4, v4, s84, 2
	v_cmp_eq_u32_e64 s7, v9, v20
	v_cmp_eq_u32_e64 s11, 0, v6
	;; [unrolled: 1-line block ×4, first 2 shown]
	s_and_b32 s10, s6, s10
	v_cmp_eq_u32_e64 s9, v11, v20
	v_cmp_eq_u32_e64 s13, 0, v4
	;; [unrolled: 1-line block ×5, first 2 shown]
	s_wait_alu 0xfffe
	v_cndmask_b32_e64 v4, 0, 1, s10
	s_and_b32 s10, s7, s11
	v_cmp_eq_u32_e64 s14, 1, v5
	v_cmp_eq_u32_e64 s18, 2, v5
	v_cmp_eq_u32_e64 s22, 3, v5
	s_wait_alu 0xfffe
	v_cndmask_b32_e64 v5, 0, 1, s10
	s_and_b32 s10, s8, s12
	v_cmp_eq_u32_e64 s15, 1, v6
	v_cmp_eq_u32_e64 s19, 2, v6
	v_cmp_eq_u32_e64 s23, 3, v6
	;; [unrolled: 6-line block ×3, first 2 shown]
	s_wait_alu 0xfffe
	v_cndmask_b32_e64 v7, 0, 1, s10
	s_and_b32 s10, s6, s14
	s_wait_alu 0xfffe
	v_cndmask_b32_e64 v8, 0, 1, s10
	s_and_b32 s10, s7, s15
	;; [unrolled: 3-line block ×4, first 2 shown]
	v_cmp_ne_u32_e64 s11, 0, v9
	s_wait_alu 0xfffe
	v_cndmask_b32_e64 v11, 0, 1, s10
	s_and_b32 s10, s6, s18
	s_and_b32 s6, s6, s22
	s_wait_alu 0xfffe
	v_cndmask_b32_e64 v42, 0, 1, s10
	v_cndmask_b32_e64 v46, 0, 1, s6
	s_and_b32 s6, s7, s23
	s_and_b32 s10, s7, s19
	s_wait_alu 0xfffe
	v_cndmask_b32_e64 v47, 0, 1, s6
	s_and_b32 s6, s8, s24
	v_cndmask_b32_e64 v43, 0, 1, s10
	s_and_b32 s10, s8, s20
	s_wait_alu 0xfffe
	v_cndmask_b32_e64 v48, 0, 1, s6
	s_and_b32 s6, s9, s25
	v_cndmask_b32_e64 v44, 0, 1, s10
	s_and_b32 s10, s9, s21
	s_wait_alu 0xfffe
	v_cndmask_b32_e64 v49, 0, 1, s6
	v_cmp_ne_u32_e64 s6, 0, v4
	v_cmp_ne_u32_e64 s7, 0, v5
	v_cndmask_b32_e64 v45, 0, 1, s10
	v_cmp_ne_u32_e64 s8, 0, v6
	v_cmp_ne_u32_e64 s10, 0, v8
	;; [unrolled: 1-line block ×6, first 2 shown]
	s_bcnt1_i32_b32 s6, s6
	s_bcnt1_i32_b32 s7, s7
	v_cmp_ne_u32_e64 s13, 0, v11
	v_cmp_ne_u32_e64 s16, 0, v44
	;; [unrolled: 1-line block ×4, first 2 shown]
	s_bcnt1_i32_b32 s8, s8
	s_bcnt1_i32_b32 s10, s10
	;; [unrolled: 1-line block ×3, first 2 shown]
	s_wait_alu 0xfffe
	s_add_co_i32 s6, s7, s6
	v_cmp_ne_u32_e64 s17, 0, v45
	v_cmp_ne_u32_e64 s20, 0, v48
	s_bcnt1_i32_b32 s9, s9
	s_bcnt1_i32_b32 s12, s12
	;; [unrolled: 1-line block ×4, first 2 shown]
	s_add_co_i32 s7, s11, s10
	s_wait_alu 0xfffe
	s_add_co_i32 s6, s6, s8
	v_cmp_ne_u32_e64 s21, 0, v49
	s_bcnt1_i32_b32 s13, s13
	s_bcnt1_i32_b32 s16, s16
	;; [unrolled: 1-line block ×4, first 2 shown]
	s_add_co_i32 s10, s15, s14
	s_add_co_i32 s7, s7, s12
	s_wait_alu 0xfffe
	s_add_co_i32 s48, s6, s9
	s_bcnt1_i32_b32 s17, s17
	s_bcnt1_i32_b32 s20, s20
	s_add_co_i32 s11, s19, s18
	s_add_co_i32 s8, s10, s16
	s_wait_alu 0xfffe
	s_add_nc_u64 s[66:67], s[66:67], s[48:49]
	s_add_co_i32 s48, s7, s13
	s_bcnt1_i32_b32 s21, s21
	s_add_co_i32 s10, s11, s20
	s_wait_alu 0xfffe
	s_add_nc_u64 s[64:65], s[64:65], s[48:49]
	s_add_co_i32 s48, s8, s17
	v_dual_mov_b32 v4, s66 :: v_dual_add_nc_u32 v41, s69, v41
	s_wait_alu 0xfffe
	s_add_nc_u64 s[62:63], s[62:63], s[48:49]
	s_add_co_i32 s48, s10, s21
	v_mov_b32_e32 v6, s64
	s_wait_alu 0xfffe
	s_add_nc_u64 s[60:61], s[60:61], s[48:49]
	v_mov_b32_e32 v8, s62
	s_wait_alu 0xfffe
	v_dual_mov_b32 v10, s60 :: v_dual_mov_b32 v5, s67
	v_mov_b32_e32 v7, s65
	v_mov_b32_e32 v9, s63
	;; [unrolled: 1-line block ×3, first 2 shown]
	s_or_b32 s71, vcc_lo, s71
	s_wait_alu 0xfffe
	s_and_not1_b32 exec_lo, exec_lo, s71
	s_cbranch_execnz .LBB76_69
; %bb.70:                               ;   in Loop: Header=BB76_11 Depth=1
	s_or_b32 exec_lo, exec_lo, s71
.LBB76_71:                              ;   in Loop: Header=BB76_11 Depth=1
	s_delay_alu instid0(SALU_CYCLE_1)
	s_or_b32 exec_lo, exec_lo, s70
	v_add_co_u32 v28, vcc_lo, v28, v0
	s_wait_alu 0xfffd
	v_add_co_ci_u32_e64 v29, null, 0, v29, vcc_lo
	s_and_b32 s48, s58, 0x7fffffff
	s_mov_b32 s11, exec_lo
	s_wait_alu 0xfffe
	v_cmpx_gt_u64_e64 s[48:49], v[28:29]
	s_cbranch_execz .LBB76_75
; %bb.72:                               ;   in Loop: Header=BB76_11 Depth=1
	s_mul_i32 s68, s68, s59
	s_mov_b32 s12, 0
	s_wait_alu 0xfffe
	v_lshl_add_u32 v30, s68, 2, v0
.LBB76_73:                              ;   Parent Loop BB76_11 Depth=1
                                        ; =>  This Inner Loop Header: Depth=2
	ds_load_u8 v31, v30
	v_add_co_u32 v28, vcc_lo, v28, v2
	s_wait_alu 0xfffd
	v_add_co_ci_u32_e64 v29, null, 0, v29, vcc_lo
	v_add_nc_u32_e32 v30, s59, v30
	s_delay_alu instid0(VALU_DEP_2) | instskip(SKIP_3) | instid1(VALU_DEP_2)
	v_cmp_le_u64_e32 vcc_lo, s[48:49], v[28:29]
	s_wait_dscnt 0x0
	v_and_b32_e32 v41, v39, v31
	v_bfe_u32 v31, v31, s84, 2
	v_cmp_eq_u32_e64 s6, v41, v20
	s_delay_alu instid0(VALU_DEP_2)
	v_cmp_eq_u32_e64 s7, 0, v31
	v_cmp_eq_u32_e64 s8, 1, v31
	;; [unrolled: 1-line block ×4, first 2 shown]
	s_and_b32 s7, s6, s7
	s_wait_alu 0xfffe
	v_cndmask_b32_e64 v31, 0, 1, s7
	s_and_b32 s7, s6, s8
	s_wait_alu 0xfffe
	v_cndmask_b32_e64 v41, 0, 1, s7
	s_and_b32 s7, s6, s9
	s_and_b32 s6, s6, s10
	s_wait_alu 0xfffe
	v_cndmask_b32_e64 v42, 0, 1, s7
	v_cndmask_b32_e64 v43, 0, 1, s6
	v_cmp_ne_u32_e64 s6, 0, v31
	v_cmp_ne_u32_e64 s7, 0, v41
	s_delay_alu instid0(VALU_DEP_4) | instskip(NEXT) | instid1(VALU_DEP_4)
	v_cmp_ne_u32_e64 s8, 0, v42
	v_cmp_ne_u32_e64 s9, 0, v43
	s_bcnt1_i32_b32 s6, s6
	s_bcnt1_i32_b32 s7, s7
	s_wait_alu 0xfffe
	v_add_co_u32 v4, s6, v4, s6
	s_bcnt1_i32_b32 s8, s8
	v_add_co_ci_u32_e64 v5, null, 0, v5, s6
	v_add_co_u32 v6, s6, v6, s7
	s_bcnt1_i32_b32 s9, s9
	v_add_co_ci_u32_e64 v7, null, 0, v7, s6
	s_wait_alu 0xfffe
	v_add_co_u32 v8, s6, v8, s8
	s_wait_alu 0xf1ff
	v_add_co_ci_u32_e64 v9, null, 0, v9, s6
	v_add_co_u32 v10, s6, v10, s9
	s_wait_alu 0xf1ff
	v_add_co_ci_u32_e64 v11, null, 0, v11, s6
	s_or_b32 s12, vcc_lo, s12
	s_wait_alu 0xfffe
	s_and_not1_b32 exec_lo, exec_lo, s12
	s_cbranch_execnz .LBB76_73
; %bb.74:                               ;   in Loop: Header=BB76_11 Depth=1
	s_or_b32 exec_lo, exec_lo, s12
.LBB76_75:                              ;   in Loop: Header=BB76_11 Depth=1
	s_delay_alu instid0(SALU_CYCLE_1)
	s_or_b32 exec_lo, exec_lo, s11
	s_lshl_b32 s6, s87, 7
	s_and_saveexec_b32 s7, s1
	s_cbranch_execnz .LBB76_46
	s_branch .LBB76_47
.LBB76_76:                              ;   in Loop: Header=BB76_11 Depth=1
                                        ; implicit-def: $sgpr6_sgpr7
	s_branch .LBB76_55
.LBB76_77:                              ;   in Loop: Header=BB76_11 Depth=1
	s_mov_b32 s8, 0
	s_and_not1_b32 vcc_lo, exec_lo, s83
	s_wait_alu 0xfffe
	s_cbranch_vccnz .LBB76_80
.LBB76_78:                              ;   in Loop: Header=BB76_11 Depth=1
	s_lshl_b32 s9, s87, 10
	s_lshl_b32 s8, s8, 5
	s_wait_alu 0xfffe
	v_add3_u32 v2, s9, s8, v37
	s_mov_b32 s8, s80
.LBB76_79:                              ;   Parent Loop BB76_11 Depth=1
                                        ; =>  This Inner Loop Header: Depth=2
	ds_load_b64 v[6:7], v2
	v_add_nc_u32_e32 v2, 32, v2
	s_wait_alu 0xfffe
	s_add_co_i32 s8, s8, -1
	s_wait_alu 0xfffe
	s_cmp_lg_u32 s8, 0
	s_wait_dscnt 0x0
	v_add_co_u32 v4, vcc_lo, v6, v4
	s_wait_alu 0xfffd
	v_add_co_ci_u32_e64 v5, null, v7, v5, vcc_lo
	s_cbranch_scc1 .LBB76_79
.LBB76_80:                              ;   in Loop: Header=BB76_11 Depth=1
	v_add_lshl_u32 v2, s6, v32, 3
	ds_store_b64 v2, v[4:5] offset:3072
.LBB76_81:                              ;   in Loop: Header=BB76_11 Depth=1
	s_wait_alu 0xfffe
	s_or_b32 exec_lo, exec_lo, s7
	s_lshl_b32 s6, s6, 3
	s_wait_loadcnt_dscnt 0x0
	s_wait_alu 0xfffe
	v_mov_b32_e32 v2, s6
	s_barrier_signal -1
	s_barrier_wait -1
	global_inv scope:SCOPE_SE
	v_cmp_eq_u64_e32 vcc_lo, 1, v[26:27]
	ds_load_b128 v[4:7], v2 offset:3072
	ds_load_b128 v[8:11], v2 offset:3088
	s_lshl_b32 s16, 3, s84
	s_mov_b32 s18, -1
	s_wait_alu 0xfffe
	s_not_b32 s20, s16
                                        ; implicit-def: $sgpr22
                                        ; implicit-def: $sgpr21
	s_wait_dscnt 0x1
	v_cmp_eq_u64_e64 s6, 1, v[4:5]
	s_wait_dscnt 0x0
	v_readfirstlane_b32 s10, v8
	v_readfirstlane_b32 s11, v9
	;; [unrolled: 1-line block ×4, first 2 shown]
	s_and_b32 s19, s6, vcc_lo
	s_mov_b32 s6, -1
	s_and_saveexec_b32 s17, s19
	s_cbranch_execz .LBB76_113
; %bb.82:                               ;   in Loop: Header=BB76_11 Depth=1
	ds_load_b64 v[8:9], v3 offset:5120
	s_wait_loadcnt_dscnt 0x0
	s_barrier_signal -1
	s_barrier_wait -1
	global_inv scope:SCOPE_SE
	v_readfirstlane_b32 s6, v8
	v_readfirstlane_b32 s7, v9
	s_and_saveexec_b32 s12, s3
; %bb.83:                               ;   in Loop: Header=BB76_11 Depth=1
	ds_store_b8 v0, v3 offset:3072
; %bb.84:                               ;   in Loop: Header=BB76_11 Depth=1
	s_wait_alu 0xfffe
	s_or_b32 exec_lo, exec_lo, s12
	v_and_b32_e32 v20, s20, v20
	v_or_b32_e32 v39, s16, v39
	s_mov_b32 s21, -1
	s_mov_b32 s22, 0
	s_cmp_eq_u64 s[6:7], 0
	s_mov_b32 s14, 0
	s_mov_b32 s15, -1
	s_wait_loadcnt_dscnt 0x0
	s_barrier_signal -1
	s_barrier_wait -1
	global_inv scope:SCOPE_SE
                                        ; implicit-def: $vgpr40
	s_cbranch_scc1 .LBB76_98
; %bb.85:                               ;   in Loop: Header=BB76_11 Depth=1
	s_add_nc_u64 s[12:13], s[6:7], s[50:51]
	s_mov_b32 s14, s49
	s_wait_alu 0xfffe
	s_mov_b32 s15, s13
	s_wait_alu 0xfffe
	s_cmp_lg_u64 s[14:15], 0
	s_cbranch_scc0 .LBB76_139
; %bb.86:                               ;   in Loop: Header=BB76_11 Depth=1
	s_cvt_f32_u32 s14, s38
	s_sub_nc_u64 s[24:25], 0, s[38:39]
	s_wait_alu 0xfffe
	s_delay_alu instid0(SALU_CYCLE_1) | instskip(SKIP_1) | instid1(SALU_CYCLE_2)
	s_fmamk_f32 s14, s86, 0x0, s14
	s_wait_alu 0xfffe
	v_s_rcp_f32 s14, s14
	s_delay_alu instid0(TRANS32_DEP_1) | instskip(SKIP_1) | instid1(SALU_CYCLE_2)
	s_mul_f32 s14, s14, 0x5f7ffffc
	s_wait_alu 0xfffe
	s_mul_f32 s15, s14, 0x2f800000
	s_wait_alu 0xfffe
	s_delay_alu instid0(SALU_CYCLE_2) | instskip(SKIP_1) | instid1(SALU_CYCLE_2)
	s_trunc_f32 s15, s15
	s_wait_alu 0xfffe
	s_fmamk_f32 s14, s15, 0xcf800000, s14
	s_cvt_u32_f32 s15, s15
	s_wait_alu 0xfffe
	s_delay_alu instid0(SALU_CYCLE_1) | instskip(SKIP_1) | instid1(SALU_CYCLE_2)
	s_cvt_u32_f32 s14, s14
	s_wait_alu 0xfffe
	s_mul_u64 s[58:59], s[24:25], s[14:15]
	s_wait_alu 0xfffe
	s_mul_hi_u32 s61, s14, s59
	s_mul_i32 s60, s14, s59
	s_mul_hi_u32 s48, s14, s58
	s_mul_i32 s62, s15, s58
	s_wait_alu 0xfffe
	s_add_nc_u64 s[60:61], s[48:49], s[60:61]
	s_mul_hi_u32 s23, s15, s58
	s_mul_hi_u32 s63, s15, s59
	s_wait_alu 0xfffe
	s_add_co_u32 s48, s60, s62
	s_add_co_ci_u32 s48, s61, s23
	s_mul_i32 s58, s15, s59
	s_add_co_ci_u32 s59, s63, 0
	s_wait_alu 0xfffe
	s_add_nc_u64 s[58:59], s[48:49], s[58:59]
	s_wait_alu 0xfffe
	s_add_co_u32 s14, s14, s58
	s_cselect_b32 s23, -1, 0
	s_delay_alu instid0(SALU_CYCLE_1) | instskip(SKIP_3) | instid1(SALU_CYCLE_1)
	s_cmp_lg_u32 s23, 0
	s_add_co_ci_u32 s15, s15, s59
	s_wait_alu 0xfffe
	s_mul_u64 s[24:25], s[24:25], s[14:15]
	s_mul_hi_u32 s59, s14, s25
	s_mul_i32 s58, s14, s25
	s_mul_hi_u32 s48, s14, s24
	s_mul_i32 s60, s15, s24
	s_wait_alu 0xfffe
	s_add_nc_u64 s[58:59], s[48:49], s[58:59]
	s_mul_hi_u32 s23, s15, s24
	s_mul_hi_u32 s61, s15, s25
	s_mul_i32 s24, s15, s25
	s_wait_alu 0xfffe
	s_add_co_u32 s25, s58, s60
	s_add_co_ci_u32 s48, s59, s23
	s_add_co_ci_u32 s25, s61, 0
	s_wait_alu 0xfffe
	s_add_nc_u64 s[24:25], s[48:49], s[24:25]
	s_delay_alu instid0(SALU_CYCLE_1)
	s_add_co_u32 s14, s14, s24
	s_cselect_b32 s23, -1, 0
	s_wait_alu 0xfffe
	s_mul_hi_u32 s48, s12, s14
	s_cmp_lg_u32 s23, 0
	s_mul_hi_u32 s23, s13, s14
	s_add_co_ci_u32 s24, s15, s25
	s_mul_i32 s25, s13, s14
	s_mul_hi_u32 s15, s12, s24
	s_mul_i32 s14, s12, s24
	s_mul_hi_u32 s58, s13, s24
	s_wait_alu 0xfffe
	s_add_nc_u64 s[14:15], s[48:49], s[14:15]
	s_mul_i32 s24, s13, s24
	s_wait_alu 0xfffe
	s_add_co_u32 s14, s14, s25
	s_add_co_ci_u32 s48, s15, s23
	s_add_co_ci_u32 s25, s58, 0
	s_wait_alu 0xfffe
	s_add_nc_u64 s[14:15], s[48:49], s[24:25]
	s_wait_alu 0xfffe
	s_mul_u64 s[14:15], s[38:39], s[14:15]
	s_wait_alu 0xfffe
	s_sub_co_u32 s14, s12, s14
	s_cselect_b32 s23, -1, 0
	s_delay_alu instid0(SALU_CYCLE_1) | instskip(SKIP_4) | instid1(SALU_CYCLE_1)
	s_cmp_lg_u32 s23, 0
	s_sub_co_ci_u32 s15, s13, s15
	s_wait_alu 0xfffe
	s_sub_co_u32 s23, s14, s38
	s_cselect_b32 s24, -1, 0
	s_cmp_lg_u32 s24, 0
	s_sub_co_ci_u32 s24, s15, 0
	s_sub_co_u32 s25, s23, s38
	s_cselect_b32 s48, -1, 0
	s_wait_alu 0xfffe
	s_cmp_lg_u32 s48, 0
	s_sub_co_ci_u32 s48, s24, 0
	s_cmp_ge_u32 s23, s38
	s_cselect_b32 s58, -1, 0
	s_cmp_eq_u32 s24, 0
	s_wait_alu 0xfffe
	s_cselect_b32 s58, s58, -1
	s_wait_alu 0xfffe
	s_cmp_lg_u32 s58, 0
	s_cselect_b32 s24, s48, s24
	s_cselect_b32 s23, s25, s23
	s_cmp_ge_u32 s14, s38
	s_cselect_b32 s25, -1, 0
	s_cmp_eq_u32 s15, 0
	s_cselect_b32 s25, s25, -1
	s_delay_alu instid0(SALU_CYCLE_1)
	s_cmp_lg_u32 s25, 0
	s_cselect_b32 s15, s24, s15
	s_cselect_b32 s14, s23, s14
	s_cbranch_execnz .LBB76_88
.LBB76_87:                              ;   in Loop: Header=BB76_11 Depth=1
	v_cvt_f32_u32_e32 v2, s38
	s_sub_co_i32 s15, 0, s38
	s_delay_alu instid0(VALU_DEP_1) | instskip(NEXT) | instid1(TRANS32_DEP_1)
	v_rcp_iflag_f32_e32 v2, v2
	v_mul_f32_e32 v2, 0x4f7ffffe, v2
	s_delay_alu instid0(VALU_DEP_1) | instskip(NEXT) | instid1(VALU_DEP_1)
	v_cvt_u32_f32_e32 v2, v2
	v_readfirstlane_b32 s14, v2
	s_wait_alu 0xfffe
	s_mul_i32 s15, s15, s14
	s_wait_alu 0xfffe
	s_mul_hi_u32 s15, s14, s15
	s_wait_alu 0xfffe
	s_add_co_i32 s14, s14, s15
	s_wait_alu 0xfffe
	s_mul_hi_u32 s14, s12, s14
	s_wait_alu 0xfffe
	s_mul_i32 s14, s14, s38
	s_wait_alu 0xfffe
	s_sub_co_i32 s14, s12, s14
	s_wait_alu 0xfffe
	s_sub_co_i32 s15, s14, s38
	s_cmp_ge_u32 s14, s38
	s_wait_alu 0xfffe
	s_cselect_b32 s14, s15, s14
	s_wait_alu 0xfffe
	s_sub_co_i32 s15, s14, s38
	s_cmp_ge_u32 s14, s38
	s_wait_alu 0xfffe
	s_cselect_b32 s48, s15, s14
	s_wait_alu 0xfffe
	s_mov_b64 s[14:15], s[48:49]
.LBB76_88:                              ;   in Loop: Header=BB76_11 Depth=1
	s_wait_alu 0xfffe
	s_sub_nc_u64 s[12:13], s[12:13], s[14:15]
	s_mov_b32 s15, 0
	s_mov_b32 s14, 0
	s_mov_b32 s23, exec_lo
                                        ; implicit-def: $vgpr40
	s_wait_alu 0xfffe
	v_cmpx_gt_u64_e64 s[12:13], v[0:1]
	s_cbranch_execz .LBB76_97
; %bb.89:                               ;   in Loop: Header=BB76_11 Depth=1
	v_dual_mov_b32 v2, v0 :: v_dual_mov_b32 v9, v1
	v_mov_b32_e32 v8, v0
                                        ; implicit-def: $sgpr24
	s_branch .LBB76_92
.LBB76_90:                              ;   in Loop: Header=BB76_92 Depth=2
	s_or_b32 exec_lo, exec_lo, s25
	s_wait_loadcnt_dscnt 0x0
	s_barrier_signal -1
	s_barrier_wait -1
	global_inv scope:SCOPE_SE
	ds_load_u16 v10, v3 offset:3072
	s_mov_b32 s25, -1
	s_mov_b32 s48, -1
	s_wait_loadcnt_dscnt 0x0
	s_barrier_signal -1
	s_barrier_wait -1
	global_inv scope:SCOPE_SE
	v_and_b32_e32 v11, 0xff, v10
	s_delay_alu instid0(VALU_DEP_1)
	v_cmp_ne_u32_e32 vcc_lo, 0, v11
	s_cbranch_vccz .LBB76_95
.LBB76_91:                              ;   in Loop: Header=BB76_92 Depth=2
	s_and_b32 s25, exec_lo, s25
	s_wait_alu 0xfffe
	s_or_b32 s14, s25, s14
	s_and_not1_b32 s24, s24, exec_lo
	s_and_b32 s25, s48, exec_lo
	s_delay_alu instid0(SALU_CYCLE_1)
	s_or_b32 s24, s24, s25
	s_wait_alu 0xfffe
	s_and_not1_b32 exec_lo, exec_lo, s14
	s_cbranch_execz .LBB76_96
.LBB76_92:                              ;   Parent Loop BB76_11 Depth=1
                                        ; =>  This Inner Loop Header: Depth=2
	s_mov_b32 s25, exec_lo
	s_delay_alu instid0(VALU_DEP_1)
	v_cmpx_gt_u64_e64 s[6:7], v[8:9]
	s_cbranch_execz .LBB76_90
; %bb.93:                               ;   in Loop: Header=BB76_92 Depth=2
	ds_load_u8 v10, v2
	s_wait_dscnt 0x0
	v_and_b32_e32 v11, v10, v39
	s_delay_alu instid0(VALU_DEP_1) | instskip(NEXT) | instid1(VALU_DEP_1)
	v_and_b32_e32 v11, 0xff, v11
	v_cmp_eq_u32_e32 vcc_lo, v11, v20
	s_and_b32 exec_lo, exec_lo, vcc_lo
	s_cbranch_execz .LBB76_90
; %bb.94:                               ;   in Loop: Header=BB76_92 Depth=2
	v_lshlrev_b16 v10, 8, v10
	s_delay_alu instid0(VALU_DEP_1)
	v_or_b32_e32 v10, 1, v10
	ds_store_b16 v3, v10 offset:3072
	s_branch .LBB76_90
.LBB76_95:                              ;   in Loop: Header=BB76_92 Depth=2
	v_add_co_u32 v8, vcc_lo, v8, s38
	s_wait_alu 0xfffd
	v_add_co_ci_u32_e64 v9, null, 0, v9, vcc_lo
	v_add_nc_u32_e32 v2, s38, v2
	s_mov_b32 s48, 0
	s_delay_alu instid0(VALU_DEP_2)
	v_cmp_le_u64_e32 vcc_lo, s[12:13], v[8:9]
	s_or_not1_b32 s25, vcc_lo, exec_lo
	s_branch .LBB76_91
.LBB76_96:                              ;   in Loop: Header=BB76_11 Depth=1
	s_or_b32 exec_lo, exec_lo, s14
	v_and_b32_e32 v2, 0xffff, v10
	s_and_b32 s14, s24, exec_lo
	s_delay_alu instid0(VALU_DEP_1)
	v_lshrrev_b32_e32 v40, 8, v2
.LBB76_97:                              ;   in Loop: Header=BB76_11 Depth=1
	s_or_b32 exec_lo, exec_lo, s23
.LBB76_98:                              ;   in Loop: Header=BB76_11 Depth=1
	s_wait_alu 0xfffe
	s_and_b32 vcc_lo, exec_lo, s15
	s_wait_alu 0xfffe
	s_cbranch_vccz .LBB76_112
; %bb.99:                               ;   in Loop: Header=BB76_11 Depth=1
	s_mov_b32 s6, s49
	s_mov_b32 s7, s53
	s_wait_alu 0xfffe
	s_cmp_lg_u64 s[6:7], 0
	s_cbranch_scc0 .LBB76_143
; %bb.100:                              ;   in Loop: Header=BB76_11 Depth=1
	s_cvt_f32_u32 s6, s38
	s_sub_nc_u64 s[12:13], 0, s[38:39]
	s_wait_alu 0xfffe
	s_delay_alu instid0(SALU_CYCLE_1) | instskip(SKIP_1) | instid1(SALU_CYCLE_2)
	s_fmamk_f32 s6, s86, 0x0, s6
	s_wait_alu 0xfffe
	v_s_rcp_f32 s6, s6
	s_delay_alu instid0(TRANS32_DEP_1) | instskip(SKIP_1) | instid1(SALU_CYCLE_2)
	s_mul_f32 s6, s6, 0x5f7ffffc
	s_wait_alu 0xfffe
	s_mul_f32 s7, s6, 0x2f800000
	s_wait_alu 0xfffe
	s_delay_alu instid0(SALU_CYCLE_2) | instskip(SKIP_1) | instid1(SALU_CYCLE_2)
	s_trunc_f32 s7, s7
	s_wait_alu 0xfffe
	s_fmamk_f32 s6, s7, 0xcf800000, s6
	s_cvt_u32_f32 s7, s7
	s_wait_alu 0xfffe
	s_delay_alu instid0(SALU_CYCLE_1) | instskip(SKIP_1) | instid1(SALU_CYCLE_2)
	s_cvt_u32_f32 s6, s6
	s_wait_alu 0xfffe
	s_mul_u64 s[22:23], s[12:13], s[6:7]
	s_delay_alu instid0(SALU_CYCLE_1)
	s_mul_hi_u32 s25, s6, s23
	s_mul_i32 s24, s6, s23
	s_mul_hi_u32 s48, s6, s22
	s_mul_i32 s21, s7, s22
	s_wait_alu 0xfffe
	s_add_nc_u64 s[24:25], s[48:49], s[24:25]
	s_mul_hi_u32 s15, s7, s22
	s_mul_hi_u32 s58, s7, s23
	s_add_co_u32 s21, s24, s21
	s_wait_alu 0xfffe
	s_add_co_ci_u32 s48, s25, s15
	s_mul_i32 s22, s7, s23
	s_add_co_ci_u32 s23, s58, 0
	s_wait_alu 0xfffe
	s_add_nc_u64 s[22:23], s[48:49], s[22:23]
	s_delay_alu instid0(SALU_CYCLE_1)
	s_add_co_u32 s6, s6, s22
	s_cselect_b32 s15, -1, 0
	s_wait_alu 0xfffe
	s_cmp_lg_u32 s15, 0
	s_add_co_ci_u32 s7, s7, s23
	s_wait_alu 0xfffe
	s_mul_u64 s[12:13], s[12:13], s[6:7]
	s_wait_alu 0xfffe
	s_mul_hi_u32 s23, s6, s13
	s_mul_i32 s22, s6, s13
	s_mul_hi_u32 s48, s6, s12
	s_mul_i32 s21, s7, s12
	s_wait_alu 0xfffe
	s_add_nc_u64 s[22:23], s[48:49], s[22:23]
	s_mul_hi_u32 s15, s7, s12
	s_mul_hi_u32 s24, s7, s13
	s_mul_i32 s12, s7, s13
	s_add_co_u32 s13, s22, s21
	s_wait_alu 0xfffe
	s_add_co_ci_u32 s48, s23, s15
	s_add_co_ci_u32 s13, s24, 0
	s_wait_alu 0xfffe
	s_add_nc_u64 s[12:13], s[48:49], s[12:13]
	s_wait_alu 0xfffe
	s_add_co_u32 s6, s6, s12
	s_cselect_b32 s12, -1, 0
	s_wait_alu 0xfffe
	s_mul_hi_u32 s48, s52, s6
	s_cmp_lg_u32 s12, 0
	s_mul_hi_u32 s15, s53, s6
	s_add_co_ci_u32 s12, s7, s13
	s_mul_i32 s13, s53, s6
	s_wait_alu 0xfffe
	s_mul_hi_u32 s7, s52, s12
	s_mul_i32 s6, s52, s12
	s_mul_hi_u32 s21, s53, s12
	s_wait_alu 0xfffe
	s_add_nc_u64 s[6:7], s[48:49], s[6:7]
	s_mul_i32 s12, s53, s12
	s_wait_alu 0xfffe
	s_add_co_u32 s6, s6, s13
	s_add_co_ci_u32 s48, s7, s15
	s_add_co_ci_u32 s13, s21, 0
	s_wait_alu 0xfffe
	s_add_nc_u64 s[6:7], s[48:49], s[12:13]
	s_wait_alu 0xfffe
	s_mul_u64 s[6:7], s[38:39], s[6:7]
	s_wait_alu 0xfffe
	s_sub_co_u32 s6, s52, s6
	s_cselect_b32 s12, -1, 0
	s_wait_alu 0xfffe
	s_cmp_lg_u32 s12, 0
	s_sub_co_ci_u32 s7, s53, s7
	s_sub_co_u32 s12, s6, s38
	s_cselect_b32 s13, -1, 0
	s_wait_alu 0xfffe
	s_cmp_lg_u32 s13, 0
	s_sub_co_ci_u32 s13, s7, 0
	;; [unrolled: 5-line block ×3, first 2 shown]
	s_cmp_ge_u32 s12, s38
	s_cselect_b32 s22, -1, 0
	s_cmp_eq_u32 s13, 0
	s_cselect_b32 s22, s22, -1
	s_delay_alu instid0(SALU_CYCLE_1)
	s_cmp_lg_u32 s22, 0
	s_wait_alu 0xfffe
	s_cselect_b32 s13, s21, s13
	s_cselect_b32 s12, s15, s12
	s_cmp_ge_u32 s6, s38
	s_cselect_b32 s15, -1, 0
	s_cmp_eq_u32 s7, 0
	s_wait_alu 0xfffe
	s_cselect_b32 s15, s15, -1
	s_wait_alu 0xfffe
	s_cmp_lg_u32 s15, 0
	s_cselect_b32 s7, s13, s7
	s_cselect_b32 s6, s12, s6
	s_cbranch_execnz .LBB76_102
.LBB76_101:                             ;   in Loop: Header=BB76_11 Depth=1
	v_cvt_f32_u32_e32 v2, s38
	s_sub_co_i32 s7, 0, s38
	s_delay_alu instid0(VALU_DEP_1) | instskip(NEXT) | instid1(TRANS32_DEP_1)
	v_rcp_iflag_f32_e32 v2, v2
	v_mul_f32_e32 v2, 0x4f7ffffe, v2
	s_delay_alu instid0(VALU_DEP_1) | instskip(NEXT) | instid1(VALU_DEP_1)
	v_cvt_u32_f32_e32 v2, v2
	v_readfirstlane_b32 s6, v2
	s_wait_alu 0xfffe
	s_mul_i32 s7, s7, s6
	s_wait_alu 0xfffe
	s_mul_hi_u32 s7, s6, s7
	s_wait_alu 0xfffe
	s_add_co_i32 s6, s6, s7
	s_wait_alu 0xfffe
	s_mul_hi_u32 s6, s52, s6
	s_wait_alu 0xfffe
	s_mul_i32 s6, s6, s38
	s_wait_alu 0xfffe
	s_sub_co_i32 s6, s52, s6
	s_wait_alu 0xfffe
	s_sub_co_i32 s7, s6, s38
	s_cmp_ge_u32 s6, s38
	s_wait_alu 0xfffe
	s_cselect_b32 s6, s7, s6
	s_wait_alu 0xfffe
	s_sub_co_i32 s7, s6, s38
	s_cmp_ge_u32 s6, s38
	s_wait_alu 0xfffe
	s_cselect_b32 s48, s7, s6
	s_wait_alu 0xfffe
	s_mov_b64 s[6:7], s[48:49]
.LBB76_102:                             ;   in Loop: Header=BB76_11 Depth=1
	s_wait_alu 0xfffe
	s_sub_nc_u64 s[12:13], s[52:53], s[6:7]
	s_mov_b32 s7, exec_lo
                                        ; implicit-def: $vgpr40
	s_wait_alu 0xfffe
	v_cmpx_gt_u64_e64 s[12:13], v[0:1]
	s_cbranch_execz .LBB76_111
; %bb.103:                              ;   in Loop: Header=BB76_11 Depth=1
	v_dual_mov_b32 v8, v12 :: v_dual_mov_b32 v9, v13
	v_dual_mov_b32 v11, v1 :: v_dual_mov_b32 v10, v0
	s_mov_b32 s21, 0
                                        ; implicit-def: $sgpr15
	s_branch .LBB76_106
.LBB76_104:                             ;   in Loop: Header=BB76_106 Depth=2
	s_wait_alu 0xfffe
	s_or_b32 exec_lo, exec_lo, s6
	s_wait_loadcnt_dscnt 0x0
	s_barrier_signal -1
	s_barrier_wait -1
	global_inv scope:SCOPE_SE
	ds_load_u16 v2, v3 offset:3072
	s_mov_b32 s6, -1
	s_mov_b32 s22, -1
	s_wait_loadcnt_dscnt 0x0
	s_barrier_signal -1
	s_barrier_wait -1
	global_inv scope:SCOPE_SE
	v_and_b32_e32 v28, 0xff, v2
	s_delay_alu instid0(VALU_DEP_1)
	v_cmp_ne_u32_e32 vcc_lo, 0, v28
	s_cbranch_vccz .LBB76_109
.LBB76_105:                             ;   in Loop: Header=BB76_106 Depth=2
	s_wait_alu 0xfffe
	s_and_b32 s6, exec_lo, s6
	s_wait_alu 0xfffe
	s_or_b32 s21, s6, s21
	s_and_not1_b32 s6, s15, exec_lo
	s_and_b32 s15, s22, exec_lo
	s_wait_alu 0xfffe
	s_or_b32 s15, s6, s15
	s_and_not1_b32 exec_lo, exec_lo, s21
	s_cbranch_execz .LBB76_110
.LBB76_106:                             ;   Parent Loop BB76_11 Depth=1
                                        ; =>  This Inner Loop Header: Depth=2
	s_mov_b32 s6, exec_lo
	s_delay_alu instid0(VALU_DEP_1)
	v_cmpx_gt_u64_e64 s[28:29], v[10:11]
	s_cbranch_execz .LBB76_104
; %bb.107:                              ;   in Loop: Header=BB76_106 Depth=2
	global_load_u8 v2, v[8:9], off
	s_wait_loadcnt 0x0
	v_and_b32_e32 v28, v2, v39
	s_delay_alu instid0(VALU_DEP_1) | instskip(NEXT) | instid1(VALU_DEP_1)
	v_and_b32_e32 v28, 0xff, v28
	v_cmp_eq_u32_e32 vcc_lo, v28, v20
	s_and_b32 exec_lo, exec_lo, vcc_lo
	s_cbranch_execz .LBB76_104
; %bb.108:                              ;   in Loop: Header=BB76_106 Depth=2
	v_lshlrev_b16 v2, 8, v2
	s_delay_alu instid0(VALU_DEP_1)
	v_or_b32_e32 v2, 1, v2
	ds_store_b16 v3, v2 offset:3072
	s_branch .LBB76_104
.LBB76_109:                             ;   in Loop: Header=BB76_106 Depth=2
	v_add_co_u32 v10, vcc_lo, v10, s38
	s_wait_alu 0xfffd
	v_add_co_ci_u32_e64 v11, null, 0, v11, vcc_lo
	v_add_co_u32 v8, s6, v8, s44
	s_wait_alu 0xf1fe
	v_add_co_ci_u32_e64 v9, null, s45, v9, s6
	s_delay_alu instid0(VALU_DEP_3)
	v_cmp_le_u64_e32 vcc_lo, s[12:13], v[10:11]
	s_mov_b32 s22, 0
	s_or_not1_b32 s6, vcc_lo, exec_lo
	s_branch .LBB76_105
.LBB76_110:                             ;   in Loop: Header=BB76_11 Depth=1
	s_or_b32 exec_lo, exec_lo, s21
	v_and_b32_e32 v2, 0xffff, v2
	s_and_not1_b32 s6, s14, exec_lo
	s_wait_alu 0xfffe
	s_and_b32 s12, s15, exec_lo
	s_wait_alu 0xfffe
	s_or_b32 s14, s6, s12
	v_lshrrev_b32_e32 v40, 8, v2
.LBB76_111:                             ;   in Loop: Header=BB76_11 Depth=1
	s_or_b32 exec_lo, exec_lo, s7
	s_mov_b32 s21, 0
	s_mov_b32 s22, -1
.LBB76_112:                             ;   in Loop: Header=BB76_11 Depth=1
	s_wait_alu 0xfffe
	s_or_not1_b32 s6, s14, exec_lo
.LBB76_113:                             ;   in Loop: Header=BB76_11 Depth=1
	s_wait_alu 0xfffe
	s_or_b32 exec_lo, exec_lo, s17
	s_delay_alu instid0(SALU_CYCLE_1)
	s_and_not1_b32 s7, s92, exec_lo
	s_and_b32 s12, s22, exec_lo
	s_and_not1_b32 s13, s90, exec_lo
	s_and_b32 s14, s21, exec_lo
	s_and_not1_b32 s89, s89, exec_lo
	s_wait_alu 0xfffe
	s_or_b32 s92, s7, s12
	s_or_b32 s90, s13, s14
                                        ; implicit-def: $vgpr8_vgpr9
	s_and_saveexec_b32 s17, s6
	s_cbranch_execz .LBB76_10
; %bb.114:                              ;   in Loop: Header=BB76_11 Depth=1
	v_mov_b32_e32 v8, 1
	v_dual_mov_b32 v9, 0 :: v_dual_mov_b32 v2, 1
	s_xor_b32 s12, s19, -1
	s_mov_b32 s7, 0
	s_wait_alu 0xfffe
	s_and_saveexec_b32 s6, s12
	s_cbranch_execz .LBB76_123
; %bb.115:                              ;   in Loop: Header=BB76_11 Depth=1
	s_mov_b32 s7, exec_lo
	v_cmpx_le_u64_e64 v[26:27], v[4:5]
	s_wait_alu 0xfffe
	s_xor_b32 s7, exec_lo, s7
	s_cbranch_execz .LBB76_120
; %bb.116:                              ;   in Loop: Header=BB76_11 Depth=1
	ds_load_b64 v[8:9], v3 offset:5120
	v_and_b32_e32 v20, s20, v20
	v_or_b32_e32 v39, s16, v39
	s_wait_dscnt 0x0
	v_cmp_ne_u64_e32 vcc_lo, 0, v[8:9]
	s_cbranch_vccnz .LBB76_120
; %bb.117:                              ;   in Loop: Header=BB76_11 Depth=1
	s_and_saveexec_b32 s12, s2
; %bb.118:                              ;   in Loop: Header=BB76_11 Depth=1
	ds_store_b64 v3, v[4:5] offset:5128
; %bb.119:                              ;   in Loop: Header=BB76_11 Depth=1
	s_wait_alu 0xfffe
	s_or_b32 exec_lo, exec_lo, s12
	s_wait_loadcnt_dscnt 0x0
	s_barrier_signal -1
	s_barrier_wait -1
	global_inv scope:SCOPE_SE
.LBB76_120:                             ;   in Loop: Header=BB76_11 Depth=1
	s_wait_alu 0xfffe
	s_or_saveexec_b32 s7, s7
	v_mov_b32_e32 v2, 8
	s_mov_b32 s12, 0
	s_wait_alu 0xfffe
	s_xor_b32 exec_lo, exec_lo, s7
; %bb.121:                              ;   in Loop: Header=BB76_11 Depth=1
	v_sub_co_u32 v26, vcc_lo, v26, v4
	s_wait_alu 0xfffd
	v_sub_co_ci_u32_e64 v27, null, v27, v5, vcc_lo
	v_mov_b32_e32 v2, 0
	s_mov_b32 s12, exec_lo
; %bb.122:                              ;   in Loop: Header=BB76_11 Depth=1
	s_or_b32 exec_lo, exec_lo, s7
	s_delay_alu instid0(VALU_DEP_2)
	v_dual_mov_b32 v8, v26 :: v_dual_mov_b32 v9, v27
	s_wait_alu 0xfffe
	s_and_b32 s7, s12, exec_lo
.LBB76_123:                             ;   in Loop: Header=BB76_11 Depth=1
	s_wait_alu 0xfffe
	s_or_b32 exec_lo, exec_lo, s6
	s_mov_b32 s18, -1
	s_mov_b32 s6, -1
                                        ; implicit-def: $sgpr21
                                        ; implicit-def: $sgpr22
	s_and_saveexec_b32 s12, s7
	s_wait_alu 0xfffe
	s_xor_b32 s19, exec_lo, s12
	s_cbranch_execz .LBB76_268
; %bb.124:                              ;   in Loop: Header=BB76_11 Depth=1
	v_cmp_eq_u64_e32 vcc_lo, 1, v[6:7]
	v_cmp_eq_u64_e64 s6, 1, v[8:9]
                                        ; implicit-def: $sgpr22
                                        ; implicit-def: $sgpr21
	s_and_b32 s24, vcc_lo, s6
	s_mov_b32 s6, -1
	s_and_saveexec_b32 s23, s24
	s_cbranch_execz .LBB76_161
; %bb.125:                              ;   in Loop: Header=BB76_11 Depth=1
	ds_load_b64 v[4:5], v3 offset:5120
	s_wait_loadcnt_dscnt 0x0
	s_barrier_signal -1
	s_barrier_wait -1
	global_inv scope:SCOPE_SE
	v_readfirstlane_b32 s6, v4
	v_readfirstlane_b32 s7, v5
	s_and_saveexec_b32 s12, s3
; %bb.126:                              ;   in Loop: Header=BB76_11 Depth=1
	ds_store_b8 v0, v3 offset:3072
; %bb.127:                              ;   in Loop: Header=BB76_11 Depth=1
	s_wait_alu 0xfffe
	s_or_b32 exec_lo, exec_lo, s12
	s_lshl_b32 s12, 1, s84
	v_or_b32_e32 v39, s16, v39
	s_wait_alu 0xfffe
	v_and_or_b32 v20, v20, s20, s12
	s_mov_b32 s21, -1
	s_mov_b32 s22, 0
	s_cmp_eq_u64 s[6:7], 0
	s_mov_b32 s14, 0
	s_mov_b32 s15, -1
	s_wait_loadcnt_dscnt 0x0
	s_barrier_signal -1
	s_barrier_wait -1
	global_inv scope:SCOPE_SE
                                        ; implicit-def: $vgpr40
	s_cbranch_scc1 .LBB76_146
; %bb.128:                              ;   in Loop: Header=BB76_11 Depth=1
	s_add_nc_u64 s[12:13], s[6:7], s[50:51]
	s_mov_b32 s14, s49
	s_wait_alu 0xfffe
	s_mov_b32 s15, s13
	s_wait_alu 0xfffe
	s_cmp_lg_u64 s[14:15], 0
	s_cbranch_scc0 .LBB76_188
; %bb.129:                              ;   in Loop: Header=BB76_11 Depth=1
	s_cvt_f32_u32 s14, s38
	s_sub_nc_u64 s[58:59], 0, s[38:39]
	s_wait_alu 0xfffe
	s_delay_alu instid0(SALU_CYCLE_1) | instskip(SKIP_1) | instid1(SALU_CYCLE_2)
	s_fmamk_f32 s14, s86, 0x0, s14
	s_wait_alu 0xfffe
	v_s_rcp_f32 s14, s14
	s_delay_alu instid0(TRANS32_DEP_1) | instskip(SKIP_1) | instid1(SALU_CYCLE_2)
	s_mul_f32 s14, s14, 0x5f7ffffc
	s_wait_alu 0xfffe
	s_mul_f32 s15, s14, 0x2f800000
	s_wait_alu 0xfffe
	s_delay_alu instid0(SALU_CYCLE_2) | instskip(SKIP_1) | instid1(SALU_CYCLE_2)
	s_trunc_f32 s15, s15
	s_wait_alu 0xfffe
	s_fmamk_f32 s14, s15, 0xcf800000, s14
	s_cvt_u32_f32 s15, s15
	s_wait_alu 0xfffe
	s_delay_alu instid0(SALU_CYCLE_1) | instskip(SKIP_1) | instid1(SALU_CYCLE_2)
	s_cvt_u32_f32 s14, s14
	s_wait_alu 0xfffe
	s_mul_u64 s[60:61], s[58:59], s[14:15]
	s_wait_alu 0xfffe
	s_mul_hi_u32 s63, s14, s61
	s_mul_i32 s62, s14, s61
	s_mul_hi_u32 s48, s14, s60
	s_mul_i32 s64, s15, s60
	s_wait_alu 0xfffe
	s_add_nc_u64 s[62:63], s[48:49], s[62:63]
	s_mul_hi_u32 s25, s15, s60
	s_mul_hi_u32 s65, s15, s61
	s_wait_alu 0xfffe
	s_add_co_u32 s48, s62, s64
	s_add_co_ci_u32 s48, s63, s25
	s_mul_i32 s60, s15, s61
	s_add_co_ci_u32 s61, s65, 0
	s_wait_alu 0xfffe
	s_add_nc_u64 s[60:61], s[48:49], s[60:61]
	s_wait_alu 0xfffe
	s_add_co_u32 s14, s14, s60
	s_cselect_b32 s25, -1, 0
	s_delay_alu instid0(SALU_CYCLE_1)
	s_cmp_lg_u32 s25, 0
	s_add_co_ci_u32 s15, s15, s61
	s_wait_alu 0xfffe
	s_mul_u64 s[58:59], s[58:59], s[14:15]
	s_wait_alu 0xfffe
	s_mul_hi_u32 s61, s14, s59
	s_mul_i32 s60, s14, s59
	s_mul_hi_u32 s48, s14, s58
	s_mul_i32 s62, s15, s58
	s_wait_alu 0xfffe
	s_add_nc_u64 s[60:61], s[48:49], s[60:61]
	s_mul_hi_u32 s25, s15, s58
	s_mul_hi_u32 s63, s15, s59
	s_wait_alu 0xfffe
	s_add_co_u32 s48, s60, s62
	s_add_co_ci_u32 s48, s61, s25
	s_mul_i32 s58, s15, s59
	s_add_co_ci_u32 s59, s63, 0
	s_wait_alu 0xfffe
	s_add_nc_u64 s[58:59], s[48:49], s[58:59]
	s_wait_alu 0xfffe
	s_add_co_u32 s14, s14, s58
	s_cselect_b32 s25, -1, 0
	s_wait_alu 0xfffe
	s_mul_hi_u32 s48, s12, s14
	s_cmp_lg_u32 s25, 0
	s_mul_hi_u32 s25, s13, s14
	s_add_co_ci_u32 s58, s15, s59
	s_mul_i32 s59, s13, s14
	s_wait_alu 0xfffe
	s_mul_hi_u32 s15, s12, s58
	s_mul_i32 s14, s12, s58
	s_mul_hi_u32 s60, s13, s58
	s_wait_alu 0xfffe
	s_add_nc_u64 s[14:15], s[48:49], s[14:15]
	s_mul_i32 s58, s13, s58
	s_wait_alu 0xfffe
	s_add_co_u32 s14, s14, s59
	s_add_co_ci_u32 s48, s15, s25
	s_add_co_ci_u32 s59, s60, 0
	s_wait_alu 0xfffe
	s_add_nc_u64 s[14:15], s[48:49], s[58:59]
	s_wait_alu 0xfffe
	s_mul_u64 s[14:15], s[38:39], s[14:15]
	s_wait_alu 0xfffe
	s_sub_co_u32 s14, s12, s14
	s_cselect_b32 s25, -1, 0
	s_delay_alu instid0(SALU_CYCLE_1)
	s_cmp_lg_u32 s25, 0
	s_sub_co_ci_u32 s15, s13, s15
	s_wait_alu 0xfffe
	s_sub_co_u32 s25, s14, s38
	s_cselect_b32 s48, -1, 0
	s_wait_alu 0xfffe
	s_cmp_lg_u32 s48, 0
	s_sub_co_ci_u32 s48, s15, 0
	s_sub_co_u32 s58, s25, s38
	s_cselect_b32 s59, -1, 0
	s_wait_alu 0xfffe
	s_cmp_lg_u32 s59, 0
	s_sub_co_ci_u32 s59, s48, 0
	s_cmp_ge_u32 s25, s38
	s_cselect_b32 s60, -1, 0
	s_cmp_eq_u32 s48, 0
	s_wait_alu 0xfffe
	s_cselect_b32 s60, s60, -1
	s_wait_alu 0xfffe
	s_cmp_lg_u32 s60, 0
	s_cselect_b32 s48, s59, s48
	s_cselect_b32 s25, s58, s25
	s_cmp_ge_u32 s14, s38
	s_cselect_b32 s58, -1, 0
	s_cmp_eq_u32 s15, 0
	s_wait_alu 0xfffe
	s_cselect_b32 s58, s58, -1
	s_wait_alu 0xfffe
	s_cmp_lg_u32 s58, 0
	s_cselect_b32 s15, s48, s15
	s_cselect_b32 s14, s25, s14
	s_cbranch_execnz .LBB76_131
.LBB76_130:                             ;   in Loop: Header=BB76_11 Depth=1
	v_cvt_f32_u32_e32 v4, s38
	s_sub_co_i32 s15, 0, s38
	s_delay_alu instid0(VALU_DEP_1) | instskip(NEXT) | instid1(TRANS32_DEP_1)
	v_rcp_iflag_f32_e32 v4, v4
	v_mul_f32_e32 v4, 0x4f7ffffe, v4
	s_delay_alu instid0(VALU_DEP_1) | instskip(NEXT) | instid1(VALU_DEP_1)
	v_cvt_u32_f32_e32 v4, v4
	v_readfirstlane_b32 s14, v4
	s_wait_alu 0xfffe
	s_mul_i32 s15, s15, s14
	s_wait_alu 0xfffe
	s_mul_hi_u32 s15, s14, s15
	s_wait_alu 0xfffe
	s_add_co_i32 s14, s14, s15
	s_wait_alu 0xfffe
	s_mul_hi_u32 s14, s12, s14
	s_wait_alu 0xfffe
	s_mul_i32 s14, s14, s38
	s_wait_alu 0xfffe
	s_sub_co_i32 s14, s12, s14
	s_wait_alu 0xfffe
	s_sub_co_i32 s15, s14, s38
	s_cmp_ge_u32 s14, s38
	s_wait_alu 0xfffe
	s_cselect_b32 s14, s15, s14
	s_wait_alu 0xfffe
	s_sub_co_i32 s15, s14, s38
	s_cmp_ge_u32 s14, s38
	s_wait_alu 0xfffe
	s_cselect_b32 s48, s15, s14
	s_wait_alu 0xfffe
	s_mov_b64 s[14:15], s[48:49]
.LBB76_131:                             ;   in Loop: Header=BB76_11 Depth=1
	s_wait_alu 0xfffe
	s_sub_nc_u64 s[12:13], s[12:13], s[14:15]
	s_mov_b32 s15, 0
	s_mov_b32 s14, 0
	s_mov_b32 s25, exec_lo
                                        ; implicit-def: $vgpr40
	s_wait_alu 0xfffe
	v_cmpx_gt_u64_e64 s[12:13], v[0:1]
	s_cbranch_execz .LBB76_145
; %bb.132:                              ;   in Loop: Header=BB76_11 Depth=1
	v_dual_mov_b32 v10, v0 :: v_dual_mov_b32 v5, v1
	v_mov_b32_e32 v4, v0
                                        ; implicit-def: $sgpr48
	s_branch .LBB76_135
.LBB76_133:                             ;   in Loop: Header=BB76_135 Depth=2
	s_wait_alu 0xfffe
	s_or_b32 exec_lo, exec_lo, s58
	s_wait_loadcnt_dscnt 0x0
	s_barrier_signal -1
	s_barrier_wait -1
	global_inv scope:SCOPE_SE
	ds_load_u16 v11, v3 offset:3072
	s_mov_b32 s58, -1
	s_mov_b32 s59, -1
	s_wait_loadcnt_dscnt 0x0
	s_barrier_signal -1
	s_barrier_wait -1
	global_inv scope:SCOPE_SE
	v_and_b32_e32 v26, 0xff, v11
	s_delay_alu instid0(VALU_DEP_1)
	v_cmp_ne_u32_e32 vcc_lo, 0, v26
	s_cbranch_vccz .LBB76_138
.LBB76_134:                             ;   in Loop: Header=BB76_135 Depth=2
	s_wait_alu 0xfffe
	s_and_b32 s58, exec_lo, s58
	s_wait_alu 0xfffe
	s_or_b32 s14, s58, s14
	s_and_not1_b32 s48, s48, exec_lo
	s_and_b32 s58, s59, exec_lo
	s_wait_alu 0xfffe
	s_or_b32 s48, s48, s58
	s_and_not1_b32 exec_lo, exec_lo, s14
	s_cbranch_execz .LBB76_144
.LBB76_135:                             ;   Parent Loop BB76_11 Depth=1
                                        ; =>  This Inner Loop Header: Depth=2
	s_mov_b32 s58, exec_lo
	s_delay_alu instid0(VALU_DEP_1)
	v_cmpx_gt_u64_e64 s[6:7], v[4:5]
	s_cbranch_execz .LBB76_133
; %bb.136:                              ;   in Loop: Header=BB76_135 Depth=2
	ds_load_u8 v11, v10
	s_wait_dscnt 0x0
	v_and_b32_e32 v26, v11, v39
	s_delay_alu instid0(VALU_DEP_1) | instskip(NEXT) | instid1(VALU_DEP_1)
	v_and_b32_e32 v26, 0xff, v26
	v_cmp_eq_u32_e32 vcc_lo, v26, v20
	s_and_b32 exec_lo, exec_lo, vcc_lo
	s_cbranch_execz .LBB76_133
; %bb.137:                              ;   in Loop: Header=BB76_135 Depth=2
	v_lshlrev_b16 v11, 8, v11
	s_delay_alu instid0(VALU_DEP_1)
	v_or_b32_e32 v11, 1, v11
	ds_store_b16 v3, v11 offset:3072
	s_branch .LBB76_133
.LBB76_138:                             ;   in Loop: Header=BB76_135 Depth=2
	v_add_co_u32 v4, vcc_lo, v4, s38
	s_wait_alu 0xfffd
	v_add_co_ci_u32_e64 v5, null, 0, v5, vcc_lo
	v_add_nc_u32_e32 v10, s38, v10
	s_mov_b32 s59, 0
	s_delay_alu instid0(VALU_DEP_2)
	v_cmp_le_u64_e32 vcc_lo, s[12:13], v[4:5]
	s_or_not1_b32 s58, vcc_lo, exec_lo
	s_branch .LBB76_134
.LBB76_139:                             ;   in Loop: Header=BB76_11 Depth=1
                                        ; implicit-def: $sgpr14_sgpr15
	s_branch .LBB76_87
.LBB76_140:                             ;   in Loop: Header=BB76_11 Depth=1
	s_or_b32 exec_lo, exec_lo, s9
	s_wait_dscnt 0x0
	s_barrier_signal -1
	s_barrier_wait -1
	global_inv scope:SCOPE_SE
	s_and_saveexec_b32 s6, s2
	s_cbranch_execz .LBB76_142
; %bb.141:                              ;   in Loop: Header=BB76_11 Depth=1
	ds_load_b32 v4, v3 offset:5144
	s_wait_dscnt 0x0
	v_ashrrev_i32_e32 v5, 31, v4
	ds_store_b64 v3, v[4:5] offset:5120
.LBB76_142:                             ;   in Loop: Header=BB76_11 Depth=1
	s_wait_alu 0xfffe
	s_or_b32 exec_lo, exec_lo, s6
	s_wait_loadcnt_dscnt 0x0
	s_barrier_signal -1
	s_mov_b32 s6, -1
	s_barrier_wait -1
	s_and_b32 vcc_lo, exec_lo, s8
	s_wait_alu 0xfffe
	s_cbranch_vccnz .LBB76_26
	s_branch .LBB76_41
.LBB76_143:                             ;   in Loop: Header=BB76_11 Depth=1
                                        ; implicit-def: $sgpr6_sgpr7
	s_branch .LBB76_101
.LBB76_144:                             ;   in Loop: Header=BB76_11 Depth=1
	s_or_b32 exec_lo, exec_lo, s14
	v_and_b32_e32 v4, 0xffff, v11
	s_wait_alu 0xfffe
	s_and_b32 s14, s48, exec_lo
	s_delay_alu instid0(VALU_DEP_1)
	v_lshrrev_b32_e32 v40, 8, v4
.LBB76_145:                             ;   in Loop: Header=BB76_11 Depth=1
	s_or_b32 exec_lo, exec_lo, s25
.LBB76_146:                             ;   in Loop: Header=BB76_11 Depth=1
	s_wait_alu 0xfffe
	s_and_b32 vcc_lo, exec_lo, s15
	s_wait_alu 0xfffe
	s_cbranch_vccz .LBB76_160
; %bb.147:                              ;   in Loop: Header=BB76_11 Depth=1
	s_mov_b32 s6, s49
	s_mov_b32 s7, s53
	s_wait_alu 0xfffe
	s_cmp_lg_u64 s[6:7], 0
	s_cbranch_scc0 .LBB76_189
; %bb.148:                              ;   in Loop: Header=BB76_11 Depth=1
	s_cvt_f32_u32 s6, s38
	s_sub_nc_u64 s[12:13], 0, s[38:39]
	s_wait_alu 0xfffe
	s_delay_alu instid0(SALU_CYCLE_1) | instskip(SKIP_1) | instid1(SALU_CYCLE_2)
	s_fmamk_f32 s6, s86, 0x0, s6
	s_wait_alu 0xfffe
	v_s_rcp_f32 s6, s6
	s_delay_alu instid0(TRANS32_DEP_1) | instskip(SKIP_1) | instid1(SALU_CYCLE_2)
	s_mul_f32 s6, s6, 0x5f7ffffc
	s_wait_alu 0xfffe
	s_mul_f32 s7, s6, 0x2f800000
	s_wait_alu 0xfffe
	s_delay_alu instid0(SALU_CYCLE_2) | instskip(SKIP_1) | instid1(SALU_CYCLE_2)
	s_trunc_f32 s7, s7
	s_wait_alu 0xfffe
	s_fmamk_f32 s6, s7, 0xcf800000, s6
	s_cvt_u32_f32 s7, s7
	s_wait_alu 0xfffe
	s_delay_alu instid0(SALU_CYCLE_1) | instskip(SKIP_1) | instid1(SALU_CYCLE_2)
	s_cvt_u32_f32 s6, s6
	s_wait_alu 0xfffe
	s_mul_u64 s[58:59], s[12:13], s[6:7]
	s_wait_alu 0xfffe
	s_mul_hi_u32 s61, s6, s59
	s_mul_i32 s60, s6, s59
	s_mul_hi_u32 s48, s6, s58
	s_mul_i32 s21, s7, s58
	s_wait_alu 0xfffe
	s_add_nc_u64 s[60:61], s[48:49], s[60:61]
	s_mul_hi_u32 s15, s7, s58
	s_mul_hi_u32 s22, s7, s59
	s_wait_alu 0xfffe
	s_add_co_u32 s21, s60, s21
	s_add_co_ci_u32 s48, s61, s15
	s_mul_i32 s58, s7, s59
	s_add_co_ci_u32 s59, s22, 0
	s_wait_alu 0xfffe
	s_add_nc_u64 s[58:59], s[48:49], s[58:59]
	s_wait_alu 0xfffe
	s_add_co_u32 s6, s6, s58
	s_cselect_b32 s15, -1, 0
	s_wait_alu 0xfffe
	s_cmp_lg_u32 s15, 0
	s_add_co_ci_u32 s7, s7, s59
	s_wait_alu 0xfffe
	s_mul_u64 s[12:13], s[12:13], s[6:7]
	s_wait_alu 0xfffe
	s_mul_hi_u32 s59, s6, s13
	s_mul_i32 s58, s6, s13
	s_mul_hi_u32 s48, s6, s12
	s_mul_i32 s21, s7, s12
	s_wait_alu 0xfffe
	s_add_nc_u64 s[58:59], s[48:49], s[58:59]
	s_mul_hi_u32 s15, s7, s12
	s_mul_hi_u32 s22, s7, s13
	s_mul_i32 s12, s7, s13
	s_wait_alu 0xfffe
	s_add_co_u32 s13, s58, s21
	s_add_co_ci_u32 s48, s59, s15
	s_add_co_ci_u32 s13, s22, 0
	s_wait_alu 0xfffe
	s_add_nc_u64 s[12:13], s[48:49], s[12:13]
	s_wait_alu 0xfffe
	s_add_co_u32 s6, s6, s12
	s_cselect_b32 s12, -1, 0
	s_wait_alu 0xfffe
	s_mul_hi_u32 s48, s52, s6
	s_cmp_lg_u32 s12, 0
	s_mul_hi_u32 s15, s53, s6
	s_add_co_ci_u32 s12, s7, s13
	s_mul_i32 s13, s53, s6
	s_wait_alu 0xfffe
	s_mul_hi_u32 s7, s52, s12
	s_mul_i32 s6, s52, s12
	s_mul_hi_u32 s21, s53, s12
	s_wait_alu 0xfffe
	s_add_nc_u64 s[6:7], s[48:49], s[6:7]
	s_mul_i32 s12, s53, s12
	s_wait_alu 0xfffe
	s_add_co_u32 s6, s6, s13
	s_add_co_ci_u32 s48, s7, s15
	s_add_co_ci_u32 s13, s21, 0
	s_wait_alu 0xfffe
	s_add_nc_u64 s[6:7], s[48:49], s[12:13]
	s_wait_alu 0xfffe
	s_mul_u64 s[6:7], s[38:39], s[6:7]
	s_wait_alu 0xfffe
	s_sub_co_u32 s6, s52, s6
	s_cselect_b32 s12, -1, 0
	s_wait_alu 0xfffe
	s_cmp_lg_u32 s12, 0
	s_sub_co_ci_u32 s7, s53, s7
	s_sub_co_u32 s12, s6, s38
	s_cselect_b32 s13, -1, 0
	s_wait_alu 0xfffe
	s_cmp_lg_u32 s13, 0
	s_sub_co_ci_u32 s13, s7, 0
	s_sub_co_u32 s15, s12, s38
	s_cselect_b32 s21, -1, 0
	s_wait_alu 0xfffe
	s_cmp_lg_u32 s21, 0
	s_sub_co_ci_u32 s21, s13, 0
	s_cmp_ge_u32 s12, s38
	s_cselect_b32 s22, -1, 0
	s_cmp_eq_u32 s13, 0
	s_cselect_b32 s22, s22, -1
	s_delay_alu instid0(SALU_CYCLE_1)
	s_cmp_lg_u32 s22, 0
	s_wait_alu 0xfffe
	s_cselect_b32 s13, s21, s13
	s_cselect_b32 s12, s15, s12
	s_cmp_ge_u32 s6, s38
	s_cselect_b32 s15, -1, 0
	s_cmp_eq_u32 s7, 0
	s_wait_alu 0xfffe
	s_cselect_b32 s15, s15, -1
	s_wait_alu 0xfffe
	s_cmp_lg_u32 s15, 0
	s_cselect_b32 s7, s13, s7
	s_cselect_b32 s6, s12, s6
	s_cbranch_execnz .LBB76_150
.LBB76_149:                             ;   in Loop: Header=BB76_11 Depth=1
	v_cvt_f32_u32_e32 v4, s38
	s_sub_co_i32 s7, 0, s38
	s_delay_alu instid0(VALU_DEP_1) | instskip(NEXT) | instid1(TRANS32_DEP_1)
	v_rcp_iflag_f32_e32 v4, v4
	v_mul_f32_e32 v4, 0x4f7ffffe, v4
	s_delay_alu instid0(VALU_DEP_1) | instskip(NEXT) | instid1(VALU_DEP_1)
	v_cvt_u32_f32_e32 v4, v4
	v_readfirstlane_b32 s6, v4
	s_wait_alu 0xfffe
	s_mul_i32 s7, s7, s6
	s_wait_alu 0xfffe
	s_mul_hi_u32 s7, s6, s7
	s_wait_alu 0xfffe
	s_add_co_i32 s6, s6, s7
	s_wait_alu 0xfffe
	s_mul_hi_u32 s6, s52, s6
	s_wait_alu 0xfffe
	s_mul_i32 s6, s6, s38
	s_wait_alu 0xfffe
	s_sub_co_i32 s6, s52, s6
	s_wait_alu 0xfffe
	s_sub_co_i32 s7, s6, s38
	s_cmp_ge_u32 s6, s38
	s_wait_alu 0xfffe
	s_cselect_b32 s6, s7, s6
	s_wait_alu 0xfffe
	s_sub_co_i32 s7, s6, s38
	s_cmp_ge_u32 s6, s38
	s_wait_alu 0xfffe
	s_cselect_b32 s48, s7, s6
	s_wait_alu 0xfffe
	s_mov_b64 s[6:7], s[48:49]
.LBB76_150:                             ;   in Loop: Header=BB76_11 Depth=1
	s_wait_alu 0xfffe
	s_sub_nc_u64 s[12:13], s[52:53], s[6:7]
	s_mov_b32 s7, exec_lo
                                        ; implicit-def: $vgpr40
	s_wait_alu 0xfffe
	v_cmpx_gt_u64_e64 s[12:13], v[0:1]
	s_cbranch_execz .LBB76_159
; %bb.151:                              ;   in Loop: Header=BB76_11 Depth=1
	v_dual_mov_b32 v4, v12 :: v_dual_mov_b32 v5, v13
	v_dual_mov_b32 v11, v1 :: v_dual_mov_b32 v10, v0
	s_mov_b32 s15, 0
                                        ; implicit-def: $sgpr21
	s_branch .LBB76_154
.LBB76_152:                             ;   in Loop: Header=BB76_154 Depth=2
	s_wait_alu 0xfffe
	s_or_b32 exec_lo, exec_lo, s6
	s_wait_loadcnt_dscnt 0x0
	s_barrier_signal -1
	s_barrier_wait -1
	global_inv scope:SCOPE_SE
	ds_load_u16 v26, v3 offset:3072
	s_mov_b32 s6, -1
	s_mov_b32 s22, -1
	s_wait_loadcnt_dscnt 0x0
	s_barrier_signal -1
	s_barrier_wait -1
	global_inv scope:SCOPE_SE
	v_and_b32_e32 v27, 0xff, v26
	s_delay_alu instid0(VALU_DEP_1)
	v_cmp_eq_u32_e32 vcc_lo, 0, v27
	s_cbranch_vccnz .LBB76_157
.LBB76_153:                             ;   in Loop: Header=BB76_154 Depth=2
	s_wait_alu 0xfffe
	s_and_b32 s6, exec_lo, s6
	s_wait_alu 0xfffe
	s_or_b32 s15, s6, s15
	s_and_not1_b32 s6, s21, exec_lo
	s_and_b32 s21, s22, exec_lo
	s_wait_alu 0xfffe
	s_or_b32 s21, s6, s21
	s_and_not1_b32 exec_lo, exec_lo, s15
	s_cbranch_execz .LBB76_158
.LBB76_154:                             ;   Parent Loop BB76_11 Depth=1
                                        ; =>  This Inner Loop Header: Depth=2
	s_mov_b32 s6, exec_lo
	s_delay_alu instid0(VALU_DEP_1)
	v_cmpx_gt_u64_e64 s[28:29], v[10:11]
	s_cbranch_execz .LBB76_152
; %bb.155:                              ;   in Loop: Header=BB76_154 Depth=2
	global_load_u8 v26, v[4:5], off
	s_wait_loadcnt 0x0
	v_and_b32_e32 v27, v26, v39
	s_delay_alu instid0(VALU_DEP_1) | instskip(NEXT) | instid1(VALU_DEP_1)
	v_and_b32_e32 v27, 0xff, v27
	v_cmp_eq_u32_e32 vcc_lo, v27, v20
	s_and_b32 exec_lo, exec_lo, vcc_lo
	s_cbranch_execz .LBB76_152
; %bb.156:                              ;   in Loop: Header=BB76_154 Depth=2
	v_lshlrev_b16 v26, 8, v26
	s_delay_alu instid0(VALU_DEP_1)
	v_or_b32_e32 v26, 1, v26
	ds_store_b16 v3, v26 offset:3072
	s_branch .LBB76_152
.LBB76_157:                             ;   in Loop: Header=BB76_154 Depth=2
	v_add_co_u32 v10, vcc_lo, v10, s38
	s_wait_alu 0xfffd
	v_add_co_ci_u32_e64 v11, null, 0, v11, vcc_lo
	v_add_co_u32 v4, s6, v4, s44
	s_wait_alu 0xf1fe
	v_add_co_ci_u32_e64 v5, null, s45, v5, s6
	s_delay_alu instid0(VALU_DEP_3)
	v_cmp_le_u64_e32 vcc_lo, s[12:13], v[10:11]
	s_mov_b32 s22, 0
	s_or_not1_b32 s6, vcc_lo, exec_lo
	s_branch .LBB76_153
.LBB76_158:                             ;   in Loop: Header=BB76_11 Depth=1
	s_or_b32 exec_lo, exec_lo, s15
	v_and_b32_e32 v4, 0xffff, v26
	s_and_not1_b32 s6, s14, exec_lo
	s_wait_alu 0xfffe
	s_and_b32 s12, s21, exec_lo
	s_wait_alu 0xfffe
	s_or_b32 s14, s6, s12
	v_lshrrev_b32_e32 v40, 8, v4
.LBB76_159:                             ;   in Loop: Header=BB76_11 Depth=1
	s_or_b32 exec_lo, exec_lo, s7
	s_mov_b32 s21, 0
	s_mov_b32 s22, -1
.LBB76_160:                             ;   in Loop: Header=BB76_11 Depth=1
	s_wait_alu 0xfffe
	s_or_not1_b32 s6, s14, exec_lo
.LBB76_161:                             ;   in Loop: Header=BB76_11 Depth=1
	s_or_b32 exec_lo, exec_lo, s23
	s_mov_b32 s7, 0
	s_wait_alu 0xfffe
	s_and_saveexec_b32 s23, s6
	s_cbranch_execz .LBB76_267
; %bb.162:                              ;   in Loop: Header=BB76_11 Depth=1
	v_mov_b32_e32 v4, 1
	v_dual_mov_b32 v5, 0 :: v_dual_mov_b32 v2, 1
	s_xor_b32 s12, s24, -1
	s_wait_alu 0xfffe
	s_and_saveexec_b32 s6, s12
	s_cbranch_execz .LBB76_172
; %bb.163:                              ;   in Loop: Header=BB76_11 Depth=1
	s_mov_b32 s7, exec_lo
	v_cmpx_le_u64_e64 v[8:9], v[6:7]
	s_wait_alu 0xfffe
	s_xor_b32 s7, exec_lo, s7
	s_cbranch_execz .LBB76_169
; %bb.164:                              ;   in Loop: Header=BB76_11 Depth=1
	ds_load_b64 v[4:5], v3 offset:5120
	s_lshl_b32 s12, 1, s84
	v_or_b32_e32 v39, s16, v39
	s_wait_alu 0xfffe
	v_and_or_b32 v20, v20, s20, s12
	s_wait_dscnt 0x0
	v_cmp_ne_u64_e32 vcc_lo, 0, v[4:5]
	s_cbranch_vccnz .LBB76_168
; %bb.165:                              ;   in Loop: Header=BB76_11 Depth=1
	s_and_saveexec_b32 s12, s2
; %bb.166:                              ;   in Loop: Header=BB76_11 Depth=1
	ds_store_b64 v3, v[6:7] offset:5128
; %bb.167:                              ;   in Loop: Header=BB76_11 Depth=1
	s_wait_alu 0xfffe
	s_or_b32 exec_lo, exec_lo, s12
	s_wait_loadcnt_dscnt 0x0
	s_barrier_signal -1
	s_barrier_wait -1
	global_inv scope:SCOPE_SE
.LBB76_168:                             ;   in Loop: Header=BB76_11 Depth=1
                                        ; implicit-def: $vgpr4_vgpr5_vgpr6_vgpr7
.LBB76_169:                             ;   in Loop: Header=BB76_11 Depth=1
	s_wait_alu 0xfffe
	s_or_saveexec_b32 s7, s7
	v_mov_b32_e32 v2, 8
	s_mov_b32 s12, 0
	s_wait_alu 0xfffe
	s_xor_b32 exec_lo, exec_lo, s7
; %bb.170:                              ;   in Loop: Header=BB76_11 Depth=1
	v_sub_co_u32 v8, vcc_lo, v8, v6
	s_wait_alu 0xfffd
	v_sub_co_ci_u32_e64 v9, null, v9, v7, vcc_lo
	v_mov_b32_e32 v2, 0
	s_mov_b32 s12, exec_lo
; %bb.171:                              ;   in Loop: Header=BB76_11 Depth=1
	s_or_b32 exec_lo, exec_lo, s7
	s_delay_alu instid0(VALU_DEP_2)
	v_dual_mov_b32 v4, v8 :: v_dual_mov_b32 v5, v9
	s_wait_alu 0xfffe
	s_and_b32 s7, s12, exec_lo
.LBB76_172:                             ;   in Loop: Header=BB76_11 Depth=1
	s_wait_alu 0xfffe
	s_or_b32 exec_lo, exec_lo, s6
	s_mov_b32 s6, -1
                                        ; implicit-def: $sgpr25
                                        ; implicit-def: $sgpr58
	s_and_saveexec_b32 s24, s7
	s_cbranch_execz .LBB76_266
; %bb.173:                              ;   in Loop: Header=BB76_11 Depth=1
	v_cmp_eq_u64_e32 vcc_lo, 1, v[4:5]
	s_cmp_eq_u64 s[10:11], 1
                                        ; implicit-def: $sgpr58
                                        ; implicit-def: $sgpr25
	s_cselect_b32 s6, -1, 0
	s_wait_alu 0xfffe
	s_and_b32 s59, s6, vcc_lo
	s_mov_b32 s6, -1
	s_wait_alu 0xfffe
	s_and_saveexec_b32 s60, s59
	s_cbranch_execz .LBB76_207
; %bb.174:                              ;   in Loop: Header=BB76_11 Depth=1
	ds_load_b64 v[6:7], v3 offset:5120
	s_wait_loadcnt_dscnt 0x0
	s_barrier_signal -1
	s_barrier_wait -1
	global_inv scope:SCOPE_SE
	v_readfirstlane_b32 s6, v6
	v_readfirstlane_b32 s7, v7
	s_and_saveexec_b32 s12, s3
; %bb.175:                              ;   in Loop: Header=BB76_11 Depth=1
	ds_store_b8 v0, v3 offset:3072
; %bb.176:                              ;   in Loop: Header=BB76_11 Depth=1
	s_wait_alu 0xfffe
	s_or_b32 exec_lo, exec_lo, s12
	s_lshl_b32 s12, 2, s84
	v_or_b32_e32 v39, s16, v39
	s_wait_alu 0xfffe
	v_and_or_b32 v20, v20, s20, s12
	s_mov_b32 s25, -1
	s_mov_b32 s58, 0
	s_cmp_eq_u64 s[6:7], 0
	s_mov_b32 s14, 0
	s_mov_b32 s15, -1
	s_wait_loadcnt_dscnt 0x0
	s_barrier_signal -1
	s_barrier_wait -1
	global_inv scope:SCOPE_SE
                                        ; implicit-def: $vgpr40
	s_cbranch_scc1 .LBB76_192
; %bb.177:                              ;   in Loop: Header=BB76_11 Depth=1
	s_add_nc_u64 s[12:13], s[6:7], s[50:51]
	s_mov_b32 s14, s49
	s_wait_alu 0xfffe
	s_mov_b32 s15, s13
	s_wait_alu 0xfffe
	s_cmp_lg_u64 s[14:15], 0
	s_cbranch_scc0 .LBB76_233
; %bb.178:                              ;   in Loop: Header=BB76_11 Depth=1
	s_cvt_f32_u32 s14, s38
	s_sub_nc_u64 s[62:63], 0, s[38:39]
	s_wait_alu 0xfffe
	s_delay_alu instid0(SALU_CYCLE_1) | instskip(SKIP_1) | instid1(SALU_CYCLE_2)
	s_fmamk_f32 s14, s86, 0x0, s14
	s_wait_alu 0xfffe
	v_s_rcp_f32 s14, s14
	s_delay_alu instid0(TRANS32_DEP_1) | instskip(SKIP_1) | instid1(SALU_CYCLE_2)
	s_mul_f32 s14, s14, 0x5f7ffffc
	s_wait_alu 0xfffe
	s_mul_f32 s15, s14, 0x2f800000
	s_wait_alu 0xfffe
	s_delay_alu instid0(SALU_CYCLE_2) | instskip(SKIP_1) | instid1(SALU_CYCLE_2)
	s_trunc_f32 s15, s15
	s_wait_alu 0xfffe
	s_fmamk_f32 s14, s15, 0xcf800000, s14
	s_cvt_u32_f32 s15, s15
	s_wait_alu 0xfffe
	s_delay_alu instid0(SALU_CYCLE_1) | instskip(SKIP_1) | instid1(SALU_CYCLE_2)
	s_cvt_u32_f32 s14, s14
	s_wait_alu 0xfffe
	s_mul_u64 s[64:65], s[62:63], s[14:15]
	s_wait_alu 0xfffe
	s_mul_hi_u32 s67, s14, s65
	s_mul_i32 s66, s14, s65
	s_mul_hi_u32 s48, s14, s64
	s_mul_i32 s68, s15, s64
	s_wait_alu 0xfffe
	s_add_nc_u64 s[66:67], s[48:49], s[66:67]
	s_mul_hi_u32 s61, s15, s64
	s_mul_hi_u32 s69, s15, s65
	s_wait_alu 0xfffe
	s_add_co_u32 s48, s66, s68
	s_add_co_ci_u32 s48, s67, s61
	s_mul_i32 s64, s15, s65
	s_add_co_ci_u32 s65, s69, 0
	s_wait_alu 0xfffe
	s_add_nc_u64 s[64:65], s[48:49], s[64:65]
	s_wait_alu 0xfffe
	s_add_co_u32 s14, s14, s64
	s_cselect_b32 s48, -1, 0
	s_wait_alu 0xfffe
	s_cmp_lg_u32 s48, 0
	s_add_co_ci_u32 s15, s15, s65
	s_wait_alu 0xfffe
	s_mul_u64 s[62:63], s[62:63], s[14:15]
	s_wait_alu 0xfffe
	s_mul_hi_u32 s65, s14, s63
	s_mul_i32 s64, s14, s63
	s_mul_hi_u32 s48, s14, s62
	s_mul_i32 s66, s15, s62
	s_wait_alu 0xfffe
	s_add_nc_u64 s[64:65], s[48:49], s[64:65]
	s_mul_hi_u32 s61, s15, s62
	s_mul_hi_u32 s67, s15, s63
	s_wait_alu 0xfffe
	s_add_co_u32 s48, s64, s66
	s_add_co_ci_u32 s48, s65, s61
	s_mul_i32 s62, s15, s63
	s_add_co_ci_u32 s63, s67, 0
	s_wait_alu 0xfffe
	s_add_nc_u64 s[62:63], s[48:49], s[62:63]
	s_wait_alu 0xfffe
	s_add_co_u32 s14, s14, s62
	s_cselect_b32 s61, -1, 0
	s_wait_alu 0xfffe
	s_mul_hi_u32 s48, s12, s14
	s_cmp_lg_u32 s61, 0
	s_mul_hi_u32 s61, s13, s14
	s_add_co_ci_u32 s62, s15, s63
	s_mul_i32 s63, s13, s14
	s_wait_alu 0xfffe
	s_mul_hi_u32 s15, s12, s62
	s_mul_i32 s14, s12, s62
	s_mul_hi_u32 s64, s13, s62
	s_wait_alu 0xfffe
	s_add_nc_u64 s[14:15], s[48:49], s[14:15]
	s_mul_i32 s62, s13, s62
	s_wait_alu 0xfffe
	s_add_co_u32 s14, s14, s63
	s_add_co_ci_u32 s48, s15, s61
	s_add_co_ci_u32 s63, s64, 0
	s_wait_alu 0xfffe
	s_add_nc_u64 s[14:15], s[48:49], s[62:63]
	s_wait_alu 0xfffe
	s_mul_u64 s[14:15], s[38:39], s[14:15]
	s_wait_alu 0xfffe
	s_sub_co_u32 s14, s12, s14
	s_cselect_b32 s48, -1, 0
	s_wait_alu 0xfffe
	s_cmp_lg_u32 s48, 0
	s_sub_co_ci_u32 s15, s13, s15
	s_sub_co_u32 s48, s14, s38
	s_cselect_b32 s61, -1, 0
	s_wait_alu 0xfffe
	s_cmp_lg_u32 s61, 0
	s_sub_co_ci_u32 s61, s15, 0
	;; [unrolled: 5-line block ×3, first 2 shown]
	s_cmp_ge_u32 s48, s38
	s_cselect_b32 s64, -1, 0
	s_cmp_eq_u32 s61, 0
	s_wait_alu 0xfffe
	s_cselect_b32 s64, s64, -1
	s_wait_alu 0xfffe
	s_cmp_lg_u32 s64, 0
	s_cselect_b32 s61, s63, s61
	s_cselect_b32 s48, s62, s48
	s_cmp_ge_u32 s14, s38
	s_cselect_b32 s62, -1, 0
	s_cmp_eq_u32 s15, 0
	s_wait_alu 0xfffe
	s_cselect_b32 s62, s62, -1
	s_wait_alu 0xfffe
	s_cmp_lg_u32 s62, 0
	s_cselect_b32 s15, s61, s15
	s_cselect_b32 s14, s48, s14
	s_cbranch_execnz .LBB76_180
.LBB76_179:                             ;   in Loop: Header=BB76_11 Depth=1
	v_cvt_f32_u32_e32 v6, s38
	s_sub_co_i32 s15, 0, s38
	s_delay_alu instid0(VALU_DEP_1) | instskip(NEXT) | instid1(TRANS32_DEP_1)
	v_rcp_iflag_f32_e32 v6, v6
	v_mul_f32_e32 v6, 0x4f7ffffe, v6
	s_delay_alu instid0(VALU_DEP_1) | instskip(NEXT) | instid1(VALU_DEP_1)
	v_cvt_u32_f32_e32 v6, v6
	v_readfirstlane_b32 s14, v6
	s_wait_alu 0xfffe
	s_mul_i32 s15, s15, s14
	s_wait_alu 0xfffe
	s_mul_hi_u32 s15, s14, s15
	s_wait_alu 0xfffe
	s_add_co_i32 s14, s14, s15
	s_wait_alu 0xfffe
	s_mul_hi_u32 s14, s12, s14
	s_wait_alu 0xfffe
	s_mul_i32 s14, s14, s38
	s_wait_alu 0xfffe
	s_sub_co_i32 s14, s12, s14
	s_wait_alu 0xfffe
	s_sub_co_i32 s15, s14, s38
	s_cmp_ge_u32 s14, s38
	s_wait_alu 0xfffe
	s_cselect_b32 s14, s15, s14
	s_wait_alu 0xfffe
	s_sub_co_i32 s15, s14, s38
	s_cmp_ge_u32 s14, s38
	s_wait_alu 0xfffe
	s_cselect_b32 s48, s15, s14
	s_wait_alu 0xfffe
	s_mov_b64 s[14:15], s[48:49]
.LBB76_180:                             ;   in Loop: Header=BB76_11 Depth=1
	s_wait_alu 0xfffe
	s_sub_nc_u64 s[12:13], s[12:13], s[14:15]
	s_mov_b32 s15, 0
	s_mov_b32 s14, 0
	s_mov_b32 s48, exec_lo
                                        ; implicit-def: $vgpr40
	s_wait_alu 0xfffe
	v_cmpx_gt_u64_e64 s[12:13], v[0:1]
	s_cbranch_execz .LBB76_191
; %bb.181:                              ;   in Loop: Header=BB76_11 Depth=1
	v_dual_mov_b32 v8, v0 :: v_dual_mov_b32 v7, v1
	v_mov_b32_e32 v6, v0
                                        ; implicit-def: $sgpr61
	s_branch .LBB76_184
.LBB76_182:                             ;   in Loop: Header=BB76_184 Depth=2
	s_wait_alu 0xfffe
	s_or_b32 exec_lo, exec_lo, s62
	s_wait_loadcnt_dscnt 0x0
	s_barrier_signal -1
	s_barrier_wait -1
	global_inv scope:SCOPE_SE
	ds_load_u16 v9, v3 offset:3072
	s_mov_b32 s62, -1
	s_mov_b32 s63, -1
	s_wait_loadcnt_dscnt 0x0
	s_barrier_signal -1
	s_barrier_wait -1
	global_inv scope:SCOPE_SE
	v_and_b32_e32 v10, 0xff, v9
	s_delay_alu instid0(VALU_DEP_1)
	v_cmp_ne_u32_e32 vcc_lo, 0, v10
	s_cbranch_vccz .LBB76_187
.LBB76_183:                             ;   in Loop: Header=BB76_184 Depth=2
	s_wait_alu 0xfffe
	s_and_b32 s62, exec_lo, s62
	s_wait_alu 0xfffe
	s_or_b32 s14, s62, s14
	s_and_not1_b32 s61, s61, exec_lo
	s_and_b32 s62, s63, exec_lo
	s_wait_alu 0xfffe
	s_or_b32 s61, s61, s62
	s_and_not1_b32 exec_lo, exec_lo, s14
	s_cbranch_execz .LBB76_190
.LBB76_184:                             ;   Parent Loop BB76_11 Depth=1
                                        ; =>  This Inner Loop Header: Depth=2
	s_mov_b32 s62, exec_lo
	s_delay_alu instid0(VALU_DEP_1)
	v_cmpx_gt_u64_e64 s[6:7], v[6:7]
	s_cbranch_execz .LBB76_182
; %bb.185:                              ;   in Loop: Header=BB76_184 Depth=2
	ds_load_u8 v9, v8
	s_wait_dscnt 0x0
	v_and_b32_e32 v10, v9, v39
	s_delay_alu instid0(VALU_DEP_1) | instskip(NEXT) | instid1(VALU_DEP_1)
	v_and_b32_e32 v10, 0xff, v10
	v_cmp_eq_u32_e32 vcc_lo, v10, v20
	s_and_b32 exec_lo, exec_lo, vcc_lo
	s_cbranch_execz .LBB76_182
; %bb.186:                              ;   in Loop: Header=BB76_184 Depth=2
	v_lshlrev_b16 v9, 8, v9
	s_delay_alu instid0(VALU_DEP_1)
	v_or_b32_e32 v9, 1, v9
	ds_store_b16 v3, v9 offset:3072
	s_branch .LBB76_182
.LBB76_187:                             ;   in Loop: Header=BB76_184 Depth=2
	v_add_co_u32 v6, vcc_lo, v6, s38
	s_wait_alu 0xfffd
	v_add_co_ci_u32_e64 v7, null, 0, v7, vcc_lo
	v_add_nc_u32_e32 v8, s38, v8
	s_mov_b32 s63, 0
	s_delay_alu instid0(VALU_DEP_2)
	v_cmp_le_u64_e32 vcc_lo, s[12:13], v[6:7]
	s_or_not1_b32 s62, vcc_lo, exec_lo
	s_branch .LBB76_183
.LBB76_188:                             ;   in Loop: Header=BB76_11 Depth=1
                                        ; implicit-def: $sgpr14_sgpr15
	s_branch .LBB76_130
.LBB76_189:                             ;   in Loop: Header=BB76_11 Depth=1
                                        ; implicit-def: $sgpr6_sgpr7
	s_branch .LBB76_149
.LBB76_190:                             ;   in Loop: Header=BB76_11 Depth=1
	s_or_b32 exec_lo, exec_lo, s14
	v_and_b32_e32 v6, 0xffff, v9
	s_wait_alu 0xfffe
	s_and_b32 s14, s61, exec_lo
	s_delay_alu instid0(VALU_DEP_1)
	v_lshrrev_b32_e32 v40, 8, v6
.LBB76_191:                             ;   in Loop: Header=BB76_11 Depth=1
	s_or_b32 exec_lo, exec_lo, s48
.LBB76_192:                             ;   in Loop: Header=BB76_11 Depth=1
	s_wait_alu 0xfffe
	s_and_b32 vcc_lo, exec_lo, s15
	s_wait_alu 0xfffe
	s_cbranch_vccz .LBB76_206
; %bb.193:                              ;   in Loop: Header=BB76_11 Depth=1
	s_mov_b32 s6, s49
	s_mov_b32 s7, s53
	s_wait_alu 0xfffe
	s_cmp_lg_u64 s[6:7], 0
	s_cbranch_scc0 .LBB76_234
; %bb.194:                              ;   in Loop: Header=BB76_11 Depth=1
	s_cvt_f32_u32 s6, s38
	s_sub_nc_u64 s[12:13], 0, s[38:39]
	s_wait_alu 0xfffe
	s_delay_alu instid0(SALU_CYCLE_1) | instskip(SKIP_1) | instid1(SALU_CYCLE_2)
	s_fmamk_f32 s6, s86, 0x0, s6
	s_wait_alu 0xfffe
	v_s_rcp_f32 s6, s6
	s_delay_alu instid0(TRANS32_DEP_1) | instskip(SKIP_1) | instid1(SALU_CYCLE_2)
	s_mul_f32 s6, s6, 0x5f7ffffc
	s_wait_alu 0xfffe
	s_mul_f32 s7, s6, 0x2f800000
	s_wait_alu 0xfffe
	s_delay_alu instid0(SALU_CYCLE_2) | instskip(SKIP_1) | instid1(SALU_CYCLE_2)
	s_trunc_f32 s7, s7
	s_wait_alu 0xfffe
	s_fmamk_f32 s6, s7, 0xcf800000, s6
	s_cvt_u32_f32 s7, s7
	s_wait_alu 0xfffe
	s_delay_alu instid0(SALU_CYCLE_1) | instskip(SKIP_1) | instid1(SALU_CYCLE_2)
	s_cvt_u32_f32 s6, s6
	s_wait_alu 0xfffe
	s_mul_u64 s[62:63], s[12:13], s[6:7]
	s_wait_alu 0xfffe
	s_mul_hi_u32 s65, s6, s63
	s_mul_i32 s64, s6, s63
	s_mul_hi_u32 s48, s6, s62
	s_mul_i32 s25, s7, s62
	s_wait_alu 0xfffe
	s_add_nc_u64 s[64:65], s[48:49], s[64:65]
	s_mul_hi_u32 s15, s7, s62
	s_mul_hi_u32 s58, s7, s63
	s_wait_alu 0xfffe
	s_add_co_u32 s25, s64, s25
	s_add_co_ci_u32 s48, s65, s15
	s_mul_i32 s62, s7, s63
	s_add_co_ci_u32 s63, s58, 0
	s_wait_alu 0xfffe
	s_add_nc_u64 s[62:63], s[48:49], s[62:63]
	s_wait_alu 0xfffe
	s_add_co_u32 s6, s6, s62
	s_cselect_b32 s15, -1, 0
	s_wait_alu 0xfffe
	s_cmp_lg_u32 s15, 0
	s_add_co_ci_u32 s7, s7, s63
	s_wait_alu 0xfffe
	s_mul_u64 s[12:13], s[12:13], s[6:7]
	s_wait_alu 0xfffe
	s_mul_hi_u32 s63, s6, s13
	s_mul_i32 s62, s6, s13
	s_mul_hi_u32 s48, s6, s12
	s_mul_i32 s25, s7, s12
	s_wait_alu 0xfffe
	s_add_nc_u64 s[62:63], s[48:49], s[62:63]
	s_mul_hi_u32 s15, s7, s12
	s_mul_hi_u32 s58, s7, s13
	s_mul_i32 s12, s7, s13
	s_wait_alu 0xfffe
	s_add_co_u32 s13, s62, s25
	s_add_co_ci_u32 s48, s63, s15
	s_add_co_ci_u32 s13, s58, 0
	s_wait_alu 0xfffe
	s_add_nc_u64 s[12:13], s[48:49], s[12:13]
	s_wait_alu 0xfffe
	s_add_co_u32 s6, s6, s12
	s_cselect_b32 s12, -1, 0
	s_wait_alu 0xfffe
	s_mul_hi_u32 s48, s52, s6
	s_cmp_lg_u32 s12, 0
	s_mul_hi_u32 s15, s53, s6
	s_add_co_ci_u32 s12, s7, s13
	s_mul_i32 s13, s53, s6
	s_wait_alu 0xfffe
	s_mul_hi_u32 s7, s52, s12
	s_mul_i32 s6, s52, s12
	s_mul_hi_u32 s25, s53, s12
	s_wait_alu 0xfffe
	s_add_nc_u64 s[6:7], s[48:49], s[6:7]
	s_mul_i32 s12, s53, s12
	s_wait_alu 0xfffe
	s_add_co_u32 s6, s6, s13
	s_add_co_ci_u32 s48, s7, s15
	s_add_co_ci_u32 s13, s25, 0
	s_wait_alu 0xfffe
	s_add_nc_u64 s[6:7], s[48:49], s[12:13]
	s_wait_alu 0xfffe
	s_mul_u64 s[6:7], s[38:39], s[6:7]
	s_wait_alu 0xfffe
	s_sub_co_u32 s6, s52, s6
	s_cselect_b32 s12, -1, 0
	s_wait_alu 0xfffe
	s_cmp_lg_u32 s12, 0
	s_sub_co_ci_u32 s7, s53, s7
	s_sub_co_u32 s12, s6, s38
	s_cselect_b32 s13, -1, 0
	s_wait_alu 0xfffe
	s_cmp_lg_u32 s13, 0
	s_sub_co_ci_u32 s13, s7, 0
	s_sub_co_u32 s15, s12, s38
	s_cselect_b32 s25, -1, 0
	s_delay_alu instid0(SALU_CYCLE_1)
	s_cmp_lg_u32 s25, 0
	s_wait_alu 0xfffe
	s_sub_co_ci_u32 s25, s13, 0
	s_cmp_ge_u32 s12, s38
	s_cselect_b32 s48, -1, 0
	s_cmp_eq_u32 s13, 0
	s_wait_alu 0xfffe
	s_cselect_b32 s48, s48, -1
	s_wait_alu 0xfffe
	s_cmp_lg_u32 s48, 0
	s_cselect_b32 s13, s25, s13
	s_cselect_b32 s12, s15, s12
	s_cmp_ge_u32 s6, s38
	s_cselect_b32 s15, -1, 0
	s_cmp_eq_u32 s7, 0
	s_wait_alu 0xfffe
	s_cselect_b32 s15, s15, -1
	s_wait_alu 0xfffe
	s_cmp_lg_u32 s15, 0
	s_cselect_b32 s7, s13, s7
	s_cselect_b32 s6, s12, s6
	s_cbranch_execnz .LBB76_196
.LBB76_195:                             ;   in Loop: Header=BB76_11 Depth=1
	v_cvt_f32_u32_e32 v6, s38
	s_sub_co_i32 s7, 0, s38
	s_delay_alu instid0(VALU_DEP_1) | instskip(NEXT) | instid1(TRANS32_DEP_1)
	v_rcp_iflag_f32_e32 v6, v6
	v_mul_f32_e32 v6, 0x4f7ffffe, v6
	s_delay_alu instid0(VALU_DEP_1) | instskip(NEXT) | instid1(VALU_DEP_1)
	v_cvt_u32_f32_e32 v6, v6
	v_readfirstlane_b32 s6, v6
	s_wait_alu 0xfffe
	s_mul_i32 s7, s7, s6
	s_wait_alu 0xfffe
	s_mul_hi_u32 s7, s6, s7
	s_wait_alu 0xfffe
	s_add_co_i32 s6, s6, s7
	s_wait_alu 0xfffe
	s_mul_hi_u32 s6, s52, s6
	s_wait_alu 0xfffe
	s_mul_i32 s6, s6, s38
	s_wait_alu 0xfffe
	s_sub_co_i32 s6, s52, s6
	s_wait_alu 0xfffe
	s_sub_co_i32 s7, s6, s38
	s_cmp_ge_u32 s6, s38
	s_wait_alu 0xfffe
	s_cselect_b32 s6, s7, s6
	s_wait_alu 0xfffe
	s_sub_co_i32 s7, s6, s38
	s_cmp_ge_u32 s6, s38
	s_wait_alu 0xfffe
	s_cselect_b32 s48, s7, s6
	s_wait_alu 0xfffe
	s_mov_b64 s[6:7], s[48:49]
.LBB76_196:                             ;   in Loop: Header=BB76_11 Depth=1
	s_wait_alu 0xfffe
	s_sub_nc_u64 s[12:13], s[52:53], s[6:7]
	s_mov_b32 s7, exec_lo
                                        ; implicit-def: $vgpr40
	s_wait_alu 0xfffe
	v_cmpx_gt_u64_e64 s[12:13], v[0:1]
	s_cbranch_execz .LBB76_205
; %bb.197:                              ;   in Loop: Header=BB76_11 Depth=1
	v_dual_mov_b32 v6, v12 :: v_dual_mov_b32 v7, v13
	v_dual_mov_b32 v9, v1 :: v_dual_mov_b32 v8, v0
	s_mov_b32 s15, 0
                                        ; implicit-def: $sgpr25
	s_branch .LBB76_200
.LBB76_198:                             ;   in Loop: Header=BB76_200 Depth=2
	s_wait_alu 0xfffe
	s_or_b32 exec_lo, exec_lo, s6
	s_wait_loadcnt_dscnt 0x0
	s_barrier_signal -1
	s_barrier_wait -1
	global_inv scope:SCOPE_SE
	ds_load_u16 v10, v3 offset:3072
	s_mov_b32 s6, -1
	s_mov_b32 s48, -1
	s_wait_loadcnt_dscnt 0x0
	s_barrier_signal -1
	s_barrier_wait -1
	global_inv scope:SCOPE_SE
	v_and_b32_e32 v11, 0xff, v10
	s_delay_alu instid0(VALU_DEP_1)
	v_cmp_eq_u32_e32 vcc_lo, 0, v11
	s_cbranch_vccnz .LBB76_203
.LBB76_199:                             ;   in Loop: Header=BB76_200 Depth=2
	s_wait_alu 0xfffe
	s_and_b32 s6, exec_lo, s6
	s_wait_alu 0xfffe
	s_or_b32 s15, s6, s15
	s_and_not1_b32 s6, s25, exec_lo
	s_and_b32 s25, s48, exec_lo
	s_wait_alu 0xfffe
	s_or_b32 s25, s6, s25
	s_and_not1_b32 exec_lo, exec_lo, s15
	s_cbranch_execz .LBB76_204
.LBB76_200:                             ;   Parent Loop BB76_11 Depth=1
                                        ; =>  This Inner Loop Header: Depth=2
	s_mov_b32 s6, exec_lo
	s_delay_alu instid0(VALU_DEP_1)
	v_cmpx_gt_u64_e64 s[28:29], v[8:9]
	s_cbranch_execz .LBB76_198
; %bb.201:                              ;   in Loop: Header=BB76_200 Depth=2
	global_load_u8 v10, v[6:7], off
	s_wait_loadcnt 0x0
	v_and_b32_e32 v11, v10, v39
	s_delay_alu instid0(VALU_DEP_1) | instskip(NEXT) | instid1(VALU_DEP_1)
	v_and_b32_e32 v11, 0xff, v11
	v_cmp_eq_u32_e32 vcc_lo, v11, v20
	s_and_b32 exec_lo, exec_lo, vcc_lo
	s_cbranch_execz .LBB76_198
; %bb.202:                              ;   in Loop: Header=BB76_200 Depth=2
	v_lshlrev_b16 v10, 8, v10
	s_delay_alu instid0(VALU_DEP_1)
	v_or_b32_e32 v10, 1, v10
	ds_store_b16 v3, v10 offset:3072
	s_branch .LBB76_198
.LBB76_203:                             ;   in Loop: Header=BB76_200 Depth=2
	v_add_co_u32 v8, vcc_lo, v8, s38
	s_wait_alu 0xfffd
	v_add_co_ci_u32_e64 v9, null, 0, v9, vcc_lo
	v_add_co_u32 v6, s6, v6, s44
	s_wait_alu 0xf1fe
	v_add_co_ci_u32_e64 v7, null, s45, v7, s6
	s_delay_alu instid0(VALU_DEP_3)
	v_cmp_le_u64_e32 vcc_lo, s[12:13], v[8:9]
	s_mov_b32 s48, 0
	s_or_not1_b32 s6, vcc_lo, exec_lo
	s_branch .LBB76_199
.LBB76_204:                             ;   in Loop: Header=BB76_11 Depth=1
	s_or_b32 exec_lo, exec_lo, s15
	v_and_b32_e32 v6, 0xffff, v10
	s_and_not1_b32 s6, s14, exec_lo
	s_and_b32 s12, s25, exec_lo
	s_wait_alu 0xfffe
	s_or_b32 s14, s6, s12
	v_lshrrev_b32_e32 v40, 8, v6
.LBB76_205:                             ;   in Loop: Header=BB76_11 Depth=1
	s_or_b32 exec_lo, exec_lo, s7
	s_mov_b32 s25, 0
	s_mov_b32 s58, -1
.LBB76_206:                             ;   in Loop: Header=BB76_11 Depth=1
	s_wait_alu 0xfffe
	s_or_not1_b32 s6, s14, exec_lo
.LBB76_207:                             ;   in Loop: Header=BB76_11 Depth=1
	s_wait_alu 0xfffe
	s_or_b32 exec_lo, exec_lo, s60
	s_mov_b32 s7, 0
	s_and_saveexec_b32 s14, s6
	s_cbranch_execz .LBB76_265
; %bb.208:                              ;   in Loop: Header=BB76_11 Depth=1
	v_mov_b32_e32 v6, 1
	v_dual_mov_b32 v7, 0 :: v_dual_mov_b32 v2, 1
	s_xor_b32 s12, s59, -1
	s_wait_alu 0xfffe
	s_and_saveexec_b32 s6, s12
	s_cbranch_execz .LBB76_217
; %bb.209:                              ;   in Loop: Header=BB76_11 Depth=1
	s_mov_b32 s7, exec_lo
	v_cmpx_ge_u64_e64 s[10:11], v[4:5]
	s_wait_alu 0xfffe
	s_xor_b32 s7, exec_lo, s7
	s_cbranch_execz .LBB76_214
; %bb.210:                              ;   in Loop: Header=BB76_11 Depth=1
	ds_load_b64 v[6:7], v3 offset:5120
	s_lshl_b32 s12, 2, s84
	v_or_b32_e32 v39, s16, v39
	s_wait_alu 0xfffe
	v_and_or_b32 v20, v20, s20, s12
	s_wait_dscnt 0x0
	v_cmp_ne_u64_e32 vcc_lo, 0, v[6:7]
	s_cbranch_vccnz .LBB76_214
; %bb.211:                              ;   in Loop: Header=BB76_11 Depth=1
	s_and_saveexec_b32 s12, s2
; %bb.212:                              ;   in Loop: Header=BB76_11 Depth=1
	v_dual_mov_b32 v6, s10 :: v_dual_mov_b32 v7, s11
	ds_store_b64 v3, v[6:7] offset:5128
; %bb.213:                              ;   in Loop: Header=BB76_11 Depth=1
	s_wait_alu 0xfffe
	s_or_b32 exec_lo, exec_lo, s12
	s_wait_loadcnt_dscnt 0x0
	s_barrier_signal -1
	s_barrier_wait -1
	global_inv scope:SCOPE_SE
.LBB76_214:                             ;   in Loop: Header=BB76_11 Depth=1
	s_wait_alu 0xfffe
	s_or_saveexec_b32 s7, s7
	v_mov_b32_e32 v2, 8
	s_mov_b32 s12, 0
	s_wait_alu 0xfffe
	s_xor_b32 exec_lo, exec_lo, s7
; %bb.215:                              ;   in Loop: Header=BB76_11 Depth=1
	v_sub_co_u32 v4, vcc_lo, v4, s10
	s_wait_alu 0xfffd
	v_subrev_co_ci_u32_e64 v5, null, s11, v5, vcc_lo
	v_mov_b32_e32 v2, 0
	s_mov_b32 s12, exec_lo
; %bb.216:                              ;   in Loop: Header=BB76_11 Depth=1
	s_or_b32 exec_lo, exec_lo, s7
	s_delay_alu instid0(VALU_DEP_2)
	v_dual_mov_b32 v7, v5 :: v_dual_mov_b32 v6, v4
	s_wait_alu 0xfffe
	s_and_b32 s7, s12, exec_lo
.LBB76_217:                             ;   in Loop: Header=BB76_11 Depth=1
	s_wait_alu 0xfffe
	s_or_b32 exec_lo, exec_lo, s6
	s_mov_b32 s6, -1
                                        ; implicit-def: $sgpr61
                                        ; implicit-def: $sgpr60
	s_and_saveexec_b32 s15, s7
	s_cbranch_execz .LBB76_264
; %bb.218:                              ;   in Loop: Header=BB76_11 Depth=1
	v_cmp_eq_u64_e32 vcc_lo, 1, v[6:7]
	s_cmp_eq_u64 s[8:9], 1
	s_mov_b32 s7, -1
	s_cselect_b32 s6, -1, 0
                                        ; implicit-def: $sgpr61
                                        ; implicit-def: $sgpr60
	s_wait_alu 0xfffe
	s_and_b32 s20, s6, vcc_lo
	s_wait_alu 0xfffe
	s_and_saveexec_b32 s59, s20
	s_cbranch_execz .LBB76_252
; %bb.219:                              ;   in Loop: Header=BB76_11 Depth=1
	ds_load_b64 v[4:5], v3 offset:5120
	s_wait_loadcnt_dscnt 0x0
	s_barrier_signal -1
	s_barrier_wait -1
	global_inv scope:SCOPE_SE
	v_readfirstlane_b32 s6, v4
	v_readfirstlane_b32 s7, v5
	s_and_saveexec_b32 s10, s3
; %bb.220:                              ;   in Loop: Header=BB76_11 Depth=1
	ds_store_b8 v0, v3 offset:3072
; %bb.221:                              ;   in Loop: Header=BB76_11 Depth=1
	s_wait_alu 0xfffe
	s_or_b32 exec_lo, exec_lo, s10
	v_or_b32_e32 v20, s16, v20
	v_or_b32_e32 v39, s16, v39
	s_mov_b32 s60, -1
	s_mov_b32 s61, 0
	s_cmp_eq_u64 s[6:7], 0
	s_mov_b32 s12, 0
	s_mov_b32 s13, -1
	s_wait_loadcnt_dscnt 0x0
	s_barrier_signal -1
	s_barrier_wait -1
	global_inv scope:SCOPE_SE
                                        ; implicit-def: $vgpr40
	s_cbranch_scc1 .LBB76_237
; %bb.222:                              ;   in Loop: Header=BB76_11 Depth=1
	s_add_nc_u64 s[10:11], s[6:7], s[50:51]
	s_mov_b32 s12, s49
	s_wait_alu 0xfffe
	s_mov_b32 s13, s11
	s_wait_alu 0xfffe
	s_cmp_lg_u64 s[12:13], 0
	s_cbranch_scc0 .LBB76_271
; %bb.223:                              ;   in Loop: Header=BB76_11 Depth=1
	s_cvt_f32_u32 s12, s38
	s_sub_nc_u64 s[62:63], 0, s[38:39]
	s_wait_alu 0xfffe
	s_delay_alu instid0(SALU_CYCLE_1) | instskip(SKIP_1) | instid1(SALU_CYCLE_2)
	s_fmamk_f32 s12, s86, 0x0, s12
	s_wait_alu 0xfffe
	v_s_rcp_f32 s12, s12
	s_delay_alu instid0(TRANS32_DEP_1) | instskip(SKIP_1) | instid1(SALU_CYCLE_2)
	s_mul_f32 s12, s12, 0x5f7ffffc
	s_wait_alu 0xfffe
	s_mul_f32 s13, s12, 0x2f800000
	s_wait_alu 0xfffe
	s_delay_alu instid0(SALU_CYCLE_2) | instskip(SKIP_1) | instid1(SALU_CYCLE_2)
	s_trunc_f32 s13, s13
	s_wait_alu 0xfffe
	s_fmamk_f32 s12, s13, 0xcf800000, s12
	s_cvt_u32_f32 s13, s13
	s_wait_alu 0xfffe
	s_delay_alu instid0(SALU_CYCLE_1) | instskip(SKIP_1) | instid1(SALU_CYCLE_2)
	s_cvt_u32_f32 s12, s12
	s_wait_alu 0xfffe
	s_mul_u64 s[64:65], s[62:63], s[12:13]
	s_wait_alu 0xfffe
	s_mul_hi_u32 s67, s12, s65
	s_mul_i32 s66, s12, s65
	s_mul_hi_u32 s48, s12, s64
	s_mul_i32 s69, s13, s64
	s_wait_alu 0xfffe
	s_add_nc_u64 s[66:67], s[48:49], s[66:67]
	s_mul_hi_u32 s68, s13, s64
	s_mul_hi_u32 s70, s13, s65
	s_wait_alu 0xfffe
	s_add_co_u32 s48, s66, s69
	s_add_co_ci_u32 s48, s67, s68
	s_mul_i32 s64, s13, s65
	s_add_co_ci_u32 s65, s70, 0
	s_wait_alu 0xfffe
	s_add_nc_u64 s[64:65], s[48:49], s[64:65]
	s_wait_alu 0xfffe
	s_add_co_u32 s12, s12, s64
	s_cselect_b32 s48, -1, 0
	s_wait_alu 0xfffe
	s_cmp_lg_u32 s48, 0
	s_add_co_ci_u32 s13, s13, s65
	s_wait_alu 0xfffe
	s_mul_u64 s[62:63], s[62:63], s[12:13]
	s_wait_alu 0xfffe
	s_mul_hi_u32 s65, s12, s63
	s_mul_i32 s64, s12, s63
	s_mul_hi_u32 s48, s12, s62
	s_mul_i32 s67, s13, s62
	s_wait_alu 0xfffe
	s_add_nc_u64 s[64:65], s[48:49], s[64:65]
	s_mul_hi_u32 s66, s13, s62
	s_mul_hi_u32 s68, s13, s63
	s_wait_alu 0xfffe
	s_add_co_u32 s48, s64, s67
	s_add_co_ci_u32 s48, s65, s66
	s_mul_i32 s62, s13, s63
	s_add_co_ci_u32 s63, s68, 0
	s_wait_alu 0xfffe
	s_add_nc_u64 s[62:63], s[48:49], s[62:63]
	s_wait_alu 0xfffe
	s_add_co_u32 s12, s12, s62
	s_cselect_b32 s62, -1, 0
	s_wait_alu 0xfffe
	s_mul_hi_u32 s48, s10, s12
	s_cmp_lg_u32 s62, 0
	s_mul_hi_u32 s64, s11, s12
	s_add_co_ci_u32 s62, s13, s63
	s_mul_i32 s63, s11, s12
	s_wait_alu 0xfffe
	s_mul_hi_u32 s13, s10, s62
	s_mul_i32 s12, s10, s62
	s_mul_hi_u32 s65, s11, s62
	s_wait_alu 0xfffe
	s_add_nc_u64 s[12:13], s[48:49], s[12:13]
	s_mul_i32 s62, s11, s62
	s_wait_alu 0xfffe
	s_add_co_u32 s12, s12, s63
	s_add_co_ci_u32 s48, s13, s64
	s_add_co_ci_u32 s63, s65, 0
	s_wait_alu 0xfffe
	s_add_nc_u64 s[12:13], s[48:49], s[62:63]
	s_wait_alu 0xfffe
	s_mul_u64 s[12:13], s[38:39], s[12:13]
	s_wait_alu 0xfffe
	s_sub_co_u32 s12, s10, s12
	s_cselect_b32 s48, -1, 0
	s_wait_alu 0xfffe
	s_cmp_lg_u32 s48, 0
	s_sub_co_ci_u32 s13, s11, s13
	s_sub_co_u32 s48, s12, s38
	s_cselect_b32 s62, -1, 0
	s_wait_alu 0xfffe
	s_cmp_lg_u32 s62, 0
	s_sub_co_ci_u32 s62, s13, 0
	;; [unrolled: 5-line block ×3, first 2 shown]
	s_cmp_ge_u32 s48, s38
	s_cselect_b32 s65, -1, 0
	s_cmp_eq_u32 s62, 0
	s_wait_alu 0xfffe
	s_cselect_b32 s65, s65, -1
	s_wait_alu 0xfffe
	s_cmp_lg_u32 s65, 0
	s_cselect_b32 s62, s64, s62
	s_cselect_b32 s48, s63, s48
	s_cmp_ge_u32 s12, s38
	s_cselect_b32 s63, -1, 0
	s_cmp_eq_u32 s13, 0
	s_wait_alu 0xfffe
	s_cselect_b32 s63, s63, -1
	s_wait_alu 0xfffe
	s_cmp_lg_u32 s63, 0
	s_cselect_b32 s13, s62, s13
	s_cselect_b32 s12, s48, s12
	s_cbranch_execnz .LBB76_225
.LBB76_224:                             ;   in Loop: Header=BB76_11 Depth=1
	v_cvt_f32_u32_e32 v4, s38
	s_sub_co_i32 s13, 0, s38
	s_delay_alu instid0(VALU_DEP_1) | instskip(NEXT) | instid1(TRANS32_DEP_1)
	v_rcp_iflag_f32_e32 v4, v4
	v_mul_f32_e32 v4, 0x4f7ffffe, v4
	s_delay_alu instid0(VALU_DEP_1) | instskip(NEXT) | instid1(VALU_DEP_1)
	v_cvt_u32_f32_e32 v4, v4
	v_readfirstlane_b32 s12, v4
	s_wait_alu 0xfffe
	s_mul_i32 s13, s13, s12
	s_wait_alu 0xfffe
	s_mul_hi_u32 s13, s12, s13
	s_wait_alu 0xfffe
	s_add_co_i32 s12, s12, s13
	s_wait_alu 0xfffe
	s_mul_hi_u32 s12, s10, s12
	s_wait_alu 0xfffe
	s_mul_i32 s12, s12, s38
	s_wait_alu 0xfffe
	s_sub_co_i32 s12, s10, s12
	s_wait_alu 0xfffe
	s_sub_co_i32 s13, s12, s38
	s_cmp_ge_u32 s12, s38
	s_wait_alu 0xfffe
	s_cselect_b32 s12, s13, s12
	s_wait_alu 0xfffe
	s_sub_co_i32 s13, s12, s38
	s_cmp_ge_u32 s12, s38
	s_wait_alu 0xfffe
	s_cselect_b32 s48, s13, s12
	s_wait_alu 0xfffe
	s_mov_b64 s[12:13], s[48:49]
.LBB76_225:                             ;   in Loop: Header=BB76_11 Depth=1
	s_wait_alu 0xfffe
	s_sub_nc_u64 s[10:11], s[10:11], s[12:13]
	s_mov_b32 s13, 0
	s_mov_b32 s12, 0
	s_mov_b32 s48, exec_lo
                                        ; implicit-def: $vgpr40
	s_wait_alu 0xfffe
	v_cmpx_gt_u64_e64 s[10:11], v[0:1]
	s_cbranch_execz .LBB76_236
; %bb.226:                              ;   in Loop: Header=BB76_11 Depth=1
	v_dual_mov_b32 v8, v0 :: v_dual_mov_b32 v5, v1
	v_mov_b32_e32 v4, v0
                                        ; implicit-def: $sgpr62
	s_branch .LBB76_229
.LBB76_227:                             ;   in Loop: Header=BB76_229 Depth=2
	s_wait_alu 0xfffe
	s_or_b32 exec_lo, exec_lo, s63
	s_wait_loadcnt_dscnt 0x0
	s_barrier_signal -1
	s_barrier_wait -1
	global_inv scope:SCOPE_SE
	ds_load_u16 v9, v3 offset:3072
	s_mov_b32 s63, -1
	s_mov_b32 s64, -1
	s_wait_loadcnt_dscnt 0x0
	s_barrier_signal -1
	s_barrier_wait -1
	global_inv scope:SCOPE_SE
	v_and_b32_e32 v10, 0xff, v9
	s_delay_alu instid0(VALU_DEP_1)
	v_cmp_ne_u32_e32 vcc_lo, 0, v10
	s_cbranch_vccz .LBB76_232
.LBB76_228:                             ;   in Loop: Header=BB76_229 Depth=2
	s_wait_alu 0xfffe
	s_and_b32 s63, exec_lo, s63
	s_wait_alu 0xfffe
	s_or_b32 s12, s63, s12
	s_and_not1_b32 s62, s62, exec_lo
	s_and_b32 s63, s64, exec_lo
	s_wait_alu 0xfffe
	s_or_b32 s62, s62, s63
	s_and_not1_b32 exec_lo, exec_lo, s12
	s_cbranch_execz .LBB76_235
.LBB76_229:                             ;   Parent Loop BB76_11 Depth=1
                                        ; =>  This Inner Loop Header: Depth=2
	s_mov_b32 s63, exec_lo
	s_delay_alu instid0(VALU_DEP_1)
	v_cmpx_gt_u64_e64 s[6:7], v[4:5]
	s_cbranch_execz .LBB76_227
; %bb.230:                              ;   in Loop: Header=BB76_229 Depth=2
	ds_load_u8 v9, v8
	s_wait_dscnt 0x0
	v_and_b32_e32 v10, v9, v39
	s_delay_alu instid0(VALU_DEP_1) | instskip(NEXT) | instid1(VALU_DEP_1)
	v_and_b32_e32 v10, 0xff, v10
	v_cmp_eq_u32_e32 vcc_lo, v10, v20
	s_and_b32 exec_lo, exec_lo, vcc_lo
	s_cbranch_execz .LBB76_227
; %bb.231:                              ;   in Loop: Header=BB76_229 Depth=2
	v_lshlrev_b16 v9, 8, v9
	s_delay_alu instid0(VALU_DEP_1)
	v_or_b32_e32 v9, 1, v9
	ds_store_b16 v3, v9 offset:3072
	s_branch .LBB76_227
.LBB76_232:                             ;   in Loop: Header=BB76_229 Depth=2
	v_add_co_u32 v4, vcc_lo, v4, s38
	s_wait_alu 0xfffd
	v_add_co_ci_u32_e64 v5, null, 0, v5, vcc_lo
	v_add_nc_u32_e32 v8, s38, v8
	s_mov_b32 s64, 0
	s_delay_alu instid0(VALU_DEP_2)
	v_cmp_le_u64_e32 vcc_lo, s[10:11], v[4:5]
	s_or_not1_b32 s63, vcc_lo, exec_lo
	s_branch .LBB76_228
.LBB76_233:                             ;   in Loop: Header=BB76_11 Depth=1
                                        ; implicit-def: $sgpr14_sgpr15
	s_branch .LBB76_179
.LBB76_234:                             ;   in Loop: Header=BB76_11 Depth=1
                                        ; implicit-def: $sgpr6_sgpr7
	s_branch .LBB76_195
.LBB76_235:                             ;   in Loop: Header=BB76_11 Depth=1
	s_or_b32 exec_lo, exec_lo, s12
	v_and_b32_e32 v4, 0xffff, v9
	s_wait_alu 0xfffe
	s_and_b32 s12, s62, exec_lo
	s_delay_alu instid0(VALU_DEP_1)
	v_lshrrev_b32_e32 v40, 8, v4
.LBB76_236:                             ;   in Loop: Header=BB76_11 Depth=1
	s_or_b32 exec_lo, exec_lo, s48
.LBB76_237:                             ;   in Loop: Header=BB76_11 Depth=1
	s_wait_alu 0xfffe
	s_and_b32 vcc_lo, exec_lo, s13
	s_wait_alu 0xfffe
	s_cbranch_vccz .LBB76_251
; %bb.238:                              ;   in Loop: Header=BB76_11 Depth=1
	s_mov_b32 s6, s49
	s_mov_b32 s7, s53
	s_wait_alu 0xfffe
	s_cmp_lg_u64 s[6:7], 0
	s_cbranch_scc0 .LBB76_272
; %bb.239:                              ;   in Loop: Header=BB76_11 Depth=1
	s_cvt_f32_u32 s6, s38
	s_sub_nc_u64 s[10:11], 0, s[38:39]
	s_wait_alu 0xfffe
	s_delay_alu instid0(SALU_CYCLE_1) | instskip(SKIP_1) | instid1(SALU_CYCLE_2)
	s_fmamk_f32 s6, s86, 0x0, s6
	s_wait_alu 0xfffe
	v_s_rcp_f32 s6, s6
	s_delay_alu instid0(TRANS32_DEP_1) | instskip(SKIP_1) | instid1(SALU_CYCLE_2)
	s_mul_f32 s6, s6, 0x5f7ffffc
	s_wait_alu 0xfffe
	s_mul_f32 s7, s6, 0x2f800000
	s_wait_alu 0xfffe
	s_delay_alu instid0(SALU_CYCLE_2) | instskip(SKIP_1) | instid1(SALU_CYCLE_2)
	s_trunc_f32 s7, s7
	s_wait_alu 0xfffe
	s_fmamk_f32 s6, s7, 0xcf800000, s6
	s_cvt_u32_f32 s7, s7
	s_wait_alu 0xfffe
	s_delay_alu instid0(SALU_CYCLE_1) | instskip(SKIP_1) | instid1(SALU_CYCLE_2)
	s_cvt_u32_f32 s6, s6
	s_wait_alu 0xfffe
	s_mul_u64 s[60:61], s[10:11], s[6:7]
	s_wait_alu 0xfffe
	s_mul_hi_u32 s63, s6, s61
	s_mul_i32 s62, s6, s61
	s_mul_hi_u32 s48, s6, s60
	s_mul_i32 s64, s7, s60
	s_wait_alu 0xfffe
	s_add_nc_u64 s[62:63], s[48:49], s[62:63]
	s_mul_hi_u32 s13, s7, s60
	s_mul_hi_u32 s65, s7, s61
	s_wait_alu 0xfffe
	s_add_co_u32 s48, s62, s64
	s_add_co_ci_u32 s48, s63, s13
	s_mul_i32 s60, s7, s61
	s_add_co_ci_u32 s61, s65, 0
	s_wait_alu 0xfffe
	s_add_nc_u64 s[60:61], s[48:49], s[60:61]
	s_wait_alu 0xfffe
	s_add_co_u32 s6, s6, s60
	s_cselect_b32 s13, -1, 0
	s_wait_alu 0xfffe
	s_cmp_lg_u32 s13, 0
	s_add_co_ci_u32 s7, s7, s61
	s_wait_alu 0xfffe
	s_mul_u64 s[10:11], s[10:11], s[6:7]
	s_wait_alu 0xfffe
	s_mul_hi_u32 s61, s6, s11
	s_mul_i32 s60, s6, s11
	s_mul_hi_u32 s48, s6, s10
	s_mul_i32 s62, s7, s10
	s_wait_alu 0xfffe
	s_add_nc_u64 s[60:61], s[48:49], s[60:61]
	s_mul_hi_u32 s13, s7, s10
	s_mul_hi_u32 s63, s7, s11
	s_mul_i32 s10, s7, s11
	s_wait_alu 0xfffe
	s_add_co_u32 s11, s60, s62
	s_add_co_ci_u32 s48, s61, s13
	s_add_co_ci_u32 s11, s63, 0
	s_wait_alu 0xfffe
	s_add_nc_u64 s[10:11], s[48:49], s[10:11]
	s_wait_alu 0xfffe
	s_add_co_u32 s6, s6, s10
	s_cselect_b32 s10, -1, 0
	s_wait_alu 0xfffe
	s_mul_hi_u32 s48, s52, s6
	s_cmp_lg_u32 s10, 0
	s_mul_hi_u32 s13, s53, s6
	s_add_co_ci_u32 s10, s7, s11
	s_mul_i32 s11, s53, s6
	s_wait_alu 0xfffe
	s_mul_hi_u32 s7, s52, s10
	s_mul_i32 s6, s52, s10
	s_mul_hi_u32 s60, s53, s10
	s_wait_alu 0xfffe
	s_add_nc_u64 s[6:7], s[48:49], s[6:7]
	s_mul_i32 s10, s53, s10
	s_wait_alu 0xfffe
	s_add_co_u32 s6, s6, s11
	s_add_co_ci_u32 s48, s7, s13
	s_add_co_ci_u32 s11, s60, 0
	s_wait_alu 0xfffe
	s_add_nc_u64 s[6:7], s[48:49], s[10:11]
	s_wait_alu 0xfffe
	s_mul_u64 s[6:7], s[38:39], s[6:7]
	s_wait_alu 0xfffe
	s_sub_co_u32 s6, s52, s6
	s_cselect_b32 s10, -1, 0
	s_wait_alu 0xfffe
	s_cmp_lg_u32 s10, 0
	s_sub_co_ci_u32 s7, s53, s7
	s_sub_co_u32 s10, s6, s38
	s_cselect_b32 s11, -1, 0
	s_wait_alu 0xfffe
	s_cmp_lg_u32 s11, 0
	s_sub_co_ci_u32 s11, s7, 0
	;; [unrolled: 5-line block ×3, first 2 shown]
	s_cmp_ge_u32 s10, s38
	s_cselect_b32 s60, -1, 0
	s_cmp_eq_u32 s11, 0
	s_wait_alu 0xfffe
	s_cselect_b32 s60, s60, -1
	s_wait_alu 0xfffe
	s_cmp_lg_u32 s60, 0
	s_cselect_b32 s11, s48, s11
	s_cselect_b32 s10, s13, s10
	s_cmp_ge_u32 s6, s38
	s_cselect_b32 s13, -1, 0
	s_cmp_eq_u32 s7, 0
	s_wait_alu 0xfffe
	s_cselect_b32 s13, s13, -1
	s_wait_alu 0xfffe
	s_cmp_lg_u32 s13, 0
	s_cselect_b32 s7, s11, s7
	s_cselect_b32 s6, s10, s6
	s_cbranch_execnz .LBB76_241
.LBB76_240:                             ;   in Loop: Header=BB76_11 Depth=1
	v_cvt_f32_u32_e32 v4, s38
	s_sub_co_i32 s7, 0, s38
	s_delay_alu instid0(VALU_DEP_1) | instskip(NEXT) | instid1(TRANS32_DEP_1)
	v_rcp_iflag_f32_e32 v4, v4
	v_mul_f32_e32 v4, 0x4f7ffffe, v4
	s_delay_alu instid0(VALU_DEP_1) | instskip(NEXT) | instid1(VALU_DEP_1)
	v_cvt_u32_f32_e32 v4, v4
	v_readfirstlane_b32 s6, v4
	s_wait_alu 0xfffe
	s_mul_i32 s7, s7, s6
	s_wait_alu 0xfffe
	s_mul_hi_u32 s7, s6, s7
	s_wait_alu 0xfffe
	s_add_co_i32 s6, s6, s7
	s_wait_alu 0xfffe
	s_mul_hi_u32 s6, s52, s6
	s_wait_alu 0xfffe
	s_mul_i32 s6, s6, s38
	s_wait_alu 0xfffe
	s_sub_co_i32 s6, s52, s6
	s_wait_alu 0xfffe
	s_sub_co_i32 s7, s6, s38
	s_cmp_ge_u32 s6, s38
	s_wait_alu 0xfffe
	s_cselect_b32 s6, s7, s6
	s_wait_alu 0xfffe
	s_sub_co_i32 s7, s6, s38
	s_cmp_ge_u32 s6, s38
	s_wait_alu 0xfffe
	s_cselect_b32 s48, s7, s6
	s_wait_alu 0xfffe
	s_mov_b64 s[6:7], s[48:49]
.LBB76_241:                             ;   in Loop: Header=BB76_11 Depth=1
	s_wait_alu 0xfffe
	s_sub_nc_u64 s[10:11], s[52:53], s[6:7]
	s_mov_b32 s7, exec_lo
                                        ; implicit-def: $vgpr40
	s_wait_alu 0xfffe
	v_cmpx_gt_u64_e64 s[10:11], v[0:1]
	s_cbranch_execz .LBB76_250
; %bb.242:                              ;   in Loop: Header=BB76_11 Depth=1
	v_dual_mov_b32 v4, v12 :: v_dual_mov_b32 v5, v13
	v_dual_mov_b32 v9, v1 :: v_dual_mov_b32 v8, v0
	s_mov_b32 s13, 0
                                        ; implicit-def: $sgpr48
	s_branch .LBB76_245
.LBB76_243:                             ;   in Loop: Header=BB76_245 Depth=2
	s_wait_alu 0xfffe
	s_or_b32 exec_lo, exec_lo, s6
	s_wait_loadcnt_dscnt 0x0
	s_barrier_signal -1
	s_barrier_wait -1
	global_inv scope:SCOPE_SE
	ds_load_u16 v10, v3 offset:3072
	s_mov_b32 s6, -1
	s_mov_b32 s60, -1
	s_wait_loadcnt_dscnt 0x0
	s_barrier_signal -1
	s_barrier_wait -1
	global_inv scope:SCOPE_SE
	v_and_b32_e32 v11, 0xff, v10
	s_delay_alu instid0(VALU_DEP_1)
	v_cmp_eq_u32_e32 vcc_lo, 0, v11
	s_cbranch_vccnz .LBB76_248
.LBB76_244:                             ;   in Loop: Header=BB76_245 Depth=2
	s_wait_alu 0xfffe
	s_and_b32 s6, exec_lo, s6
	s_wait_alu 0xfffe
	s_or_b32 s13, s6, s13
	s_and_not1_b32 s6, s48, exec_lo
	s_and_b32 s48, s60, exec_lo
	s_wait_alu 0xfffe
	s_or_b32 s48, s6, s48
	s_and_not1_b32 exec_lo, exec_lo, s13
	s_cbranch_execz .LBB76_249
.LBB76_245:                             ;   Parent Loop BB76_11 Depth=1
                                        ; =>  This Inner Loop Header: Depth=2
	s_mov_b32 s6, exec_lo
	s_delay_alu instid0(VALU_DEP_1)
	v_cmpx_gt_u64_e64 s[28:29], v[8:9]
	s_cbranch_execz .LBB76_243
; %bb.246:                              ;   in Loop: Header=BB76_245 Depth=2
	global_load_u8 v10, v[4:5], off
	s_wait_loadcnt 0x0
	v_and_b32_e32 v11, v10, v39
	s_delay_alu instid0(VALU_DEP_1) | instskip(NEXT) | instid1(VALU_DEP_1)
	v_and_b32_e32 v11, 0xff, v11
	v_cmp_eq_u32_e32 vcc_lo, v11, v20
	s_and_b32 exec_lo, exec_lo, vcc_lo
	s_cbranch_execz .LBB76_243
; %bb.247:                              ;   in Loop: Header=BB76_245 Depth=2
	v_lshlrev_b16 v10, 8, v10
	s_delay_alu instid0(VALU_DEP_1)
	v_or_b32_e32 v10, 1, v10
	ds_store_b16 v3, v10 offset:3072
	s_branch .LBB76_243
.LBB76_248:                             ;   in Loop: Header=BB76_245 Depth=2
	v_add_co_u32 v8, vcc_lo, v8, s38
	s_wait_alu 0xfffd
	v_add_co_ci_u32_e64 v9, null, 0, v9, vcc_lo
	v_add_co_u32 v4, s6, v4, s44
	s_wait_alu 0xf1fe
	v_add_co_ci_u32_e64 v5, null, s45, v5, s6
	s_delay_alu instid0(VALU_DEP_3)
	v_cmp_le_u64_e32 vcc_lo, s[10:11], v[8:9]
	s_mov_b32 s60, 0
	s_or_not1_b32 s6, vcc_lo, exec_lo
	s_branch .LBB76_244
.LBB76_249:                             ;   in Loop: Header=BB76_11 Depth=1
	s_or_b32 exec_lo, exec_lo, s13
	v_and_b32_e32 v4, 0xffff, v10
	s_and_not1_b32 s6, s12, exec_lo
	s_wait_alu 0xfffe
	s_and_b32 s10, s48, exec_lo
	s_wait_alu 0xfffe
	s_or_b32 s12, s6, s10
	v_lshrrev_b32_e32 v40, 8, v4
.LBB76_250:                             ;   in Loop: Header=BB76_11 Depth=1
	s_or_b32 exec_lo, exec_lo, s7
	s_mov_b32 s60, 0
	s_mov_b32 s61, -1
.LBB76_251:                             ;   in Loop: Header=BB76_11 Depth=1
	s_wait_alu 0xfffe
	s_or_not1_b32 s7, s12, exec_lo
.LBB76_252:                             ;   in Loop: Header=BB76_11 Depth=1
	s_wait_alu 0xfffe
	s_or_b32 exec_lo, exec_lo, s59
	s_mov_b32 s10, 0
	s_and_saveexec_b32 s6, s7
	s_cbranch_execz .LBB76_263
; %bb.253:                              ;   in Loop: Header=BB76_11 Depth=1
	v_mov_b32_e32 v4, 1
	v_dual_mov_b32 v5, 0 :: v_dual_mov_b32 v2, 1
	s_xor_b32 s10, s20, -1
	s_wait_alu 0xfffe
	s_and_saveexec_b32 s7, s10
	s_cbranch_execz .LBB76_262
; %bb.254:                              ;   in Loop: Header=BB76_11 Depth=1
	s_mov_b32 s10, exec_lo
	v_cmpx_ge_u64_e64 s[8:9], v[6:7]
	s_wait_alu 0xfffe
	s_xor_b32 s10, exec_lo, s10
	s_cbranch_execz .LBB76_259
; %bb.255:                              ;   in Loop: Header=BB76_11 Depth=1
	ds_load_b64 v[4:5], v3 offset:5120
	v_or_b32_e32 v20, s16, v20
	v_or_b32_e32 v39, s16, v39
	s_wait_dscnt 0x0
	v_cmp_ne_u64_e32 vcc_lo, 0, v[4:5]
	s_cbranch_vccnz .LBB76_259
; %bb.256:                              ;   in Loop: Header=BB76_11 Depth=1
	s_and_saveexec_b32 s11, s2
; %bb.257:                              ;   in Loop: Header=BB76_11 Depth=1
	v_dual_mov_b32 v4, s8 :: v_dual_mov_b32 v5, s9
	ds_store_b64 v3, v[4:5] offset:5128
; %bb.258:                              ;   in Loop: Header=BB76_11 Depth=1
	s_wait_alu 0xfffe
	s_or_b32 exec_lo, exec_lo, s11
	s_wait_loadcnt_dscnt 0x0
	s_barrier_signal -1
	s_barrier_wait -1
	global_inv scope:SCOPE_SE
.LBB76_259:                             ;   in Loop: Header=BB76_11 Depth=1
	s_wait_alu 0xfffe
	s_and_not1_saveexec_b32 s10, s10
; %bb.260:                              ;   in Loop: Header=BB76_11 Depth=1
	v_sub_co_u32 v6, vcc_lo, v6, s8
	s_wait_alu 0xfffd
	v_subrev_co_ci_u32_e64 v7, null, s9, v7, vcc_lo
; %bb.261:                              ;   in Loop: Header=BB76_11 Depth=1
	s_wait_alu 0xfffe
	s_or_b32 exec_lo, exec_lo, s10
	v_mov_b32_e32 v4, v6
	s_delay_alu instid0(VALU_DEP_2)
	v_dual_mov_b32 v2, 8 :: v_dual_mov_b32 v5, v7
.LBB76_262:                             ;   in Loop: Header=BB76_11 Depth=1
	s_wait_alu 0xfffe
	s_or_b32 exec_lo, exec_lo, s7
	s_delay_alu instid0(VALU_DEP_1)
	v_dual_mov_b32 v7, v5 :: v_dual_mov_b32 v6, v4
	s_mov_b32 s10, exec_lo
.LBB76_263:                             ;   in Loop: Header=BB76_11 Depth=1
	s_wait_alu 0xfffe
	s_or_b32 exec_lo, exec_lo, s6
	s_delay_alu instid0(SALU_CYCLE_1)
	s_or_not1_b32 s6, s10, exec_lo
.LBB76_264:                             ;   in Loop: Header=BB76_11 Depth=1
	s_wait_alu 0xfffe
	s_or_b32 exec_lo, exec_lo, s15
	v_dual_mov_b32 v4, v6 :: v_dual_mov_b32 v5, v7
	s_and_not1_b32 s7, s58, exec_lo
	s_and_b32 s8, s61, exec_lo
	s_and_not1_b32 s9, s25, exec_lo
	s_and_b32 s10, s60, exec_lo
	s_wait_alu 0xfffe
	s_or_b32 s58, s7, s8
	s_or_b32 s25, s9, s10
	s_and_b32 s7, s6, exec_lo
.LBB76_265:                             ;   in Loop: Header=BB76_11 Depth=1
	s_wait_alu 0xfffe
	s_or_b32 exec_lo, exec_lo, s14
	s_delay_alu instid0(SALU_CYCLE_1)
	s_or_not1_b32 s6, s7, exec_lo
.LBB76_266:                             ;   in Loop: Header=BB76_11 Depth=1
	s_or_b32 exec_lo, exec_lo, s24
	v_dual_mov_b32 v9, v5 :: v_dual_mov_b32 v8, v4
	s_and_not1_b32 s7, s22, exec_lo
	s_and_b32 s8, s58, exec_lo
	s_and_not1_b32 s9, s21, exec_lo
	s_and_b32 s10, s25, exec_lo
	s_wait_alu 0xfffe
	s_or_b32 s22, s7, s8
	s_or_b32 s21, s9, s10
	s_and_b32 s7, s6, exec_lo
.LBB76_267:                             ;   in Loop: Header=BB76_11 Depth=1
	s_or_b32 exec_lo, exec_lo, s23
	s_wait_alu 0xfffe
	s_or_not1_b32 s6, s7, exec_lo
.LBB76_268:                             ;   in Loop: Header=BB76_11 Depth=1
	s_or_b32 exec_lo, exec_lo, s19
	s_mov_b32 s7, 0
	s_wait_alu 0xfffe
	s_and_saveexec_b32 s8, s6
	s_wait_alu 0xfffe
	s_xor_b32 s6, exec_lo, s8
	s_cbranch_execz .LBB76_9
; %bb.269:                              ;   in Loop: Header=BB76_11 Depth=1
	v_and_b32_e32 v2, 7, v2
	s_mov_b32 s8, -1
	s_mov_b32 s7, -1
	s_mov_b32 s9, exec_lo
	s_delay_alu instid0(VALU_DEP_1)
	v_cmpx_eq_u32_e32 0, v2
	s_cbranch_execz .LBB76_8
; %bb.270:                              ;   in Loop: Header=BB76_11 Depth=1
	s_xor_b32 s87, s87, 1
	s_add_co_i32 s10, s84, -2
	s_cmp_eq_u32 s84, 0
	s_wait_alu 0xfffe
	s_mov_b32 s84, s10
	s_cselect_b32 s8, -1, 0
	s_xor_b32 s7, exec_lo, -1
	s_wait_alu 0xfffe
	s_or_not1_b32 s8, s8, exec_lo
	s_branch .LBB76_8
.LBB76_271:                             ;   in Loop: Header=BB76_11 Depth=1
                                        ; implicit-def: $sgpr12_sgpr13
	s_branch .LBB76_224
.LBB76_272:                             ;   in Loop: Header=BB76_11 Depth=1
                                        ; implicit-def: $sgpr6_sgpr7
	s_branch .LBB76_240
.LBB76_273:
	s_or_b32 exec_lo, exec_lo, s85
	s_xor_b32 s4, s93, -1
	s_xor_b32 s1, s91, -1
	s_xor_b32 s3, s88, -1
	s_mov_b32 s2, 0
	s_and_saveexec_b32 s5, s1
	s_wait_alu 0xfffe
	s_xor_b32 s1, exec_lo, s5
	s_cbranch_execnz .LBB76_278
; %bb.274:
	s_and_not1_saveexec_b32 s0, s1
	s_cbranch_execnz .LBB76_291
.LBB76_275:
	s_wait_alu 0xfffe
	s_or_b32 exec_lo, exec_lo, s0
	s_and_saveexec_b32 s0, s2
.LBB76_276:
	; divergent unreachable
.LBB76_277:
	s_endpgm
.LBB76_278:
	s_and_saveexec_b32 s2, s4
	s_delay_alu instid0(SALU_CYCLE_1)
	s_xor_b32 s2, exec_lo, s2
	s_cbranch_execz .LBB76_289
; %bb.279:
	s_and_saveexec_b32 s4, s3
	s_wait_alu 0xfffe
	s_xor_b32 s3, exec_lo, s4
; %bb.280:
	v_mov_b32_e32 v40, v20
; %bb.281:
	s_or_b32 exec_lo, exec_lo, s3
	v_mov_b32_e32 v2, 0
	s_mul_u64 s[4:5], s[40:41], s[26:27]
	s_wait_alu 0xfffe
	s_add_nc_u64 s[4:5], s[42:43], s[4:5]
	global_store_b8 v2, v40, s[4:5]
	s_and_saveexec_b32 s3, s0
	s_cbranch_execz .LBB76_288
; %bb.282:
	v_and_b32_e32 v4, 0xff, v40
	s_mov_b32 s4, 0
                                        ; implicit-def: $sgpr5
                                        ; implicit-def: $sgpr7
                                        ; implicit-def: $sgpr6
	s_branch .LBB76_284
.LBB76_283:                             ;   in Loop: Header=BB76_284 Depth=1
	s_wait_alu 0xfffe
	s_or_b32 exec_lo, exec_lo, s8
	s_delay_alu instid0(SALU_CYCLE_1)
	s_and_b32 s0, exec_lo, s7
	s_wait_alu 0xfffe
	s_or_b32 s4, s0, s4
	s_and_not1_b32 s0, s5, exec_lo
	s_and_b32 s5, s6, exec_lo
	s_wait_alu 0xfffe
	s_or_b32 s5, s0, s5
	s_and_not1_b32 exec_lo, exec_lo, s4
	s_cbranch_execz .LBB76_286
.LBB76_284:                             ; =>This Inner Loop Header: Depth=1
	global_load_u8 v5, v[12:13], off
	v_dual_mov_b32 v3, v1 :: v_dual_mov_b32 v2, v0
	s_or_b32 s6, s6, exec_lo
	s_or_b32 s7, s7, exec_lo
	s_mov_b32 s8, exec_lo
                                        ; implicit-def: $vgpr0_vgpr1
	s_wait_loadcnt 0x0
	v_cmpx_ne_u16_e64 v5, v4
	s_cbranch_execz .LBB76_283
; %bb.285:                              ;   in Loop: Header=BB76_284 Depth=1
	v_add_co_u32 v0, vcc_lo, v2, s38
	s_wait_alu 0xfffd
	v_add_co_ci_u32_e64 v1, null, 0, v3, vcc_lo
	v_add_co_u32 v12, s0, v12, s44
	s_wait_alu 0xf1ff
	v_add_co_ci_u32_e64 v13, null, s45, v13, s0
	s_delay_alu instid0(VALU_DEP_3)
	v_cmp_le_u64_e32 vcc_lo, s[28:29], v[0:1]
	s_wait_alu 0xfffe
	s_and_not1_b32 s0, s7, exec_lo
	s_and_not1_b32 s6, s6, exec_lo
	s_and_b32 s7, vcc_lo, exec_lo
	s_wait_alu 0xfffe
	s_or_b32 s7, s0, s7
	s_branch .LBB76_283
.LBB76_286:
	s_or_b32 exec_lo, exec_lo, s4
	s_wait_alu 0xfffe
	s_and_saveexec_b32 s0, s5
	s_wait_alu 0xfffe
	s_xor_b32 s0, exec_lo, s0
	s_cbranch_execz .LBB76_288
; %bb.287:
	s_mul_u64 s[4:5], s[34:35], s[26:27]
	v_mov_b32_e32 v0, 0
	s_wait_alu 0xfffe
	s_lshl_b64 s[4:5], s[4:5], 3
	s_wait_alu 0xfffe
	s_add_nc_u64 s[4:5], s[30:31], s[4:5]
	global_store_b64 v0, v[2:3], s[4:5]
.LBB76_288:
	s_or_b32 exec_lo, exec_lo, s3
.LBB76_289:
	s_or_saveexec_b32 s0, s2
	s_mov_b32 s2, 0
	s_wait_alu 0xfffe
	s_xor_b32 exec_lo, exec_lo, s0
	s_cbranch_execnz .LBB76_292
.LBB76_290:
	s_or_b32 exec_lo, exec_lo, s0
	s_delay_alu instid0(SALU_CYCLE_1)
	s_and_b32 s2, s2, exec_lo
	s_and_not1_saveexec_b32 s0, s1
	s_cbranch_execz .LBB76_275
.LBB76_291:
	s_or_b32 s2, s2, exec_lo
	s_trap 2
	s_wait_alu 0xfffe
	s_or_b32 exec_lo, exec_lo, s0
	s_and_saveexec_b32 s0, s2
	s_cbranch_execnz .LBB76_276
	s_branch .LBB76_277
.LBB76_292:
	s_mov_b32 s2, exec_lo
	s_trap 2
	s_branch .LBB76_290
	.section	.rodata,"a",@progbits
	.p2align	6, 0x0
	.amdhsa_kernel _ZN2at6native12_GLOBAL__N_112gatherMedianIhmLi1EEEvNS_4cuda6detail10TensorInfoIT_T0_EENS5_IlS7_EENS5_IKS6_S7_EES7_S7_S7_b
		.amdhsa_group_segment_fixed_size 5152
		.amdhsa_private_segment_fixed_size 0
		.amdhsa_kernarg_size 1536
		.amdhsa_user_sgpr_count 2
		.amdhsa_user_sgpr_dispatch_ptr 0
		.amdhsa_user_sgpr_queue_ptr 0
		.amdhsa_user_sgpr_kernarg_segment_ptr 1
		.amdhsa_user_sgpr_dispatch_id 0
		.amdhsa_user_sgpr_private_segment_size 0
		.amdhsa_wavefront_size32 1
		.amdhsa_uses_dynamic_stack 0
		.amdhsa_enable_private_segment 0
		.amdhsa_system_sgpr_workgroup_id_x 1
		.amdhsa_system_sgpr_workgroup_id_y 1
		.amdhsa_system_sgpr_workgroup_id_z 1
		.amdhsa_system_sgpr_workgroup_info 0
		.amdhsa_system_vgpr_workitem_id 0
		.amdhsa_next_free_vgpr 57
		.amdhsa_next_free_sgpr 94
		.amdhsa_reserve_vcc 1
		.amdhsa_float_round_mode_32 0
		.amdhsa_float_round_mode_16_64 0
		.amdhsa_float_denorm_mode_32 3
		.amdhsa_float_denorm_mode_16_64 3
		.amdhsa_fp16_overflow 0
		.amdhsa_workgroup_processor_mode 1
		.amdhsa_memory_ordered 1
		.amdhsa_forward_progress 1
		.amdhsa_inst_pref_size 142
		.amdhsa_round_robin_scheduling 0
		.amdhsa_exception_fp_ieee_invalid_op 0
		.amdhsa_exception_fp_denorm_src 0
		.amdhsa_exception_fp_ieee_div_zero 0
		.amdhsa_exception_fp_ieee_overflow 0
		.amdhsa_exception_fp_ieee_underflow 0
		.amdhsa_exception_fp_ieee_inexact 0
		.amdhsa_exception_int_div_zero 0
	.end_amdhsa_kernel
	.section	.text._ZN2at6native12_GLOBAL__N_112gatherMedianIhmLi1EEEvNS_4cuda6detail10TensorInfoIT_T0_EENS5_IlS7_EENS5_IKS6_S7_EES7_S7_S7_b,"axG",@progbits,_ZN2at6native12_GLOBAL__N_112gatherMedianIhmLi1EEEvNS_4cuda6detail10TensorInfoIT_T0_EENS5_IlS7_EENS5_IKS6_S7_EES7_S7_S7_b,comdat
.Lfunc_end76:
	.size	_ZN2at6native12_GLOBAL__N_112gatherMedianIhmLi1EEEvNS_4cuda6detail10TensorInfoIT_T0_EENS5_IlS7_EENS5_IKS6_S7_EES7_S7_S7_b, .Lfunc_end76-_ZN2at6native12_GLOBAL__N_112gatherMedianIhmLi1EEEvNS_4cuda6detail10TensorInfoIT_T0_EENS5_IlS7_EENS5_IKS6_S7_EES7_S7_S7_b
                                        ; -- End function
	.set _ZN2at6native12_GLOBAL__N_112gatherMedianIhmLi1EEEvNS_4cuda6detail10TensorInfoIT_T0_EENS5_IlS7_EENS5_IKS6_S7_EES7_S7_S7_b.num_vgpr, 57
	.set _ZN2at6native12_GLOBAL__N_112gatherMedianIhmLi1EEEvNS_4cuda6detail10TensorInfoIT_T0_EENS5_IlS7_EENS5_IKS6_S7_EES7_S7_S7_b.num_agpr, 0
	.set _ZN2at6native12_GLOBAL__N_112gatherMedianIhmLi1EEEvNS_4cuda6detail10TensorInfoIT_T0_EENS5_IlS7_EENS5_IKS6_S7_EES7_S7_S7_b.numbered_sgpr, 94
	.set _ZN2at6native12_GLOBAL__N_112gatherMedianIhmLi1EEEvNS_4cuda6detail10TensorInfoIT_T0_EENS5_IlS7_EENS5_IKS6_S7_EES7_S7_S7_b.num_named_barrier, 0
	.set _ZN2at6native12_GLOBAL__N_112gatherMedianIhmLi1EEEvNS_4cuda6detail10TensorInfoIT_T0_EENS5_IlS7_EENS5_IKS6_S7_EES7_S7_S7_b.private_seg_size, 0
	.set _ZN2at6native12_GLOBAL__N_112gatherMedianIhmLi1EEEvNS_4cuda6detail10TensorInfoIT_T0_EENS5_IlS7_EENS5_IKS6_S7_EES7_S7_S7_b.uses_vcc, 1
	.set _ZN2at6native12_GLOBAL__N_112gatherMedianIhmLi1EEEvNS_4cuda6detail10TensorInfoIT_T0_EENS5_IlS7_EENS5_IKS6_S7_EES7_S7_S7_b.uses_flat_scratch, 0
	.set _ZN2at6native12_GLOBAL__N_112gatherMedianIhmLi1EEEvNS_4cuda6detail10TensorInfoIT_T0_EENS5_IlS7_EENS5_IKS6_S7_EES7_S7_S7_b.has_dyn_sized_stack, 0
	.set _ZN2at6native12_GLOBAL__N_112gatherMedianIhmLi1EEEvNS_4cuda6detail10TensorInfoIT_T0_EENS5_IlS7_EENS5_IKS6_S7_EES7_S7_S7_b.has_recursion, 0
	.set _ZN2at6native12_GLOBAL__N_112gatherMedianIhmLi1EEEvNS_4cuda6detail10TensorInfoIT_T0_EENS5_IlS7_EENS5_IKS6_S7_EES7_S7_S7_b.has_indirect_call, 0
	.section	.AMDGPU.csdata,"",@progbits
; Kernel info:
; codeLenInByte = 18172
; TotalNumSgprs: 96
; NumVgprs: 57
; ScratchSize: 0
; MemoryBound: 0
; FloatMode: 240
; IeeeMode: 1
; LDSByteSize: 5152 bytes/workgroup (compile time only)
; SGPRBlocks: 0
; VGPRBlocks: 7
; NumSGPRsForWavesPerEU: 96
; NumVGPRsForWavesPerEU: 57
; Occupancy: 16
; WaveLimiterHint : 1
; COMPUTE_PGM_RSRC2:SCRATCH_EN: 0
; COMPUTE_PGM_RSRC2:USER_SGPR: 2
; COMPUTE_PGM_RSRC2:TRAP_HANDLER: 0
; COMPUTE_PGM_RSRC2:TGID_X_EN: 1
; COMPUTE_PGM_RSRC2:TGID_Y_EN: 1
; COMPUTE_PGM_RSRC2:TGID_Z_EN: 1
; COMPUTE_PGM_RSRC2:TIDIG_COMP_CNT: 0
	.section	.text._ZN2at6native12_GLOBAL__N_112gatherMedianIhmLi2EEEvNS_4cuda6detail10TensorInfoIT_T0_EENS5_IlS7_EENS5_IKS6_S7_EES7_S7_S7_b,"axG",@progbits,_ZN2at6native12_GLOBAL__N_112gatherMedianIhmLi2EEEvNS_4cuda6detail10TensorInfoIT_T0_EENS5_IlS7_EENS5_IKS6_S7_EES7_S7_S7_b,comdat
	.globl	_ZN2at6native12_GLOBAL__N_112gatherMedianIhmLi2EEEvNS_4cuda6detail10TensorInfoIT_T0_EENS5_IlS7_EENS5_IKS6_S7_EES7_S7_S7_b ; -- Begin function _ZN2at6native12_GLOBAL__N_112gatherMedianIhmLi2EEEvNS_4cuda6detail10TensorInfoIT_T0_EENS5_IlS7_EENS5_IKS6_S7_EES7_S7_S7_b
	.p2align	8
	.type	_ZN2at6native12_GLOBAL__N_112gatherMedianIhmLi2EEEvNS_4cuda6detail10TensorInfoIT_T0_EENS5_IlS7_EENS5_IKS6_S7_EES7_S7_S7_b,@function
_ZN2at6native12_GLOBAL__N_112gatherMedianIhmLi2EEEvNS_4cuda6detail10TensorInfoIT_T0_EENS5_IlS7_EENS5_IKS6_S7_EES7_S7_S7_b: ; @_ZN2at6native12_GLOBAL__N_112gatherMedianIhmLi2EEEvNS_4cuda6detail10TensorInfoIT_T0_EENS5_IlS7_EENS5_IKS6_S7_EES7_S7_S7_b
; %bb.0:
	s_clause 0x1
	s_load_b64 s[8:9], s[0:1], 0x500
	s_load_b128 s[28:31], s[0:1], 0x4e0
	s_lshr_b32 s2, ttmp7, 16
	s_and_b32 s3, ttmp7, 0xffff
	s_mov_b32 s27, 0
	s_wait_kmcnt 0x0
	s_mul_i32 s2, s9, s2
	s_delay_alu instid0(SALU_CYCLE_1) | instskip(NEXT) | instid1(SALU_CYCLE_1)
	s_add_co_i32 s2, s2, s3
	s_mul_i32 s2, s2, s8
	s_delay_alu instid0(SALU_CYCLE_1) | instskip(NEXT) | instid1(SALU_CYCLE_1)
	s_add_co_i32 s26, s2, ttmp9
	v_cmp_le_u64_e64 s2, s[30:31], s[26:27]
	s_and_b32 vcc_lo, exec_lo, s2
	s_cbranch_vccnz .LBB77_281
; %bb.1:
	s_clause 0x1
	s_load_b64 s[46:47], s[0:1], 0x10
	s_load_b64 s[30:31], s[0:1], 0x1b0
	s_mov_b64 s[34:35], 0
	s_mov_b64 s[48:49], 0
	s_wait_kmcnt 0x0
	v_cmp_lt_u64_e64 s2, s[26:27], s[46:47]
	s_and_b32 vcc_lo, exec_lo, s2
	s_cbranch_vccnz .LBB77_3
; %bb.2:
	v_cvt_f32_u32_e32 v1, s46
	s_sub_co_i32 s3, 0, s46
	s_mov_b32 s49, 0
	s_delay_alu instid0(VALU_DEP_1) | instskip(NEXT) | instid1(TRANS32_DEP_1)
	v_rcp_iflag_f32_e32 v1, v1
	v_mul_f32_e32 v1, 0x4f7ffffe, v1
	s_delay_alu instid0(VALU_DEP_1) | instskip(NEXT) | instid1(VALU_DEP_1)
	v_cvt_u32_f32_e32 v1, v1
	v_readfirstlane_b32 s2, v1
	s_mul_i32 s3, s3, s2
	s_delay_alu instid0(SALU_CYCLE_1) | instskip(NEXT) | instid1(SALU_CYCLE_1)
	s_mul_hi_u32 s3, s2, s3
	s_add_co_i32 s2, s2, s3
	s_delay_alu instid0(SALU_CYCLE_1) | instskip(NEXT) | instid1(SALU_CYCLE_1)
	s_mul_hi_u32 s2, s26, s2
	s_mul_i32 s3, s2, s46
	s_add_co_i32 s4, s2, 1
	s_sub_co_i32 s3, s26, s3
	s_delay_alu instid0(SALU_CYCLE_1)
	s_sub_co_i32 s5, s3, s46
	s_cmp_ge_u32 s3, s46
	s_cselect_b32 s2, s4, s2
	s_cselect_b32 s3, s5, s3
	s_add_co_i32 s4, s2, 1
	s_cmp_ge_u32 s3, s46
	s_cselect_b32 s48, s4, s2
.LBB77_3:
	s_clause 0x1
	s_load_b64 s[44:45], s[0:1], 0x4f0
	s_load_b64 s[10:11], s[0:1], 0x350
	v_cmp_lt_u64_e64 s2, s[26:27], s[30:31]
	s_and_b32 vcc_lo, exec_lo, s2
	s_cbranch_vccz .LBB77_282
; %bb.4:
	s_wait_kmcnt 0x0
	v_cmp_lt_u64_e64 s2, s[26:27], s[10:11]
	s_mov_b64 s[14:15], 0
	s_and_b32 vcc_lo, exec_lo, s2
	s_cbranch_vccz .LBB77_283
.LBB77_5:
	v_cmp_eq_u32_e64 s2, 0, v0
	s_and_saveexec_b32 s3, s2
.LBB77_6:
	v_mov_b32_e32 v1, 0
	s_delay_alu instid0(VALU_DEP_1)
	v_mov_b32_e32 v2, v1
	ds_store_b64 v1, v[1:2] offset:5136
.LBB77_7:
	s_or_b32 exec_lo, exec_lo, s3
	v_mov_b32_e32 v1, 0
	v_mov_b32_e32 v19, s28
	s_wait_dscnt 0x0
	s_barrier_signal -1
	s_barrier_wait -1
	global_inv scope:SCOPE_SE
	s_wait_loadcnt 0x0
	s_barrier_signal -1
	s_barrier_wait -1
	global_inv scope:SCOPE_SE
	v_mov_b32_e32 v20, s29
	ds_load_b64 v[1:2], v1 offset:5136
	s_load_b32 s3, s[0:1], 0x4f8
	s_wait_dscnt 0x0
	v_cmp_gt_i64_e32 vcc_lo, 1, v[1:2]
	s_wait_kmcnt 0x0
	s_bitcmp1_b32 s3, 0
	s_cselect_b32 s3, -1, 0
	s_delay_alu instid0(SALU_CYCLE_1) | instskip(NEXT) | instid1(SALU_CYCLE_1)
	s_or_b32 s3, s3, vcc_lo
	s_and_not1_b32 vcc_lo, exec_lo, s3
	s_cbranch_vccnz .LBB77_9
; %bb.8:
	v_not_b32_e32 v1, v1
	v_not_b32_e32 v2, v2
	s_delay_alu instid0(VALU_DEP_2) | instskip(NEXT) | instid1(VALU_DEP_1)
	v_add_co_u32 v1, vcc_lo, s28, v1
	v_add_co_ci_u32_e64 v2, null, s29, v2, vcc_lo
	s_delay_alu instid0(VALU_DEP_1) | instskip(NEXT) | instid1(VALU_DEP_1)
	v_lshrrev_b64 v[1:2], 1, v[1:2]
	v_add_co_u32 v19, vcc_lo, v1, 1
	s_wait_alu 0xfffd
	s_delay_alu instid0(VALU_DEP_2)
	v_add_co_ci_u32_e64 v20, null, 0, v2, vcc_lo
.LBB77_9:
	s_clause 0x1
	s_load_b128 s[4:7], s[0:1], 0x410
	s_load_b64 s[16:17], s[0:1], 0x340
	s_add_nc_u64 s[12:13], s[0:1], 0x500
	s_and_saveexec_b32 s3, s2
	s_cbranch_execz .LBB77_11
; %bb.10:
	v_dual_mov_b32 v1, 0 :: v_dual_mov_b32 v4, s29
	s_delay_alu instid0(VALU_DEP_1)
	v_dual_mov_b32 v3, s28 :: v_dual_mov_b32 v2, v1
	ds_store_b32 v1, v1 offset:5144
	ds_store_b128 v1, v[1:4] offset:5120
.LBB77_11:
	s_or_b32 exec_lo, exec_lo, s3
	s_mul_u64 s[10:11], s[14:15], s[10:11]
	s_wait_kmcnt 0x0
	s_mul_u64 s[4:5], s[14:15], s[4:5]
	s_wait_alu 0xfffe
	s_sub_nc_u64 s[10:11], s[26:27], s[10:11]
	s_add_nc_u64 s[4:5], s[16:17], s[4:5]
	s_wait_alu 0xfffe
	s_mul_u64 s[6:7], s[10:11], s[6:7]
	v_mbcnt_lo_u32_b32 v25, -1, 0
	s_add_nc_u64 s[52:53], s[4:5], s[6:7]
	s_clause 0x1
	s_load_b128 s[36:39], s[0:1], 0x270
	s_load_b64 s[50:51], s[0:1], 0x1a0
	v_mad_co_u64_u32 v[12:13], null, s44, v0, s[52:53]
	v_mov_b32_e32 v3, 0
	s_wait_loadcnt_dscnt 0x0
	s_barrier_signal -1
	s_barrier_wait -1
	global_inv scope:SCOPE_SE
	s_load_b32 s4, s[12:13], 0xc
	s_clause 0x1
	s_load_b128 s[40:43], s[0:1], 0xd0
	s_load_b64 s[56:57], s[0:1], 0x0
	v_dual_mov_b32 v2, v13 :: v_dual_mov_b32 v1, v3
	v_cmp_gt_u32_e32 vcc_lo, 32, v0
	v_cmp_gt_i32_e64 s3, 4, v25
	s_mov_b32 s59, 0
	v_mad_co_u64_u32 v[4:5], null, s45, v0, v[2:3]
	v_add_nc_u32_e32 v2, 2, v0
	s_and_b32 s33, vcc_lo, s3
	v_lshlrev_b64_e64 v[5:6], v25, -1
	v_cmp_gt_u64_e64 s0, s[28:29], v[0:1]
	v_cmp_lt_u64_e64 s76, 0xc00, s[28:29]
	v_cmp_gt_u64_e32 vcc_lo, s[28:29], v[2:3]
	v_dual_mov_b32 v13, v4 :: v_dual_lshlrev_b32 v14, 2, v0
	v_not_b32_e32 v4, v0
	v_not_b32_e32 v26, v5
	s_wait_kmcnt 0x0
	s_and_b32 s54, s4, 0xffff
	s_wait_alu 0xfffd
	v_cndmask_b32_e64 v2, v2, s28, vcc_lo
	v_cndmask_b32_e64 v5, 0, s29, vcc_lo
	s_bfe_u32 s6, s4, 0xb0005
	s_cmp_gt_u32 s54, 31
	s_movk_i32 s4, 0x3e0
	v_add_co_u32 v4, vcc_lo, v2, v4
	s_wait_alu 0xfffd
	v_add_co_ci_u32_e64 v5, null, -1, v5, vcc_lo
	s_cselect_b32 s77, -1, 0
	s_cmp_lt_u32 ttmp9, s8
	v_dual_mov_b32 v15, v3 :: v_dual_and_b32 v16, -4, v4
	s_cselect_b32 s58, 12, 18
	v_dual_mov_b32 v17, v5 :: v_dual_mov_b32 v28, 0
	s_add_co_i32 s5, s6, -1
	s_bfe_u32 s84, s54, 0x30005
	s_and_b32 s5, s5, 0xffff
	s_mov_b32 s55, s59
	s_cmp_gt_u32 s5, 6
	v_and_or_b32 v27, v0, s4, 0xc00
	v_cmp_lt_u64_e64 s4, 3, v[4:5]
	v_cmp_ne_u64_e64 s5, v[4:5], v[16:17]
	v_cmp_eq_u32_e64 s1, 0, v25
	v_cmp_gt_u32_e64 s3, 2, v0
	v_add_co_u32 v18, vcc_lo, v16, v0
	s_cselect_b32 s85, -1, 0
	s_and_b32 s86, s6, 0x7f8
	v_lshl_or_b32 v29, v25, 3, 0xc00
	v_dual_mov_b32 v31, 0 :: v_dual_mov_b32 v30, 0
	s_add_nc_u64 s[60:61], s[54:55], -1
	s_cmp_lg_u32 s84, 0
	s_add_nc_u64 s[62:63], s[60:61], s[28:29]
	s_mov_b32 s78, s44
	s_mov_b32 s79, s45
	;; [unrolled: 1-line block ×7, first 2 shown]
	s_cselect_b32 s87, -1, 0
	s_add_nc_u64 s[64:65], s[12:13], s[58:59]
	s_mov_b32 s90, 0x4f800000
	s_mov_b32 s89, 0
	;; [unrolled: 1-line block ×3, first 2 shown]
	s_wait_alu 0xfffd
	v_add_co_ci_u32_e64 v2, null, 0, v5, vcc_lo
                                        ; implicit-def: $sgpr95
                                        ; implicit-def: $sgpr97
                                        ; implicit-def: $sgpr92
                                        ; implicit-def: $sgpr94
                                        ; implicit-def: $sgpr96
                                        ; implicit-def: $sgpr93
	s_branch .LBB77_15
.LBB77_12:                              ;   in Loop: Header=BB77_15 Depth=1
	s_wait_alu 0xfffe
	s_or_b32 exec_lo, exec_lo, s9
	s_delay_alu instid0(SALU_CYCLE_1)
	s_and_b32 s7, s7, exec_lo
	s_and_not1_b32 s22, s22, exec_lo
	s_and_not1_b32 s21, s21, exec_lo
	s_or_not1_b32 s18, s8, exec_lo
.LBB77_13:                              ;   in Loop: Header=BB77_15 Depth=1
	s_wait_alu 0xfffe
	s_or_b32 exec_lo, exec_lo, s6
	s_delay_alu instid0(SALU_CYCLE_1)
	s_and_not1_b32 s6, s93, exec_lo
	s_and_b32 s7, s7, exec_lo
	s_and_not1_b32 s8, s94, exec_lo
	s_wait_alu 0xfffe
	s_or_b32 s93, s6, s7
	s_and_not1_b32 s6, s96, exec_lo
	s_and_b32 s7, s22, exec_lo
	s_and_b32 s9, s21, exec_lo
	s_wait_alu 0xfffe
	s_or_b32 s96, s6, s7
	s_or_b32 s94, s8, s9
	s_or_not1_b32 s18, s18, exec_lo
.LBB77_14:                              ;   in Loop: Header=BB77_15 Depth=1
	s_wait_alu 0xfffe
	s_or_b32 exec_lo, exec_lo, s17
	s_delay_alu instid0(SALU_CYCLE_1)
	s_and_b32 s6, exec_lo, s18
	v_dual_mov_b32 v20, v9 :: v_dual_mov_b32 v19, v8
	s_wait_alu 0xfffe
	s_or_b32 s89, s6, s89
	s_and_not1_b32 s6, s92, exec_lo
	s_and_b32 s7, s93, exec_lo
	s_and_not1_b32 s8, s97, exec_lo
	s_wait_alu 0xfffe
	s_or_b32 s92, s6, s7
	s_and_b32 s6, s96, exec_lo
	s_and_not1_b32 s7, s95, exec_lo
	s_and_b32 s9, s94, exec_lo
	s_wait_alu 0xfffe
	s_or_b32 s97, s8, s6
	s_or_b32 s95, s7, s9
	s_and_not1_b32 exec_lo, exec_lo, s89
	s_cbranch_execz .LBB77_277
.LBB77_15:                              ; =>This Loop Header: Depth=1
                                        ;     Child Loop BB77_20 Depth 2
                                        ;     Child Loop BB77_34 Depth 2
	;; [unrolled: 1-line block ×17, first 2 shown]
	ds_load_b128 v[4:7], v3 offset:5120
	s_wait_dscnt 0x0
	v_readfirstlane_b32 s67, v5
	v_readfirstlane_b32 s66, v4
	s_cmp_lg_u64 s[66:67], 0
	s_cbranch_scc1 .LBB77_47
; %bb.16:                               ;   in Loop: Header=BB77_15 Depth=1
	s_and_b32 vcc_lo, exec_lo, s76
	s_wait_alu 0xfffe
	s_cbranch_vccz .LBB77_28
; %bb.17:                               ;   in Loop: Header=BB77_15 Depth=1
	v_cmp_gt_u64_e32 vcc_lo, 0xc01, v[6:7]
	s_mov_b32 s8, 0
	s_mov_b32 s6, 0
	s_cbranch_vccz .LBB77_29
; %bb.18:                               ;   in Loop: Header=BB77_15 Depth=1
	global_load_u16 v2, v3, s[64:65]
	global_load_u8 v6, v[12:13], off
	s_mov_b32 s9, 0
	v_dual_mov_b32 v5, v1 :: v_dual_mov_b32 v4, v0
	s_wait_loadcnt 0x1
	v_and_b32_e32 v2, 0xffff, v2
	s_branch .LBB77_20
.LBB77_19:                              ;   in Loop: Header=BB77_20 Depth=2
	s_wait_alu 0xfffe
	s_or_b32 exec_lo, exec_lo, s7
	v_mov_b32_e32 v6, v7
	s_and_not1_b32 exec_lo, exec_lo, s9
	s_cbranch_execz .LBB77_144
.LBB77_20:                              ;   Parent Loop BB77_15 Depth=1
                                        ; =>  This Inner Loop Header: Depth=2
	s_delay_alu instid0(VALU_DEP_1)
	v_add_co_u32 v4, vcc_lo, v4, v2
	s_wait_alu 0xfffd
	v_add_co_ci_u32_e64 v5, null, 0, v5, vcc_lo
	s_wait_dscnt 0x0
	v_dual_mov_b32 v8, 0 :: v_dual_mov_b32 v7, 0
	s_mov_b32 s7, exec_lo
	s_delay_alu instid0(VALU_DEP_2)
	v_cmp_le_u64_e32 vcc_lo, s[28:29], v[4:5]
	v_cmpx_gt_u64_e64 s[28:29], v[4:5]
	s_cbranch_execz .LBB77_22
; %bb.21:                               ;   in Loop: Header=BB77_20 Depth=2
	v_mad_co_u64_u32 v[9:10], null, v4, s44, s[52:53]
	v_mul_lo_u32 v7, v4, s45
	v_mul_lo_u32 v11, v5, s44
	s_delay_alu instid0(VALU_DEP_1)
	v_add3_u32 v10, v11, v10, v7
	global_load_u8 v7, v[9:10], off
.LBB77_22:                              ;   in Loop: Header=BB77_20 Depth=2
	s_wait_alu 0xfffe
	s_or_b32 exec_lo, exec_lo, s7
	s_wait_loadcnt 0x0
	v_and_b32_e32 v9, v6, v30
	s_delay_alu instid0(VALU_DEP_1) | instskip(NEXT) | instid1(VALU_DEP_1)
	v_and_b32_e32 v9, 0xff, v9
	v_cmp_eq_u32_e64 s6, v9, v28
	s_cmp_lg_u32 s6, 0
	s_cselect_b32 s7, -1, 0
	s_wait_alu 0xfffe
	s_and_b32 s7, s1, s7
	s_wait_alu 0xfffe
	s_and_saveexec_b32 s10, s7
	s_cbranch_execz .LBB77_26
; %bb.23:                               ;   in Loop: Header=BB77_20 Depth=2
	s_mov_b32 s13, exec_lo
	s_bcnt1_i32_b32 s11, s6
	s_wait_alu 0xfffe
	v_mbcnt_lo_u32_b32 v8, s13, 0
	s_mov_b32 s12, exec_lo
                                        ; implicit-def: $vgpr9
	s_delay_alu instid0(VALU_DEP_1)
	v_cmpx_eq_u32_e32 0, v8
; %bb.24:                               ;   in Loop: Header=BB77_20 Depth=2
	s_bcnt1_i32_b32 s7, s13
	s_wait_alu 0xfffe
	s_mul_i32 s7, s11, s7
	s_wait_alu 0xfffe
	v_mov_b32_e32 v9, s7
	ds_add_rtn_u32 v9, v3, v9 offset:5144
; %bb.25:                               ;   in Loop: Header=BB77_20 Depth=2
	s_or_b32 exec_lo, exec_lo, s12
	s_wait_dscnt 0x0
	v_readfirstlane_b32 s7, v9
	s_wait_alu 0xf1ff
	s_delay_alu instid0(VALU_DEP_1)
	v_mad_u32_u24 v8, s11, v8, s7
.LBB77_26:                              ;   in Loop: Header=BB77_20 Depth=2
	s_wait_alu 0xfffe
	s_or_b32 exec_lo, exec_lo, s10
	ds_bpermute_b32 v8, v3, v8
	s_and_b32 s7, exec_lo, vcc_lo
	s_wait_alu 0xfffe
	s_or_b32 s9, s7, s9
	s_and_saveexec_b32 s7, s6
	s_cbranch_execz .LBB77_19
; %bb.27:                               ;   in Loop: Header=BB77_20 Depth=2
	v_and_b32_e32 v9, s6, v26
	s_wait_dscnt 0x0
	s_delay_alu instid0(VALU_DEP_1)
	v_bcnt_u32_b32 v8, v9, v8
	ds_store_b8 v8, v6
	s_branch .LBB77_19
.LBB77_28:                              ;   in Loop: Header=BB77_15 Depth=1
	s_mov_b32 s8, -1
	s_mov_b32 s6, 0
.LBB77_29:                              ;   in Loop: Header=BB77_15 Depth=1
	s_wait_alu 0xfffe
	s_and_b32 vcc_lo, exec_lo, s8
	s_wait_alu 0xfffe
	s_cbranch_vccz .LBB77_45
.LBB77_30:                              ;   in Loop: Header=BB77_15 Depth=1
	s_and_saveexec_b32 s10, s0
	s_cbranch_execz .LBB77_42
; %bb.31:                               ;   in Loop: Header=BB77_15 Depth=1
	global_load_u16 v4, v3, s[64:65]
	global_load_u8 v23, v[12:13], off
	v_mov_b32_e32 v6, v0
	s_mov_b32 s11, exec_lo
	s_wait_loadcnt 0x1
	v_and_b32_e32 v2, 0xffff, v4
	v_readfirstlane_b32 s6, v4
	s_delay_alu instid0(VALU_DEP_2) | instskip(NEXT) | instid1(VALU_DEP_1)
	v_add_nc_u32_e32 v2, v2, v0
	v_cmpx_gt_u64_e64 s[28:29], v[2:3]
	s_cbranch_execz .LBB77_41
; %bb.32:                               ;   in Loop: Header=BB77_15 Depth=1
	s_and_b32 s58, s6, 0xffff
	v_dual_mov_b32 v9, v1 :: v_dual_mov_b32 v8, v0
	s_wait_alu 0xfffe
	s_cmp_eq_u32 s58, 1
	v_dual_mov_b32 v5, v3 :: v_dual_mov_b32 v4, v2
	s_cselect_b32 s6, -1, 0
                                        ; implicit-def: $vgpr6_vgpr7
	s_wait_alu 0xfffe
	s_and_b32 s7, s4, s6
	s_mov_b32 s6, -1
	s_wait_alu 0xfffe
	s_and_saveexec_b32 s8, s7
	s_cbranch_execz .LBB77_36
; %bb.33:                               ;   in Loop: Header=BB77_15 Depth=1
	v_add_co_u32 v8, s6, v2, 3
	s_wait_alu 0xf1ff
	v_add_co_ci_u32_e64 v9, null, 0, 0, s6
	v_add_co_u32 v6, s6, v2, 2
	s_wait_alu 0xf1ff
	v_add_co_ci_u32_e64 v7, null, 0, 0, s6
	v_add_co_u32 v4, s6, v2, 1
	s_wait_alu 0xf1ff
	v_add_co_ci_u32_e64 v5, null, 0, 0, s6
	v_dual_mov_b32 v22, v17 :: v_dual_mov_b32 v11, v9
	s_wait_loadcnt 0x0
	v_dual_mov_b32 v21, v16 :: v_dual_lshlrev_b32 v32, 24, v23
	v_mov_b32_e32 v24, v0
	v_dual_mov_b32 v10, v8 :: v_dual_mov_b32 v9, v7
	v_mov_b32_e32 v8, v6
	v_mov_b32_e32 v7, v5
	v_mov_b32_e32 v6, v4
	v_mov_b32_e32 v5, v3
	v_mov_b32_e32 v4, v2
	s_mov_b32 s9, 0
.LBB77_34:                              ;   Parent Loop BB77_15 Depth=1
                                        ; =>  This Inner Loop Header: Depth=2
	v_mul_lo_u32 v42, v7, s78
	v_mul_lo_u32 v43, v6, s79
	v_mad_co_u64_u32 v[35:36], null, v6, s78, 0
	v_mul_lo_u32 v23, v9, s80
	v_mul_lo_u32 v41, v8, s81
	v_mad_co_u64_u32 v[33:34], null, v8, s80, 0
	;; [unrolled: 3-line block ×3, first 2 shown]
	v_mad_co_u64_u32 v[39:40], null, v10, s82, s[52:53]
	v_mul_lo_u32 v46, v10, s83
	v_mul_lo_u32 v47, v11, s82
	v_add3_u32 v42, v36, v43, v42
	v_add3_u32 v23, v34, v41, v23
	;; [unrolled: 1-line block ×3, first 2 shown]
	v_add_co_u32 v41, s7, s52, v35
	v_add_co_u32 v36, s6, s52, v33
	v_add3_u32 v40, v47, v40, v46
	v_add_co_u32 v34, vcc_lo, s52, v37
	s_wait_alu 0xf1ff
	v_add_co_ci_u32_e64 v42, null, s53, v42, s7
	v_add_co_ci_u32_e64 v37, null, s53, v23, s6
	s_wait_alu 0xfffd
	v_add_co_ci_u32_e64 v35, null, s53, v38, vcc_lo
	s_clause 0x3
	global_load_u8 v23, v[39:40], off
	global_load_u8 v33, v[41:42], off
	;; [unrolled: 1-line block ×4, first 2 shown]
	v_add_co_u32 v10, vcc_lo, v10, 4
	s_wait_alu 0xfffd
	v_add_co_ci_u32_e64 v11, null, 0, v11, vcc_lo
	v_add_co_u32 v8, vcc_lo, v8, 4
	s_wait_alu 0xfffd
	v_add_co_ci_u32_e64 v9, null, 0, v9, vcc_lo
	;; [unrolled: 3-line block ×3, first 2 shown]
	v_add_co_u32 v21, vcc_lo, v21, -4
	s_wait_alu 0xfffd
	v_add_co_ci_u32_e64 v22, null, -1, v22, vcc_lo
	v_add_co_u32 v4, vcc_lo, v4, 4
	s_wait_alu 0xfffd
	v_add_co_ci_u32_e64 v5, null, 0, v5, vcc_lo
	s_delay_alu instid0(VALU_DEP_3)
	v_cmp_eq_u64_e64 s6, 0, v[21:22]
	s_wait_alu 0xfffe
	s_or_b32 s9, s6, s9
	s_wait_loadcnt 0x0
	v_perm_b32 v35, v34, v33, 0xc0c0004
	v_perm_b32 v33, v33, v36, 0xc0c0004
	;; [unrolled: 1-line block ×4, first 2 shown]
	s_delay_alu instid0(VALU_DEP_2) | instskip(NEXT) | instid1(VALU_DEP_2)
	v_lshl_or_b32 v32, v33, 16, v32
	v_lshl_or_b32 v33, v34, 16, v35
	ds_store_b32 v24, v32
	v_add_nc_u32_e32 v24, 4, v24
	v_mov_b32_e32 v32, v33
	s_wait_alu 0xfffe
	s_and_not1_b32 exec_lo, exec_lo, s9
	s_cbranch_execnz .LBB77_34
; %bb.35:                               ;   in Loop: Header=BB77_15 Depth=1
	s_or_b32 exec_lo, exec_lo, s9
	v_add_co_u32 v4, vcc_lo, v2, v16
	s_wait_alu 0xfffd
	v_add_co_ci_u32_e64 v5, null, 0, v17, vcc_lo
	v_dual_mov_b32 v8, v18 :: v_dual_mov_b32 v9, v19
	s_delay_alu instid0(VALU_DEP_3)
	v_add_co_u32 v6, vcc_lo, v4, -1
	s_or_not1_b32 s6, s5, exec_lo
	s_wait_alu 0xfffd
	v_add_co_ci_u32_e64 v2, null, -1, v5, vcc_lo
.LBB77_36:                              ;   in Loop: Header=BB77_15 Depth=1
	s_wait_alu 0xfffe
	s_or_b32 exec_lo, exec_lo, s8
	s_and_saveexec_b32 s7, s6
	s_cbranch_execz .LBB77_40
; %bb.37:                               ;   in Loop: Header=BB77_15 Depth=1
	s_sub_nc_u64 s[8:9], 0, s[58:59]
	s_mov_b32 s12, 0
.LBB77_38:                              ;   Parent Loop BB77_15 Depth=1
                                        ; =>  This Inner Loop Header: Depth=2
	v_dual_mov_b32 v7, v5 :: v_dual_mov_b32 v6, v4
	s_wait_loadcnt 0x0
	ds_store_b8 v8, v23
	v_mul_lo_u32 v9, v7, s44
	v_mad_co_u64_u32 v[4:5], null, v6, s44, s[52:53]
	v_mul_lo_u32 v2, v6, s45
	s_delay_alu instid0(VALU_DEP_1)
	v_add3_u32 v5, v9, v5, v2
	v_dual_mov_b32 v9, v7 :: v_dual_mov_b32 v8, v6
	global_load_u8 v2, v[4:5], off
	v_add_co_u32 v4, vcc_lo, v6, s58
	s_wait_alu 0xfffd
	v_add_co_ci_u32_e64 v5, null, 0, v7, vcc_lo
	s_wait_alu 0xfffe
	s_delay_alu instid0(VALU_DEP_2) | instskip(NEXT) | instid1(VALU_DEP_2)
	v_add_co_u32 v6, s6, s8, v4
	v_cmp_le_u64_e32 vcc_lo, s[28:29], v[4:5]
	s_wait_alu 0xf1ff
	v_add_co_ci_u32_e64 v7, null, s9, v5, s6
	s_or_b32 s12, vcc_lo, s12
	s_wait_loadcnt 0x0
	v_mov_b32_e32 v23, v2
	s_wait_alu 0xfffe
	s_and_not1_b32 exec_lo, exec_lo, s12
	s_cbranch_execnz .LBB77_38
; %bb.39:                               ;   in Loop: Header=BB77_15 Depth=1
	s_or_b32 exec_lo, exec_lo, s12
	v_mov_b32_e32 v23, v2
.LBB77_40:                              ;   in Loop: Header=BB77_15 Depth=1
	s_wait_alu 0xfffe
	s_or_b32 exec_lo, exec_lo, s7
.LBB77_41:                              ;   in Loop: Header=BB77_15 Depth=1
	s_wait_alu 0xfffe
	s_or_b32 exec_lo, exec_lo, s11
	s_wait_loadcnt 0x0
	ds_store_b8 v6, v23
.LBB77_42:                              ;   in Loop: Header=BB77_15 Depth=1
	s_wait_alu 0xfffe
	s_or_b32 exec_lo, exec_lo, s10
	s_wait_loadcnt_dscnt 0x0
	s_barrier_signal -1
	s_barrier_wait -1
	global_inv scope:SCOPE_SE
	s_and_saveexec_b32 s6, s2
; %bb.43:                               ;   in Loop: Header=BB77_15 Depth=1
	v_dual_mov_b32 v4, s28 :: v_dual_mov_b32 v5, s29
	ds_store_b64 v3, v[4:5] offset:5120
; %bb.44:                               ;   in Loop: Header=BB77_15 Depth=1
	s_wait_alu 0xfffe
	s_or_b32 exec_lo, exec_lo, s6
	s_mov_b32 s6, -1
	s_wait_loadcnt_dscnt 0x0
	s_barrier_signal -1
	s_barrier_wait -1
.LBB77_45:                              ;   in Loop: Header=BB77_15 Depth=1
	s_wait_alu 0xfffe
	s_and_b32 vcc_lo, exec_lo, s6
	s_mov_b64 s[66:67], 0
	s_wait_alu 0xfffe
	s_cbranch_vccz .LBB77_47
; %bb.46:                               ;   in Loop: Header=BB77_15 Depth=1
	s_wait_loadcnt 0x0
	global_inv scope:SCOPE_SE
	ds_load_b64 v[4:5], v3 offset:5120
	s_wait_dscnt 0x0
	v_readfirstlane_b32 s66, v4
.LBB77_47:                              ;   in Loop: Header=BB77_15 Depth=1
	s_delay_alu instid0(VALU_DEP_1)
	s_cmp_lt_i32 s66, 1
	s_mov_b32 s6, -1
                                        ; implicit-def: $vgpr10_vgpr11
                                        ; implicit-def: $vgpr6_vgpr7
	s_cbranch_scc1 .LBB77_57
; %bb.48:                               ;   in Loop: Header=BB77_15 Depth=1
	s_wait_alu 0xfffe
	s_and_b32 vcc_lo, exec_lo, s6
	s_wait_alu 0xfffe
	s_cbranch_vccnz .LBB77_71
.LBB77_49:                              ;   in Loop: Header=BB77_15 Depth=1
	s_lshl_b32 s6, s91, 7
	s_and_saveexec_b32 s7, s1
	s_cbranch_execz .LBB77_51
.LBB77_50:                              ;   in Loop: Header=BB77_15 Depth=1
	s_wait_alu 0xfffe
	v_lshl_add_u32 v2, s6, 3, v27
	ds_store_b128 v2, v[4:7]
	ds_store_b128 v2, v[8:11] offset:16
.LBB77_51:                              ;   in Loop: Header=BB77_15 Depth=1
	s_wait_alu 0xfffe
	s_or_b32 exec_lo, exec_lo, s7
	s_wait_loadcnt_dscnt 0x0
	s_barrier_signal -1
	s_barrier_wait -1
	global_inv scope:SCOPE_SE
	s_and_saveexec_b32 s7, s33
	s_cbranch_execz .LBB77_85
; %bb.52:                               ;   in Loop: Header=BB77_15 Depth=1
	v_mov_b32_e32 v4, 0
	v_mov_b32_e32 v5, 0
	s_and_not1_b32 vcc_lo, exec_lo, s77
	s_wait_alu 0xfffe
	s_cbranch_vccnz .LBB77_84
; %bb.53:                               ;   in Loop: Header=BB77_15 Depth=1
	v_mov_b32_e32 v4, 0
	v_mov_b32_e32 v5, 0
	s_and_not1_b32 vcc_lo, exec_lo, s85
	s_wait_alu 0xfffe
	s_cbranch_vccnz .LBB77_81
; %bb.54:                               ;   in Loop: Header=BB77_15 Depth=1
	v_lshl_add_u32 v2, s91, 10, v29
	s_mov_b32 s8, 0
.LBB77_55:                              ;   Parent Loop BB77_15 Depth=1
                                        ; =>  This Inner Loop Header: Depth=2
	ds_load_2addr_b64 v[6:9], v2 offset1:4
	ds_load_2addr_b64 v[21:24], v2 offset0:8 offset1:12
	ds_load_2addr_b64 v[32:35], v2 offset0:16 offset1:20
	s_wait_alu 0xfffe
	s_add_co_i32 s8, s8, 8
	s_wait_alu 0xfffe
	s_cmp_eq_u32 s86, s8
	s_wait_dscnt 0x2
	v_add_co_u32 v4, vcc_lo, v6, v4
	s_wait_alu 0xfffd
	v_add_co_ci_u32_e64 v5, null, v7, v5, vcc_lo
	s_delay_alu instid0(VALU_DEP_2) | instskip(SKIP_1) | instid1(VALU_DEP_2)
	v_add_co_u32 v8, vcc_lo, v8, v4
	s_wait_alu 0xfffd
	v_add_co_ci_u32_e64 v9, null, v9, v5, vcc_lo
	ds_load_2addr_b64 v[4:7], v2 offset0:24 offset1:28
	s_wait_dscnt 0x2
	v_add_co_u32 v8, vcc_lo, v21, v8
	s_wait_alu 0xfffd
	v_add_co_ci_u32_e64 v9, null, v22, v9, vcc_lo
	v_add_nc_u32_e32 v2, 0x100, v2
	s_delay_alu instid0(VALU_DEP_3) | instskip(SKIP_1) | instid1(VALU_DEP_3)
	v_add_co_u32 v8, vcc_lo, v23, v8
	s_wait_alu 0xfffd
	v_add_co_ci_u32_e64 v9, null, v24, v9, vcc_lo
	s_wait_dscnt 0x1
	s_delay_alu instid0(VALU_DEP_2) | instskip(SKIP_1) | instid1(VALU_DEP_2)
	v_add_co_u32 v8, vcc_lo, v32, v8
	s_wait_alu 0xfffd
	v_add_co_ci_u32_e64 v9, null, v33, v9, vcc_lo
	s_delay_alu instid0(VALU_DEP_2) | instskip(SKIP_1) | instid1(VALU_DEP_2)
	v_add_co_u32 v8, vcc_lo, v34, v8
	s_wait_alu 0xfffd
	v_add_co_ci_u32_e64 v9, null, v35, v9, vcc_lo
	s_wait_dscnt 0x0
	s_delay_alu instid0(VALU_DEP_2) | instskip(SKIP_1) | instid1(VALU_DEP_2)
	v_add_co_u32 v4, vcc_lo, v4, v8
	s_wait_alu 0xfffd
	v_add_co_ci_u32_e64 v5, null, v5, v9, vcc_lo
	s_delay_alu instid0(VALU_DEP_2) | instskip(SKIP_1) | instid1(VALU_DEP_2)
	v_add_co_u32 v4, vcc_lo, v6, v4
	s_wait_alu 0xfffd
	v_add_co_ci_u32_e64 v5, null, v7, v5, vcc_lo
	s_cbranch_scc0 .LBB77_55
; %bb.56:                               ;   in Loop: Header=BB77_15 Depth=1
	s_mov_b32 s8, s86
	s_and_not1_b32 vcc_lo, exec_lo, s87
	s_wait_alu 0xfffe
	s_cbranch_vccz .LBB77_82
	s_branch .LBB77_84
.LBB77_57:                              ;   in Loop: Header=BB77_15 Depth=1
	global_load_u16 v2, v3, s[64:65]
	s_mov_b32 s7, s29
	s_wait_loadcnt 0x0
	v_readfirstlane_b32 s6, v2
	s_wait_alu 0xfffe
	s_and_b32 s8, 0xffff, s6
	s_mov_b32 s6, s59
	s_wait_alu 0xfffe
	s_lshl_b32 s18, s8, 2
	s_cmp_lg_u64 s[6:7], 0
	s_cbranch_scc0 .LBB77_80
; %bb.58:                               ;   in Loop: Header=BB77_15 Depth=1
	s_wait_alu 0xfffe
	s_cvt_f32_u32 s6, s18
	s_mov_b32 s19, s59
	s_wait_alu 0xfffe
	s_sub_nc_u64 s[8:9], 0, s[18:19]
	s_fmamk_f32 s6, s90, 0x0, s6
	s_wait_alu 0xfffe
	s_delay_alu instid0(SALU_CYCLE_2) | instskip(NEXT) | instid1(TRANS32_DEP_1)
	v_s_rcp_f32 s6, s6
	s_mul_f32 s6, s6, 0x5f7ffffc
	s_wait_alu 0xfffe
	s_delay_alu instid0(SALU_CYCLE_2) | instskip(SKIP_1) | instid1(SALU_CYCLE_2)
	s_mul_f32 s7, s6, 0x2f800000
	s_wait_alu 0xfffe
	s_trunc_f32 s7, s7
	s_wait_alu 0xfffe
	s_delay_alu instid0(SALU_CYCLE_2) | instskip(SKIP_2) | instid1(SALU_CYCLE_1)
	s_fmamk_f32 s6, s7, 0xcf800000, s6
	s_cvt_u32_f32 s7, s7
	s_wait_alu 0xfffe
	s_cvt_u32_f32 s6, s6
	s_wait_alu 0xfffe
	s_delay_alu instid0(SALU_CYCLE_2)
	s_mul_u64 s[10:11], s[8:9], s[6:7]
	s_wait_alu 0xfffe
	s_mul_hi_u32 s13, s6, s11
	s_mul_i32 s12, s6, s11
	s_mul_hi_u32 s58, s6, s10
	s_mul_i32 s15, s7, s10
	s_wait_alu 0xfffe
	s_add_nc_u64 s[12:13], s[58:59], s[12:13]
	s_mul_hi_u32 s14, s7, s10
	s_mul_hi_u32 s16, s7, s11
	s_mul_i32 s10, s7, s11
	s_wait_alu 0xfffe
	s_add_co_u32 s11, s12, s15
	s_add_co_ci_u32 s58, s13, s14
	s_add_co_ci_u32 s11, s16, 0
	s_wait_alu 0xfffe
	s_add_nc_u64 s[10:11], s[58:59], s[10:11]
	s_wait_alu 0xfffe
	s_add_co_u32 s6, s6, s10
	s_cselect_b32 s10, -1, 0
	s_wait_alu 0xfffe
	s_cmp_lg_u32 s10, 0
	s_add_co_ci_u32 s7, s7, s11
	s_wait_alu 0xfffe
	s_mul_u64 s[8:9], s[8:9], s[6:7]
	s_wait_alu 0xfffe
	s_mul_hi_u32 s11, s6, s9
	s_mul_i32 s10, s6, s9
	s_mul_hi_u32 s58, s6, s8
	s_mul_i32 s13, s7, s8
	s_wait_alu 0xfffe
	s_add_nc_u64 s[10:11], s[58:59], s[10:11]
	s_mul_hi_u32 s12, s7, s8
	s_mul_hi_u32 s14, s7, s9
	s_mul_i32 s8, s7, s9
	s_wait_alu 0xfffe
	s_add_co_u32 s9, s10, s13
	s_add_co_ci_u32 s58, s11, s12
	s_add_co_ci_u32 s9, s14, 0
	s_wait_alu 0xfffe
	s_add_nc_u64 s[8:9], s[58:59], s[8:9]
	s_wait_alu 0xfffe
	s_add_co_u32 s6, s6, s8
	s_cselect_b32 s8, -1, 0
	s_wait_alu 0xfffe
	s_mul_hi_u32 s58, s28, s6
	s_cmp_lg_u32 s8, 0
	s_mul_hi_u32 s10, s29, s6
	s_add_co_ci_u32 s8, s7, s9
	s_mul_i32 s9, s29, s6
	s_wait_alu 0xfffe
	s_mul_hi_u32 s7, s28, s8
	s_mul_i32 s6, s28, s8
	s_mul_hi_u32 s11, s29, s8
	s_wait_alu 0xfffe
	s_add_nc_u64 s[6:7], s[58:59], s[6:7]
	s_mul_i32 s8, s29, s8
	s_wait_alu 0xfffe
	s_add_co_u32 s6, s6, s9
	s_add_co_ci_u32 s58, s7, s10
	s_add_co_ci_u32 s9, s11, 0
	s_wait_alu 0xfffe
	s_add_nc_u64 s[6:7], s[58:59], s[8:9]
	s_wait_alu 0xfffe
	s_mul_u64 s[6:7], s[18:19], s[6:7]
	s_wait_alu 0xfffe
	s_sub_co_u32 s6, s28, s6
	s_cselect_b32 s8, -1, 0
	s_wait_alu 0xfffe
	s_cmp_lg_u32 s8, 0
	s_sub_co_ci_u32 s7, s29, s7
	s_sub_co_u32 s8, s6, s18
	s_cselect_b32 s9, -1, 0
	s_wait_alu 0xfffe
	s_cmp_lg_u32 s9, 0
	s_sub_co_ci_u32 s9, s7, 0
	;; [unrolled: 5-line block ×3, first 2 shown]
	s_cmp_ge_u32 s8, s18
	s_cselect_b32 s12, -1, 0
	s_cmp_eq_u32 s9, 0
	s_wait_alu 0xfffe
	s_cselect_b32 s12, s12, -1
	s_wait_alu 0xfffe
	s_cmp_lg_u32 s12, 0
	s_cselect_b32 s9, s11, s9
	s_cselect_b32 s8, s10, s8
	s_cmp_ge_u32 s6, s18
	s_cselect_b32 s10, -1, 0
	s_cmp_eq_u32 s7, 0
	s_wait_alu 0xfffe
	s_cselect_b32 s10, s10, -1
	s_wait_alu 0xfffe
	s_cmp_lg_u32 s10, 0
	s_cselect_b32 s7, s9, s7
	s_cselect_b32 s6, s8, s6
	s_cbranch_execnz .LBB77_60
.LBB77_59:                              ;   in Loop: Header=BB77_15 Depth=1
	s_wait_alu 0xfffe
	v_cvt_f32_u32_e32 v4, s18
	s_sub_co_i32 s7, 0, s18
	s_delay_alu instid0(VALU_DEP_1) | instskip(NEXT) | instid1(TRANS32_DEP_1)
	v_rcp_iflag_f32_e32 v4, v4
	v_mul_f32_e32 v4, 0x4f7ffffe, v4
	s_delay_alu instid0(VALU_DEP_1) | instskip(NEXT) | instid1(VALU_DEP_1)
	v_cvt_u32_f32_e32 v4, v4
	v_readfirstlane_b32 s6, v4
	s_wait_alu 0xfffe
	s_mul_i32 s7, s7, s6
	s_wait_alu 0xfffe
	s_mul_hi_u32 s7, s6, s7
	s_wait_alu 0xfffe
	s_add_co_i32 s6, s6, s7
	s_wait_alu 0xfffe
	s_mul_hi_u32 s6, s28, s6
	s_wait_alu 0xfffe
	s_mul_i32 s6, s6, s18
	s_wait_alu 0xfffe
	s_sub_co_i32 s6, s28, s6
	s_wait_alu 0xfffe
	s_sub_co_i32 s7, s6, s18
	s_cmp_ge_u32 s6, s18
	s_wait_alu 0xfffe
	s_cselect_b32 s6, s7, s6
	s_wait_alu 0xfffe
	s_sub_co_i32 s7, s6, s18
	s_cmp_ge_u32 s6, s18
	s_wait_alu 0xfffe
	s_cselect_b32 s58, s7, s6
	s_wait_alu 0xfffe
	s_mov_b64 s[6:7], s[58:59]
.LBB77_60:                              ;   in Loop: Header=BB77_15 Depth=1
	v_mov_b32_e32 v4, 0
	v_dual_mov_b32 v8, 0 :: v_dual_mov_b32 v5, 0
	v_dual_mov_b32 v6, 0 :: v_dual_mov_b32 v9, 0
	;; [unrolled: 1-line block ×3, first 2 shown]
	v_mov_b32_e32 v11, 0
	s_wait_alu 0xfffe
	s_sub_nc_u64 s[20:21], s[28:29], s[6:7]
	s_mov_b32 s17, exec_lo
	s_wait_alu 0xfffe
	v_cmpx_gt_u64_e64 s[20:21], v[14:15]
	s_cbranch_execz .LBB77_64
; %bb.61:                               ;   in Loop: Header=BB77_15 Depth=1
	v_dual_mov_b32 v22, v15 :: v_dual_mov_b32 v21, v14
	s_mov_b64 s[22:23], 0
	s_mov_b32 s19, 0
	s_mov_b64 s[24:25], 0
	s_mov_b64 s[68:69], 0
	;; [unrolled: 1-line block ×3, first 2 shown]
.LBB77_62:                              ;   Parent Loop BB77_15 Depth=1
                                        ; =>  This Inner Loop Header: Depth=2
	v_mad_co_u64_u32 v[4:5], null, v21, s44, s[52:53]
	v_mul_lo_u32 v6, v21, s45
	v_mul_lo_u32 v7, v22, s44
	s_delay_alu instid0(VALU_DEP_1) | instskip(NEXT) | instid1(VALU_DEP_4)
	v_add3_u32 v5, v7, v5, v6
	v_add_co_u32 v6, vcc_lo, v4, s44
	s_wait_alu 0xfffd
	s_delay_alu instid0(VALU_DEP_2)
	v_add_co_ci_u32_e64 v7, null, s45, v5, vcc_lo
	s_clause 0x1
	global_load_u8 v8, v[4:5], off
	global_load_u8 v9, v[6:7], off
	v_add_co_u32 v4, vcc_lo, v6, s44
	s_wait_alu 0xfffd
	v_add_co_ci_u32_e64 v5, null, s45, v7, vcc_lo
	s_delay_alu instid0(VALU_DEP_2)
	v_add_co_u32 v6, vcc_lo, v4, s44
	global_load_u8 v4, v[4:5], off
	s_wait_alu 0xfffd
	v_add_co_ci_u32_e64 v7, null, s45, v5, vcc_lo
	v_add_co_u32 v21, vcc_lo, v21, s18
	s_wait_alu 0xfffd
	v_add_co_ci_u32_e64 v22, null, 0, v22, vcc_lo
	global_load_u8 v5, v[6:7], off
	v_cmp_le_u64_e32 vcc_lo, s[20:21], v[21:22]
	s_wait_loadcnt 0x3
	v_and_b32_e32 v6, v30, v8
	v_bfe_u32 v7, v8, s88, 2
	s_wait_loadcnt 0x2
	v_bfe_u32 v8, v9, s88, 2
	s_delay_alu instid0(VALU_DEP_3)
	v_cmp_eq_u32_e64 s6, v6, v28
	v_and_b32_e32 v6, v30, v9
	v_cmp_eq_u32_e64 s7, 0, v7
	v_cmp_eq_u32_e64 s8, 1, v7
	;; [unrolled: 1-line block ×5, first 2 shown]
	s_wait_loadcnt 0x1
	v_and_b32_e32 v6, v30, v4
	v_bfe_u32 v4, v4, s88, 2
	v_cmp_eq_u32_e64 s12, 0, v8
	s_and_b32 s7, s6, s7
	s_and_b32 s8, s6, s8
	;; [unrolled: 1-line block ×3, first 2 shown]
	s_wait_alu 0xfffe
	v_cndmask_b32_e64 v7, 0, 1, s7
	v_cmp_eq_u32_e64 s7, 1, v8
	v_cndmask_b32_e64 v9, 0, 1, s8
	v_cmp_eq_u32_e64 s8, 2, v8
	;; [unrolled: 2-line block ×3, first 2 shown]
	s_and_b32 s6, s6, s10
	v_cmp_eq_u32_e64 s10, 0, v4
	s_wait_alu 0xfffe
	v_cndmask_b32_e64 v8, 0, 1, s6
	v_cmp_eq_u32_e64 s6, v6, v28
	s_wait_loadcnt 0x0
	v_and_b32_e32 v6, v30, v5
	v_bfe_u32 v5, v5, s88, 2
	s_and_b32 s12, s11, s12
	v_cmp_ne_u32_e64 s13, 0, v7
	s_wait_alu 0xfffe
	v_cndmask_b32_e64 v7, 0, 1, s12
	v_cmp_eq_u32_e64 s12, 1, v4
	s_and_b32 s7, s11, s7
	s_and_b32 s8, s11, s8
	;; [unrolled: 1-line block ×3, first 2 shown]
	v_cmp_ne_u32_e64 s14, 0, v9
	s_wait_alu 0xfffe
	v_cndmask_b32_e64 v9, 0, 1, s7
	v_cmp_eq_u32_e64 s7, 2, v4
	v_cmp_ne_u32_e64 s15, 0, v10
	v_cndmask_b32_e64 v10, 0, 1, s8
	v_cmp_eq_u32_e64 s8, 3, v4
	v_cndmask_b32_e64 v4, 0, 1, s9
	v_cmp_eq_u32_e64 s9, v6, v28
	v_cmp_eq_u32_e64 s11, 0, v5
	s_and_b32 s10, s6, s10
	v_cmp_ne_u32_e64 s16, 0, v8
	s_wait_alu 0xfffe
	v_cndmask_b32_e64 v6, 0, 1, s10
	v_cmp_eq_u32_e64 s10, 1, v5
	s_and_b32 s12, s6, s12
	s_bcnt1_i32_b32 s58, s13
	v_cmp_ne_u32_e64 s13, 0, v7
	s_wait_alu 0xfffe
	v_cndmask_b32_e64 v7, 0, 1, s12
	v_cmp_eq_u32_e64 s12, 2, v5
	s_and_b32 s7, s6, s7
	s_and_b32 s6, s6, s8
	;; [unrolled: 1-line block ×3, first 2 shown]
	s_wait_alu 0xfffe
	v_cndmask_b32_e64 v8, 0, 1, s7
	v_cmp_eq_u32_e64 s7, 3, v5
	s_bcnt1_i32_b32 s73, s16
	v_cmp_ne_u32_e64 s16, 0, v4
	v_cndmask_b32_e64 v4, 0, 1, s6
	v_cmp_ne_u32_e64 s6, 0, v6
	v_cndmask_b32_e64 v5, 0, 1, s8
	s_and_b32 s10, s9, s10
	s_and_b32 s11, s9, s12
	s_wait_alu 0xfffe
	v_cndmask_b32_e64 v6, 0, 1, s10
	s_bcnt1_i32_b32 s67, s14
	v_cmp_ne_u32_e64 s14, 0, v9
	v_cmp_ne_u32_e64 s8, 0, v7
	v_cndmask_b32_e64 v7, 0, 1, s11
	s_and_b32 s7, s9, s7
	s_bcnt1_i32_b32 s72, s15
	v_cmp_ne_u32_e64 s15, 0, v10
	s_bcnt1_i32_b32 s12, s16
	s_bcnt1_i32_b32 s16, s6
	v_cmp_ne_u32_e64 s6, 0, v5
	s_bcnt1_i32_b32 s13, s13
	v_cmp_ne_u32_e64 s11, 0, v4
	s_wait_alu 0xfffe
	v_cndmask_b32_e64 v4, 0, 1, s7
	v_cmp_ne_u32_e64 s10, 0, v8
	v_cmp_ne_u32_e64 s7, 0, v6
	s_bcnt1_i32_b32 s14, s14
	s_add_co_i32 s13, s13, s58
	s_bcnt1_i32_b32 s58, s8
	v_cmp_ne_u32_e64 s8, 0, v7
	s_bcnt1_i32_b32 s15, s15
	s_wait_alu 0xfffe
	s_add_co_i32 s14, s14, s67
	s_add_co_i32 s13, s13, s16
	s_bcnt1_i32_b32 s6, s6
	v_cmp_ne_u32_e64 s9, 0, v4
	s_add_co_i32 s15, s15, s72
	s_bcnt1_i32_b32 s10, s10
	s_wait_alu 0xfffe
	s_add_co_i32 s14, s14, s58
	s_bcnt1_i32_b32 s7, s7
	s_add_co_i32 s58, s13, s6
	s_add_co_i32 s12, s12, s73
	s_bcnt1_i32_b32 s11, s11
	s_add_co_i32 s10, s15, s10
	s_bcnt1_i32_b32 s8, s8
	s_wait_alu 0xfffe
	s_add_nc_u64 s[70:71], s[70:71], s[58:59]
	s_add_co_i32 s58, s14, s7
	s_add_co_i32 s11, s12, s11
	s_bcnt1_i32_b32 s9, s9
	s_wait_alu 0xfffe
	s_add_nc_u64 s[68:69], s[68:69], s[58:59]
	s_add_co_i32 s58, s10, s8
	v_mov_b32_e32 v4, s70
	s_wait_alu 0xfffe
	s_add_nc_u64 s[24:25], s[24:25], s[58:59]
	s_add_co_i32 s58, s11, s9
	v_mov_b32_e32 v6, s68
	s_wait_alu 0xfffe
	s_add_nc_u64 s[22:23], s[22:23], s[58:59]
	v_mov_b32_e32 v8, s24
	s_wait_alu 0xfffe
	v_dual_mov_b32 v10, s22 :: v_dual_mov_b32 v5, s71
	v_mov_b32_e32 v7, s69
	v_mov_b32_e32 v9, s25
	v_mov_b32_e32 v11, s23
	s_or_b32 s19, vcc_lo, s19
	s_wait_alu 0xfffe
	s_and_not1_b32 exec_lo, exec_lo, s19
	s_cbranch_execnz .LBB77_62
; %bb.63:                               ;   in Loop: Header=BB77_15 Depth=1
	s_or_b32 exec_lo, exec_lo, s19
.LBB77_64:                              ;   in Loop: Header=BB77_15 Depth=1
	s_delay_alu instid0(SALU_CYCLE_1)
	s_or_b32 exec_lo, exec_lo, s17
	v_add_co_u32 v21, s6, s20, v0
	v_and_b32_e32 v2, 0xffff, v2
	s_wait_alu 0xf1ff
	v_add_co_ci_u32_e64 v22, null, s21, 0, s6
	s_mov_b32 s9, exec_lo
	v_cmpx_gt_u64_e64 s[28:29], v[21:22]
	s_cbranch_execz .LBB77_70
; %bb.65:                               ;   in Loop: Header=BB77_15 Depth=1
	v_mad_co_u64_u32 v[23:24], null, v21, s44, s[52:53]
	v_mul_lo_u32 v32, v21, s45
	v_mul_lo_u32 v33, v22, s44
	s_mov_b32 s10, 0
	s_delay_alu instid0(VALU_DEP_1)
	v_add3_u32 v24, v33, v24, v32
	global_load_u8 v24, v[23:24], off
	s_branch .LBB77_67
.LBB77_66:                              ;   in Loop: Header=BB77_67 Depth=2
	s_wait_alu 0xfffe
	s_or_b32 exec_lo, exec_lo, s7
	s_wait_loadcnt 0x0
	v_and_b32_e32 v24, 0xff, v24
	s_and_b32 s8, exec_lo, vcc_lo
	s_wait_alu 0xfffe
	s_or_b32 s10, s8, s10
	s_delay_alu instid0(VALU_DEP_1) | instskip(SKIP_1) | instid1(VALU_DEP_2)
	v_and_b32_e32 v32, v30, v24
	v_bfe_u32 v24, v24, s88, 2
	v_cmp_eq_u32_e64 s6, v32, v28
	s_delay_alu instid0(VALU_DEP_2)
	v_cmp_eq_u32_e64 s7, 0, v24
	v_cmp_eq_u32_e32 vcc_lo, 1, v24
	v_cmp_eq_u32_e64 s8, 2, v24
	s_and_b32 s7, s6, s7
	s_wait_alu 0xfffe
	v_cndmask_b32_e64 v32, 0, 1, s7
	s_and_b32 s7, s6, vcc_lo
	v_cmp_eq_u32_e32 vcc_lo, 3, v24
	s_wait_alu 0xfffe
	v_cndmask_b32_e64 v33, 0, 1, s7
	s_and_b32 s7, s6, s8
	s_wait_alu 0xfffe
	v_cndmask_b32_e64 v24, 0, 1, s7
	v_cmp_ne_u32_e64 s7, 0, v32
	v_cmp_ne_u32_e64 s8, 0, v33
	s_and_b32 s6, s6, vcc_lo
	s_wait_alu 0xfffe
	v_cndmask_b32_e64 v32, 0, 1, s6
	s_bcnt1_i32_b32 s6, s7
	v_cmp_ne_u32_e32 vcc_lo, 0, v24
	s_bcnt1_i32_b32 s7, s8
	s_wait_alu 0xfffe
	v_add_co_u32 v4, s6, v4, s6
	s_wait_alu 0xf1ff
	v_add_co_ci_u32_e64 v5, null, 0, v5, s6
	v_add_co_u32 v6, s6, v6, s7
	s_wait_alu 0xf1ff
	v_add_co_ci_u32_e64 v7, null, 0, v7, s6
	s_bcnt1_i32_b32 s6, vcc_lo
	v_cmp_ne_u32_e32 vcc_lo, 0, v32
	s_wait_alu 0xfffe
	v_add_co_u32 v8, s6, v8, s6
	s_wait_alu 0xf1ff
	v_add_co_ci_u32_e64 v9, null, 0, v9, s6
	s_bcnt1_i32_b32 s6, vcc_lo
	v_mov_b32_e32 v24, v23
	s_wait_alu 0xfffe
	v_add_co_u32 v10, vcc_lo, v10, s6
	s_wait_alu 0xfffd
	v_add_co_ci_u32_e64 v11, null, 0, v11, vcc_lo
	s_and_not1_b32 exec_lo, exec_lo, s10
	s_cbranch_execz .LBB77_69
.LBB77_67:                              ;   Parent Loop BB77_15 Depth=1
                                        ; =>  This Inner Loop Header: Depth=2
	v_add_co_u32 v21, vcc_lo, v21, v2
	s_wait_alu 0xfffd
	v_add_co_ci_u32_e64 v22, null, 0, v22, vcc_lo
	v_mov_b32_e32 v23, 0
	s_mov_b32 s7, exec_lo
	s_delay_alu instid0(VALU_DEP_2)
	v_cmp_le_u64_e32 vcc_lo, s[28:29], v[21:22]
	v_cmpx_gt_u64_e64 s[28:29], v[21:22]
	s_cbranch_execz .LBB77_66
; %bb.68:                               ;   in Loop: Header=BB77_67 Depth=2
	v_mad_co_u64_u32 v[32:33], null, v21, s44, s[52:53]
	v_mul_lo_u32 v23, v21, s45
	v_mul_lo_u32 v34, v22, s44
	s_delay_alu instid0(VALU_DEP_1)
	v_add3_u32 v33, v34, v33, v23
	global_load_u8 v23, v[32:33], off
	s_branch .LBB77_66
.LBB77_69:                              ;   in Loop: Header=BB77_15 Depth=1
	s_or_b32 exec_lo, exec_lo, s10
.LBB77_70:                              ;   in Loop: Header=BB77_15 Depth=1
	s_wait_alu 0xfffe
	s_or_b32 exec_lo, exec_lo, s9
	s_branch .LBB77_49
.LBB77_71:                              ;   in Loop: Header=BB77_15 Depth=1
	global_load_u16 v2, v3, s[64:65]
	v_mov_b32_e32 v6, 0
	v_mov_b32_e32 v8, 0
	v_dual_mov_b32 v10, 0 :: v_dual_mov_b32 v9, 0
	v_mov_b32_e32 v11, 0
	s_mov_b32 s100, exec_lo
	v_mov_b32_e32 v7, 0
	s_wait_loadcnt 0x0
	v_readfirstlane_b32 s6, v2
	v_and_b32_e32 v2, 0xffff, v2
	s_and_b32 s67, 0xffff, s6
	s_wait_alu 0xfffe
	s_lshl_b32 s99, s67, 2
	s_wait_alu 0xfffe
	s_cvt_f32_u32 s6, s99
	s_sub_co_i32 s7, 0, s99
	s_wait_alu 0xfffe
	s_delay_alu instid0(SALU_CYCLE_1) | instskip(NEXT) | instid1(TRANS32_DEP_1)
	v_rcp_iflag_f32_e32 v4, s6
	v_readfirstlane_b32 s6, v4
	s_mul_f32 s6, s6, 0x4f7ffffe
	s_wait_alu 0xfffe
	s_delay_alu instid0(SALU_CYCLE_2) | instskip(SKIP_1) | instid1(SALU_CYCLE_2)
	s_cvt_u32_f32 s6, s6
	s_wait_alu 0xfffe
	s_mul_i32 s7, s7, s6
	s_wait_alu 0xfffe
	s_mul_hi_u32 s7, s6, s7
	s_wait_alu 0xfffe
	s_add_co_i32 s6, s6, s7
	s_wait_alu 0xfffe
	s_mul_hi_u32 s6, s66, s6
	s_wait_alu 0xfffe
	s_mul_i32 s7, s6, s99
	s_add_co_i32 s8, s6, 1
	s_wait_alu 0xfffe
	s_sub_co_i32 s7, s66, s7
	s_wait_alu 0xfffe
	s_sub_co_i32 s9, s7, s99
	s_cmp_ge_u32 s7, s99
	s_cselect_b32 s6, s8, s6
	s_wait_alu 0xfffe
	s_cselect_b32 s7, s9, s7
	s_add_co_i32 s8, s6, 1
	s_wait_alu 0xfffe
	s_cmp_ge_u32 s7, s99
	s_cselect_b32 s98, s8, s6
	s_wait_alu 0xfffe
	v_mul_hi_u32 v5, s98, v2
	v_mul_lo_u32 v4, s98, v2
	s_delay_alu instid0(VALU_DEP_1) | instskip(SKIP_2) | instid1(VALU_DEP_3)
	v_lshlrev_b64_e32 v[21:22], 2, v[4:5]
	v_mov_b32_e32 v4, 0
	v_mov_b32_e32 v5, 0
	v_cmpx_gt_u64_e64 v[21:22], v[14:15]
	s_cbranch_execz .LBB77_75
; %bb.72:                               ;   in Loop: Header=BB77_15 Depth=1
	v_mov_b32_e32 v24, v15
	v_dual_mov_b32 v32, v14 :: v_dual_mov_b32 v23, v14
	s_mov_b64 s[68:69], 0
	s_mov_b32 s101, 0
	s_mov_b64 s[70:71], 0
	s_mov_b64 s[72:73], 0
	s_mov_b64 s[74:75], 0
.LBB77_73:                              ;   Parent Loop BB77_15 Depth=1
                                        ; =>  This Inner Loop Header: Depth=2
	ds_load_b32 v4, v32
	v_add_co_u32 v23, vcc_lo, v23, s99
	s_wait_alu 0xfffd
	v_add_co_ci_u32_e64 v24, null, 0, v24, vcc_lo
	s_delay_alu instid0(VALU_DEP_1)
	v_cmp_ge_u64_e32 vcc_lo, v[23:24], v[21:22]
	s_wait_dscnt 0x0
	v_and_b32_e32 v5, 0xff, v4
	v_bfe_u32 v6, v4, 8, 8
	v_bfe_u32 v7, v4, 16, 8
	v_lshrrev_b32_e32 v4, 24, v4
	s_delay_alu instid0(VALU_DEP_4)
	v_and_b32_e32 v8, v30, v5
	v_bfe_u32 v5, v5, s88, 2
	v_and_b32_e32 v9, v30, v6
	v_bfe_u32 v6, v6, s88, 2
	;; [unrolled: 2-line block ×3, first 2 shown]
	v_cmp_eq_u32_e64 s6, v8, v28
	v_cmp_eq_u32_e64 s10, 0, v5
	v_and_b32_e32 v11, v30, v4
	v_bfe_u32 v4, v4, s88, 2
	v_cmp_eq_u32_e64 s7, v9, v28
	v_cmp_eq_u32_e64 s11, 0, v6
	;; [unrolled: 1-line block ×4, first 2 shown]
	s_and_b32 s10, s6, s10
	v_cmp_eq_u32_e64 s9, v11, v28
	v_cmp_eq_u32_e64 s13, 0, v4
	;; [unrolled: 1-line block ×5, first 2 shown]
	s_wait_alu 0xfffe
	v_cndmask_b32_e64 v4, 0, 1, s10
	s_and_b32 s10, s7, s11
	v_cmp_eq_u32_e64 s14, 1, v5
	v_cmp_eq_u32_e64 s18, 2, v5
	v_cmp_eq_u32_e64 s22, 3, v5
	s_wait_alu 0xfffe
	v_cndmask_b32_e64 v5, 0, 1, s10
	s_and_b32 s10, s8, s12
	v_cmp_eq_u32_e64 s15, 1, v6
	v_cmp_eq_u32_e64 s19, 2, v6
	v_cmp_eq_u32_e64 s23, 3, v6
	;; [unrolled: 6-line block ×3, first 2 shown]
	s_wait_alu 0xfffe
	v_cndmask_b32_e64 v7, 0, 1, s10
	s_and_b32 s10, s6, s14
	s_wait_alu 0xfffe
	v_cndmask_b32_e64 v8, 0, 1, s10
	s_and_b32 s10, s7, s15
	;; [unrolled: 3-line block ×4, first 2 shown]
	v_cmp_ne_u32_e64 s11, 0, v9
	s_wait_alu 0xfffe
	v_cndmask_b32_e64 v11, 0, 1, s10
	s_and_b32 s10, s6, s18
	s_and_b32 s6, s6, s22
	s_wait_alu 0xfffe
	v_cndmask_b32_e64 v33, 0, 1, s10
	v_cndmask_b32_e64 v37, 0, 1, s6
	s_and_b32 s6, s7, s23
	s_and_b32 s10, s7, s19
	s_wait_alu 0xfffe
	v_cndmask_b32_e64 v38, 0, 1, s6
	s_and_b32 s6, s8, s24
	v_cndmask_b32_e64 v34, 0, 1, s10
	s_and_b32 s10, s8, s20
	s_wait_alu 0xfffe
	v_cndmask_b32_e64 v39, 0, 1, s6
	s_and_b32 s6, s9, s25
	v_cndmask_b32_e64 v35, 0, 1, s10
	s_and_b32 s10, s9, s21
	s_wait_alu 0xfffe
	v_cndmask_b32_e64 v40, 0, 1, s6
	v_cmp_ne_u32_e64 s6, 0, v4
	v_cmp_ne_u32_e64 s7, 0, v5
	v_cndmask_b32_e64 v36, 0, 1, s10
	v_cmp_ne_u32_e64 s8, 0, v6
	v_cmp_ne_u32_e64 s10, 0, v8
	;; [unrolled: 1-line block ×6, first 2 shown]
	s_bcnt1_i32_b32 s6, s6
	s_bcnt1_i32_b32 s7, s7
	v_cmp_ne_u32_e64 s13, 0, v11
	v_cmp_ne_u32_e64 s16, 0, v35
	;; [unrolled: 1-line block ×4, first 2 shown]
	s_bcnt1_i32_b32 s8, s8
	s_bcnt1_i32_b32 s10, s10
	s_bcnt1_i32_b32 s11, s11
	s_wait_alu 0xfffe
	s_add_co_i32 s6, s7, s6
	v_cmp_ne_u32_e64 s17, 0, v36
	v_cmp_ne_u32_e64 s20, 0, v39
	s_bcnt1_i32_b32 s9, s9
	s_bcnt1_i32_b32 s12, s12
	;; [unrolled: 1-line block ×4, first 2 shown]
	s_add_co_i32 s7, s11, s10
	s_wait_alu 0xfffe
	s_add_co_i32 s6, s6, s8
	v_cmp_ne_u32_e64 s21, 0, v40
	s_bcnt1_i32_b32 s13, s13
	s_bcnt1_i32_b32 s16, s16
	;; [unrolled: 1-line block ×4, first 2 shown]
	s_add_co_i32 s10, s15, s14
	s_add_co_i32 s7, s7, s12
	s_wait_alu 0xfffe
	s_add_co_i32 s58, s6, s9
	s_bcnt1_i32_b32 s17, s17
	s_bcnt1_i32_b32 s20, s20
	s_add_co_i32 s11, s19, s18
	s_add_co_i32 s8, s10, s16
	s_wait_alu 0xfffe
	s_add_nc_u64 s[74:75], s[74:75], s[58:59]
	s_add_co_i32 s58, s7, s13
	s_bcnt1_i32_b32 s21, s21
	s_add_co_i32 s10, s11, s20
	s_wait_alu 0xfffe
	s_add_nc_u64 s[72:73], s[72:73], s[58:59]
	s_add_co_i32 s58, s8, s17
	v_mov_b32_e32 v4, s74
	s_wait_alu 0xfffe
	s_add_nc_u64 s[70:71], s[70:71], s[58:59]
	s_add_co_i32 s58, s10, s21
	v_mov_b32_e32 v6, s72
	s_wait_alu 0xfffe
	s_add_nc_u64 s[68:69], s[68:69], s[58:59]
	v_mov_b32_e32 v8, s70
	v_dual_mov_b32 v5, s75 :: v_dual_add_nc_u32 v32, s99, v32
	v_mov_b32_e32 v7, s73
	s_wait_alu 0xfffe
	v_dual_mov_b32 v9, s71 :: v_dual_mov_b32 v10, s68
	v_mov_b32_e32 v11, s69
	s_or_b32 s101, vcc_lo, s101
	s_delay_alu instid0(SALU_CYCLE_1)
	s_and_not1_b32 exec_lo, exec_lo, s101
	s_cbranch_execnz .LBB77_73
; %bb.74:                               ;   in Loop: Header=BB77_15 Depth=1
	s_or_b32 exec_lo, exec_lo, s101
.LBB77_75:                              ;   in Loop: Header=BB77_15 Depth=1
	s_delay_alu instid0(SALU_CYCLE_1)
	s_or_b32 exec_lo, exec_lo, s100
	v_add_co_u32 v21, vcc_lo, v21, v0
	s_wait_alu 0xfffd
	v_add_co_ci_u32_e64 v22, null, 0, v22, vcc_lo
	s_and_b32 s58, s66, 0x7fffffff
	s_mov_b32 s11, exec_lo
	s_wait_alu 0xfffe
	v_cmpx_gt_u64_e64 s[58:59], v[21:22]
	s_cbranch_execz .LBB77_79
; %bb.76:                               ;   in Loop: Header=BB77_15 Depth=1
	s_mul_i32 s98, s98, s67
	s_mov_b32 s12, 0
	s_wait_alu 0xfffe
	v_lshl_add_u32 v23, s98, 2, v0
.LBB77_77:                              ;   Parent Loop BB77_15 Depth=1
                                        ; =>  This Inner Loop Header: Depth=2
	ds_load_u8 v24, v23
	v_add_co_u32 v21, vcc_lo, v21, v2
	s_wait_alu 0xfffd
	v_add_co_ci_u32_e64 v22, null, 0, v22, vcc_lo
	v_add_nc_u32_e32 v23, s67, v23
	s_delay_alu instid0(VALU_DEP_2) | instskip(SKIP_3) | instid1(VALU_DEP_2)
	v_cmp_le_u64_e32 vcc_lo, s[58:59], v[21:22]
	s_wait_dscnt 0x0
	v_and_b32_e32 v32, v30, v24
	v_bfe_u32 v24, v24, s88, 2
	v_cmp_eq_u32_e64 s6, v32, v28
	s_delay_alu instid0(VALU_DEP_2)
	v_cmp_eq_u32_e64 s7, 0, v24
	v_cmp_eq_u32_e64 s8, 1, v24
	;; [unrolled: 1-line block ×4, first 2 shown]
	s_and_b32 s7, s6, s7
	s_wait_alu 0xfffe
	v_cndmask_b32_e64 v24, 0, 1, s7
	s_and_b32 s7, s6, s8
	s_wait_alu 0xfffe
	v_cndmask_b32_e64 v32, 0, 1, s7
	s_and_b32 s7, s6, s9
	s_and_b32 s6, s6, s10
	s_wait_alu 0xfffe
	v_cndmask_b32_e64 v33, 0, 1, s7
	v_cndmask_b32_e64 v34, 0, 1, s6
	v_cmp_ne_u32_e64 s6, 0, v24
	v_cmp_ne_u32_e64 s7, 0, v32
	s_delay_alu instid0(VALU_DEP_4) | instskip(NEXT) | instid1(VALU_DEP_4)
	v_cmp_ne_u32_e64 s8, 0, v33
	v_cmp_ne_u32_e64 s9, 0, v34
	s_bcnt1_i32_b32 s6, s6
	s_bcnt1_i32_b32 s7, s7
	s_wait_alu 0xfffe
	v_add_co_u32 v4, s6, v4, s6
	s_bcnt1_i32_b32 s8, s8
	v_add_co_ci_u32_e64 v5, null, 0, v5, s6
	v_add_co_u32 v6, s6, v6, s7
	s_bcnt1_i32_b32 s9, s9
	v_add_co_ci_u32_e64 v7, null, 0, v7, s6
	s_wait_alu 0xfffe
	v_add_co_u32 v8, s6, v8, s8
	s_wait_alu 0xf1ff
	v_add_co_ci_u32_e64 v9, null, 0, v9, s6
	v_add_co_u32 v10, s6, v10, s9
	s_wait_alu 0xf1ff
	v_add_co_ci_u32_e64 v11, null, 0, v11, s6
	s_or_b32 s12, vcc_lo, s12
	s_wait_alu 0xfffe
	s_and_not1_b32 exec_lo, exec_lo, s12
	s_cbranch_execnz .LBB77_77
; %bb.78:                               ;   in Loop: Header=BB77_15 Depth=1
	s_or_b32 exec_lo, exec_lo, s12
.LBB77_79:                              ;   in Loop: Header=BB77_15 Depth=1
	s_delay_alu instid0(SALU_CYCLE_1)
	s_or_b32 exec_lo, exec_lo, s11
	s_lshl_b32 s6, s91, 7
	s_and_saveexec_b32 s7, s1
	s_cbranch_execnz .LBB77_50
	s_branch .LBB77_51
.LBB77_80:                              ;   in Loop: Header=BB77_15 Depth=1
                                        ; implicit-def: $sgpr6_sgpr7
	s_branch .LBB77_59
.LBB77_81:                              ;   in Loop: Header=BB77_15 Depth=1
	s_mov_b32 s8, 0
	s_and_not1_b32 vcc_lo, exec_lo, s87
	s_wait_alu 0xfffe
	s_cbranch_vccnz .LBB77_84
.LBB77_82:                              ;   in Loop: Header=BB77_15 Depth=1
	s_lshl_b32 s9, s91, 10
	s_lshl_b32 s8, s8, 5
	s_wait_alu 0xfffe
	v_add3_u32 v2, s9, s8, v29
	s_mov_b32 s8, s84
.LBB77_83:                              ;   Parent Loop BB77_15 Depth=1
                                        ; =>  This Inner Loop Header: Depth=2
	ds_load_b64 v[6:7], v2
	v_add_nc_u32_e32 v2, 32, v2
	s_wait_alu 0xfffe
	s_add_co_i32 s8, s8, -1
	s_wait_alu 0xfffe
	s_cmp_lg_u32 s8, 0
	s_wait_dscnt 0x0
	v_add_co_u32 v4, vcc_lo, v6, v4
	s_wait_alu 0xfffd
	v_add_co_ci_u32_e64 v5, null, v7, v5, vcc_lo
	s_cbranch_scc1 .LBB77_83
.LBB77_84:                              ;   in Loop: Header=BB77_15 Depth=1
	v_add_lshl_u32 v2, s6, v25, 3
	ds_store_b64 v2, v[4:5] offset:3072
.LBB77_85:                              ;   in Loop: Header=BB77_15 Depth=1
	s_wait_alu 0xfffe
	s_or_b32 exec_lo, exec_lo, s7
	s_lshl_b32 s6, s6, 3
	s_wait_loadcnt_dscnt 0x0
	s_wait_alu 0xfffe
	v_mov_b32_e32 v2, s6
	s_barrier_signal -1
	s_barrier_wait -1
	global_inv scope:SCOPE_SE
	v_cmp_eq_u64_e32 vcc_lo, 1, v[19:20]
	ds_load_b128 v[4:7], v2 offset:3072
	ds_load_b128 v[8:11], v2 offset:3088
	s_lshl_b32 s16, 3, s88
	s_mov_b32 s18, -1
	s_wait_alu 0xfffe
	s_not_b32 s20, s16
                                        ; implicit-def: $sgpr22
                                        ; implicit-def: $sgpr21
	s_wait_dscnt 0x1
	v_cmp_eq_u64_e64 s6, 1, v[4:5]
	s_wait_dscnt 0x0
	v_readfirstlane_b32 s10, v8
	v_readfirstlane_b32 s11, v9
	v_readfirstlane_b32 s8, v10
	v_readfirstlane_b32 s9, v11
	s_and_b32 s19, s6, vcc_lo
	s_mov_b32 s6, -1
	s_wait_alu 0xfffe
	s_and_saveexec_b32 s17, s19
	s_cbranch_execz .LBB77_117
; %bb.86:                               ;   in Loop: Header=BB77_15 Depth=1
	ds_load_b64 v[8:9], v3 offset:5120
	s_wait_loadcnt_dscnt 0x0
	s_barrier_signal -1
	s_barrier_wait -1
	global_inv scope:SCOPE_SE
	v_readfirstlane_b32 s6, v8
	v_readfirstlane_b32 s7, v9
	s_and_saveexec_b32 s12, s3
; %bb.87:                               ;   in Loop: Header=BB77_15 Depth=1
	ds_store_b8 v0, v3 offset:3072
; %bb.88:                               ;   in Loop: Header=BB77_15 Depth=1
	s_wait_alu 0xfffe
	s_or_b32 exec_lo, exec_lo, s12
	v_and_b32_e32 v28, s20, v28
	v_or_b32_e32 v30, s16, v30
	s_mov_b32 s21, -1
	s_mov_b32 s22, 0
	s_cmp_eq_u64 s[6:7], 0
	s_mov_b32 s14, 0
	s_mov_b32 s15, -1
	s_wait_loadcnt_dscnt 0x0
	s_barrier_signal -1
	s_barrier_wait -1
	global_inv scope:SCOPE_SE
                                        ; implicit-def: $vgpr31
	s_cbranch_scc1 .LBB77_102
; %bb.89:                               ;   in Loop: Header=BB77_15 Depth=1
	s_add_nc_u64 s[12:13], s[6:7], s[60:61]
	s_mov_b32 s14, s59
	s_wait_alu 0xfffe
	s_mov_b32 s15, s13
	s_wait_alu 0xfffe
	s_cmp_lg_u64 s[14:15], 0
	s_cbranch_scc0 .LBB77_143
; %bb.90:                               ;   in Loop: Header=BB77_15 Depth=1
	s_cvt_f32_u32 s14, s54
	s_sub_nc_u64 s[24:25], 0, s[54:55]
	s_wait_alu 0xfffe
	s_delay_alu instid0(SALU_CYCLE_1) | instskip(SKIP_1) | instid1(SALU_CYCLE_2)
	s_fmamk_f32 s14, s90, 0x0, s14
	s_wait_alu 0xfffe
	v_s_rcp_f32 s14, s14
	s_delay_alu instid0(TRANS32_DEP_1) | instskip(SKIP_1) | instid1(SALU_CYCLE_2)
	s_mul_f32 s14, s14, 0x5f7ffffc
	s_wait_alu 0xfffe
	s_mul_f32 s15, s14, 0x2f800000
	s_wait_alu 0xfffe
	s_delay_alu instid0(SALU_CYCLE_2) | instskip(SKIP_1) | instid1(SALU_CYCLE_2)
	s_trunc_f32 s15, s15
	s_wait_alu 0xfffe
	s_fmamk_f32 s14, s15, 0xcf800000, s14
	s_cvt_u32_f32 s15, s15
	s_wait_alu 0xfffe
	s_delay_alu instid0(SALU_CYCLE_1) | instskip(SKIP_1) | instid1(SALU_CYCLE_2)
	s_cvt_u32_f32 s14, s14
	s_wait_alu 0xfffe
	s_mul_u64 s[66:67], s[24:25], s[14:15]
	s_wait_alu 0xfffe
	s_mul_hi_u32 s69, s14, s67
	s_mul_i32 s68, s14, s67
	s_mul_hi_u32 s58, s14, s66
	s_mul_i32 s70, s15, s66
	s_wait_alu 0xfffe
	s_add_nc_u64 s[68:69], s[58:59], s[68:69]
	s_mul_hi_u32 s23, s15, s66
	s_mul_hi_u32 s71, s15, s67
	s_wait_alu 0xfffe
	s_add_co_u32 s58, s68, s70
	s_add_co_ci_u32 s58, s69, s23
	s_mul_i32 s66, s15, s67
	s_add_co_ci_u32 s67, s71, 0
	s_wait_alu 0xfffe
	s_add_nc_u64 s[66:67], s[58:59], s[66:67]
	s_wait_alu 0xfffe
	s_add_co_u32 s14, s14, s66
	s_cselect_b32 s23, -1, 0
	s_wait_alu 0xfffe
	s_cmp_lg_u32 s23, 0
	s_add_co_ci_u32 s15, s15, s67
	s_wait_alu 0xfffe
	s_mul_u64 s[24:25], s[24:25], s[14:15]
	s_wait_alu 0xfffe
	s_mul_hi_u32 s67, s14, s25
	s_mul_i32 s66, s14, s25
	s_mul_hi_u32 s58, s14, s24
	s_mul_i32 s68, s15, s24
	s_wait_alu 0xfffe
	s_add_nc_u64 s[66:67], s[58:59], s[66:67]
	s_mul_hi_u32 s23, s15, s24
	s_mul_hi_u32 s69, s15, s25
	s_mul_i32 s24, s15, s25
	s_wait_alu 0xfffe
	s_add_co_u32 s25, s66, s68
	s_add_co_ci_u32 s58, s67, s23
	s_add_co_ci_u32 s25, s69, 0
	s_wait_alu 0xfffe
	s_add_nc_u64 s[24:25], s[58:59], s[24:25]
	s_wait_alu 0xfffe
	s_add_co_u32 s14, s14, s24
	s_cselect_b32 s23, -1, 0
	s_wait_alu 0xfffe
	s_mul_hi_u32 s58, s12, s14
	s_cmp_lg_u32 s23, 0
	s_mul_hi_u32 s23, s13, s14
	s_add_co_ci_u32 s24, s15, s25
	s_mul_i32 s25, s13, s14
	s_wait_alu 0xfffe
	s_mul_hi_u32 s15, s12, s24
	s_mul_i32 s14, s12, s24
	s_mul_hi_u32 s66, s13, s24
	s_wait_alu 0xfffe
	s_add_nc_u64 s[14:15], s[58:59], s[14:15]
	s_mul_i32 s24, s13, s24
	s_wait_alu 0xfffe
	s_add_co_u32 s14, s14, s25
	s_add_co_ci_u32 s58, s15, s23
	s_add_co_ci_u32 s25, s66, 0
	s_wait_alu 0xfffe
	s_add_nc_u64 s[14:15], s[58:59], s[24:25]
	s_wait_alu 0xfffe
	s_mul_u64 s[14:15], s[54:55], s[14:15]
	s_wait_alu 0xfffe
	s_sub_co_u32 s14, s12, s14
	s_cselect_b32 s23, -1, 0
	s_wait_alu 0xfffe
	s_cmp_lg_u32 s23, 0
	s_sub_co_ci_u32 s15, s13, s15
	s_sub_co_u32 s23, s14, s54
	s_cselect_b32 s24, -1, 0
	s_wait_alu 0xfffe
	s_cmp_lg_u32 s24, 0
	s_sub_co_ci_u32 s24, s15, 0
	;; [unrolled: 5-line block ×3, first 2 shown]
	s_cmp_ge_u32 s23, s54
	s_cselect_b32 s66, -1, 0
	s_cmp_eq_u32 s24, 0
	s_wait_alu 0xfffe
	s_cselect_b32 s66, s66, -1
	s_wait_alu 0xfffe
	s_cmp_lg_u32 s66, 0
	s_cselect_b32 s24, s58, s24
	s_cselect_b32 s23, s25, s23
	s_cmp_ge_u32 s14, s54
	s_cselect_b32 s25, -1, 0
	s_cmp_eq_u32 s15, 0
	s_wait_alu 0xfffe
	s_cselect_b32 s25, s25, -1
	s_wait_alu 0xfffe
	s_cmp_lg_u32 s25, 0
	s_cselect_b32 s15, s24, s15
	s_cselect_b32 s14, s23, s14
	s_cbranch_execnz .LBB77_92
.LBB77_91:                              ;   in Loop: Header=BB77_15 Depth=1
	v_cvt_f32_u32_e32 v2, s54
	s_sub_co_i32 s15, 0, s54
	s_delay_alu instid0(VALU_DEP_1) | instskip(NEXT) | instid1(TRANS32_DEP_1)
	v_rcp_iflag_f32_e32 v2, v2
	v_mul_f32_e32 v2, 0x4f7ffffe, v2
	s_delay_alu instid0(VALU_DEP_1) | instskip(NEXT) | instid1(VALU_DEP_1)
	v_cvt_u32_f32_e32 v2, v2
	v_readfirstlane_b32 s14, v2
	s_wait_alu 0xfffe
	s_mul_i32 s15, s15, s14
	s_wait_alu 0xfffe
	s_mul_hi_u32 s15, s14, s15
	s_wait_alu 0xfffe
	s_add_co_i32 s14, s14, s15
	s_wait_alu 0xfffe
	s_mul_hi_u32 s14, s12, s14
	s_wait_alu 0xfffe
	s_mul_i32 s14, s14, s54
	s_wait_alu 0xfffe
	s_sub_co_i32 s14, s12, s14
	s_wait_alu 0xfffe
	s_sub_co_i32 s15, s14, s54
	s_cmp_ge_u32 s14, s54
	s_wait_alu 0xfffe
	s_cselect_b32 s14, s15, s14
	s_wait_alu 0xfffe
	s_sub_co_i32 s15, s14, s54
	s_cmp_ge_u32 s14, s54
	s_wait_alu 0xfffe
	s_cselect_b32 s58, s15, s14
	s_wait_alu 0xfffe
	s_mov_b64 s[14:15], s[58:59]
.LBB77_92:                              ;   in Loop: Header=BB77_15 Depth=1
	s_wait_alu 0xfffe
	s_sub_nc_u64 s[12:13], s[12:13], s[14:15]
	s_mov_b32 s15, 0
	s_mov_b32 s14, 0
	s_mov_b32 s23, exec_lo
                                        ; implicit-def: $vgpr31
	s_wait_alu 0xfffe
	v_cmpx_gt_u64_e64 s[12:13], v[0:1]
	s_cbranch_execz .LBB77_101
; %bb.93:                               ;   in Loop: Header=BB77_15 Depth=1
	v_dual_mov_b32 v2, v0 :: v_dual_mov_b32 v9, v1
	v_mov_b32_e32 v8, v0
                                        ; implicit-def: $sgpr24
	s_branch .LBB77_96
.LBB77_94:                              ;   in Loop: Header=BB77_96 Depth=2
	s_wait_alu 0xfffe
	s_or_b32 exec_lo, exec_lo, s25
	s_wait_loadcnt_dscnt 0x0
	s_barrier_signal -1
	s_barrier_wait -1
	global_inv scope:SCOPE_SE
	ds_load_u16 v10, v3 offset:3072
	s_mov_b32 s25, -1
	s_mov_b32 s58, -1
	s_wait_loadcnt_dscnt 0x0
	s_barrier_signal -1
	s_barrier_wait -1
	global_inv scope:SCOPE_SE
	v_and_b32_e32 v11, 0xff, v10
	s_delay_alu instid0(VALU_DEP_1)
	v_cmp_ne_u32_e32 vcc_lo, 0, v11
	s_cbranch_vccz .LBB77_99
.LBB77_95:                              ;   in Loop: Header=BB77_96 Depth=2
	s_wait_alu 0xfffe
	s_and_b32 s25, exec_lo, s25
	s_wait_alu 0xfffe
	s_or_b32 s14, s25, s14
	s_and_not1_b32 s24, s24, exec_lo
	s_and_b32 s25, s58, exec_lo
	s_wait_alu 0xfffe
	s_or_b32 s24, s24, s25
	s_and_not1_b32 exec_lo, exec_lo, s14
	s_cbranch_execz .LBB77_100
.LBB77_96:                              ;   Parent Loop BB77_15 Depth=1
                                        ; =>  This Inner Loop Header: Depth=2
	s_mov_b32 s25, exec_lo
	s_delay_alu instid0(VALU_DEP_1)
	v_cmpx_gt_u64_e64 s[6:7], v[8:9]
	s_cbranch_execz .LBB77_94
; %bb.97:                               ;   in Loop: Header=BB77_96 Depth=2
	ds_load_u8 v10, v2
	s_wait_dscnt 0x0
	v_and_b32_e32 v11, v10, v30
	s_delay_alu instid0(VALU_DEP_1) | instskip(NEXT) | instid1(VALU_DEP_1)
	v_and_b32_e32 v11, 0xff, v11
	v_cmp_eq_u32_e32 vcc_lo, v11, v28
	s_and_b32 exec_lo, exec_lo, vcc_lo
	s_cbranch_execz .LBB77_94
; %bb.98:                               ;   in Loop: Header=BB77_96 Depth=2
	v_lshlrev_b16 v10, 8, v10
	s_delay_alu instid0(VALU_DEP_1)
	v_or_b32_e32 v10, 1, v10
	ds_store_b16 v3, v10 offset:3072
	s_branch .LBB77_94
.LBB77_99:                              ;   in Loop: Header=BB77_96 Depth=2
	v_add_co_u32 v8, vcc_lo, v8, s54
	s_wait_alu 0xfffd
	v_add_co_ci_u32_e64 v9, null, 0, v9, vcc_lo
	v_add_nc_u32_e32 v2, s54, v2
	s_mov_b32 s58, 0
	s_delay_alu instid0(VALU_DEP_2)
	v_cmp_le_u64_e32 vcc_lo, s[12:13], v[8:9]
	s_or_not1_b32 s25, vcc_lo, exec_lo
	s_branch .LBB77_95
.LBB77_100:                             ;   in Loop: Header=BB77_15 Depth=1
	s_or_b32 exec_lo, exec_lo, s14
	v_and_b32_e32 v2, 0xffff, v10
	s_wait_alu 0xfffe
	s_and_b32 s14, s24, exec_lo
	s_delay_alu instid0(VALU_DEP_1)
	v_lshrrev_b32_e32 v31, 8, v2
.LBB77_101:                             ;   in Loop: Header=BB77_15 Depth=1
	s_or_b32 exec_lo, exec_lo, s23
.LBB77_102:                             ;   in Loop: Header=BB77_15 Depth=1
	s_wait_alu 0xfffe
	s_and_b32 vcc_lo, exec_lo, s15
	s_wait_alu 0xfffe
	s_cbranch_vccz .LBB77_116
; %bb.103:                              ;   in Loop: Header=BB77_15 Depth=1
	s_mov_b32 s6, s59
	s_mov_b32 s7, s63
	s_wait_alu 0xfffe
	s_cmp_lg_u64 s[6:7], 0
	s_cbranch_scc0 .LBB77_147
; %bb.104:                              ;   in Loop: Header=BB77_15 Depth=1
	s_cvt_f32_u32 s6, s54
	s_sub_nc_u64 s[12:13], 0, s[54:55]
	s_wait_alu 0xfffe
	s_delay_alu instid0(SALU_CYCLE_1) | instskip(SKIP_1) | instid1(SALU_CYCLE_2)
	s_fmamk_f32 s6, s90, 0x0, s6
	s_wait_alu 0xfffe
	v_s_rcp_f32 s6, s6
	s_delay_alu instid0(TRANS32_DEP_1) | instskip(SKIP_1) | instid1(SALU_CYCLE_2)
	s_mul_f32 s6, s6, 0x5f7ffffc
	s_wait_alu 0xfffe
	s_mul_f32 s7, s6, 0x2f800000
	s_wait_alu 0xfffe
	s_delay_alu instid0(SALU_CYCLE_2) | instskip(SKIP_1) | instid1(SALU_CYCLE_2)
	s_trunc_f32 s7, s7
	s_wait_alu 0xfffe
	s_fmamk_f32 s6, s7, 0xcf800000, s6
	s_cvt_u32_f32 s7, s7
	s_wait_alu 0xfffe
	s_delay_alu instid0(SALU_CYCLE_1) | instskip(SKIP_1) | instid1(SALU_CYCLE_2)
	s_cvt_u32_f32 s6, s6
	s_wait_alu 0xfffe
	s_mul_u64 s[22:23], s[12:13], s[6:7]
	s_wait_alu 0xfffe
	s_mul_hi_u32 s25, s6, s23
	s_mul_i32 s24, s6, s23
	s_mul_hi_u32 s58, s6, s22
	s_mul_i32 s21, s7, s22
	s_wait_alu 0xfffe
	s_add_nc_u64 s[24:25], s[58:59], s[24:25]
	s_mul_hi_u32 s15, s7, s22
	s_mul_hi_u32 s66, s7, s23
	s_wait_alu 0xfffe
	s_add_co_u32 s21, s24, s21
	s_add_co_ci_u32 s58, s25, s15
	s_mul_i32 s22, s7, s23
	s_add_co_ci_u32 s23, s66, 0
	s_wait_alu 0xfffe
	s_add_nc_u64 s[22:23], s[58:59], s[22:23]
	s_wait_alu 0xfffe
	s_add_co_u32 s6, s6, s22
	s_cselect_b32 s15, -1, 0
	s_wait_alu 0xfffe
	s_cmp_lg_u32 s15, 0
	s_add_co_ci_u32 s7, s7, s23
	s_wait_alu 0xfffe
	s_mul_u64 s[12:13], s[12:13], s[6:7]
	s_wait_alu 0xfffe
	s_mul_hi_u32 s23, s6, s13
	s_mul_i32 s22, s6, s13
	s_mul_hi_u32 s58, s6, s12
	s_mul_i32 s21, s7, s12
	s_wait_alu 0xfffe
	s_add_nc_u64 s[22:23], s[58:59], s[22:23]
	s_mul_hi_u32 s15, s7, s12
	s_mul_hi_u32 s24, s7, s13
	s_mul_i32 s12, s7, s13
	s_wait_alu 0xfffe
	s_add_co_u32 s13, s22, s21
	s_add_co_ci_u32 s58, s23, s15
	s_add_co_ci_u32 s13, s24, 0
	s_wait_alu 0xfffe
	s_add_nc_u64 s[12:13], s[58:59], s[12:13]
	s_wait_alu 0xfffe
	s_add_co_u32 s6, s6, s12
	s_cselect_b32 s12, -1, 0
	s_wait_alu 0xfffe
	s_mul_hi_u32 s58, s62, s6
	s_cmp_lg_u32 s12, 0
	s_mul_hi_u32 s15, s63, s6
	s_add_co_ci_u32 s12, s7, s13
	s_mul_i32 s13, s63, s6
	s_wait_alu 0xfffe
	s_mul_hi_u32 s7, s62, s12
	s_mul_i32 s6, s62, s12
	s_mul_hi_u32 s21, s63, s12
	s_wait_alu 0xfffe
	s_add_nc_u64 s[6:7], s[58:59], s[6:7]
	s_mul_i32 s12, s63, s12
	s_wait_alu 0xfffe
	s_add_co_u32 s6, s6, s13
	s_add_co_ci_u32 s58, s7, s15
	s_add_co_ci_u32 s13, s21, 0
	s_wait_alu 0xfffe
	s_add_nc_u64 s[6:7], s[58:59], s[12:13]
	s_wait_alu 0xfffe
	s_mul_u64 s[6:7], s[54:55], s[6:7]
	s_wait_alu 0xfffe
	s_sub_co_u32 s6, s62, s6
	s_cselect_b32 s12, -1, 0
	s_wait_alu 0xfffe
	s_cmp_lg_u32 s12, 0
	s_sub_co_ci_u32 s7, s63, s7
	s_sub_co_u32 s12, s6, s54
	s_cselect_b32 s13, -1, 0
	s_wait_alu 0xfffe
	s_cmp_lg_u32 s13, 0
	s_sub_co_ci_u32 s13, s7, 0
	;; [unrolled: 5-line block ×3, first 2 shown]
	s_cmp_ge_u32 s12, s54
	s_cselect_b32 s22, -1, 0
	s_cmp_eq_u32 s13, 0
	s_wait_alu 0xfffe
	s_cselect_b32 s22, s22, -1
	s_wait_alu 0xfffe
	s_cmp_lg_u32 s22, 0
	s_cselect_b32 s13, s21, s13
	s_cselect_b32 s12, s15, s12
	s_cmp_ge_u32 s6, s54
	s_cselect_b32 s15, -1, 0
	s_cmp_eq_u32 s7, 0
	s_wait_alu 0xfffe
	s_cselect_b32 s15, s15, -1
	s_wait_alu 0xfffe
	s_cmp_lg_u32 s15, 0
	s_cselect_b32 s7, s13, s7
	s_cselect_b32 s6, s12, s6
	s_cbranch_execnz .LBB77_106
.LBB77_105:                             ;   in Loop: Header=BB77_15 Depth=1
	v_cvt_f32_u32_e32 v2, s54
	s_sub_co_i32 s7, 0, s54
	s_delay_alu instid0(VALU_DEP_1) | instskip(NEXT) | instid1(TRANS32_DEP_1)
	v_rcp_iflag_f32_e32 v2, v2
	v_mul_f32_e32 v2, 0x4f7ffffe, v2
	s_delay_alu instid0(VALU_DEP_1) | instskip(NEXT) | instid1(VALU_DEP_1)
	v_cvt_u32_f32_e32 v2, v2
	v_readfirstlane_b32 s6, v2
	s_wait_alu 0xfffe
	s_mul_i32 s7, s7, s6
	s_wait_alu 0xfffe
	s_mul_hi_u32 s7, s6, s7
	s_wait_alu 0xfffe
	s_add_co_i32 s6, s6, s7
	s_wait_alu 0xfffe
	s_mul_hi_u32 s6, s62, s6
	s_wait_alu 0xfffe
	s_mul_i32 s6, s6, s54
	s_wait_alu 0xfffe
	s_sub_co_i32 s6, s62, s6
	s_wait_alu 0xfffe
	s_sub_co_i32 s7, s6, s54
	s_cmp_ge_u32 s6, s54
	s_wait_alu 0xfffe
	s_cselect_b32 s6, s7, s6
	s_wait_alu 0xfffe
	s_sub_co_i32 s7, s6, s54
	s_cmp_ge_u32 s6, s54
	s_wait_alu 0xfffe
	s_cselect_b32 s58, s7, s6
	s_wait_alu 0xfffe
	s_mov_b64 s[6:7], s[58:59]
.LBB77_106:                             ;   in Loop: Header=BB77_15 Depth=1
	s_wait_alu 0xfffe
	s_sub_nc_u64 s[6:7], s[62:63], s[6:7]
	s_mov_b32 s12, exec_lo
                                        ; implicit-def: $vgpr31
	s_wait_alu 0xfffe
	v_cmpx_gt_u64_e64 s[6:7], v[0:1]
	s_cbranch_execz .LBB77_115
; %bb.107:                              ;   in Loop: Header=BB77_15 Depth=1
	v_dual_mov_b32 v9, v1 :: v_dual_mov_b32 v8, v0
	s_mov_b32 s15, 0
                                        ; implicit-def: $sgpr13
	s_branch .LBB77_110
.LBB77_108:                             ;   in Loop: Header=BB77_110 Depth=2
	s_wait_alu 0xfffe
	s_or_b32 exec_lo, exec_lo, s21
	s_wait_loadcnt_dscnt 0x0
	s_barrier_signal -1
	s_barrier_wait -1
	global_inv scope:SCOPE_SE
	ds_load_u16 v2, v3 offset:3072
	s_mov_b32 s22, -1
	s_mov_b32 s21, -1
	s_wait_loadcnt_dscnt 0x0
	s_barrier_signal -1
	s_barrier_wait -1
	global_inv scope:SCOPE_SE
	v_and_b32_e32 v10, 0xff, v2
	s_delay_alu instid0(VALU_DEP_1)
	v_cmp_ne_u32_e32 vcc_lo, 0, v10
	s_cbranch_vccz .LBB77_113
.LBB77_109:                             ;   in Loop: Header=BB77_110 Depth=2
	s_wait_alu 0xfffe
	s_and_b32 s22, exec_lo, s22
	s_wait_alu 0xfffe
	s_or_b32 s15, s22, s15
	s_and_not1_b32 s13, s13, exec_lo
	s_and_b32 s21, s21, exec_lo
	s_wait_alu 0xfffe
	s_or_b32 s13, s13, s21
	s_and_not1_b32 exec_lo, exec_lo, s15
	s_cbranch_execz .LBB77_114
.LBB77_110:                             ;   Parent Loop BB77_15 Depth=1
                                        ; =>  This Inner Loop Header: Depth=2
	s_mov_b32 s21, exec_lo
	s_delay_alu instid0(VALU_DEP_1)
	v_cmpx_gt_u64_e64 s[28:29], v[8:9]
	s_cbranch_execz .LBB77_108
; %bb.111:                              ;   in Loop: Header=BB77_110 Depth=2
	v_mad_co_u64_u32 v[10:11], null, v8, s44, s[52:53]
	v_mul_lo_u32 v2, v8, s45
	v_mul_lo_u32 v21, v9, s44
	s_delay_alu instid0(VALU_DEP_1) | instskip(SKIP_3) | instid1(VALU_DEP_1)
	v_add3_u32 v11, v21, v11, v2
	global_load_u8 v2, v[10:11], off
	s_wait_loadcnt 0x0
	v_and_b32_e32 v10, v2, v30
	v_and_b32_e32 v10, 0xff, v10
	s_delay_alu instid0(VALU_DEP_1)
	v_cmp_eq_u32_e32 vcc_lo, v10, v28
	s_and_b32 exec_lo, exec_lo, vcc_lo
	s_cbranch_execz .LBB77_108
; %bb.112:                              ;   in Loop: Header=BB77_110 Depth=2
	v_lshlrev_b16 v2, 8, v2
	s_delay_alu instid0(VALU_DEP_1)
	v_or_b32_e32 v2, 1, v2
	ds_store_b16 v3, v2 offset:3072
	s_branch .LBB77_108
.LBB77_113:                             ;   in Loop: Header=BB77_110 Depth=2
	v_add_co_u32 v8, vcc_lo, v8, s54
	s_wait_alu 0xfffd
	v_add_co_ci_u32_e64 v9, null, 0, v9, vcc_lo
	s_mov_b32 s21, 0
	v_cmp_le_u64_e32 vcc_lo, s[6:7], v[8:9]
	s_or_not1_b32 s22, vcc_lo, exec_lo
	s_branch .LBB77_109
.LBB77_114:                             ;   in Loop: Header=BB77_15 Depth=1
	s_or_b32 exec_lo, exec_lo, s15
	v_and_b32_e32 v2, 0xffff, v2
	s_and_not1_b32 s6, s14, exec_lo
	s_wait_alu 0xfffe
	s_and_b32 s7, s13, exec_lo
	s_wait_alu 0xfffe
	s_or_b32 s14, s6, s7
	v_lshrrev_b32_e32 v31, 8, v2
.LBB77_115:                             ;   in Loop: Header=BB77_15 Depth=1
	s_or_b32 exec_lo, exec_lo, s12
	s_mov_b32 s21, 0
	s_mov_b32 s22, -1
.LBB77_116:                             ;   in Loop: Header=BB77_15 Depth=1
	s_wait_alu 0xfffe
	s_or_not1_b32 s6, s14, exec_lo
.LBB77_117:                             ;   in Loop: Header=BB77_15 Depth=1
	s_wait_alu 0xfffe
	s_or_b32 exec_lo, exec_lo, s17
	s_delay_alu instid0(SALU_CYCLE_1)
	s_and_not1_b32 s7, s96, exec_lo
	s_and_b32 s12, s22, exec_lo
	s_and_not1_b32 s13, s94, exec_lo
	s_and_b32 s14, s21, exec_lo
	s_and_not1_b32 s93, s93, exec_lo
	s_wait_alu 0xfffe
	s_or_b32 s96, s7, s12
	s_or_b32 s94, s13, s14
                                        ; implicit-def: $vgpr8_vgpr9
	s_and_saveexec_b32 s17, s6
	s_cbranch_execz .LBB77_14
; %bb.118:                              ;   in Loop: Header=BB77_15 Depth=1
	v_mov_b32_e32 v8, 1
	v_dual_mov_b32 v9, 0 :: v_dual_mov_b32 v2, 1
	s_xor_b32 s12, s19, -1
	s_mov_b32 s7, 0
	s_wait_alu 0xfffe
	s_and_saveexec_b32 s6, s12
	s_cbranch_execz .LBB77_127
; %bb.119:                              ;   in Loop: Header=BB77_15 Depth=1
	s_mov_b32 s7, exec_lo
	v_cmpx_le_u64_e64 v[19:20], v[4:5]
	s_wait_alu 0xfffe
	s_xor_b32 s7, exec_lo, s7
	s_cbranch_execz .LBB77_124
; %bb.120:                              ;   in Loop: Header=BB77_15 Depth=1
	ds_load_b64 v[8:9], v3 offset:5120
	v_and_b32_e32 v28, s20, v28
	v_or_b32_e32 v30, s16, v30
	s_wait_dscnt 0x0
	v_cmp_ne_u64_e32 vcc_lo, 0, v[8:9]
	s_cbranch_vccnz .LBB77_124
; %bb.121:                              ;   in Loop: Header=BB77_15 Depth=1
	s_and_saveexec_b32 s12, s2
; %bb.122:                              ;   in Loop: Header=BB77_15 Depth=1
	ds_store_b64 v3, v[4:5] offset:5128
; %bb.123:                              ;   in Loop: Header=BB77_15 Depth=1
	s_wait_alu 0xfffe
	s_or_b32 exec_lo, exec_lo, s12
	s_wait_loadcnt_dscnt 0x0
	s_barrier_signal -1
	s_barrier_wait -1
	global_inv scope:SCOPE_SE
.LBB77_124:                             ;   in Loop: Header=BB77_15 Depth=1
	s_wait_alu 0xfffe
	s_or_saveexec_b32 s7, s7
	v_mov_b32_e32 v2, 8
	s_mov_b32 s12, 0
	s_wait_alu 0xfffe
	s_xor_b32 exec_lo, exec_lo, s7
; %bb.125:                              ;   in Loop: Header=BB77_15 Depth=1
	v_sub_co_u32 v19, vcc_lo, v19, v4
	s_wait_alu 0xfffd
	v_sub_co_ci_u32_e64 v20, null, v20, v5, vcc_lo
	v_mov_b32_e32 v2, 0
	s_mov_b32 s12, exec_lo
; %bb.126:                              ;   in Loop: Header=BB77_15 Depth=1
	s_or_b32 exec_lo, exec_lo, s7
	s_delay_alu instid0(VALU_DEP_2)
	v_dual_mov_b32 v8, v19 :: v_dual_mov_b32 v9, v20
	s_wait_alu 0xfffe
	s_and_b32 s7, s12, exec_lo
.LBB77_127:                             ;   in Loop: Header=BB77_15 Depth=1
	s_wait_alu 0xfffe
	s_or_b32 exec_lo, exec_lo, s6
	s_mov_b32 s18, -1
	s_mov_b32 s6, -1
                                        ; implicit-def: $sgpr21
                                        ; implicit-def: $sgpr22
	s_and_saveexec_b32 s12, s7
	s_wait_alu 0xfffe
	s_xor_b32 s19, exec_lo, s12
	s_cbranch_execz .LBB77_272
; %bb.128:                              ;   in Loop: Header=BB77_15 Depth=1
	v_cmp_eq_u64_e32 vcc_lo, 1, v[6:7]
	v_cmp_eq_u64_e64 s6, 1, v[8:9]
                                        ; implicit-def: $sgpr22
                                        ; implicit-def: $sgpr21
	s_and_b32 s24, vcc_lo, s6
	s_mov_b32 s6, -1
	s_wait_alu 0xfffe
	s_and_saveexec_b32 s23, s24
	s_cbranch_execz .LBB77_165
; %bb.129:                              ;   in Loop: Header=BB77_15 Depth=1
	ds_load_b64 v[4:5], v3 offset:5120
	s_wait_loadcnt_dscnt 0x0
	s_barrier_signal -1
	s_barrier_wait -1
	global_inv scope:SCOPE_SE
	v_readfirstlane_b32 s6, v4
	v_readfirstlane_b32 s7, v5
	s_and_saveexec_b32 s12, s3
; %bb.130:                              ;   in Loop: Header=BB77_15 Depth=1
	ds_store_b8 v0, v3 offset:3072
; %bb.131:                              ;   in Loop: Header=BB77_15 Depth=1
	s_wait_alu 0xfffe
	s_or_b32 exec_lo, exec_lo, s12
	s_lshl_b32 s12, 1, s88
	v_or_b32_e32 v30, s16, v30
	s_wait_alu 0xfffe
	v_and_or_b32 v28, v28, s20, s12
	s_mov_b32 s21, -1
	s_mov_b32 s22, 0
	s_cmp_eq_u64 s[6:7], 0
	s_mov_b32 s14, 0
	s_mov_b32 s15, -1
	s_wait_loadcnt_dscnt 0x0
	s_barrier_signal -1
	s_barrier_wait -1
	global_inv scope:SCOPE_SE
                                        ; implicit-def: $vgpr31
	s_cbranch_scc1 .LBB77_150
; %bb.132:                              ;   in Loop: Header=BB77_15 Depth=1
	s_add_nc_u64 s[12:13], s[6:7], s[60:61]
	s_mov_b32 s14, s59
	s_wait_alu 0xfffe
	s_mov_b32 s15, s13
	s_wait_alu 0xfffe
	s_cmp_lg_u64 s[14:15], 0
	s_cbranch_scc0 .LBB77_192
; %bb.133:                              ;   in Loop: Header=BB77_15 Depth=1
	s_cvt_f32_u32 s14, s54
	s_sub_nc_u64 s[66:67], 0, s[54:55]
	s_wait_alu 0xfffe
	s_delay_alu instid0(SALU_CYCLE_1) | instskip(SKIP_1) | instid1(SALU_CYCLE_2)
	s_fmamk_f32 s14, s90, 0x0, s14
	s_wait_alu 0xfffe
	v_s_rcp_f32 s14, s14
	s_delay_alu instid0(TRANS32_DEP_1) | instskip(SKIP_1) | instid1(SALU_CYCLE_2)
	s_mul_f32 s14, s14, 0x5f7ffffc
	s_wait_alu 0xfffe
	s_mul_f32 s15, s14, 0x2f800000
	s_wait_alu 0xfffe
	s_delay_alu instid0(SALU_CYCLE_2) | instskip(SKIP_1) | instid1(SALU_CYCLE_2)
	s_trunc_f32 s15, s15
	s_wait_alu 0xfffe
	s_fmamk_f32 s14, s15, 0xcf800000, s14
	s_cvt_u32_f32 s15, s15
	s_wait_alu 0xfffe
	s_delay_alu instid0(SALU_CYCLE_1) | instskip(SKIP_1) | instid1(SALU_CYCLE_2)
	s_cvt_u32_f32 s14, s14
	s_wait_alu 0xfffe
	s_mul_u64 s[68:69], s[66:67], s[14:15]
	s_wait_alu 0xfffe
	s_mul_hi_u32 s71, s14, s69
	s_mul_i32 s70, s14, s69
	s_mul_hi_u32 s58, s14, s68
	s_mul_i32 s72, s15, s68
	s_wait_alu 0xfffe
	s_add_nc_u64 s[70:71], s[58:59], s[70:71]
	s_mul_hi_u32 s25, s15, s68
	s_mul_hi_u32 s73, s15, s69
	s_wait_alu 0xfffe
	s_add_co_u32 s58, s70, s72
	s_add_co_ci_u32 s58, s71, s25
	s_mul_i32 s68, s15, s69
	s_add_co_ci_u32 s69, s73, 0
	s_wait_alu 0xfffe
	s_add_nc_u64 s[68:69], s[58:59], s[68:69]
	s_wait_alu 0xfffe
	s_add_co_u32 s14, s14, s68
	s_cselect_b32 s25, -1, 0
	s_wait_alu 0xfffe
	s_cmp_lg_u32 s25, 0
	s_add_co_ci_u32 s15, s15, s69
	s_wait_alu 0xfffe
	s_mul_u64 s[66:67], s[66:67], s[14:15]
	s_wait_alu 0xfffe
	s_mul_hi_u32 s69, s14, s67
	s_mul_i32 s68, s14, s67
	s_mul_hi_u32 s58, s14, s66
	s_mul_i32 s70, s15, s66
	s_wait_alu 0xfffe
	s_add_nc_u64 s[68:69], s[58:59], s[68:69]
	s_mul_hi_u32 s25, s15, s66
	s_mul_hi_u32 s71, s15, s67
	s_wait_alu 0xfffe
	s_add_co_u32 s58, s68, s70
	s_add_co_ci_u32 s58, s69, s25
	s_mul_i32 s66, s15, s67
	s_add_co_ci_u32 s67, s71, 0
	s_wait_alu 0xfffe
	s_add_nc_u64 s[66:67], s[58:59], s[66:67]
	s_wait_alu 0xfffe
	s_add_co_u32 s14, s14, s66
	s_cselect_b32 s25, -1, 0
	s_wait_alu 0xfffe
	s_mul_hi_u32 s58, s12, s14
	s_cmp_lg_u32 s25, 0
	s_mul_hi_u32 s25, s13, s14
	s_add_co_ci_u32 s66, s15, s67
	s_mul_i32 s67, s13, s14
	s_wait_alu 0xfffe
	s_mul_hi_u32 s15, s12, s66
	s_mul_i32 s14, s12, s66
	s_mul_hi_u32 s68, s13, s66
	s_wait_alu 0xfffe
	s_add_nc_u64 s[14:15], s[58:59], s[14:15]
	s_mul_i32 s66, s13, s66
	s_wait_alu 0xfffe
	s_add_co_u32 s14, s14, s67
	s_add_co_ci_u32 s58, s15, s25
	s_add_co_ci_u32 s67, s68, 0
	s_wait_alu 0xfffe
	s_add_nc_u64 s[14:15], s[58:59], s[66:67]
	s_wait_alu 0xfffe
	s_mul_u64 s[14:15], s[54:55], s[14:15]
	s_wait_alu 0xfffe
	s_sub_co_u32 s14, s12, s14
	s_cselect_b32 s25, -1, 0
	s_wait_alu 0xfffe
	s_cmp_lg_u32 s25, 0
	s_sub_co_ci_u32 s15, s13, s15
	s_sub_co_u32 s25, s14, s54
	s_cselect_b32 s58, -1, 0
	s_wait_alu 0xfffe
	s_cmp_lg_u32 s58, 0
	s_sub_co_ci_u32 s58, s15, 0
	;; [unrolled: 5-line block ×3, first 2 shown]
	s_cmp_ge_u32 s25, s54
	s_cselect_b32 s68, -1, 0
	s_cmp_eq_u32 s58, 0
	s_wait_alu 0xfffe
	s_cselect_b32 s68, s68, -1
	s_wait_alu 0xfffe
	s_cmp_lg_u32 s68, 0
	s_cselect_b32 s58, s67, s58
	s_cselect_b32 s25, s66, s25
	s_cmp_ge_u32 s14, s54
	s_cselect_b32 s66, -1, 0
	s_cmp_eq_u32 s15, 0
	s_wait_alu 0xfffe
	s_cselect_b32 s66, s66, -1
	s_wait_alu 0xfffe
	s_cmp_lg_u32 s66, 0
	s_cselect_b32 s15, s58, s15
	s_cselect_b32 s14, s25, s14
	s_cbranch_execnz .LBB77_135
.LBB77_134:                             ;   in Loop: Header=BB77_15 Depth=1
	v_cvt_f32_u32_e32 v4, s54
	s_sub_co_i32 s15, 0, s54
	s_delay_alu instid0(VALU_DEP_1) | instskip(NEXT) | instid1(TRANS32_DEP_1)
	v_rcp_iflag_f32_e32 v4, v4
	v_mul_f32_e32 v4, 0x4f7ffffe, v4
	s_delay_alu instid0(VALU_DEP_1) | instskip(NEXT) | instid1(VALU_DEP_1)
	v_cvt_u32_f32_e32 v4, v4
	v_readfirstlane_b32 s14, v4
	s_wait_alu 0xfffe
	s_mul_i32 s15, s15, s14
	s_wait_alu 0xfffe
	s_mul_hi_u32 s15, s14, s15
	s_wait_alu 0xfffe
	s_add_co_i32 s14, s14, s15
	s_wait_alu 0xfffe
	s_mul_hi_u32 s14, s12, s14
	s_wait_alu 0xfffe
	s_mul_i32 s14, s14, s54
	s_wait_alu 0xfffe
	s_sub_co_i32 s14, s12, s14
	s_wait_alu 0xfffe
	s_sub_co_i32 s15, s14, s54
	s_cmp_ge_u32 s14, s54
	s_wait_alu 0xfffe
	s_cselect_b32 s14, s15, s14
	s_wait_alu 0xfffe
	s_sub_co_i32 s15, s14, s54
	s_cmp_ge_u32 s14, s54
	s_wait_alu 0xfffe
	s_cselect_b32 s58, s15, s14
	s_wait_alu 0xfffe
	s_mov_b64 s[14:15], s[58:59]
.LBB77_135:                             ;   in Loop: Header=BB77_15 Depth=1
	s_wait_alu 0xfffe
	s_sub_nc_u64 s[12:13], s[12:13], s[14:15]
	s_mov_b32 s15, 0
	s_mov_b32 s14, 0
	s_mov_b32 s25, exec_lo
                                        ; implicit-def: $vgpr31
	s_wait_alu 0xfffe
	v_cmpx_gt_u64_e64 s[12:13], v[0:1]
	s_cbranch_execz .LBB77_149
; %bb.136:                              ;   in Loop: Header=BB77_15 Depth=1
	v_dual_mov_b32 v10, v0 :: v_dual_mov_b32 v5, v1
	v_mov_b32_e32 v4, v0
                                        ; implicit-def: $sgpr58
	s_branch .LBB77_139
.LBB77_137:                             ;   in Loop: Header=BB77_139 Depth=2
	s_wait_alu 0xfffe
	s_or_b32 exec_lo, exec_lo, s66
	s_wait_loadcnt_dscnt 0x0
	s_barrier_signal -1
	s_barrier_wait -1
	global_inv scope:SCOPE_SE
	ds_load_u16 v11, v3 offset:3072
	s_mov_b32 s66, -1
	s_mov_b32 s67, -1
	s_wait_loadcnt_dscnt 0x0
	s_barrier_signal -1
	s_barrier_wait -1
	global_inv scope:SCOPE_SE
	v_and_b32_e32 v19, 0xff, v11
	s_delay_alu instid0(VALU_DEP_1)
	v_cmp_ne_u32_e32 vcc_lo, 0, v19
	s_cbranch_vccz .LBB77_142
.LBB77_138:                             ;   in Loop: Header=BB77_139 Depth=2
	s_wait_alu 0xfffe
	s_and_b32 s66, exec_lo, s66
	s_wait_alu 0xfffe
	s_or_b32 s14, s66, s14
	s_and_not1_b32 s58, s58, exec_lo
	s_and_b32 s66, s67, exec_lo
	s_wait_alu 0xfffe
	s_or_b32 s58, s58, s66
	s_and_not1_b32 exec_lo, exec_lo, s14
	s_cbranch_execz .LBB77_148
.LBB77_139:                             ;   Parent Loop BB77_15 Depth=1
                                        ; =>  This Inner Loop Header: Depth=2
	s_mov_b32 s66, exec_lo
	s_delay_alu instid0(VALU_DEP_1)
	v_cmpx_gt_u64_e64 s[6:7], v[4:5]
	s_cbranch_execz .LBB77_137
; %bb.140:                              ;   in Loop: Header=BB77_139 Depth=2
	ds_load_u8 v11, v10
	s_wait_dscnt 0x0
	v_and_b32_e32 v19, v11, v30
	s_delay_alu instid0(VALU_DEP_1) | instskip(NEXT) | instid1(VALU_DEP_1)
	v_and_b32_e32 v19, 0xff, v19
	v_cmp_eq_u32_e32 vcc_lo, v19, v28
	s_and_b32 exec_lo, exec_lo, vcc_lo
	s_cbranch_execz .LBB77_137
; %bb.141:                              ;   in Loop: Header=BB77_139 Depth=2
	v_lshlrev_b16 v11, 8, v11
	s_delay_alu instid0(VALU_DEP_1)
	v_or_b32_e32 v11, 1, v11
	ds_store_b16 v3, v11 offset:3072
	s_branch .LBB77_137
.LBB77_142:                             ;   in Loop: Header=BB77_139 Depth=2
	v_add_co_u32 v4, vcc_lo, v4, s54
	s_wait_alu 0xfffd
	v_add_co_ci_u32_e64 v5, null, 0, v5, vcc_lo
	v_add_nc_u32_e32 v10, s54, v10
	s_mov_b32 s67, 0
	s_delay_alu instid0(VALU_DEP_2)
	v_cmp_le_u64_e32 vcc_lo, s[12:13], v[4:5]
	s_or_not1_b32 s66, vcc_lo, exec_lo
	s_branch .LBB77_138
.LBB77_143:                             ;   in Loop: Header=BB77_15 Depth=1
                                        ; implicit-def: $sgpr14_sgpr15
	s_branch .LBB77_91
.LBB77_144:                             ;   in Loop: Header=BB77_15 Depth=1
	s_or_b32 exec_lo, exec_lo, s9
	s_wait_dscnt 0x0
	s_barrier_signal -1
	s_barrier_wait -1
	global_inv scope:SCOPE_SE
	s_and_saveexec_b32 s6, s2
	s_cbranch_execz .LBB77_146
; %bb.145:                              ;   in Loop: Header=BB77_15 Depth=1
	ds_load_b32 v4, v3 offset:5144
	s_wait_dscnt 0x0
	v_ashrrev_i32_e32 v5, 31, v4
	ds_store_b64 v3, v[4:5] offset:5120
.LBB77_146:                             ;   in Loop: Header=BB77_15 Depth=1
	s_wait_alu 0xfffe
	s_or_b32 exec_lo, exec_lo, s6
	s_wait_loadcnt_dscnt 0x0
	s_barrier_signal -1
	s_mov_b32 s6, -1
	s_barrier_wait -1
	s_and_b32 vcc_lo, exec_lo, s8
	s_wait_alu 0xfffe
	s_cbranch_vccnz .LBB77_30
	s_branch .LBB77_45
.LBB77_147:                             ;   in Loop: Header=BB77_15 Depth=1
                                        ; implicit-def: $sgpr6_sgpr7
	s_branch .LBB77_105
.LBB77_148:                             ;   in Loop: Header=BB77_15 Depth=1
	s_or_b32 exec_lo, exec_lo, s14
	v_and_b32_e32 v4, 0xffff, v11
	s_wait_alu 0xfffe
	s_and_b32 s14, s58, exec_lo
	s_delay_alu instid0(VALU_DEP_1)
	v_lshrrev_b32_e32 v31, 8, v4
.LBB77_149:                             ;   in Loop: Header=BB77_15 Depth=1
	s_or_b32 exec_lo, exec_lo, s25
.LBB77_150:                             ;   in Loop: Header=BB77_15 Depth=1
	s_wait_alu 0xfffe
	s_and_b32 vcc_lo, exec_lo, s15
	s_wait_alu 0xfffe
	s_cbranch_vccz .LBB77_164
; %bb.151:                              ;   in Loop: Header=BB77_15 Depth=1
	s_mov_b32 s6, s59
	s_mov_b32 s7, s63
	s_wait_alu 0xfffe
	s_cmp_lg_u64 s[6:7], 0
	s_cbranch_scc0 .LBB77_193
; %bb.152:                              ;   in Loop: Header=BB77_15 Depth=1
	s_cvt_f32_u32 s6, s54
	s_sub_nc_u64 s[12:13], 0, s[54:55]
	s_wait_alu 0xfffe
	s_delay_alu instid0(SALU_CYCLE_1) | instskip(SKIP_1) | instid1(SALU_CYCLE_2)
	s_fmamk_f32 s6, s90, 0x0, s6
	s_wait_alu 0xfffe
	v_s_rcp_f32 s6, s6
	s_delay_alu instid0(TRANS32_DEP_1) | instskip(SKIP_1) | instid1(SALU_CYCLE_2)
	s_mul_f32 s6, s6, 0x5f7ffffc
	s_wait_alu 0xfffe
	s_mul_f32 s7, s6, 0x2f800000
	s_wait_alu 0xfffe
	s_delay_alu instid0(SALU_CYCLE_2) | instskip(SKIP_1) | instid1(SALU_CYCLE_2)
	s_trunc_f32 s7, s7
	s_wait_alu 0xfffe
	s_fmamk_f32 s6, s7, 0xcf800000, s6
	s_cvt_u32_f32 s7, s7
	s_wait_alu 0xfffe
	s_delay_alu instid0(SALU_CYCLE_1) | instskip(SKIP_1) | instid1(SALU_CYCLE_2)
	s_cvt_u32_f32 s6, s6
	s_wait_alu 0xfffe
	s_mul_u64 s[66:67], s[12:13], s[6:7]
	s_wait_alu 0xfffe
	s_mul_hi_u32 s69, s6, s67
	s_mul_i32 s68, s6, s67
	s_mul_hi_u32 s58, s6, s66
	s_mul_i32 s21, s7, s66
	s_wait_alu 0xfffe
	s_add_nc_u64 s[68:69], s[58:59], s[68:69]
	s_mul_hi_u32 s15, s7, s66
	s_mul_hi_u32 s22, s7, s67
	s_wait_alu 0xfffe
	s_add_co_u32 s21, s68, s21
	s_add_co_ci_u32 s58, s69, s15
	s_mul_i32 s66, s7, s67
	s_add_co_ci_u32 s67, s22, 0
	s_wait_alu 0xfffe
	s_add_nc_u64 s[66:67], s[58:59], s[66:67]
	s_wait_alu 0xfffe
	s_add_co_u32 s6, s6, s66
	s_cselect_b32 s15, -1, 0
	s_wait_alu 0xfffe
	s_cmp_lg_u32 s15, 0
	s_add_co_ci_u32 s7, s7, s67
	s_wait_alu 0xfffe
	s_mul_u64 s[12:13], s[12:13], s[6:7]
	s_wait_alu 0xfffe
	s_mul_hi_u32 s67, s6, s13
	s_mul_i32 s66, s6, s13
	s_mul_hi_u32 s58, s6, s12
	s_mul_i32 s21, s7, s12
	s_wait_alu 0xfffe
	s_add_nc_u64 s[66:67], s[58:59], s[66:67]
	s_mul_hi_u32 s15, s7, s12
	s_mul_hi_u32 s22, s7, s13
	s_mul_i32 s12, s7, s13
	s_wait_alu 0xfffe
	s_add_co_u32 s13, s66, s21
	s_add_co_ci_u32 s58, s67, s15
	s_add_co_ci_u32 s13, s22, 0
	s_wait_alu 0xfffe
	s_add_nc_u64 s[12:13], s[58:59], s[12:13]
	s_wait_alu 0xfffe
	s_add_co_u32 s6, s6, s12
	s_cselect_b32 s12, -1, 0
	s_wait_alu 0xfffe
	s_mul_hi_u32 s58, s62, s6
	s_cmp_lg_u32 s12, 0
	s_mul_hi_u32 s15, s63, s6
	s_add_co_ci_u32 s12, s7, s13
	s_mul_i32 s13, s63, s6
	s_wait_alu 0xfffe
	s_mul_hi_u32 s7, s62, s12
	s_mul_i32 s6, s62, s12
	s_mul_hi_u32 s21, s63, s12
	s_wait_alu 0xfffe
	s_add_nc_u64 s[6:7], s[58:59], s[6:7]
	s_mul_i32 s12, s63, s12
	s_wait_alu 0xfffe
	s_add_co_u32 s6, s6, s13
	s_add_co_ci_u32 s58, s7, s15
	s_add_co_ci_u32 s13, s21, 0
	s_wait_alu 0xfffe
	s_add_nc_u64 s[6:7], s[58:59], s[12:13]
	s_wait_alu 0xfffe
	s_mul_u64 s[6:7], s[54:55], s[6:7]
	s_wait_alu 0xfffe
	s_sub_co_u32 s6, s62, s6
	s_cselect_b32 s12, -1, 0
	s_wait_alu 0xfffe
	s_cmp_lg_u32 s12, 0
	s_sub_co_ci_u32 s7, s63, s7
	s_sub_co_u32 s12, s6, s54
	s_cselect_b32 s13, -1, 0
	s_wait_alu 0xfffe
	s_cmp_lg_u32 s13, 0
	s_sub_co_ci_u32 s13, s7, 0
	;; [unrolled: 5-line block ×3, first 2 shown]
	s_cmp_ge_u32 s12, s54
	s_cselect_b32 s22, -1, 0
	s_cmp_eq_u32 s13, 0
	s_wait_alu 0xfffe
	s_cselect_b32 s22, s22, -1
	s_wait_alu 0xfffe
	s_cmp_lg_u32 s22, 0
	s_cselect_b32 s13, s21, s13
	s_cselect_b32 s12, s15, s12
	s_cmp_ge_u32 s6, s54
	s_cselect_b32 s15, -1, 0
	s_cmp_eq_u32 s7, 0
	s_wait_alu 0xfffe
	s_cselect_b32 s15, s15, -1
	s_wait_alu 0xfffe
	s_cmp_lg_u32 s15, 0
	s_cselect_b32 s7, s13, s7
	s_cselect_b32 s6, s12, s6
	s_cbranch_execnz .LBB77_154
.LBB77_153:                             ;   in Loop: Header=BB77_15 Depth=1
	v_cvt_f32_u32_e32 v4, s54
	s_sub_co_i32 s7, 0, s54
	s_delay_alu instid0(VALU_DEP_1) | instskip(NEXT) | instid1(TRANS32_DEP_1)
	v_rcp_iflag_f32_e32 v4, v4
	v_mul_f32_e32 v4, 0x4f7ffffe, v4
	s_delay_alu instid0(VALU_DEP_1) | instskip(NEXT) | instid1(VALU_DEP_1)
	v_cvt_u32_f32_e32 v4, v4
	v_readfirstlane_b32 s6, v4
	s_wait_alu 0xfffe
	s_mul_i32 s7, s7, s6
	s_wait_alu 0xfffe
	s_mul_hi_u32 s7, s6, s7
	s_wait_alu 0xfffe
	s_add_co_i32 s6, s6, s7
	s_wait_alu 0xfffe
	s_mul_hi_u32 s6, s62, s6
	s_wait_alu 0xfffe
	s_mul_i32 s6, s6, s54
	s_wait_alu 0xfffe
	s_sub_co_i32 s6, s62, s6
	s_wait_alu 0xfffe
	s_sub_co_i32 s7, s6, s54
	s_cmp_ge_u32 s6, s54
	s_wait_alu 0xfffe
	s_cselect_b32 s6, s7, s6
	s_wait_alu 0xfffe
	s_sub_co_i32 s7, s6, s54
	s_cmp_ge_u32 s6, s54
	s_wait_alu 0xfffe
	s_cselect_b32 s58, s7, s6
	s_wait_alu 0xfffe
	s_mov_b64 s[6:7], s[58:59]
.LBB77_154:                             ;   in Loop: Header=BB77_15 Depth=1
	s_wait_alu 0xfffe
	s_sub_nc_u64 s[6:7], s[62:63], s[6:7]
	s_mov_b32 s12, exec_lo
                                        ; implicit-def: $vgpr31
	s_wait_alu 0xfffe
	v_cmpx_gt_u64_e64 s[6:7], v[0:1]
	s_cbranch_execz .LBB77_163
; %bb.155:                              ;   in Loop: Header=BB77_15 Depth=1
	v_dual_mov_b32 v5, v1 :: v_dual_mov_b32 v4, v0
	s_mov_b32 s13, 0
                                        ; implicit-def: $sgpr15
	s_branch .LBB77_158
.LBB77_156:                             ;   in Loop: Header=BB77_158 Depth=2
	s_wait_alu 0xfffe
	s_or_b32 exec_lo, exec_lo, s21
	s_wait_loadcnt_dscnt 0x0
	s_barrier_signal -1
	s_barrier_wait -1
	global_inv scope:SCOPE_SE
	ds_load_u16 v10, v3 offset:3072
	s_mov_b32 s22, -1
	s_mov_b32 s21, -1
	s_wait_loadcnt_dscnt 0x0
	s_barrier_signal -1
	s_barrier_wait -1
	global_inv scope:SCOPE_SE
	v_and_b32_e32 v11, 0xff, v10
	s_delay_alu instid0(VALU_DEP_1)
	v_cmp_eq_u32_e32 vcc_lo, 0, v11
	s_cbranch_vccnz .LBB77_161
.LBB77_157:                             ;   in Loop: Header=BB77_158 Depth=2
	s_wait_alu 0xfffe
	s_and_b32 s22, exec_lo, s22
	s_wait_alu 0xfffe
	s_or_b32 s13, s22, s13
	s_and_not1_b32 s15, s15, exec_lo
	s_and_b32 s21, s21, exec_lo
	s_wait_alu 0xfffe
	s_or_b32 s15, s15, s21
	s_and_not1_b32 exec_lo, exec_lo, s13
	s_cbranch_execz .LBB77_162
.LBB77_158:                             ;   Parent Loop BB77_15 Depth=1
                                        ; =>  This Inner Loop Header: Depth=2
	s_mov_b32 s21, exec_lo
	s_delay_alu instid0(VALU_DEP_1)
	v_cmpx_gt_u64_e64 s[28:29], v[4:5]
	s_cbranch_execz .LBB77_156
; %bb.159:                              ;   in Loop: Header=BB77_158 Depth=2
	v_mad_co_u64_u32 v[10:11], null, v4, s44, s[52:53]
	v_mul_lo_u32 v19, v4, s45
	v_mul_lo_u32 v20, v5, s44
	s_delay_alu instid0(VALU_DEP_1) | instskip(SKIP_3) | instid1(VALU_DEP_1)
	v_add3_u32 v11, v20, v11, v19
	global_load_u8 v10, v[10:11], off
	s_wait_loadcnt 0x0
	v_and_b32_e32 v11, v10, v30
	v_and_b32_e32 v11, 0xff, v11
	s_delay_alu instid0(VALU_DEP_1)
	v_cmp_eq_u32_e32 vcc_lo, v11, v28
	s_and_b32 exec_lo, exec_lo, vcc_lo
	s_cbranch_execz .LBB77_156
; %bb.160:                              ;   in Loop: Header=BB77_158 Depth=2
	v_lshlrev_b16 v10, 8, v10
	s_delay_alu instid0(VALU_DEP_1)
	v_or_b32_e32 v10, 1, v10
	ds_store_b16 v3, v10 offset:3072
	s_branch .LBB77_156
.LBB77_161:                             ;   in Loop: Header=BB77_158 Depth=2
	v_add_co_u32 v4, vcc_lo, v4, s54
	s_wait_alu 0xfffd
	v_add_co_ci_u32_e64 v5, null, 0, v5, vcc_lo
	s_mov_b32 s21, 0
	v_cmp_le_u64_e32 vcc_lo, s[6:7], v[4:5]
	s_or_not1_b32 s22, vcc_lo, exec_lo
	s_branch .LBB77_157
.LBB77_162:                             ;   in Loop: Header=BB77_15 Depth=1
	s_or_b32 exec_lo, exec_lo, s13
	v_and_b32_e32 v4, 0xffff, v10
	s_and_not1_b32 s6, s14, exec_lo
	s_wait_alu 0xfffe
	s_and_b32 s7, s15, exec_lo
	s_wait_alu 0xfffe
	s_or_b32 s14, s6, s7
	v_lshrrev_b32_e32 v31, 8, v4
.LBB77_163:                             ;   in Loop: Header=BB77_15 Depth=1
	s_or_b32 exec_lo, exec_lo, s12
	s_mov_b32 s21, 0
	s_mov_b32 s22, -1
.LBB77_164:                             ;   in Loop: Header=BB77_15 Depth=1
	s_wait_alu 0xfffe
	s_or_not1_b32 s6, s14, exec_lo
.LBB77_165:                             ;   in Loop: Header=BB77_15 Depth=1
	s_wait_alu 0xfffe
	s_or_b32 exec_lo, exec_lo, s23
	s_mov_b32 s7, 0
	s_and_saveexec_b32 s23, s6
	s_cbranch_execz .LBB77_271
; %bb.166:                              ;   in Loop: Header=BB77_15 Depth=1
	v_mov_b32_e32 v4, 1
	v_dual_mov_b32 v5, 0 :: v_dual_mov_b32 v2, 1
	s_xor_b32 s12, s24, -1
	s_wait_alu 0xfffe
	s_and_saveexec_b32 s6, s12
	s_cbranch_execz .LBB77_176
; %bb.167:                              ;   in Loop: Header=BB77_15 Depth=1
	s_mov_b32 s7, exec_lo
	v_cmpx_le_u64_e64 v[8:9], v[6:7]
	s_wait_alu 0xfffe
	s_xor_b32 s7, exec_lo, s7
	s_cbranch_execz .LBB77_173
; %bb.168:                              ;   in Loop: Header=BB77_15 Depth=1
	ds_load_b64 v[4:5], v3 offset:5120
	s_lshl_b32 s12, 1, s88
	v_or_b32_e32 v30, s16, v30
	s_wait_alu 0xfffe
	v_and_or_b32 v28, v28, s20, s12
	s_wait_dscnt 0x0
	v_cmp_ne_u64_e32 vcc_lo, 0, v[4:5]
	s_cbranch_vccnz .LBB77_172
; %bb.169:                              ;   in Loop: Header=BB77_15 Depth=1
	s_and_saveexec_b32 s12, s2
; %bb.170:                              ;   in Loop: Header=BB77_15 Depth=1
	ds_store_b64 v3, v[6:7] offset:5128
; %bb.171:                              ;   in Loop: Header=BB77_15 Depth=1
	s_wait_alu 0xfffe
	s_or_b32 exec_lo, exec_lo, s12
	s_wait_loadcnt_dscnt 0x0
	s_barrier_signal -1
	s_barrier_wait -1
	global_inv scope:SCOPE_SE
.LBB77_172:                             ;   in Loop: Header=BB77_15 Depth=1
                                        ; implicit-def: $vgpr4_vgpr5_vgpr6_vgpr7
.LBB77_173:                             ;   in Loop: Header=BB77_15 Depth=1
	s_wait_alu 0xfffe
	s_or_saveexec_b32 s7, s7
	v_mov_b32_e32 v2, 8
	s_mov_b32 s12, 0
	s_wait_alu 0xfffe
	s_xor_b32 exec_lo, exec_lo, s7
; %bb.174:                              ;   in Loop: Header=BB77_15 Depth=1
	v_sub_co_u32 v8, vcc_lo, v8, v6
	s_wait_alu 0xfffd
	v_sub_co_ci_u32_e64 v9, null, v9, v7, vcc_lo
	v_mov_b32_e32 v2, 0
	s_mov_b32 s12, exec_lo
; %bb.175:                              ;   in Loop: Header=BB77_15 Depth=1
	s_or_b32 exec_lo, exec_lo, s7
	s_delay_alu instid0(VALU_DEP_2)
	v_dual_mov_b32 v4, v8 :: v_dual_mov_b32 v5, v9
	s_wait_alu 0xfffe
	s_and_b32 s7, s12, exec_lo
.LBB77_176:                             ;   in Loop: Header=BB77_15 Depth=1
	s_wait_alu 0xfffe
	s_or_b32 exec_lo, exec_lo, s6
	s_mov_b32 s6, -1
                                        ; implicit-def: $sgpr25
                                        ; implicit-def: $sgpr66
	s_and_saveexec_b32 s24, s7
	s_cbranch_execz .LBB77_270
; %bb.177:                              ;   in Loop: Header=BB77_15 Depth=1
	v_cmp_eq_u64_e32 vcc_lo, 1, v[4:5]
	s_cmp_eq_u64 s[10:11], 1
                                        ; implicit-def: $sgpr66
                                        ; implicit-def: $sgpr25
	s_cselect_b32 s6, -1, 0
	s_wait_alu 0xfffe
	s_and_b32 s67, s6, vcc_lo
	s_mov_b32 s6, -1
	s_wait_alu 0xfffe
	s_and_saveexec_b32 s68, s67
	s_cbranch_execz .LBB77_211
; %bb.178:                              ;   in Loop: Header=BB77_15 Depth=1
	ds_load_b64 v[6:7], v3 offset:5120
	s_wait_loadcnt_dscnt 0x0
	s_barrier_signal -1
	s_barrier_wait -1
	global_inv scope:SCOPE_SE
	v_readfirstlane_b32 s6, v6
	v_readfirstlane_b32 s7, v7
	s_and_saveexec_b32 s12, s3
; %bb.179:                              ;   in Loop: Header=BB77_15 Depth=1
	ds_store_b8 v0, v3 offset:3072
; %bb.180:                              ;   in Loop: Header=BB77_15 Depth=1
	s_wait_alu 0xfffe
	s_or_b32 exec_lo, exec_lo, s12
	s_lshl_b32 s12, 2, s88
	v_or_b32_e32 v30, s16, v30
	s_wait_alu 0xfffe
	v_and_or_b32 v28, v28, s20, s12
	s_mov_b32 s25, -1
	s_mov_b32 s66, 0
	s_cmp_eq_u64 s[6:7], 0
	s_mov_b32 s14, 0
	s_mov_b32 s15, -1
	s_wait_loadcnt_dscnt 0x0
	s_barrier_signal -1
	s_barrier_wait -1
	global_inv scope:SCOPE_SE
                                        ; implicit-def: $vgpr31
	s_cbranch_scc1 .LBB77_196
; %bb.181:                              ;   in Loop: Header=BB77_15 Depth=1
	s_add_nc_u64 s[12:13], s[6:7], s[60:61]
	s_mov_b32 s14, s59
	s_wait_alu 0xfffe
	s_mov_b32 s15, s13
	s_wait_alu 0xfffe
	s_cmp_lg_u64 s[14:15], 0
	s_cbranch_scc0 .LBB77_237
; %bb.182:                              ;   in Loop: Header=BB77_15 Depth=1
	s_cvt_f32_u32 s14, s54
	s_sub_nc_u64 s[70:71], 0, s[54:55]
	s_wait_alu 0xfffe
	s_delay_alu instid0(SALU_CYCLE_1) | instskip(SKIP_1) | instid1(SALU_CYCLE_2)
	s_fmamk_f32 s14, s90, 0x0, s14
	s_wait_alu 0xfffe
	v_s_rcp_f32 s14, s14
	s_delay_alu instid0(TRANS32_DEP_1) | instskip(SKIP_1) | instid1(SALU_CYCLE_2)
	s_mul_f32 s14, s14, 0x5f7ffffc
	s_wait_alu 0xfffe
	s_mul_f32 s15, s14, 0x2f800000
	s_wait_alu 0xfffe
	s_delay_alu instid0(SALU_CYCLE_2) | instskip(SKIP_1) | instid1(SALU_CYCLE_2)
	s_trunc_f32 s15, s15
	s_wait_alu 0xfffe
	s_fmamk_f32 s14, s15, 0xcf800000, s14
	s_cvt_u32_f32 s15, s15
	s_wait_alu 0xfffe
	s_delay_alu instid0(SALU_CYCLE_1) | instskip(SKIP_1) | instid1(SALU_CYCLE_2)
	s_cvt_u32_f32 s14, s14
	s_wait_alu 0xfffe
	s_mul_u64 s[72:73], s[70:71], s[14:15]
	s_wait_alu 0xfffe
	s_mul_hi_u32 s75, s14, s73
	s_mul_i32 s74, s14, s73
	s_mul_hi_u32 s58, s14, s72
	s_mul_i32 s98, s15, s72
	s_wait_alu 0xfffe
	s_add_nc_u64 s[74:75], s[58:59], s[74:75]
	s_mul_hi_u32 s69, s15, s72
	s_mul_hi_u32 s99, s15, s73
	s_wait_alu 0xfffe
	s_add_co_u32 s58, s74, s98
	s_add_co_ci_u32 s58, s75, s69
	s_mul_i32 s72, s15, s73
	s_add_co_ci_u32 s73, s99, 0
	s_wait_alu 0xfffe
	s_add_nc_u64 s[72:73], s[58:59], s[72:73]
	s_wait_alu 0xfffe
	s_add_co_u32 s14, s14, s72
	s_cselect_b32 s58, -1, 0
	s_wait_alu 0xfffe
	s_cmp_lg_u32 s58, 0
	s_add_co_ci_u32 s15, s15, s73
	s_wait_alu 0xfffe
	s_mul_u64 s[70:71], s[70:71], s[14:15]
	s_wait_alu 0xfffe
	s_mul_hi_u32 s73, s14, s71
	s_mul_i32 s72, s14, s71
	s_mul_hi_u32 s58, s14, s70
	s_mul_i32 s74, s15, s70
	s_wait_alu 0xfffe
	s_add_nc_u64 s[72:73], s[58:59], s[72:73]
	s_mul_hi_u32 s69, s15, s70
	s_mul_hi_u32 s75, s15, s71
	s_wait_alu 0xfffe
	s_add_co_u32 s58, s72, s74
	s_add_co_ci_u32 s58, s73, s69
	s_mul_i32 s70, s15, s71
	s_add_co_ci_u32 s71, s75, 0
	s_wait_alu 0xfffe
	s_add_nc_u64 s[70:71], s[58:59], s[70:71]
	s_wait_alu 0xfffe
	s_add_co_u32 s14, s14, s70
	s_cselect_b32 s69, -1, 0
	s_wait_alu 0xfffe
	s_mul_hi_u32 s58, s12, s14
	s_cmp_lg_u32 s69, 0
	s_mul_hi_u32 s69, s13, s14
	s_add_co_ci_u32 s70, s15, s71
	s_mul_i32 s71, s13, s14
	s_wait_alu 0xfffe
	s_mul_hi_u32 s15, s12, s70
	s_mul_i32 s14, s12, s70
	s_mul_hi_u32 s72, s13, s70
	s_wait_alu 0xfffe
	s_add_nc_u64 s[14:15], s[58:59], s[14:15]
	s_mul_i32 s70, s13, s70
	s_wait_alu 0xfffe
	s_add_co_u32 s14, s14, s71
	s_add_co_ci_u32 s58, s15, s69
	s_add_co_ci_u32 s71, s72, 0
	s_wait_alu 0xfffe
	s_add_nc_u64 s[14:15], s[58:59], s[70:71]
	s_wait_alu 0xfffe
	s_mul_u64 s[14:15], s[54:55], s[14:15]
	s_wait_alu 0xfffe
	s_sub_co_u32 s14, s12, s14
	s_cselect_b32 s58, -1, 0
	s_wait_alu 0xfffe
	s_cmp_lg_u32 s58, 0
	s_sub_co_ci_u32 s15, s13, s15
	s_sub_co_u32 s58, s14, s54
	s_cselect_b32 s69, -1, 0
	s_wait_alu 0xfffe
	s_cmp_lg_u32 s69, 0
	s_sub_co_ci_u32 s69, s15, 0
	;; [unrolled: 5-line block ×3, first 2 shown]
	s_cmp_ge_u32 s58, s54
	s_cselect_b32 s72, -1, 0
	s_cmp_eq_u32 s69, 0
	s_wait_alu 0xfffe
	s_cselect_b32 s72, s72, -1
	s_wait_alu 0xfffe
	s_cmp_lg_u32 s72, 0
	s_cselect_b32 s69, s71, s69
	s_cselect_b32 s58, s70, s58
	s_cmp_ge_u32 s14, s54
	s_cselect_b32 s70, -1, 0
	s_cmp_eq_u32 s15, 0
	s_wait_alu 0xfffe
	s_cselect_b32 s70, s70, -1
	s_wait_alu 0xfffe
	s_cmp_lg_u32 s70, 0
	s_cselect_b32 s15, s69, s15
	s_cselect_b32 s14, s58, s14
	s_cbranch_execnz .LBB77_184
.LBB77_183:                             ;   in Loop: Header=BB77_15 Depth=1
	v_cvt_f32_u32_e32 v6, s54
	s_sub_co_i32 s15, 0, s54
	s_delay_alu instid0(VALU_DEP_1) | instskip(NEXT) | instid1(TRANS32_DEP_1)
	v_rcp_iflag_f32_e32 v6, v6
	v_mul_f32_e32 v6, 0x4f7ffffe, v6
	s_delay_alu instid0(VALU_DEP_1) | instskip(NEXT) | instid1(VALU_DEP_1)
	v_cvt_u32_f32_e32 v6, v6
	v_readfirstlane_b32 s14, v6
	s_wait_alu 0xfffe
	s_mul_i32 s15, s15, s14
	s_wait_alu 0xfffe
	s_mul_hi_u32 s15, s14, s15
	s_wait_alu 0xfffe
	s_add_co_i32 s14, s14, s15
	s_wait_alu 0xfffe
	s_mul_hi_u32 s14, s12, s14
	s_wait_alu 0xfffe
	s_mul_i32 s14, s14, s54
	s_wait_alu 0xfffe
	s_sub_co_i32 s14, s12, s14
	s_wait_alu 0xfffe
	s_sub_co_i32 s15, s14, s54
	s_cmp_ge_u32 s14, s54
	s_wait_alu 0xfffe
	s_cselect_b32 s14, s15, s14
	s_wait_alu 0xfffe
	s_sub_co_i32 s15, s14, s54
	s_cmp_ge_u32 s14, s54
	s_wait_alu 0xfffe
	s_cselect_b32 s58, s15, s14
	s_wait_alu 0xfffe
	s_mov_b64 s[14:15], s[58:59]
.LBB77_184:                             ;   in Loop: Header=BB77_15 Depth=1
	s_wait_alu 0xfffe
	s_sub_nc_u64 s[12:13], s[12:13], s[14:15]
	s_mov_b32 s15, 0
	s_mov_b32 s14, 0
	s_mov_b32 s58, exec_lo
                                        ; implicit-def: $vgpr31
	s_wait_alu 0xfffe
	v_cmpx_gt_u64_e64 s[12:13], v[0:1]
	s_cbranch_execz .LBB77_195
; %bb.185:                              ;   in Loop: Header=BB77_15 Depth=1
	v_dual_mov_b32 v8, v0 :: v_dual_mov_b32 v7, v1
	v_mov_b32_e32 v6, v0
                                        ; implicit-def: $sgpr69
	s_branch .LBB77_188
.LBB77_186:                             ;   in Loop: Header=BB77_188 Depth=2
	s_wait_alu 0xfffe
	s_or_b32 exec_lo, exec_lo, s70
	s_wait_loadcnt_dscnt 0x0
	s_barrier_signal -1
	s_barrier_wait -1
	global_inv scope:SCOPE_SE
	ds_load_u16 v9, v3 offset:3072
	s_mov_b32 s70, -1
	s_mov_b32 s71, -1
	s_wait_loadcnt_dscnt 0x0
	s_barrier_signal -1
	s_barrier_wait -1
	global_inv scope:SCOPE_SE
	v_and_b32_e32 v10, 0xff, v9
	s_delay_alu instid0(VALU_DEP_1)
	v_cmp_ne_u32_e32 vcc_lo, 0, v10
	s_cbranch_vccz .LBB77_191
.LBB77_187:                             ;   in Loop: Header=BB77_188 Depth=2
	s_wait_alu 0xfffe
	s_and_b32 s70, exec_lo, s70
	s_wait_alu 0xfffe
	s_or_b32 s14, s70, s14
	s_and_not1_b32 s69, s69, exec_lo
	s_and_b32 s70, s71, exec_lo
	s_wait_alu 0xfffe
	s_or_b32 s69, s69, s70
	s_and_not1_b32 exec_lo, exec_lo, s14
	s_cbranch_execz .LBB77_194
.LBB77_188:                             ;   Parent Loop BB77_15 Depth=1
                                        ; =>  This Inner Loop Header: Depth=2
	s_mov_b32 s70, exec_lo
	s_delay_alu instid0(VALU_DEP_1)
	v_cmpx_gt_u64_e64 s[6:7], v[6:7]
	s_cbranch_execz .LBB77_186
; %bb.189:                              ;   in Loop: Header=BB77_188 Depth=2
	ds_load_u8 v9, v8
	s_wait_dscnt 0x0
	v_and_b32_e32 v10, v9, v30
	s_delay_alu instid0(VALU_DEP_1) | instskip(NEXT) | instid1(VALU_DEP_1)
	v_and_b32_e32 v10, 0xff, v10
	v_cmp_eq_u32_e32 vcc_lo, v10, v28
	s_and_b32 exec_lo, exec_lo, vcc_lo
	s_cbranch_execz .LBB77_186
; %bb.190:                              ;   in Loop: Header=BB77_188 Depth=2
	v_lshlrev_b16 v9, 8, v9
	s_delay_alu instid0(VALU_DEP_1)
	v_or_b32_e32 v9, 1, v9
	ds_store_b16 v3, v9 offset:3072
	s_branch .LBB77_186
.LBB77_191:                             ;   in Loop: Header=BB77_188 Depth=2
	v_add_co_u32 v6, vcc_lo, v6, s54
	s_wait_alu 0xfffd
	v_add_co_ci_u32_e64 v7, null, 0, v7, vcc_lo
	v_add_nc_u32_e32 v8, s54, v8
	s_mov_b32 s71, 0
	s_delay_alu instid0(VALU_DEP_2)
	v_cmp_le_u64_e32 vcc_lo, s[12:13], v[6:7]
	s_or_not1_b32 s70, vcc_lo, exec_lo
	s_branch .LBB77_187
.LBB77_192:                             ;   in Loop: Header=BB77_15 Depth=1
                                        ; implicit-def: $sgpr14_sgpr15
	s_branch .LBB77_134
.LBB77_193:                             ;   in Loop: Header=BB77_15 Depth=1
                                        ; implicit-def: $sgpr6_sgpr7
	s_branch .LBB77_153
.LBB77_194:                             ;   in Loop: Header=BB77_15 Depth=1
	s_or_b32 exec_lo, exec_lo, s14
	v_and_b32_e32 v6, 0xffff, v9
	s_wait_alu 0xfffe
	s_and_b32 s14, s69, exec_lo
	s_delay_alu instid0(VALU_DEP_1)
	v_lshrrev_b32_e32 v31, 8, v6
.LBB77_195:                             ;   in Loop: Header=BB77_15 Depth=1
	s_or_b32 exec_lo, exec_lo, s58
.LBB77_196:                             ;   in Loop: Header=BB77_15 Depth=1
	s_wait_alu 0xfffe
	s_and_b32 vcc_lo, exec_lo, s15
	s_wait_alu 0xfffe
	s_cbranch_vccz .LBB77_210
; %bb.197:                              ;   in Loop: Header=BB77_15 Depth=1
	s_mov_b32 s6, s59
	s_mov_b32 s7, s63
	s_wait_alu 0xfffe
	s_cmp_lg_u64 s[6:7], 0
	s_cbranch_scc0 .LBB77_238
; %bb.198:                              ;   in Loop: Header=BB77_15 Depth=1
	s_cvt_f32_u32 s6, s54
	s_sub_nc_u64 s[12:13], 0, s[54:55]
	s_wait_alu 0xfffe
	s_delay_alu instid0(SALU_CYCLE_1) | instskip(SKIP_1) | instid1(SALU_CYCLE_2)
	s_fmamk_f32 s6, s90, 0x0, s6
	s_wait_alu 0xfffe
	v_s_rcp_f32 s6, s6
	s_delay_alu instid0(TRANS32_DEP_1) | instskip(SKIP_1) | instid1(SALU_CYCLE_2)
	s_mul_f32 s6, s6, 0x5f7ffffc
	s_wait_alu 0xfffe
	s_mul_f32 s7, s6, 0x2f800000
	s_wait_alu 0xfffe
	s_delay_alu instid0(SALU_CYCLE_2) | instskip(SKIP_1) | instid1(SALU_CYCLE_2)
	s_trunc_f32 s7, s7
	s_wait_alu 0xfffe
	s_fmamk_f32 s6, s7, 0xcf800000, s6
	s_cvt_u32_f32 s7, s7
	s_wait_alu 0xfffe
	s_delay_alu instid0(SALU_CYCLE_1) | instskip(SKIP_1) | instid1(SALU_CYCLE_2)
	s_cvt_u32_f32 s6, s6
	s_wait_alu 0xfffe
	s_mul_u64 s[70:71], s[12:13], s[6:7]
	s_wait_alu 0xfffe
	s_mul_hi_u32 s73, s6, s71
	s_mul_i32 s72, s6, s71
	s_mul_hi_u32 s58, s6, s70
	s_mul_i32 s25, s7, s70
	s_wait_alu 0xfffe
	s_add_nc_u64 s[72:73], s[58:59], s[72:73]
	s_mul_hi_u32 s15, s7, s70
	s_mul_hi_u32 s66, s7, s71
	s_wait_alu 0xfffe
	s_add_co_u32 s25, s72, s25
	s_add_co_ci_u32 s58, s73, s15
	s_mul_i32 s70, s7, s71
	s_add_co_ci_u32 s71, s66, 0
	s_wait_alu 0xfffe
	s_add_nc_u64 s[70:71], s[58:59], s[70:71]
	s_wait_alu 0xfffe
	s_add_co_u32 s6, s6, s70
	s_cselect_b32 s15, -1, 0
	s_wait_alu 0xfffe
	s_cmp_lg_u32 s15, 0
	s_add_co_ci_u32 s7, s7, s71
	s_wait_alu 0xfffe
	s_mul_u64 s[12:13], s[12:13], s[6:7]
	s_wait_alu 0xfffe
	s_mul_hi_u32 s71, s6, s13
	s_mul_i32 s70, s6, s13
	s_mul_hi_u32 s58, s6, s12
	s_mul_i32 s25, s7, s12
	s_wait_alu 0xfffe
	s_add_nc_u64 s[70:71], s[58:59], s[70:71]
	s_mul_hi_u32 s15, s7, s12
	s_mul_hi_u32 s66, s7, s13
	s_mul_i32 s12, s7, s13
	s_wait_alu 0xfffe
	s_add_co_u32 s13, s70, s25
	s_add_co_ci_u32 s58, s71, s15
	s_add_co_ci_u32 s13, s66, 0
	s_wait_alu 0xfffe
	s_add_nc_u64 s[12:13], s[58:59], s[12:13]
	s_wait_alu 0xfffe
	s_add_co_u32 s6, s6, s12
	s_cselect_b32 s12, -1, 0
	s_wait_alu 0xfffe
	s_mul_hi_u32 s58, s62, s6
	s_cmp_lg_u32 s12, 0
	s_mul_hi_u32 s15, s63, s6
	s_add_co_ci_u32 s12, s7, s13
	s_mul_i32 s13, s63, s6
	s_wait_alu 0xfffe
	s_mul_hi_u32 s7, s62, s12
	s_mul_i32 s6, s62, s12
	s_mul_hi_u32 s25, s63, s12
	s_wait_alu 0xfffe
	s_add_nc_u64 s[6:7], s[58:59], s[6:7]
	s_mul_i32 s12, s63, s12
	s_wait_alu 0xfffe
	s_add_co_u32 s6, s6, s13
	s_add_co_ci_u32 s58, s7, s15
	s_add_co_ci_u32 s13, s25, 0
	s_wait_alu 0xfffe
	s_add_nc_u64 s[6:7], s[58:59], s[12:13]
	s_wait_alu 0xfffe
	s_mul_u64 s[6:7], s[54:55], s[6:7]
	s_wait_alu 0xfffe
	s_sub_co_u32 s6, s62, s6
	s_cselect_b32 s12, -1, 0
	s_wait_alu 0xfffe
	s_cmp_lg_u32 s12, 0
	s_sub_co_ci_u32 s7, s63, s7
	s_sub_co_u32 s12, s6, s54
	s_cselect_b32 s13, -1, 0
	s_wait_alu 0xfffe
	s_cmp_lg_u32 s13, 0
	s_sub_co_ci_u32 s13, s7, 0
	;; [unrolled: 5-line block ×3, first 2 shown]
	s_cmp_ge_u32 s12, s54
	s_cselect_b32 s58, -1, 0
	s_cmp_eq_u32 s13, 0
	s_wait_alu 0xfffe
	s_cselect_b32 s58, s58, -1
	s_wait_alu 0xfffe
	s_cmp_lg_u32 s58, 0
	s_cselect_b32 s13, s25, s13
	s_cselect_b32 s12, s15, s12
	s_cmp_ge_u32 s6, s54
	s_cselect_b32 s15, -1, 0
	s_cmp_eq_u32 s7, 0
	s_wait_alu 0xfffe
	s_cselect_b32 s15, s15, -1
	s_wait_alu 0xfffe
	s_cmp_lg_u32 s15, 0
	s_cselect_b32 s7, s13, s7
	s_cselect_b32 s6, s12, s6
	s_cbranch_execnz .LBB77_200
.LBB77_199:                             ;   in Loop: Header=BB77_15 Depth=1
	v_cvt_f32_u32_e32 v6, s54
	s_sub_co_i32 s7, 0, s54
	s_delay_alu instid0(VALU_DEP_1) | instskip(NEXT) | instid1(TRANS32_DEP_1)
	v_rcp_iflag_f32_e32 v6, v6
	v_mul_f32_e32 v6, 0x4f7ffffe, v6
	s_delay_alu instid0(VALU_DEP_1) | instskip(NEXT) | instid1(VALU_DEP_1)
	v_cvt_u32_f32_e32 v6, v6
	v_readfirstlane_b32 s6, v6
	s_wait_alu 0xfffe
	s_mul_i32 s7, s7, s6
	s_wait_alu 0xfffe
	s_mul_hi_u32 s7, s6, s7
	s_wait_alu 0xfffe
	s_add_co_i32 s6, s6, s7
	s_wait_alu 0xfffe
	s_mul_hi_u32 s6, s62, s6
	s_wait_alu 0xfffe
	s_mul_i32 s6, s6, s54
	s_wait_alu 0xfffe
	s_sub_co_i32 s6, s62, s6
	s_wait_alu 0xfffe
	s_sub_co_i32 s7, s6, s54
	s_cmp_ge_u32 s6, s54
	s_wait_alu 0xfffe
	s_cselect_b32 s6, s7, s6
	s_wait_alu 0xfffe
	s_sub_co_i32 s7, s6, s54
	s_cmp_ge_u32 s6, s54
	s_wait_alu 0xfffe
	s_cselect_b32 s58, s7, s6
	s_wait_alu 0xfffe
	s_mov_b64 s[6:7], s[58:59]
.LBB77_200:                             ;   in Loop: Header=BB77_15 Depth=1
	s_wait_alu 0xfffe
	s_sub_nc_u64 s[6:7], s[62:63], s[6:7]
	s_mov_b32 s12, exec_lo
                                        ; implicit-def: $vgpr31
	s_wait_alu 0xfffe
	v_cmpx_gt_u64_e64 s[6:7], v[0:1]
	s_cbranch_execz .LBB77_209
; %bb.201:                              ;   in Loop: Header=BB77_15 Depth=1
	v_dual_mov_b32 v7, v1 :: v_dual_mov_b32 v6, v0
	s_mov_b32 s13, 0
                                        ; implicit-def: $sgpr15
	s_branch .LBB77_204
.LBB77_202:                             ;   in Loop: Header=BB77_204 Depth=2
	s_wait_alu 0xfffe
	s_or_b32 exec_lo, exec_lo, s25
	s_wait_loadcnt_dscnt 0x0
	s_barrier_signal -1
	s_barrier_wait -1
	global_inv scope:SCOPE_SE
	ds_load_u16 v8, v3 offset:3072
	s_mov_b32 s58, -1
	s_mov_b32 s25, -1
	s_wait_loadcnt_dscnt 0x0
	s_barrier_signal -1
	s_barrier_wait -1
	global_inv scope:SCOPE_SE
	v_and_b32_e32 v9, 0xff, v8
	s_delay_alu instid0(VALU_DEP_1)
	v_cmp_eq_u32_e32 vcc_lo, 0, v9
	s_cbranch_vccnz .LBB77_207
.LBB77_203:                             ;   in Loop: Header=BB77_204 Depth=2
	s_wait_alu 0xfffe
	s_and_b32 s58, exec_lo, s58
	s_wait_alu 0xfffe
	s_or_b32 s13, s58, s13
	s_and_not1_b32 s15, s15, exec_lo
	s_and_b32 s25, s25, exec_lo
	s_wait_alu 0xfffe
	s_or_b32 s15, s15, s25
	s_and_not1_b32 exec_lo, exec_lo, s13
	s_cbranch_execz .LBB77_208
.LBB77_204:                             ;   Parent Loop BB77_15 Depth=1
                                        ; =>  This Inner Loop Header: Depth=2
	s_mov_b32 s25, exec_lo
	s_delay_alu instid0(VALU_DEP_1)
	v_cmpx_gt_u64_e64 s[28:29], v[6:7]
	s_cbranch_execz .LBB77_202
; %bb.205:                              ;   in Loop: Header=BB77_204 Depth=2
	v_mad_co_u64_u32 v[8:9], null, v6, s44, s[52:53]
	v_mul_lo_u32 v10, v6, s45
	v_mul_lo_u32 v11, v7, s44
	s_delay_alu instid0(VALU_DEP_1) | instskip(SKIP_3) | instid1(VALU_DEP_1)
	v_add3_u32 v9, v11, v9, v10
	global_load_u8 v8, v[8:9], off
	s_wait_loadcnt 0x0
	v_and_b32_e32 v9, v8, v30
	v_and_b32_e32 v9, 0xff, v9
	s_delay_alu instid0(VALU_DEP_1)
	v_cmp_eq_u32_e32 vcc_lo, v9, v28
	s_and_b32 exec_lo, exec_lo, vcc_lo
	s_cbranch_execz .LBB77_202
; %bb.206:                              ;   in Loop: Header=BB77_204 Depth=2
	v_lshlrev_b16 v8, 8, v8
	s_delay_alu instid0(VALU_DEP_1)
	v_or_b32_e32 v8, 1, v8
	ds_store_b16 v3, v8 offset:3072
	s_branch .LBB77_202
.LBB77_207:                             ;   in Loop: Header=BB77_204 Depth=2
	v_add_co_u32 v6, vcc_lo, v6, s54
	s_wait_alu 0xfffd
	v_add_co_ci_u32_e64 v7, null, 0, v7, vcc_lo
	s_mov_b32 s25, 0
	v_cmp_le_u64_e32 vcc_lo, s[6:7], v[6:7]
	s_or_not1_b32 s58, vcc_lo, exec_lo
	s_branch .LBB77_203
.LBB77_208:                             ;   in Loop: Header=BB77_15 Depth=1
	s_or_b32 exec_lo, exec_lo, s13
	v_and_b32_e32 v6, 0xffff, v8
	s_and_not1_b32 s6, s14, exec_lo
	s_wait_alu 0xfffe
	s_and_b32 s7, s15, exec_lo
	s_wait_alu 0xfffe
	s_or_b32 s14, s6, s7
	v_lshrrev_b32_e32 v31, 8, v6
.LBB77_209:                             ;   in Loop: Header=BB77_15 Depth=1
	s_or_b32 exec_lo, exec_lo, s12
	s_mov_b32 s25, 0
	s_mov_b32 s66, -1
.LBB77_210:                             ;   in Loop: Header=BB77_15 Depth=1
	s_wait_alu 0xfffe
	s_or_not1_b32 s6, s14, exec_lo
.LBB77_211:                             ;   in Loop: Header=BB77_15 Depth=1
	s_wait_alu 0xfffe
	s_or_b32 exec_lo, exec_lo, s68
	s_mov_b32 s7, 0
	s_and_saveexec_b32 s14, s6
	s_cbranch_execz .LBB77_269
; %bb.212:                              ;   in Loop: Header=BB77_15 Depth=1
	v_mov_b32_e32 v6, 1
	v_dual_mov_b32 v7, 0 :: v_dual_mov_b32 v2, 1
	s_xor_b32 s12, s67, -1
	s_wait_alu 0xfffe
	s_and_saveexec_b32 s6, s12
	s_cbranch_execz .LBB77_221
; %bb.213:                              ;   in Loop: Header=BB77_15 Depth=1
	s_mov_b32 s7, exec_lo
	v_cmpx_ge_u64_e64 s[10:11], v[4:5]
	s_wait_alu 0xfffe
	s_xor_b32 s7, exec_lo, s7
	s_cbranch_execz .LBB77_218
; %bb.214:                              ;   in Loop: Header=BB77_15 Depth=1
	ds_load_b64 v[6:7], v3 offset:5120
	s_lshl_b32 s12, 2, s88
	v_or_b32_e32 v30, s16, v30
	s_wait_alu 0xfffe
	v_and_or_b32 v28, v28, s20, s12
	s_wait_dscnt 0x0
	v_cmp_ne_u64_e32 vcc_lo, 0, v[6:7]
	s_cbranch_vccnz .LBB77_218
; %bb.215:                              ;   in Loop: Header=BB77_15 Depth=1
	s_and_saveexec_b32 s12, s2
; %bb.216:                              ;   in Loop: Header=BB77_15 Depth=1
	v_dual_mov_b32 v6, s10 :: v_dual_mov_b32 v7, s11
	ds_store_b64 v3, v[6:7] offset:5128
; %bb.217:                              ;   in Loop: Header=BB77_15 Depth=1
	s_wait_alu 0xfffe
	s_or_b32 exec_lo, exec_lo, s12
	s_wait_loadcnt_dscnt 0x0
	s_barrier_signal -1
	s_barrier_wait -1
	global_inv scope:SCOPE_SE
.LBB77_218:                             ;   in Loop: Header=BB77_15 Depth=1
	s_wait_alu 0xfffe
	s_or_saveexec_b32 s7, s7
	v_mov_b32_e32 v2, 8
	s_mov_b32 s12, 0
	s_wait_alu 0xfffe
	s_xor_b32 exec_lo, exec_lo, s7
; %bb.219:                              ;   in Loop: Header=BB77_15 Depth=1
	v_sub_co_u32 v4, vcc_lo, v4, s10
	s_wait_alu 0xfffd
	v_subrev_co_ci_u32_e64 v5, null, s11, v5, vcc_lo
	v_mov_b32_e32 v2, 0
	s_mov_b32 s12, exec_lo
; %bb.220:                              ;   in Loop: Header=BB77_15 Depth=1
	s_or_b32 exec_lo, exec_lo, s7
	s_delay_alu instid0(VALU_DEP_2)
	v_dual_mov_b32 v7, v5 :: v_dual_mov_b32 v6, v4
	s_wait_alu 0xfffe
	s_and_b32 s7, s12, exec_lo
.LBB77_221:                             ;   in Loop: Header=BB77_15 Depth=1
	s_wait_alu 0xfffe
	s_or_b32 exec_lo, exec_lo, s6
	s_mov_b32 s6, -1
                                        ; implicit-def: $sgpr69
                                        ; implicit-def: $sgpr68
	s_and_saveexec_b32 s15, s7
	s_cbranch_execz .LBB77_268
; %bb.222:                              ;   in Loop: Header=BB77_15 Depth=1
	v_cmp_eq_u64_e32 vcc_lo, 1, v[6:7]
	s_cmp_eq_u64 s[8:9], 1
	s_mov_b32 s7, -1
	s_cselect_b32 s6, -1, 0
                                        ; implicit-def: $sgpr69
                                        ; implicit-def: $sgpr68
	s_wait_alu 0xfffe
	s_and_b32 s20, s6, vcc_lo
	s_wait_alu 0xfffe
	s_and_saveexec_b32 s67, s20
	s_cbranch_execz .LBB77_256
; %bb.223:                              ;   in Loop: Header=BB77_15 Depth=1
	ds_load_b64 v[4:5], v3 offset:5120
	s_wait_loadcnt_dscnt 0x0
	s_barrier_signal -1
	s_barrier_wait -1
	global_inv scope:SCOPE_SE
	v_readfirstlane_b32 s6, v4
	v_readfirstlane_b32 s7, v5
	s_and_saveexec_b32 s10, s3
; %bb.224:                              ;   in Loop: Header=BB77_15 Depth=1
	ds_store_b8 v0, v3 offset:3072
; %bb.225:                              ;   in Loop: Header=BB77_15 Depth=1
	s_wait_alu 0xfffe
	s_or_b32 exec_lo, exec_lo, s10
	v_or_b32_e32 v28, s16, v28
	v_or_b32_e32 v30, s16, v30
	s_mov_b32 s68, -1
	s_mov_b32 s69, 0
	s_cmp_eq_u64 s[6:7], 0
	s_mov_b32 s12, 0
	s_mov_b32 s13, -1
	s_wait_loadcnt_dscnt 0x0
	s_barrier_signal -1
	s_barrier_wait -1
	global_inv scope:SCOPE_SE
                                        ; implicit-def: $vgpr31
	s_cbranch_scc1 .LBB77_241
; %bb.226:                              ;   in Loop: Header=BB77_15 Depth=1
	s_add_nc_u64 s[10:11], s[6:7], s[60:61]
	s_mov_b32 s12, s59
	s_wait_alu 0xfffe
	s_mov_b32 s13, s11
	s_wait_alu 0xfffe
	s_cmp_lg_u64 s[12:13], 0
	s_cbranch_scc0 .LBB77_275
; %bb.227:                              ;   in Loop: Header=BB77_15 Depth=1
	s_cvt_f32_u32 s12, s54
	s_sub_nc_u64 s[70:71], 0, s[54:55]
	s_wait_alu 0xfffe
	s_delay_alu instid0(SALU_CYCLE_1) | instskip(SKIP_1) | instid1(SALU_CYCLE_2)
	s_fmamk_f32 s12, s90, 0x0, s12
	s_wait_alu 0xfffe
	v_s_rcp_f32 s12, s12
	s_delay_alu instid0(TRANS32_DEP_1) | instskip(SKIP_1) | instid1(SALU_CYCLE_2)
	s_mul_f32 s12, s12, 0x5f7ffffc
	s_wait_alu 0xfffe
	s_mul_f32 s13, s12, 0x2f800000
	s_wait_alu 0xfffe
	s_delay_alu instid0(SALU_CYCLE_2) | instskip(SKIP_1) | instid1(SALU_CYCLE_2)
	s_trunc_f32 s13, s13
	s_wait_alu 0xfffe
	s_fmamk_f32 s12, s13, 0xcf800000, s12
	s_cvt_u32_f32 s13, s13
	s_wait_alu 0xfffe
	s_delay_alu instid0(SALU_CYCLE_1) | instskip(SKIP_1) | instid1(SALU_CYCLE_2)
	s_cvt_u32_f32 s12, s12
	s_wait_alu 0xfffe
	s_mul_u64 s[72:73], s[70:71], s[12:13]
	s_wait_alu 0xfffe
	s_mul_hi_u32 s75, s12, s73
	s_mul_i32 s74, s12, s73
	s_mul_hi_u32 s58, s12, s72
	s_mul_i32 s99, s13, s72
	s_wait_alu 0xfffe
	s_add_nc_u64 s[74:75], s[58:59], s[74:75]
	s_mul_hi_u32 s98, s13, s72
	s_mul_hi_u32 s100, s13, s73
	s_wait_alu 0xfffe
	s_add_co_u32 s58, s74, s99
	s_add_co_ci_u32 s58, s75, s98
	s_mul_i32 s72, s13, s73
	s_add_co_ci_u32 s73, s100, 0
	s_wait_alu 0xfffe
	s_add_nc_u64 s[72:73], s[58:59], s[72:73]
	s_wait_alu 0xfffe
	s_add_co_u32 s12, s12, s72
	s_cselect_b32 s58, -1, 0
	s_wait_alu 0xfffe
	s_cmp_lg_u32 s58, 0
	s_add_co_ci_u32 s13, s13, s73
	s_wait_alu 0xfffe
	s_mul_u64 s[70:71], s[70:71], s[12:13]
	s_wait_alu 0xfffe
	s_mul_hi_u32 s73, s12, s71
	s_mul_i32 s72, s12, s71
	s_mul_hi_u32 s58, s12, s70
	s_mul_i32 s75, s13, s70
	s_wait_alu 0xfffe
	s_add_nc_u64 s[72:73], s[58:59], s[72:73]
	s_mul_hi_u32 s74, s13, s70
	s_mul_hi_u32 s98, s13, s71
	s_wait_alu 0xfffe
	s_add_co_u32 s58, s72, s75
	s_add_co_ci_u32 s58, s73, s74
	s_mul_i32 s70, s13, s71
	s_add_co_ci_u32 s71, s98, 0
	s_wait_alu 0xfffe
	s_add_nc_u64 s[70:71], s[58:59], s[70:71]
	s_wait_alu 0xfffe
	s_add_co_u32 s12, s12, s70
	s_cselect_b32 s70, -1, 0
	s_wait_alu 0xfffe
	s_mul_hi_u32 s58, s10, s12
	s_cmp_lg_u32 s70, 0
	s_mul_hi_u32 s72, s11, s12
	s_add_co_ci_u32 s70, s13, s71
	s_mul_i32 s71, s11, s12
	s_wait_alu 0xfffe
	s_mul_hi_u32 s13, s10, s70
	s_mul_i32 s12, s10, s70
	s_mul_hi_u32 s73, s11, s70
	s_wait_alu 0xfffe
	s_add_nc_u64 s[12:13], s[58:59], s[12:13]
	s_mul_i32 s70, s11, s70
	s_wait_alu 0xfffe
	s_add_co_u32 s12, s12, s71
	s_add_co_ci_u32 s58, s13, s72
	s_add_co_ci_u32 s71, s73, 0
	s_wait_alu 0xfffe
	s_add_nc_u64 s[12:13], s[58:59], s[70:71]
	s_wait_alu 0xfffe
	s_mul_u64 s[12:13], s[54:55], s[12:13]
	s_wait_alu 0xfffe
	s_sub_co_u32 s12, s10, s12
	s_cselect_b32 s58, -1, 0
	s_wait_alu 0xfffe
	s_cmp_lg_u32 s58, 0
	s_sub_co_ci_u32 s13, s11, s13
	s_sub_co_u32 s58, s12, s54
	s_cselect_b32 s70, -1, 0
	s_wait_alu 0xfffe
	s_cmp_lg_u32 s70, 0
	s_sub_co_ci_u32 s70, s13, 0
	s_sub_co_u32 s71, s58, s54
	s_cselect_b32 s72, -1, 0
	s_wait_alu 0xfffe
	s_cmp_lg_u32 s72, 0
	s_sub_co_ci_u32 s72, s70, 0
	s_cmp_ge_u32 s58, s54
	s_cselect_b32 s73, -1, 0
	s_cmp_eq_u32 s70, 0
	s_wait_alu 0xfffe
	s_cselect_b32 s73, s73, -1
	s_wait_alu 0xfffe
	s_cmp_lg_u32 s73, 0
	s_cselect_b32 s70, s72, s70
	s_cselect_b32 s58, s71, s58
	s_cmp_ge_u32 s12, s54
	s_cselect_b32 s71, -1, 0
	s_cmp_eq_u32 s13, 0
	s_wait_alu 0xfffe
	s_cselect_b32 s71, s71, -1
	s_wait_alu 0xfffe
	s_cmp_lg_u32 s71, 0
	s_cselect_b32 s13, s70, s13
	s_cselect_b32 s12, s58, s12
	s_cbranch_execnz .LBB77_229
.LBB77_228:                             ;   in Loop: Header=BB77_15 Depth=1
	v_cvt_f32_u32_e32 v4, s54
	s_sub_co_i32 s13, 0, s54
	s_delay_alu instid0(VALU_DEP_1) | instskip(NEXT) | instid1(TRANS32_DEP_1)
	v_rcp_iflag_f32_e32 v4, v4
	v_mul_f32_e32 v4, 0x4f7ffffe, v4
	s_delay_alu instid0(VALU_DEP_1) | instskip(NEXT) | instid1(VALU_DEP_1)
	v_cvt_u32_f32_e32 v4, v4
	v_readfirstlane_b32 s12, v4
	s_wait_alu 0xfffe
	s_mul_i32 s13, s13, s12
	s_wait_alu 0xfffe
	s_mul_hi_u32 s13, s12, s13
	s_wait_alu 0xfffe
	s_add_co_i32 s12, s12, s13
	s_wait_alu 0xfffe
	s_mul_hi_u32 s12, s10, s12
	s_wait_alu 0xfffe
	s_mul_i32 s12, s12, s54
	s_wait_alu 0xfffe
	s_sub_co_i32 s12, s10, s12
	s_wait_alu 0xfffe
	s_sub_co_i32 s13, s12, s54
	s_cmp_ge_u32 s12, s54
	s_wait_alu 0xfffe
	s_cselect_b32 s12, s13, s12
	s_wait_alu 0xfffe
	s_sub_co_i32 s13, s12, s54
	s_cmp_ge_u32 s12, s54
	s_wait_alu 0xfffe
	s_cselect_b32 s58, s13, s12
	s_wait_alu 0xfffe
	s_mov_b64 s[12:13], s[58:59]
.LBB77_229:                             ;   in Loop: Header=BB77_15 Depth=1
	s_wait_alu 0xfffe
	s_sub_nc_u64 s[10:11], s[10:11], s[12:13]
	s_mov_b32 s13, 0
	s_mov_b32 s12, 0
	s_mov_b32 s58, exec_lo
                                        ; implicit-def: $vgpr31
	s_wait_alu 0xfffe
	v_cmpx_gt_u64_e64 s[10:11], v[0:1]
	s_cbranch_execz .LBB77_240
; %bb.230:                              ;   in Loop: Header=BB77_15 Depth=1
	v_dual_mov_b32 v8, v0 :: v_dual_mov_b32 v5, v1
	v_mov_b32_e32 v4, v0
                                        ; implicit-def: $sgpr70
	s_branch .LBB77_233
.LBB77_231:                             ;   in Loop: Header=BB77_233 Depth=2
	s_wait_alu 0xfffe
	s_or_b32 exec_lo, exec_lo, s71
	s_wait_loadcnt_dscnt 0x0
	s_barrier_signal -1
	s_barrier_wait -1
	global_inv scope:SCOPE_SE
	ds_load_u16 v9, v3 offset:3072
	s_mov_b32 s71, -1
	s_mov_b32 s72, -1
	s_wait_loadcnt_dscnt 0x0
	s_barrier_signal -1
	s_barrier_wait -1
	global_inv scope:SCOPE_SE
	v_and_b32_e32 v10, 0xff, v9
	s_delay_alu instid0(VALU_DEP_1)
	v_cmp_ne_u32_e32 vcc_lo, 0, v10
	s_cbranch_vccz .LBB77_236
.LBB77_232:                             ;   in Loop: Header=BB77_233 Depth=2
	s_wait_alu 0xfffe
	s_and_b32 s71, exec_lo, s71
	s_wait_alu 0xfffe
	s_or_b32 s12, s71, s12
	s_and_not1_b32 s70, s70, exec_lo
	s_and_b32 s71, s72, exec_lo
	s_wait_alu 0xfffe
	s_or_b32 s70, s70, s71
	s_and_not1_b32 exec_lo, exec_lo, s12
	s_cbranch_execz .LBB77_239
.LBB77_233:                             ;   Parent Loop BB77_15 Depth=1
                                        ; =>  This Inner Loop Header: Depth=2
	s_mov_b32 s71, exec_lo
	s_delay_alu instid0(VALU_DEP_1)
	v_cmpx_gt_u64_e64 s[6:7], v[4:5]
	s_cbranch_execz .LBB77_231
; %bb.234:                              ;   in Loop: Header=BB77_233 Depth=2
	ds_load_u8 v9, v8
	s_wait_dscnt 0x0
	v_and_b32_e32 v10, v9, v30
	s_delay_alu instid0(VALU_DEP_1) | instskip(NEXT) | instid1(VALU_DEP_1)
	v_and_b32_e32 v10, 0xff, v10
	v_cmp_eq_u32_e32 vcc_lo, v10, v28
	s_and_b32 exec_lo, exec_lo, vcc_lo
	s_cbranch_execz .LBB77_231
; %bb.235:                              ;   in Loop: Header=BB77_233 Depth=2
	v_lshlrev_b16 v9, 8, v9
	s_delay_alu instid0(VALU_DEP_1)
	v_or_b32_e32 v9, 1, v9
	ds_store_b16 v3, v9 offset:3072
	s_branch .LBB77_231
.LBB77_236:                             ;   in Loop: Header=BB77_233 Depth=2
	v_add_co_u32 v4, vcc_lo, v4, s54
	s_wait_alu 0xfffd
	v_add_co_ci_u32_e64 v5, null, 0, v5, vcc_lo
	v_add_nc_u32_e32 v8, s54, v8
	s_mov_b32 s72, 0
	s_delay_alu instid0(VALU_DEP_2)
	v_cmp_le_u64_e32 vcc_lo, s[10:11], v[4:5]
	s_or_not1_b32 s71, vcc_lo, exec_lo
	s_branch .LBB77_232
.LBB77_237:                             ;   in Loop: Header=BB77_15 Depth=1
                                        ; implicit-def: $sgpr14_sgpr15
	s_branch .LBB77_183
.LBB77_238:                             ;   in Loop: Header=BB77_15 Depth=1
                                        ; implicit-def: $sgpr6_sgpr7
	s_branch .LBB77_199
.LBB77_239:                             ;   in Loop: Header=BB77_15 Depth=1
	s_or_b32 exec_lo, exec_lo, s12
	v_and_b32_e32 v4, 0xffff, v9
	s_wait_alu 0xfffe
	s_and_b32 s12, s70, exec_lo
	s_delay_alu instid0(VALU_DEP_1)
	v_lshrrev_b32_e32 v31, 8, v4
.LBB77_240:                             ;   in Loop: Header=BB77_15 Depth=1
	s_or_b32 exec_lo, exec_lo, s58
.LBB77_241:                             ;   in Loop: Header=BB77_15 Depth=1
	s_wait_alu 0xfffe
	s_and_b32 vcc_lo, exec_lo, s13
	s_wait_alu 0xfffe
	s_cbranch_vccz .LBB77_255
; %bb.242:                              ;   in Loop: Header=BB77_15 Depth=1
	s_mov_b32 s6, s59
	s_mov_b32 s7, s63
	s_wait_alu 0xfffe
	s_cmp_lg_u64 s[6:7], 0
	s_cbranch_scc0 .LBB77_276
; %bb.243:                              ;   in Loop: Header=BB77_15 Depth=1
	s_cvt_f32_u32 s6, s54
	s_sub_nc_u64 s[10:11], 0, s[54:55]
	s_wait_alu 0xfffe
	s_delay_alu instid0(SALU_CYCLE_1) | instskip(SKIP_1) | instid1(SALU_CYCLE_2)
	s_fmamk_f32 s6, s90, 0x0, s6
	s_wait_alu 0xfffe
	v_s_rcp_f32 s6, s6
	s_delay_alu instid0(TRANS32_DEP_1) | instskip(SKIP_1) | instid1(SALU_CYCLE_2)
	s_mul_f32 s6, s6, 0x5f7ffffc
	s_wait_alu 0xfffe
	s_mul_f32 s7, s6, 0x2f800000
	s_wait_alu 0xfffe
	s_delay_alu instid0(SALU_CYCLE_2) | instskip(SKIP_1) | instid1(SALU_CYCLE_2)
	s_trunc_f32 s7, s7
	s_wait_alu 0xfffe
	s_fmamk_f32 s6, s7, 0xcf800000, s6
	s_cvt_u32_f32 s7, s7
	s_wait_alu 0xfffe
	s_delay_alu instid0(SALU_CYCLE_1) | instskip(SKIP_1) | instid1(SALU_CYCLE_2)
	s_cvt_u32_f32 s6, s6
	s_wait_alu 0xfffe
	s_mul_u64 s[68:69], s[10:11], s[6:7]
	s_wait_alu 0xfffe
	s_mul_hi_u32 s71, s6, s69
	s_mul_i32 s70, s6, s69
	s_mul_hi_u32 s58, s6, s68
	s_mul_i32 s72, s7, s68
	s_wait_alu 0xfffe
	s_add_nc_u64 s[70:71], s[58:59], s[70:71]
	s_mul_hi_u32 s13, s7, s68
	s_mul_hi_u32 s73, s7, s69
	s_wait_alu 0xfffe
	s_add_co_u32 s58, s70, s72
	s_add_co_ci_u32 s58, s71, s13
	s_mul_i32 s68, s7, s69
	s_add_co_ci_u32 s69, s73, 0
	s_wait_alu 0xfffe
	s_add_nc_u64 s[68:69], s[58:59], s[68:69]
	s_wait_alu 0xfffe
	s_add_co_u32 s6, s6, s68
	s_cselect_b32 s13, -1, 0
	s_wait_alu 0xfffe
	s_cmp_lg_u32 s13, 0
	s_add_co_ci_u32 s7, s7, s69
	s_wait_alu 0xfffe
	s_mul_u64 s[10:11], s[10:11], s[6:7]
	s_wait_alu 0xfffe
	s_mul_hi_u32 s69, s6, s11
	s_mul_i32 s68, s6, s11
	s_mul_hi_u32 s58, s6, s10
	s_mul_i32 s70, s7, s10
	s_wait_alu 0xfffe
	s_add_nc_u64 s[68:69], s[58:59], s[68:69]
	s_mul_hi_u32 s13, s7, s10
	s_mul_hi_u32 s71, s7, s11
	s_mul_i32 s10, s7, s11
	s_wait_alu 0xfffe
	s_add_co_u32 s11, s68, s70
	s_add_co_ci_u32 s58, s69, s13
	s_add_co_ci_u32 s11, s71, 0
	s_wait_alu 0xfffe
	s_add_nc_u64 s[10:11], s[58:59], s[10:11]
	s_wait_alu 0xfffe
	s_add_co_u32 s6, s6, s10
	s_cselect_b32 s10, -1, 0
	s_wait_alu 0xfffe
	s_mul_hi_u32 s58, s62, s6
	s_cmp_lg_u32 s10, 0
	s_mul_hi_u32 s13, s63, s6
	s_add_co_ci_u32 s10, s7, s11
	s_mul_i32 s11, s63, s6
	s_wait_alu 0xfffe
	s_mul_hi_u32 s7, s62, s10
	s_mul_i32 s6, s62, s10
	s_mul_hi_u32 s68, s63, s10
	s_wait_alu 0xfffe
	s_add_nc_u64 s[6:7], s[58:59], s[6:7]
	s_mul_i32 s10, s63, s10
	s_wait_alu 0xfffe
	s_add_co_u32 s6, s6, s11
	s_add_co_ci_u32 s58, s7, s13
	s_add_co_ci_u32 s11, s68, 0
	s_wait_alu 0xfffe
	s_add_nc_u64 s[6:7], s[58:59], s[10:11]
	s_wait_alu 0xfffe
	s_mul_u64 s[6:7], s[54:55], s[6:7]
	s_wait_alu 0xfffe
	s_sub_co_u32 s6, s62, s6
	s_cselect_b32 s10, -1, 0
	s_wait_alu 0xfffe
	s_cmp_lg_u32 s10, 0
	s_sub_co_ci_u32 s7, s63, s7
	s_sub_co_u32 s10, s6, s54
	s_cselect_b32 s11, -1, 0
	s_wait_alu 0xfffe
	s_cmp_lg_u32 s11, 0
	s_sub_co_ci_u32 s11, s7, 0
	;; [unrolled: 5-line block ×3, first 2 shown]
	s_cmp_ge_u32 s10, s54
	s_cselect_b32 s68, -1, 0
	s_cmp_eq_u32 s11, 0
	s_wait_alu 0xfffe
	s_cselect_b32 s68, s68, -1
	s_wait_alu 0xfffe
	s_cmp_lg_u32 s68, 0
	s_cselect_b32 s11, s58, s11
	s_cselect_b32 s10, s13, s10
	s_cmp_ge_u32 s6, s54
	s_cselect_b32 s13, -1, 0
	s_cmp_eq_u32 s7, 0
	s_wait_alu 0xfffe
	s_cselect_b32 s13, s13, -1
	s_wait_alu 0xfffe
	s_cmp_lg_u32 s13, 0
	s_cselect_b32 s7, s11, s7
	s_cselect_b32 s6, s10, s6
	s_cbranch_execnz .LBB77_245
.LBB77_244:                             ;   in Loop: Header=BB77_15 Depth=1
	v_cvt_f32_u32_e32 v4, s54
	s_sub_co_i32 s7, 0, s54
	s_delay_alu instid0(VALU_DEP_1) | instskip(NEXT) | instid1(TRANS32_DEP_1)
	v_rcp_iflag_f32_e32 v4, v4
	v_mul_f32_e32 v4, 0x4f7ffffe, v4
	s_delay_alu instid0(VALU_DEP_1) | instskip(NEXT) | instid1(VALU_DEP_1)
	v_cvt_u32_f32_e32 v4, v4
	v_readfirstlane_b32 s6, v4
	s_wait_alu 0xfffe
	s_mul_i32 s7, s7, s6
	s_wait_alu 0xfffe
	s_mul_hi_u32 s7, s6, s7
	s_wait_alu 0xfffe
	s_add_co_i32 s6, s6, s7
	s_wait_alu 0xfffe
	s_mul_hi_u32 s6, s62, s6
	s_wait_alu 0xfffe
	s_mul_i32 s6, s6, s54
	s_wait_alu 0xfffe
	s_sub_co_i32 s6, s62, s6
	s_wait_alu 0xfffe
	s_sub_co_i32 s7, s6, s54
	s_cmp_ge_u32 s6, s54
	s_wait_alu 0xfffe
	s_cselect_b32 s6, s7, s6
	s_wait_alu 0xfffe
	s_sub_co_i32 s7, s6, s54
	s_cmp_ge_u32 s6, s54
	s_wait_alu 0xfffe
	s_cselect_b32 s58, s7, s6
	s_wait_alu 0xfffe
	s_mov_b64 s[6:7], s[58:59]
.LBB77_245:                             ;   in Loop: Header=BB77_15 Depth=1
	s_wait_alu 0xfffe
	s_sub_nc_u64 s[6:7], s[62:63], s[6:7]
	s_mov_b32 s10, exec_lo
                                        ; implicit-def: $vgpr31
	s_wait_alu 0xfffe
	v_cmpx_gt_u64_e64 s[6:7], v[0:1]
	s_cbranch_execz .LBB77_254
; %bb.246:                              ;   in Loop: Header=BB77_15 Depth=1
	v_dual_mov_b32 v5, v1 :: v_dual_mov_b32 v4, v0
	s_mov_b32 s11, 0
                                        ; implicit-def: $sgpr13
	s_branch .LBB77_249
.LBB77_247:                             ;   in Loop: Header=BB77_249 Depth=2
	s_wait_alu 0xfffe
	s_or_b32 exec_lo, exec_lo, s58
	s_wait_loadcnt_dscnt 0x0
	s_barrier_signal -1
	s_barrier_wait -1
	global_inv scope:SCOPE_SE
	ds_load_u16 v8, v3 offset:3072
	s_mov_b32 s68, -1
	s_mov_b32 s58, -1
	s_wait_loadcnt_dscnt 0x0
	s_barrier_signal -1
	s_barrier_wait -1
	global_inv scope:SCOPE_SE
	v_and_b32_e32 v9, 0xff, v8
	s_delay_alu instid0(VALU_DEP_1)
	v_cmp_eq_u32_e32 vcc_lo, 0, v9
	s_cbranch_vccnz .LBB77_252
.LBB77_248:                             ;   in Loop: Header=BB77_249 Depth=2
	s_wait_alu 0xfffe
	s_and_b32 s68, exec_lo, s68
	s_wait_alu 0xfffe
	s_or_b32 s11, s68, s11
	s_and_not1_b32 s13, s13, exec_lo
	s_and_b32 s58, s58, exec_lo
	s_wait_alu 0xfffe
	s_or_b32 s13, s13, s58
	s_and_not1_b32 exec_lo, exec_lo, s11
	s_cbranch_execz .LBB77_253
.LBB77_249:                             ;   Parent Loop BB77_15 Depth=1
                                        ; =>  This Inner Loop Header: Depth=2
	s_mov_b32 s58, exec_lo
	s_delay_alu instid0(VALU_DEP_1)
	v_cmpx_gt_u64_e64 s[28:29], v[4:5]
	s_cbranch_execz .LBB77_247
; %bb.250:                              ;   in Loop: Header=BB77_249 Depth=2
	v_mad_co_u64_u32 v[8:9], null, v4, s44, s[52:53]
	v_mul_lo_u32 v10, v4, s45
	v_mul_lo_u32 v11, v5, s44
	s_delay_alu instid0(VALU_DEP_1) | instskip(SKIP_3) | instid1(VALU_DEP_1)
	v_add3_u32 v9, v11, v9, v10
	global_load_u8 v8, v[8:9], off
	s_wait_loadcnt 0x0
	v_and_b32_e32 v9, v8, v30
	v_and_b32_e32 v9, 0xff, v9
	s_delay_alu instid0(VALU_DEP_1)
	v_cmp_eq_u32_e32 vcc_lo, v9, v28
	s_and_b32 exec_lo, exec_lo, vcc_lo
	s_cbranch_execz .LBB77_247
; %bb.251:                              ;   in Loop: Header=BB77_249 Depth=2
	v_lshlrev_b16 v8, 8, v8
	s_delay_alu instid0(VALU_DEP_1)
	v_or_b32_e32 v8, 1, v8
	ds_store_b16 v3, v8 offset:3072
	s_branch .LBB77_247
.LBB77_252:                             ;   in Loop: Header=BB77_249 Depth=2
	v_add_co_u32 v4, vcc_lo, v4, s54
	s_wait_alu 0xfffd
	v_add_co_ci_u32_e64 v5, null, 0, v5, vcc_lo
	s_mov_b32 s58, 0
	v_cmp_le_u64_e32 vcc_lo, s[6:7], v[4:5]
	s_or_not1_b32 s68, vcc_lo, exec_lo
	s_branch .LBB77_248
.LBB77_253:                             ;   in Loop: Header=BB77_15 Depth=1
	s_or_b32 exec_lo, exec_lo, s11
	v_and_b32_e32 v4, 0xffff, v8
	s_and_not1_b32 s6, s12, exec_lo
	s_wait_alu 0xfffe
	s_and_b32 s7, s13, exec_lo
	s_wait_alu 0xfffe
	s_or_b32 s12, s6, s7
	v_lshrrev_b32_e32 v31, 8, v4
.LBB77_254:                             ;   in Loop: Header=BB77_15 Depth=1
	s_or_b32 exec_lo, exec_lo, s10
	s_mov_b32 s68, 0
	s_mov_b32 s69, -1
.LBB77_255:                             ;   in Loop: Header=BB77_15 Depth=1
	s_wait_alu 0xfffe
	s_or_not1_b32 s7, s12, exec_lo
.LBB77_256:                             ;   in Loop: Header=BB77_15 Depth=1
	s_wait_alu 0xfffe
	s_or_b32 exec_lo, exec_lo, s67
	s_mov_b32 s10, 0
	s_and_saveexec_b32 s6, s7
	s_cbranch_execz .LBB77_267
; %bb.257:                              ;   in Loop: Header=BB77_15 Depth=1
	v_mov_b32_e32 v4, 1
	v_dual_mov_b32 v5, 0 :: v_dual_mov_b32 v2, 1
	s_xor_b32 s10, s20, -1
	s_wait_alu 0xfffe
	s_and_saveexec_b32 s7, s10
	s_cbranch_execz .LBB77_266
; %bb.258:                              ;   in Loop: Header=BB77_15 Depth=1
	s_mov_b32 s10, exec_lo
	v_cmpx_ge_u64_e64 s[8:9], v[6:7]
	s_wait_alu 0xfffe
	s_xor_b32 s10, exec_lo, s10
	s_cbranch_execz .LBB77_263
; %bb.259:                              ;   in Loop: Header=BB77_15 Depth=1
	ds_load_b64 v[4:5], v3 offset:5120
	v_or_b32_e32 v28, s16, v28
	v_or_b32_e32 v30, s16, v30
	s_wait_dscnt 0x0
	v_cmp_ne_u64_e32 vcc_lo, 0, v[4:5]
	s_cbranch_vccnz .LBB77_263
; %bb.260:                              ;   in Loop: Header=BB77_15 Depth=1
	s_and_saveexec_b32 s11, s2
; %bb.261:                              ;   in Loop: Header=BB77_15 Depth=1
	v_dual_mov_b32 v4, s8 :: v_dual_mov_b32 v5, s9
	ds_store_b64 v3, v[4:5] offset:5128
; %bb.262:                              ;   in Loop: Header=BB77_15 Depth=1
	s_wait_alu 0xfffe
	s_or_b32 exec_lo, exec_lo, s11
	s_wait_loadcnt_dscnt 0x0
	s_barrier_signal -1
	s_barrier_wait -1
	global_inv scope:SCOPE_SE
.LBB77_263:                             ;   in Loop: Header=BB77_15 Depth=1
	s_wait_alu 0xfffe
	s_and_not1_saveexec_b32 s10, s10
; %bb.264:                              ;   in Loop: Header=BB77_15 Depth=1
	v_sub_co_u32 v6, vcc_lo, v6, s8
	s_wait_alu 0xfffd
	v_subrev_co_ci_u32_e64 v7, null, s9, v7, vcc_lo
; %bb.265:                              ;   in Loop: Header=BB77_15 Depth=1
	s_wait_alu 0xfffe
	s_or_b32 exec_lo, exec_lo, s10
	v_mov_b32_e32 v4, v6
	s_delay_alu instid0(VALU_DEP_2)
	v_dual_mov_b32 v2, 8 :: v_dual_mov_b32 v5, v7
.LBB77_266:                             ;   in Loop: Header=BB77_15 Depth=1
	s_wait_alu 0xfffe
	s_or_b32 exec_lo, exec_lo, s7
	s_delay_alu instid0(VALU_DEP_1)
	v_dual_mov_b32 v7, v5 :: v_dual_mov_b32 v6, v4
	s_mov_b32 s10, exec_lo
.LBB77_267:                             ;   in Loop: Header=BB77_15 Depth=1
	s_wait_alu 0xfffe
	s_or_b32 exec_lo, exec_lo, s6
	s_delay_alu instid0(SALU_CYCLE_1)
	s_or_not1_b32 s6, s10, exec_lo
.LBB77_268:                             ;   in Loop: Header=BB77_15 Depth=1
	s_wait_alu 0xfffe
	s_or_b32 exec_lo, exec_lo, s15
	v_dual_mov_b32 v4, v6 :: v_dual_mov_b32 v5, v7
	s_and_not1_b32 s7, s66, exec_lo
	s_and_b32 s8, s69, exec_lo
	s_and_not1_b32 s9, s25, exec_lo
	s_and_b32 s10, s68, exec_lo
	s_wait_alu 0xfffe
	s_or_b32 s66, s7, s8
	s_or_b32 s25, s9, s10
	s_and_b32 s7, s6, exec_lo
.LBB77_269:                             ;   in Loop: Header=BB77_15 Depth=1
	s_wait_alu 0xfffe
	s_or_b32 exec_lo, exec_lo, s14
	s_delay_alu instid0(SALU_CYCLE_1)
	s_or_not1_b32 s6, s7, exec_lo
.LBB77_270:                             ;   in Loop: Header=BB77_15 Depth=1
	s_wait_alu 0xfffe
	s_or_b32 exec_lo, exec_lo, s24
	v_dual_mov_b32 v9, v5 :: v_dual_mov_b32 v8, v4
	s_and_not1_b32 s7, s22, exec_lo
	s_and_b32 s8, s66, exec_lo
	s_and_not1_b32 s9, s21, exec_lo
	s_and_b32 s10, s25, exec_lo
	s_wait_alu 0xfffe
	s_or_b32 s22, s7, s8
	s_or_b32 s21, s9, s10
	s_and_b32 s7, s6, exec_lo
.LBB77_271:                             ;   in Loop: Header=BB77_15 Depth=1
	s_wait_alu 0xfffe
	s_or_b32 exec_lo, exec_lo, s23
	s_delay_alu instid0(SALU_CYCLE_1)
	s_or_not1_b32 s6, s7, exec_lo
.LBB77_272:                             ;   in Loop: Header=BB77_15 Depth=1
	s_wait_alu 0xfffe
	s_or_b32 exec_lo, exec_lo, s19
	s_mov_b32 s7, 0
	s_and_saveexec_b32 s8, s6
	s_wait_alu 0xfffe
	s_xor_b32 s6, exec_lo, s8
	s_cbranch_execz .LBB77_13
; %bb.273:                              ;   in Loop: Header=BB77_15 Depth=1
	v_and_b32_e32 v2, 7, v2
	s_mov_b32 s8, -1
	s_mov_b32 s7, -1
	s_mov_b32 s9, exec_lo
	s_delay_alu instid0(VALU_DEP_1)
	v_cmpx_eq_u32_e32 0, v2
	s_cbranch_execz .LBB77_12
; %bb.274:                              ;   in Loop: Header=BB77_15 Depth=1
	s_xor_b32 s91, s91, 1
	s_add_co_i32 s10, s88, -2
	s_cmp_eq_u32 s88, 0
	s_wait_alu 0xfffe
	s_mov_b32 s88, s10
	s_cselect_b32 s8, -1, 0
	s_xor_b32 s7, exec_lo, -1
	s_wait_alu 0xfffe
	s_or_not1_b32 s8, s8, exec_lo
	s_branch .LBB77_12
.LBB77_275:                             ;   in Loop: Header=BB77_15 Depth=1
                                        ; implicit-def: $sgpr12_sgpr13
	s_branch .LBB77_228
.LBB77_276:                             ;   in Loop: Header=BB77_15 Depth=1
                                        ; implicit-def: $sgpr6_sgpr7
	s_branch .LBB77_244
.LBB77_277:
	s_or_b32 exec_lo, exec_lo, s89
	s_xor_b32 s4, s97, -1
	s_xor_b32 s1, s95, -1
	;; [unrolled: 1-line block ×3, first 2 shown]
	s_mov_b32 s2, 0
	s_and_saveexec_b32 s5, s1
	s_wait_alu 0xfffe
	s_xor_b32 s1, exec_lo, s5
	s_cbranch_execnz .LBB77_284
; %bb.278:
	s_and_not1_saveexec_b32 s0, s1
	s_cbranch_execnz .LBB77_297
.LBB77_279:
	s_or_b32 exec_lo, exec_lo, s0
	s_and_saveexec_b32 s0, s2
.LBB77_280:
	; divergent unreachable
.LBB77_281:
	s_endpgm
.LBB77_282:
	v_cvt_f32_u32_e32 v1, s30
	s_sub_co_i32 s3, 0, s30
	s_mov_b32 s35, 0
	s_delay_alu instid0(VALU_DEP_1) | instskip(NEXT) | instid1(TRANS32_DEP_1)
	v_rcp_iflag_f32_e32 v1, v1
	v_mul_f32_e32 v1, 0x4f7ffffe, v1
	s_delay_alu instid0(VALU_DEP_1) | instskip(NEXT) | instid1(VALU_DEP_1)
	v_cvt_u32_f32_e32 v1, v1
	v_readfirstlane_b32 s2, v1
	s_mul_i32 s3, s3, s2
	s_delay_alu instid0(SALU_CYCLE_1) | instskip(NEXT) | instid1(SALU_CYCLE_1)
	s_mul_hi_u32 s3, s2, s3
	s_add_co_i32 s2, s2, s3
	s_delay_alu instid0(SALU_CYCLE_1) | instskip(NEXT) | instid1(SALU_CYCLE_1)
	s_mul_hi_u32 s2, s26, s2
	s_mul_i32 s3, s2, s30
	s_add_co_i32 s4, s2, 1
	s_sub_co_i32 s3, s26, s3
	s_delay_alu instid0(SALU_CYCLE_1)
	s_sub_co_i32 s5, s3, s30
	s_cmp_ge_u32 s3, s30
	s_cselect_b32 s2, s4, s2
	s_cselect_b32 s3, s5, s3
	s_add_co_i32 s4, s2, 1
	s_cmp_ge_u32 s3, s30
	s_cselect_b32 s34, s4, s2
	s_wait_kmcnt 0x0
	v_cmp_lt_u64_e64 s2, s[26:27], s[10:11]
	s_mov_b64 s[14:15], 0
	s_and_b32 vcc_lo, exec_lo, s2
	s_cbranch_vccnz .LBB77_5
.LBB77_283:
	v_cvt_f32_u32_e32 v1, s10
	s_sub_co_i32 s3, 0, s10
	s_mov_b32 s15, 0
	s_delay_alu instid0(VALU_DEP_1) | instskip(NEXT) | instid1(TRANS32_DEP_1)
	v_rcp_iflag_f32_e32 v1, v1
	v_mul_f32_e32 v1, 0x4f7ffffe, v1
	s_delay_alu instid0(VALU_DEP_1) | instskip(NEXT) | instid1(VALU_DEP_1)
	v_cvt_u32_f32_e32 v1, v1
	v_readfirstlane_b32 s2, v1
	s_mul_i32 s3, s3, s2
	s_delay_alu instid0(SALU_CYCLE_1) | instskip(NEXT) | instid1(SALU_CYCLE_1)
	s_mul_hi_u32 s3, s2, s3
	s_add_co_i32 s2, s2, s3
	s_delay_alu instid0(SALU_CYCLE_1) | instskip(NEXT) | instid1(SALU_CYCLE_1)
	s_mul_hi_u32 s2, s26, s2
	s_mul_i32 s3, s2, s10
	s_add_co_i32 s4, s2, 1
	s_sub_co_i32 s3, s26, s3
	s_delay_alu instid0(SALU_CYCLE_1)
	s_sub_co_i32 s5, s3, s10
	s_cmp_ge_u32 s3, s10
	s_cselect_b32 s2, s4, s2
	s_cselect_b32 s3, s5, s3
	s_add_co_i32 s4, s2, 1
	s_cmp_ge_u32 s3, s10
	s_cselect_b32 s14, s4, s2
	v_cmp_eq_u32_e64 s2, 0, v0
	s_and_saveexec_b32 s3, s2
	s_cbranch_execnz .LBB77_6
	s_branch .LBB77_7
.LBB77_284:
	s_and_saveexec_b32 s2, s4
	s_delay_alu instid0(SALU_CYCLE_1)
	s_xor_b32 s2, exec_lo, s2
	s_cbranch_execz .LBB77_295
; %bb.285:
	s_and_saveexec_b32 s4, s3
	s_wait_alu 0xfffe
	s_xor_b32 s3, exec_lo, s4
; %bb.286:
	v_mov_b32_e32 v31, v28
; %bb.287:
	s_or_b32 exec_lo, exec_lo, s3
	s_mul_u64 s[4:5], s[48:49], s[46:47]
	s_mul_u64 s[6:7], s[48:49], s[40:41]
	s_wait_alu 0xfffe
	s_sub_nc_u64 s[4:5], s[26:27], s[4:5]
	v_mov_b32_e32 v2, 0
	s_wait_alu 0xfffe
	s_mul_u64 s[4:5], s[4:5], s[42:43]
	s_add_nc_u64 s[6:7], s[56:57], s[6:7]
	s_wait_alu 0xfffe
	s_add_nc_u64 s[4:5], s[6:7], s[4:5]
	global_store_b8 v2, v31, s[4:5]
	s_and_saveexec_b32 s3, s0
	s_cbranch_execz .LBB77_294
; %bb.288:
	v_and_b32_e32 v4, 0xff, v31
	s_mov_b32 s0, 0
                                        ; implicit-def: $sgpr4
                                        ; implicit-def: $sgpr6
                                        ; implicit-def: $sgpr5
	s_branch .LBB77_290
.LBB77_289:                             ;   in Loop: Header=BB77_290 Depth=1
	s_wait_alu 0xfffe
	s_or_b32 exec_lo, exec_lo, s7
	s_delay_alu instid0(SALU_CYCLE_1)
	s_and_b32 s7, exec_lo, s6
	s_wait_alu 0xfffe
	s_or_b32 s0, s7, s0
	s_and_not1_b32 s4, s4, exec_lo
	s_and_b32 s7, s5, exec_lo
	s_wait_alu 0xfffe
	s_or_b32 s4, s4, s7
	s_and_not1_b32 exec_lo, exec_lo, s0
	s_cbranch_execz .LBB77_292
.LBB77_290:                             ; =>This Inner Loop Header: Depth=1
	v_dual_mov_b32 v3, v1 :: v_dual_mov_b32 v2, v0
	s_wait_alu 0xfffe
	s_or_b32 s5, s5, exec_lo
	s_or_b32 s6, s6, exec_lo
	s_delay_alu instid0(VALU_DEP_1) | instskip(SKIP_2) | instid1(VALU_DEP_1)
	v_mul_lo_u32 v6, v3, s44
	v_mad_co_u64_u32 v[0:1], null, v2, s44, s[52:53]
	v_mul_lo_u32 v5, v2, s45
	v_add3_u32 v1, v6, v1, v5
	global_load_u8 v0, v[0:1], off
	s_wait_loadcnt 0x0
	v_cmp_ne_u16_e32 vcc_lo, v0, v4
                                        ; implicit-def: $vgpr0_vgpr1
	s_and_saveexec_b32 s7, vcc_lo
	s_cbranch_execz .LBB77_289
; %bb.291:                              ;   in Loop: Header=BB77_290 Depth=1
	v_add_co_u32 v0, vcc_lo, v2, s54
	s_wait_alu 0xfffd
	v_add_co_ci_u32_e64 v1, null, 0, v3, vcc_lo
	s_wait_alu 0xfffe
	s_and_not1_b32 s6, s6, exec_lo
	s_and_not1_b32 s5, s5, exec_lo
	s_delay_alu instid0(VALU_DEP_1)
	v_cmp_le_u64_e32 vcc_lo, s[28:29], v[0:1]
	s_and_b32 s8, vcc_lo, exec_lo
	s_wait_alu 0xfffe
	s_or_b32 s6, s6, s8
	s_branch .LBB77_289
.LBB77_292:
	s_or_b32 exec_lo, exec_lo, s0
	s_wait_alu 0xfffe
	s_and_saveexec_b32 s0, s4
	s_delay_alu instid0(SALU_CYCLE_1)
	s_xor_b32 s0, exec_lo, s0
	s_cbranch_execz .LBB77_294
; %bb.293:
	s_mul_u64 s[4:5], s[34:35], s[30:31]
	s_mul_u64 s[6:7], s[34:35], s[36:37]
	s_wait_alu 0xfffe
	s_sub_nc_u64 s[4:5], s[26:27], s[4:5]
	s_lshl_b64 s[6:7], s[6:7], 3
	s_wait_alu 0xfffe
	s_mul_u64 s[4:5], s[4:5], s[38:39]
	v_mov_b32_e32 v0, 0
	s_add_nc_u64 s[6:7], s[50:51], s[6:7]
	s_wait_alu 0xfffe
	s_lshl_b64 s[4:5], s[4:5], 3
	s_wait_alu 0xfffe
	s_add_nc_u64 s[4:5], s[6:7], s[4:5]
	global_store_b64 v0, v[2:3], s[4:5]
.LBB77_294:
	s_or_b32 exec_lo, exec_lo, s3
.LBB77_295:
	s_or_saveexec_b32 s0, s2
	s_mov_b32 s2, 0
	s_xor_b32 exec_lo, exec_lo, s0
	s_cbranch_execnz .LBB77_298
.LBB77_296:
	s_or_b32 exec_lo, exec_lo, s0
	s_delay_alu instid0(SALU_CYCLE_1)
	s_and_b32 s2, s2, exec_lo
	s_and_not1_saveexec_b32 s0, s1
	s_cbranch_execz .LBB77_279
.LBB77_297:
	s_or_b32 s2, s2, exec_lo
	s_trap 2
	s_or_b32 exec_lo, exec_lo, s0
	s_and_saveexec_b32 s0, s2
	s_cbranch_execnz .LBB77_280
	s_branch .LBB77_281
.LBB77_298:
	s_mov_b32 s2, exec_lo
	s_trap 2
	s_branch .LBB77_296
	.section	.rodata,"a",@progbits
	.p2align	6, 0x0
	.amdhsa_kernel _ZN2at6native12_GLOBAL__N_112gatherMedianIhmLi2EEEvNS_4cuda6detail10TensorInfoIT_T0_EENS5_IlS7_EENS5_IKS6_S7_EES7_S7_S7_b
		.amdhsa_group_segment_fixed_size 5152
		.amdhsa_private_segment_fixed_size 0
		.amdhsa_kernarg_size 1536
		.amdhsa_user_sgpr_count 2
		.amdhsa_user_sgpr_dispatch_ptr 0
		.amdhsa_user_sgpr_queue_ptr 0
		.amdhsa_user_sgpr_kernarg_segment_ptr 1
		.amdhsa_user_sgpr_dispatch_id 0
		.amdhsa_user_sgpr_private_segment_size 0
		.amdhsa_wavefront_size32 1
		.amdhsa_uses_dynamic_stack 0
		.amdhsa_enable_private_segment 0
		.amdhsa_system_sgpr_workgroup_id_x 1
		.amdhsa_system_sgpr_workgroup_id_y 1
		.amdhsa_system_sgpr_workgroup_id_z 1
		.amdhsa_system_sgpr_workgroup_info 0
		.amdhsa_system_vgpr_workitem_id 0
		.amdhsa_next_free_vgpr 48
		.amdhsa_next_free_sgpr 102
		.amdhsa_reserve_vcc 1
		.amdhsa_float_round_mode_32 0
		.amdhsa_float_round_mode_16_64 0
		.amdhsa_float_denorm_mode_32 3
		.amdhsa_float_denorm_mode_16_64 3
		.amdhsa_fp16_overflow 0
		.amdhsa_workgroup_processor_mode 1
		.amdhsa_memory_ordered 1
		.amdhsa_forward_progress 1
		.amdhsa_inst_pref_size 145
		.amdhsa_round_robin_scheduling 0
		.amdhsa_exception_fp_ieee_invalid_op 0
		.amdhsa_exception_fp_denorm_src 0
		.amdhsa_exception_fp_ieee_div_zero 0
		.amdhsa_exception_fp_ieee_overflow 0
		.amdhsa_exception_fp_ieee_underflow 0
		.amdhsa_exception_fp_ieee_inexact 0
		.amdhsa_exception_int_div_zero 0
	.end_amdhsa_kernel
	.section	.text._ZN2at6native12_GLOBAL__N_112gatherMedianIhmLi2EEEvNS_4cuda6detail10TensorInfoIT_T0_EENS5_IlS7_EENS5_IKS6_S7_EES7_S7_S7_b,"axG",@progbits,_ZN2at6native12_GLOBAL__N_112gatherMedianIhmLi2EEEvNS_4cuda6detail10TensorInfoIT_T0_EENS5_IlS7_EENS5_IKS6_S7_EES7_S7_S7_b,comdat
.Lfunc_end77:
	.size	_ZN2at6native12_GLOBAL__N_112gatherMedianIhmLi2EEEvNS_4cuda6detail10TensorInfoIT_T0_EENS5_IlS7_EENS5_IKS6_S7_EES7_S7_S7_b, .Lfunc_end77-_ZN2at6native12_GLOBAL__N_112gatherMedianIhmLi2EEEvNS_4cuda6detail10TensorInfoIT_T0_EENS5_IlS7_EENS5_IKS6_S7_EES7_S7_S7_b
                                        ; -- End function
	.set _ZN2at6native12_GLOBAL__N_112gatherMedianIhmLi2EEEvNS_4cuda6detail10TensorInfoIT_T0_EENS5_IlS7_EENS5_IKS6_S7_EES7_S7_S7_b.num_vgpr, 48
	.set _ZN2at6native12_GLOBAL__N_112gatherMedianIhmLi2EEEvNS_4cuda6detail10TensorInfoIT_T0_EENS5_IlS7_EENS5_IKS6_S7_EES7_S7_S7_b.num_agpr, 0
	.set _ZN2at6native12_GLOBAL__N_112gatherMedianIhmLi2EEEvNS_4cuda6detail10TensorInfoIT_T0_EENS5_IlS7_EENS5_IKS6_S7_EES7_S7_S7_b.numbered_sgpr, 102
	.set _ZN2at6native12_GLOBAL__N_112gatherMedianIhmLi2EEEvNS_4cuda6detail10TensorInfoIT_T0_EENS5_IlS7_EENS5_IKS6_S7_EES7_S7_S7_b.num_named_barrier, 0
	.set _ZN2at6native12_GLOBAL__N_112gatherMedianIhmLi2EEEvNS_4cuda6detail10TensorInfoIT_T0_EENS5_IlS7_EENS5_IKS6_S7_EES7_S7_S7_b.private_seg_size, 0
	.set _ZN2at6native12_GLOBAL__N_112gatherMedianIhmLi2EEEvNS_4cuda6detail10TensorInfoIT_T0_EENS5_IlS7_EENS5_IKS6_S7_EES7_S7_S7_b.uses_vcc, 1
	.set _ZN2at6native12_GLOBAL__N_112gatherMedianIhmLi2EEEvNS_4cuda6detail10TensorInfoIT_T0_EENS5_IlS7_EENS5_IKS6_S7_EES7_S7_S7_b.uses_flat_scratch, 0
	.set _ZN2at6native12_GLOBAL__N_112gatherMedianIhmLi2EEEvNS_4cuda6detail10TensorInfoIT_T0_EENS5_IlS7_EENS5_IKS6_S7_EES7_S7_S7_b.has_dyn_sized_stack, 0
	.set _ZN2at6native12_GLOBAL__N_112gatherMedianIhmLi2EEEvNS_4cuda6detail10TensorInfoIT_T0_EENS5_IlS7_EENS5_IKS6_S7_EES7_S7_S7_b.has_recursion, 0
	.set _ZN2at6native12_GLOBAL__N_112gatherMedianIhmLi2EEEvNS_4cuda6detail10TensorInfoIT_T0_EENS5_IlS7_EENS5_IKS6_S7_EES7_S7_S7_b.has_indirect_call, 0
	.section	.AMDGPU.csdata,"",@progbits
; Kernel info:
; codeLenInByte = 18484
; TotalNumSgprs: 104
; NumVgprs: 48
; ScratchSize: 0
; MemoryBound: 0
; FloatMode: 240
; IeeeMode: 1
; LDSByteSize: 5152 bytes/workgroup (compile time only)
; SGPRBlocks: 0
; VGPRBlocks: 5
; NumSGPRsForWavesPerEU: 104
; NumVGPRsForWavesPerEU: 48
; Occupancy: 16
; WaveLimiterHint : 1
; COMPUTE_PGM_RSRC2:SCRATCH_EN: 0
; COMPUTE_PGM_RSRC2:USER_SGPR: 2
; COMPUTE_PGM_RSRC2:TRAP_HANDLER: 0
; COMPUTE_PGM_RSRC2:TGID_X_EN: 1
; COMPUTE_PGM_RSRC2:TGID_Y_EN: 1
; COMPUTE_PGM_RSRC2:TGID_Z_EN: 1
; COMPUTE_PGM_RSRC2:TIDIG_COMP_CNT: 0
	.section	.text._ZN2at6native12_GLOBAL__N_112gatherMedianIhmLi3EEEvNS_4cuda6detail10TensorInfoIT_T0_EENS5_IlS7_EENS5_IKS6_S7_EES7_S7_S7_b,"axG",@progbits,_ZN2at6native12_GLOBAL__N_112gatherMedianIhmLi3EEEvNS_4cuda6detail10TensorInfoIT_T0_EENS5_IlS7_EENS5_IKS6_S7_EES7_S7_S7_b,comdat
	.globl	_ZN2at6native12_GLOBAL__N_112gatherMedianIhmLi3EEEvNS_4cuda6detail10TensorInfoIT_T0_EENS5_IlS7_EENS5_IKS6_S7_EES7_S7_S7_b ; -- Begin function _ZN2at6native12_GLOBAL__N_112gatherMedianIhmLi3EEEvNS_4cuda6detail10TensorInfoIT_T0_EENS5_IlS7_EENS5_IKS6_S7_EES7_S7_S7_b
	.p2align	8
	.type	_ZN2at6native12_GLOBAL__N_112gatherMedianIhmLi3EEEvNS_4cuda6detail10TensorInfoIT_T0_EENS5_IlS7_EENS5_IKS6_S7_EES7_S7_S7_b,@function
_ZN2at6native12_GLOBAL__N_112gatherMedianIhmLi3EEEvNS_4cuda6detail10TensorInfoIT_T0_EENS5_IlS7_EENS5_IKS6_S7_EES7_S7_S7_b: ; @_ZN2at6native12_GLOBAL__N_112gatherMedianIhmLi3EEEvNS_4cuda6detail10TensorInfoIT_T0_EENS5_IlS7_EENS5_IKS6_S7_EES7_S7_S7_b
; %bb.0:
	s_clause 0x1
	s_load_b64 s[12:13], s[0:1], 0x500
	s_load_b128 s[28:31], s[0:1], 0x4e0
	s_lshr_b32 s2, ttmp7, 16
	s_and_b32 s3, ttmp7, 0xffff
	s_mov_b32 s27, 0
	s_wait_kmcnt 0x0
	s_mul_i32 s2, s13, s2
	s_delay_alu instid0(SALU_CYCLE_1) | instskip(NEXT) | instid1(SALU_CYCLE_1)
	s_add_co_i32 s2, s2, s3
	s_mul_i32 s2, s2, s12
	s_delay_alu instid0(SALU_CYCLE_1) | instskip(NEXT) | instid1(SALU_CYCLE_1)
	s_add_co_i32 s26, s2, ttmp9
	v_cmp_le_u64_e64 s2, s[30:31], s[26:27]
	s_and_b32 vcc_lo, exec_lo, s2
	s_cbranch_vccnz .LBB78_289
; %bb.1:
	s_load_b128 s[40:43], s[0:1], 0x10
	s_mov_b64 s[52:53], 0
	s_mov_b64 s[54:55], 0
	s_wait_kmcnt 0x0
	v_cmp_lt_u64_e64 s2, s[26:27], s[42:43]
	s_and_b32 vcc_lo, exec_lo, s2
	s_cbranch_vccnz .LBB78_3
; %bb.2:
	v_cvt_f32_u32_e32 v1, s42
	s_sub_co_i32 s3, 0, s42
	s_mov_b32 s55, 0
	s_delay_alu instid0(VALU_DEP_1) | instskip(NEXT) | instid1(TRANS32_DEP_1)
	v_rcp_iflag_f32_e32 v1, v1
	v_mul_f32_e32 v1, 0x4f7ffffe, v1
	s_delay_alu instid0(VALU_DEP_1) | instskip(NEXT) | instid1(VALU_DEP_1)
	v_cvt_u32_f32_e32 v1, v1
	v_readfirstlane_b32 s2, v1
	s_mul_i32 s3, s3, s2
	s_delay_alu instid0(SALU_CYCLE_1) | instskip(NEXT) | instid1(SALU_CYCLE_1)
	s_mul_hi_u32 s3, s2, s3
	s_add_co_i32 s2, s2, s3
	s_delay_alu instid0(SALU_CYCLE_1) | instskip(NEXT) | instid1(SALU_CYCLE_1)
	s_mul_hi_u32 s2, s26, s2
	s_mul_i32 s3, s2, s42
	s_add_co_i32 s4, s2, 1
	s_sub_co_i32 s3, s26, s3
	s_delay_alu instid0(SALU_CYCLE_1)
	s_sub_co_i32 s5, s3, s42
	s_cmp_ge_u32 s3, s42
	s_cselect_b32 s2, s4, s2
	s_cselect_b32 s3, s5, s3
	s_add_co_i32 s4, s2, 1
	s_cmp_ge_u32 s3, s42
	s_cselect_b32 s54, s4, s2
.LBB78_3:
	s_load_b128 s[36:39], s[0:1], 0x1b0
	v_cmp_lt_u64_e64 s2, s[54:55], s[40:41]
	s_and_b32 vcc_lo, exec_lo, s2
	s_cbranch_vccnz .LBB78_5
; %bb.4:
	v_cvt_f32_u32_e32 v1, s40
	s_sub_co_i32 s3, 0, s40
	s_mov_b32 s53, 0
	s_delay_alu instid0(VALU_DEP_1) | instskip(NEXT) | instid1(TRANS32_DEP_1)
	v_rcp_iflag_f32_e32 v1, v1
	v_mul_f32_e32 v1, 0x4f7ffffe, v1
	s_delay_alu instid0(VALU_DEP_1) | instskip(NEXT) | instid1(VALU_DEP_1)
	v_cvt_u32_f32_e32 v1, v1
	v_readfirstlane_b32 s2, v1
	s_mul_i32 s3, s3, s2
	s_delay_alu instid0(SALU_CYCLE_1) | instskip(NEXT) | instid1(SALU_CYCLE_1)
	s_mul_hi_u32 s3, s2, s3
	s_add_co_i32 s2, s2, s3
	s_delay_alu instid0(SALU_CYCLE_1) | instskip(NEXT) | instid1(SALU_CYCLE_1)
	s_mul_hi_u32 s2, s54, s2
	s_mul_i32 s3, s2, s40
	s_add_co_i32 s4, s2, 1
	s_sub_co_i32 s3, s54, s3
	s_delay_alu instid0(SALU_CYCLE_1)
	s_sub_co_i32 s5, s3, s40
	s_cmp_ge_u32 s3, s40
	s_cselect_b32 s2, s4, s2
	s_cselect_b32 s3, s5, s3
	s_add_co_i32 s4, s2, 1
	s_cmp_ge_u32 s3, s40
	s_cselect_b32 s52, s4, s2
.LBB78_5:
	s_wait_kmcnt 0x0
	v_cmp_lt_u64_e64 s2, s[26:27], s[38:39]
	s_mov_b64 s[34:35], 0
	s_mov_b64 s[30:31], 0
	s_and_b32 vcc_lo, exec_lo, s2
	s_cbranch_vccnz .LBB78_7
; %bb.6:
	v_cvt_f32_u32_e32 v1, s38
	s_sub_co_i32 s3, 0, s38
	s_mov_b32 s31, 0
	s_delay_alu instid0(VALU_DEP_1) | instskip(NEXT) | instid1(TRANS32_DEP_1)
	v_rcp_iflag_f32_e32 v1, v1
	v_mul_f32_e32 v1, 0x4f7ffffe, v1
	s_delay_alu instid0(VALU_DEP_1) | instskip(NEXT) | instid1(VALU_DEP_1)
	v_cvt_u32_f32_e32 v1, v1
	v_readfirstlane_b32 s2, v1
	s_mul_i32 s3, s3, s2
	s_delay_alu instid0(SALU_CYCLE_1) | instskip(NEXT) | instid1(SALU_CYCLE_1)
	s_mul_hi_u32 s3, s2, s3
	s_add_co_i32 s2, s2, s3
	s_delay_alu instid0(SALU_CYCLE_1) | instskip(NEXT) | instid1(SALU_CYCLE_1)
	s_mul_hi_u32 s2, s26, s2
	s_mul_i32 s3, s2, s38
	s_add_co_i32 s4, s2, 1
	s_sub_co_i32 s3, s26, s3
	s_delay_alu instid0(SALU_CYCLE_1)
	s_sub_co_i32 s5, s3, s38
	s_cmp_ge_u32 s3, s38
	s_cselect_b32 s2, s4, s2
	s_cselect_b32 s3, s5, s3
	s_add_co_i32 s4, s2, 1
	s_cmp_ge_u32 s3, s38
	s_cselect_b32 s30, s4, s2
.LBB78_7:
	s_load_b128 s[4:7], s[0:1], 0x350
	v_cmp_lt_u64_e64 s2, s[30:31], s[36:37]
	s_and_b32 vcc_lo, exec_lo, s2
	s_cbranch_vccnz .LBB78_9
; %bb.8:
	v_cvt_f32_u32_e32 v1, s36
	s_sub_co_i32 s3, 0, s36
	s_mov_b32 s35, 0
	s_delay_alu instid0(VALU_DEP_1) | instskip(NEXT) | instid1(TRANS32_DEP_1)
	v_rcp_iflag_f32_e32 v1, v1
	v_mul_f32_e32 v1, 0x4f7ffffe, v1
	s_delay_alu instid0(VALU_DEP_1) | instskip(NEXT) | instid1(VALU_DEP_1)
	v_cvt_u32_f32_e32 v1, v1
	v_readfirstlane_b32 s2, v1
	s_mul_i32 s3, s3, s2
	s_delay_alu instid0(SALU_CYCLE_1) | instskip(NEXT) | instid1(SALU_CYCLE_1)
	s_mul_hi_u32 s3, s2, s3
	s_add_co_i32 s2, s2, s3
	s_delay_alu instid0(SALU_CYCLE_1) | instskip(NEXT) | instid1(SALU_CYCLE_1)
	s_mul_hi_u32 s2, s30, s2
	s_mul_i32 s3, s2, s36
	s_add_co_i32 s8, s2, 1
	s_sub_co_i32 s3, s30, s3
	s_delay_alu instid0(SALU_CYCLE_1)
	s_sub_co_i32 s9, s3, s36
	s_cmp_ge_u32 s3, s36
	s_cselect_b32 s2, s8, s2
	s_cselect_b32 s3, s9, s3
	s_add_co_i32 s8, s2, 1
	s_cmp_ge_u32 s3, s36
	s_cselect_b32 s34, s8, s2
.LBB78_9:
	s_load_b64 s[56:57], s[0:1], 0x4f0
	s_wait_kmcnt 0x0
	v_cmp_lt_u64_e64 s2, s[26:27], s[6:7]
	s_mov_b64 s[16:17], 0
	s_mov_b64 s[18:19], 0
	s_and_b32 vcc_lo, exec_lo, s2
	s_cbranch_vccnz .LBB78_11
; %bb.10:
	v_cvt_f32_u32_e32 v1, s6
	s_sub_co_i32 s3, 0, s6
	s_mov_b32 s19, 0
	s_delay_alu instid0(VALU_DEP_1) | instskip(NEXT) | instid1(TRANS32_DEP_1)
	v_rcp_iflag_f32_e32 v1, v1
	v_mul_f32_e32 v1, 0x4f7ffffe, v1
	s_delay_alu instid0(VALU_DEP_1) | instskip(NEXT) | instid1(VALU_DEP_1)
	v_cvt_u32_f32_e32 v1, v1
	v_readfirstlane_b32 s2, v1
	s_mul_i32 s3, s3, s2
	s_delay_alu instid0(SALU_CYCLE_1) | instskip(NEXT) | instid1(SALU_CYCLE_1)
	s_mul_hi_u32 s3, s2, s3
	s_add_co_i32 s2, s2, s3
	s_delay_alu instid0(SALU_CYCLE_1) | instskip(NEXT) | instid1(SALU_CYCLE_1)
	s_mul_hi_u32 s2, s26, s2
	s_mul_i32 s3, s2, s6
	s_add_co_i32 s8, s2, 1
	s_sub_co_i32 s3, s26, s3
	s_delay_alu instid0(SALU_CYCLE_1)
	s_sub_co_i32 s9, s3, s6
	s_cmp_ge_u32 s3, s6
	s_cselect_b32 s2, s8, s2
	s_cselect_b32 s3, s9, s3
	s_add_co_i32 s8, s2, 1
	s_cmp_ge_u32 s3, s6
	s_cselect_b32 s18, s8, s2
.LBB78_11:
	s_delay_alu instid0(SALU_CYCLE_1)
	v_cmp_lt_u64_e64 s2, s[18:19], s[4:5]
	s_and_b32 vcc_lo, exec_lo, s2
	s_cbranch_vccnz .LBB78_13
; %bb.12:
	v_cvt_f32_u32_e32 v1, s4
	s_sub_co_i32 s3, 0, s4
	s_mov_b32 s17, 0
	s_delay_alu instid0(VALU_DEP_1) | instskip(NEXT) | instid1(TRANS32_DEP_1)
	v_rcp_iflag_f32_e32 v1, v1
	v_mul_f32_e32 v1, 0x4f7ffffe, v1
	s_delay_alu instid0(VALU_DEP_1) | instskip(NEXT) | instid1(VALU_DEP_1)
	v_cvt_u32_f32_e32 v1, v1
	v_readfirstlane_b32 s2, v1
	s_mul_i32 s3, s3, s2
	s_delay_alu instid0(SALU_CYCLE_1) | instskip(NEXT) | instid1(SALU_CYCLE_1)
	s_mul_hi_u32 s3, s2, s3
	s_add_co_i32 s2, s2, s3
	s_delay_alu instid0(SALU_CYCLE_1) | instskip(NEXT) | instid1(SALU_CYCLE_1)
	s_mul_hi_u32 s2, s18, s2
	s_mul_i32 s3, s2, s4
	s_add_co_i32 s8, s2, 1
	s_sub_co_i32 s3, s18, s3
	s_delay_alu instid0(SALU_CYCLE_1)
	s_sub_co_i32 s9, s3, s4
	s_cmp_ge_u32 s3, s4
	s_cselect_b32 s2, s8, s2
	s_cselect_b32 s3, s9, s3
	s_add_co_i32 s8, s2, 1
	s_cmp_ge_u32 s3, s4
	s_cselect_b32 s16, s8, s2
.LBB78_13:
	s_clause 0x1
	s_load_b64 s[20:21], s[0:1], 0x420
	s_load_b128 s[8:11], s[0:1], 0x410
	v_cmp_eq_u32_e64 s2, 0, v0
	s_and_saveexec_b32 s3, s2
; %bb.14:
	v_mov_b32_e32 v1, 0
	s_delay_alu instid0(VALU_DEP_1)
	v_mov_b32_e32 v2, v1
	ds_store_b64 v1, v[1:2] offset:5136
; %bb.15:
	s_or_b32 exec_lo, exec_lo, s3
	v_mov_b32_e32 v1, 0
	v_mov_b32_e32 v19, s28
	s_wait_dscnt 0x0
	s_barrier_signal -1
	s_barrier_wait -1
	global_inv scope:SCOPE_SE
	s_wait_loadcnt 0x0
	s_barrier_signal -1
	s_barrier_wait -1
	global_inv scope:SCOPE_SE
	v_mov_b32_e32 v20, s29
	ds_load_b64 v[1:2], v1 offset:5136
	s_clause 0x4
	s_load_b32 s3, s[0:1], 0x4f8
	s_load_b64 s[14:15], s[0:1], 0x280
	s_load_b128 s[44:47], s[0:1], 0x270
	; meta instruction
	s_load_b64 s[62:63], s[0:1], 0xe0
	s_load_b128 s[48:51], s[0:1], 0xd0
	s_wait_kmcnt 0x0
	s_bitcmp1_b32 s3, 0
	v_writelane_b32 v48, s14, 0
	s_wait_dscnt 0x0
	v_cmp_gt_i64_e32 vcc_lo, 1, v[1:2]
	s_cselect_b32 s3, -1, 0
	v_writelane_b32 v48, s15, 1
	s_or_b32 s3, s3, vcc_lo
	s_delay_alu instid0(SALU_CYCLE_1)
	s_and_not1_b32 vcc_lo, exec_lo, s3
	v_writelane_b32 v48, s44, 2
	v_writelane_b32 v48, s45, 3
	;; [unrolled: 1-line block ×4, first 2 shown]
	s_cbranch_vccnz .LBB78_17
; %bb.16:
	v_not_b32_e32 v1, v1
	v_not_b32_e32 v2, v2
	s_delay_alu instid0(VALU_DEP_2) | instskip(NEXT) | instid1(VALU_DEP_1)
	v_add_co_u32 v1, vcc_lo, s28, v1
	v_add_co_ci_u32_e64 v2, null, s29, v2, vcc_lo
	s_delay_alu instid0(VALU_DEP_1) | instskip(NEXT) | instid1(VALU_DEP_1)
	v_lshrrev_b64 v[1:2], 1, v[1:2]
	v_add_co_u32 v19, vcc_lo, v1, 1
	s_wait_alu 0xfffd
	s_delay_alu instid0(VALU_DEP_2)
	v_add_co_ci_u32_e64 v20, null, 0, v2, vcc_lo
.LBB78_17:
	s_load_b64 s[22:23], s[0:1], 0x340
	s_add_nc_u64 s[14:15], s[0:1], 0x500
	s_and_saveexec_b32 s3, s2
	s_cbranch_execz .LBB78_19
; %bb.18:
	v_dual_mov_b32 v1, 0 :: v_dual_mov_b32 v4, s29
	s_delay_alu instid0(VALU_DEP_1)
	v_dual_mov_b32 v3, s28 :: v_dual_mov_b32 v2, v1
	ds_store_b32 v1, v1 offset:5144
	ds_store_b128 v1, v[1:4] offset:5120
.LBB78_19:
	s_or_b32 exec_lo, exec_lo, s3
	s_mul_u64 s[4:5], s[16:17], s[4:5]
	s_mul_u64 s[6:7], s[18:19], s[6:7]
	s_wait_alu 0xfffe
	s_sub_nc_u64 s[4:5], s[18:19], s[4:5]
	s_mul_u64 s[8:9], s[16:17], s[8:9]
	s_sub_nc_u64 s[6:7], s[26:27], s[6:7]
	s_wait_alu 0xfffe
	s_mul_u64 s[4:5], s[4:5], s[10:11]
	s_wait_kmcnt 0x0
	s_add_nc_u64 s[8:9], s[22:23], s[8:9]
	s_mul_u64 s[6:7], s[6:7], s[20:21]
	s_wait_alu 0xfffe
	s_add_nc_u64 s[4:5], s[8:9], s[4:5]
	s_wait_loadcnt_dscnt 0x0
	s_wait_alu 0xfffe
	s_add_nc_u64 s[60:61], s[4:5], s[6:7]
	s_barrier_signal -1
	v_mad_co_u64_u32 v[12:13], null, s56, v0, s[60:61]
	s_barrier_wait -1
	global_inv scope:SCOPE_SE
	s_load_b32 s4, s[14:15], 0xc
	s_load_b64 s[6:7], s[0:1], 0x1a0
	v_mov_b32_e32 v3, 0
	v_mbcnt_lo_u32_b32 v25, -1, 0
	v_cmp_gt_u32_e32 vcc_lo, 32, v0
	v_mov_b32_e32 v2, v13
	s_load_b64 s[68:69], s[0:1], 0x0
	v_mov_b32_e32 v1, v3
	v_cmp_gt_i32_e64 s3, 4, v25
	s_mov_b32 s71, 0
	v_mad_co_u64_u32 v[4:5], null, s57, v0, v[2:3]
	v_add_nc_u32_e32 v2, 2, v0
	s_and_b32 s33, vcc_lo, s3
	v_lshlrev_b64_e64 v[5:6], v25, -1
	v_cmp_gt_u64_e64 s0, s[28:29], v[0:1]
	v_cmp_lt_u64_e64 s88, 0xc00, s[28:29]
	v_cmp_gt_u64_e32 vcc_lo, s[28:29], v[2:3]
	v_dual_mov_b32 v13, v4 :: v_dual_lshlrev_b32 v14, 2, v0
	v_not_b32_e32 v4, v0
	s_wait_kmcnt 0x0
	v_writelane_b32 v48, s6, 6
	v_not_b32_e32 v26, v5
	s_wait_alu 0xfffd
	v_cndmask_b32_e64 v2, v2, s28, vcc_lo
	v_cndmask_b32_e64 v5, 0, s29, vcc_lo
	s_and_b32 s66, s4, 0xffff
	v_writelane_b32 v48, s7, 7
	s_bfe_u32 s6, s4, 0xb0005
	v_add_co_u32 v4, vcc_lo, v2, v4
	s_wait_alu 0xfffd
	v_add_co_ci_u32_e64 v5, null, -1, v5, vcc_lo
	s_cmp_gt_u32 s66, 31
	v_dual_mov_b32 v15, v3 :: v_dual_and_b32 v16, -4, v4
	s_cselect_b32 s89, -1, 0
	s_cmp_lt_u32 ttmp9, s12
	v_dual_mov_b32 v17, v5 :: v_dual_mov_b32 v28, 0
	s_cselect_b32 s70, 12, 18
	s_wait_alu 0xfffe
	s_add_co_i32 s5, s6, -1
	s_movk_i32 s4, 0x3e0
	s_wait_alu 0xfffe
	s_and_b32 s5, s5, 0xffff
	s_bfe_u32 s96, s66, 0x30005
	s_wait_alu 0xfffe
	s_cmp_gt_u32 s5, 6
	s_mov_b32 s67, s71
	v_and_or_b32 v27, v0, s4, 0xc00
	v_cmp_lt_u64_e64 s4, 3, v[4:5]
	v_cmp_ne_u64_e64 s5, v[4:5], v[16:17]
	v_cmp_eq_u32_e64 s1, 0, v25
	v_cmp_gt_u32_e64 s3, 2, v0
	v_add_co_u32 v18, vcc_lo, v16, v0
	s_cselect_b32 s97, -1, 0
	s_and_b32 s98, s6, 0x7f8
	v_lshl_or_b32 v29, v25, 3, 0xc00
	v_dual_mov_b32 v31, 0 :: v_dual_mov_b32 v30, 0
	s_add_nc_u64 s[72:73], s[66:67], -1
	s_cmp_lg_u32 s96, 0
	s_add_nc_u64 s[74:75], s[72:73], s[28:29]
	s_mov_b32 s90, s56
	s_mov_b32 s91, s57
	;; [unrolled: 1-line block ×7, first 2 shown]
	s_cselect_b32 s99, -1, 0
	s_add_nc_u64 s[76:77], s[14:15], s[70:71]
	s_mov_b32 s102, 0x4f800000
	s_mov_b32 s101, 0
	;; [unrolled: 1-line block ×3, first 2 shown]
	s_wait_alu 0xfffd
	v_add_co_ci_u32_e64 v2, null, 0, v5, vcc_lo
                                        ; implicit-def: $sgpr59
                                        ; implicit-def: $sgpr65
                                        ; implicit-def: $sgpr104
                                        ; implicit-def: $sgpr58
                                        ; implicit-def: $sgpr64
                                        ; implicit-def: $vcc_hi
	s_branch .LBB78_23
.LBB78_20:                              ;   in Loop: Header=BB78_23 Depth=1
	s_wait_alu 0xfffe
	s_or_b32 exec_lo, exec_lo, s9
	s_delay_alu instid0(SALU_CYCLE_1)
	s_and_b32 s7, s7, exec_lo
	s_and_not1_b32 s22, s22, exec_lo
	s_and_not1_b32 s21, s21, exec_lo
	s_or_not1_b32 s18, s8, exec_lo
.LBB78_21:                              ;   in Loop: Header=BB78_23 Depth=1
	s_wait_alu 0xfffe
	s_or_b32 exec_lo, exec_lo, s6
	s_delay_alu instid0(SALU_CYCLE_1)
	s_and_not1_b32 s6, vcc_hi, exec_lo
	s_and_b32 s7, s7, exec_lo
	s_and_not1_b32 s8, s58, exec_lo
	s_wait_alu 0xfffe
	s_or_b32 vcc_hi, s6, s7
	s_and_not1_b32 s6, s64, exec_lo
	s_and_b32 s7, s22, exec_lo
	s_and_b32 s9, s21, exec_lo
	s_wait_alu 0xfffe
	s_or_b32 s64, s6, s7
	s_or_b32 s58, s8, s9
	s_or_not1_b32 s18, s18, exec_lo
.LBB78_22:                              ;   in Loop: Header=BB78_23 Depth=1
	s_wait_alu 0xfffe
	s_or_b32 exec_lo, exec_lo, s17
	s_delay_alu instid0(SALU_CYCLE_1)
	s_and_b32 s6, exec_lo, s18
	v_dual_mov_b32 v20, v9 :: v_dual_mov_b32 v19, v8
	s_wait_alu 0xfffe
	s_or_b32 s101, s6, s101
	s_and_not1_b32 s6, s104, exec_lo
	s_and_b32 s7, vcc_hi, exec_lo
	s_and_not1_b32 s8, s65, exec_lo
	s_wait_alu 0xfffe
	s_or_b32 s104, s6, s7
	s_and_b32 s6, s64, exec_lo
	s_and_not1_b32 s7, s59, exec_lo
	s_and_b32 s9, s58, exec_lo
	s_wait_alu 0xfffe
	s_or_b32 s65, s8, s6
	s_or_b32 s59, s7, s9
	s_and_not1_b32 exec_lo, exec_lo, s101
	s_cbranch_execz .LBB78_285
.LBB78_23:                              ; =>This Loop Header: Depth=1
                                        ;     Child Loop BB78_28 Depth 2
                                        ;     Child Loop BB78_42 Depth 2
	;; [unrolled: 1-line block ×17, first 2 shown]
	ds_load_b128 v[4:7], v3 offset:5120
	s_wait_dscnt 0x0
	v_readfirstlane_b32 s79, v5
	v_readfirstlane_b32 s78, v4
	s_cmp_lg_u64 s[78:79], 0
	s_cbranch_scc1 .LBB78_55
; %bb.24:                               ;   in Loop: Header=BB78_23 Depth=1
	s_and_b32 vcc_lo, exec_lo, s88
	s_wait_alu 0xfffe
	s_cbranch_vccz .LBB78_36
; %bb.25:                               ;   in Loop: Header=BB78_23 Depth=1
	v_cmp_gt_u64_e32 vcc_lo, 0xc01, v[6:7]
	s_mov_b32 s8, 0
	s_mov_b32 s6, 0
	s_cbranch_vccz .LBB78_37
; %bb.26:                               ;   in Loop: Header=BB78_23 Depth=1
	global_load_u16 v2, v3, s[76:77]
	global_load_u8 v6, v[12:13], off
	s_mov_b32 s9, 0
	v_dual_mov_b32 v5, v1 :: v_dual_mov_b32 v4, v0
	s_wait_loadcnt 0x1
	v_and_b32_e32 v2, 0xffff, v2
	s_branch .LBB78_28
.LBB78_27:                              ;   in Loop: Header=BB78_28 Depth=2
	s_wait_alu 0xfffe
	s_or_b32 exec_lo, exec_lo, s7
	v_mov_b32_e32 v6, v7
	s_and_not1_b32 exec_lo, exec_lo, s9
	s_cbranch_execz .LBB78_152
.LBB78_28:                              ;   Parent Loop BB78_23 Depth=1
                                        ; =>  This Inner Loop Header: Depth=2
	s_delay_alu instid0(VALU_DEP_1)
	v_add_co_u32 v4, vcc_lo, v4, v2
	s_wait_alu 0xfffd
	v_add_co_ci_u32_e64 v5, null, 0, v5, vcc_lo
	s_wait_dscnt 0x0
	v_dual_mov_b32 v8, 0 :: v_dual_mov_b32 v7, 0
	s_mov_b32 s7, exec_lo
	s_delay_alu instid0(VALU_DEP_2)
	v_cmp_le_u64_e32 vcc_lo, s[28:29], v[4:5]
	v_cmpx_gt_u64_e64 s[28:29], v[4:5]
	s_cbranch_execz .LBB78_30
; %bb.29:                               ;   in Loop: Header=BB78_28 Depth=2
	v_mad_co_u64_u32 v[9:10], null, v4, s56, s[60:61]
	v_mul_lo_u32 v7, v4, s57
	v_mul_lo_u32 v11, v5, s56
	s_delay_alu instid0(VALU_DEP_1)
	v_add3_u32 v10, v11, v10, v7
	global_load_u8 v7, v[9:10], off
.LBB78_30:                              ;   in Loop: Header=BB78_28 Depth=2
	s_wait_alu 0xfffe
	s_or_b32 exec_lo, exec_lo, s7
	s_wait_loadcnt 0x0
	v_and_b32_e32 v9, v6, v30
	s_delay_alu instid0(VALU_DEP_1) | instskip(NEXT) | instid1(VALU_DEP_1)
	v_and_b32_e32 v9, 0xff, v9
	v_cmp_eq_u32_e64 s6, v9, v28
	s_cmp_lg_u32 s6, 0
	s_cselect_b32 s7, -1, 0
	s_wait_alu 0xfffe
	s_and_b32 s7, s1, s7
	s_wait_alu 0xfffe
	s_and_saveexec_b32 s10, s7
	s_cbranch_execz .LBB78_34
; %bb.31:                               ;   in Loop: Header=BB78_28 Depth=2
	s_mov_b32 s13, exec_lo
	s_bcnt1_i32_b32 s11, s6
	s_wait_alu 0xfffe
	v_mbcnt_lo_u32_b32 v8, s13, 0
	s_mov_b32 s12, exec_lo
                                        ; implicit-def: $vgpr9
	s_delay_alu instid0(VALU_DEP_1)
	v_cmpx_eq_u32_e32 0, v8
; %bb.32:                               ;   in Loop: Header=BB78_28 Depth=2
	s_bcnt1_i32_b32 s7, s13
	s_wait_alu 0xfffe
	s_mul_i32 s7, s11, s7
	s_wait_alu 0xfffe
	v_mov_b32_e32 v9, s7
	ds_add_rtn_u32 v9, v3, v9 offset:5144
; %bb.33:                               ;   in Loop: Header=BB78_28 Depth=2
	s_or_b32 exec_lo, exec_lo, s12
	s_wait_dscnt 0x0
	v_readfirstlane_b32 s7, v9
	s_wait_alu 0xf1ff
	s_delay_alu instid0(VALU_DEP_1)
	v_mad_u32_u24 v8, s11, v8, s7
.LBB78_34:                              ;   in Loop: Header=BB78_28 Depth=2
	s_wait_alu 0xfffe
	s_or_b32 exec_lo, exec_lo, s10
	ds_bpermute_b32 v8, v3, v8
	s_and_b32 s7, exec_lo, vcc_lo
	s_wait_alu 0xfffe
	s_or_b32 s9, s7, s9
	s_and_saveexec_b32 s7, s6
	s_cbranch_execz .LBB78_27
; %bb.35:                               ;   in Loop: Header=BB78_28 Depth=2
	v_and_b32_e32 v9, s6, v26
	s_wait_dscnt 0x0
	s_delay_alu instid0(VALU_DEP_1)
	v_bcnt_u32_b32 v8, v9, v8
	ds_store_b8 v8, v6
	s_branch .LBB78_27
.LBB78_36:                              ;   in Loop: Header=BB78_23 Depth=1
	s_mov_b32 s8, -1
	s_mov_b32 s6, 0
.LBB78_37:                              ;   in Loop: Header=BB78_23 Depth=1
	s_wait_alu 0xfffe
	s_and_b32 vcc_lo, exec_lo, s8
	s_wait_alu 0xfffe
	s_cbranch_vccz .LBB78_53
.LBB78_38:                              ;   in Loop: Header=BB78_23 Depth=1
	s_and_saveexec_b32 s10, s0
	s_cbranch_execz .LBB78_50
; %bb.39:                               ;   in Loop: Header=BB78_23 Depth=1
	global_load_u16 v4, v3, s[76:77]
	global_load_u8 v23, v[12:13], off
	v_mov_b32_e32 v6, v0
	s_mov_b32 s11, exec_lo
	s_wait_loadcnt 0x1
	v_and_b32_e32 v2, 0xffff, v4
	v_readfirstlane_b32 s6, v4
	s_delay_alu instid0(VALU_DEP_2) | instskip(NEXT) | instid1(VALU_DEP_1)
	v_add_nc_u32_e32 v2, v2, v0
	v_cmpx_gt_u64_e64 s[28:29], v[2:3]
	s_cbranch_execz .LBB78_49
; %bb.40:                               ;   in Loop: Header=BB78_23 Depth=1
	s_and_b32 s70, s6, 0xffff
	v_dual_mov_b32 v9, v1 :: v_dual_mov_b32 v8, v0
	s_wait_alu 0xfffe
	s_cmp_eq_u32 s70, 1
	v_dual_mov_b32 v5, v3 :: v_dual_mov_b32 v4, v2
	s_cselect_b32 s6, -1, 0
                                        ; implicit-def: $vgpr6_vgpr7
	s_wait_alu 0xfffe
	s_and_b32 s7, s4, s6
	s_mov_b32 s6, -1
	s_wait_alu 0xfffe
	s_and_saveexec_b32 s8, s7
	s_cbranch_execz .LBB78_44
; %bb.41:                               ;   in Loop: Header=BB78_23 Depth=1
	v_add_co_u32 v8, s6, v2, 3
	s_wait_alu 0xf1ff
	v_add_co_ci_u32_e64 v9, null, 0, 0, s6
	v_add_co_u32 v6, s6, v2, 2
	s_wait_alu 0xf1ff
	v_add_co_ci_u32_e64 v7, null, 0, 0, s6
	;; [unrolled: 3-line block ×3, first 2 shown]
	v_dual_mov_b32 v22, v17 :: v_dual_mov_b32 v11, v9
	s_wait_loadcnt 0x0
	v_dual_mov_b32 v21, v16 :: v_dual_lshlrev_b32 v32, 24, v23
	v_mov_b32_e32 v24, v0
	v_dual_mov_b32 v10, v8 :: v_dual_mov_b32 v9, v7
	v_mov_b32_e32 v8, v6
	v_mov_b32_e32 v7, v5
	;; [unrolled: 1-line block ×5, first 2 shown]
	s_mov_b32 s9, 0
.LBB78_42:                              ;   Parent Loop BB78_23 Depth=1
                                        ; =>  This Inner Loop Header: Depth=2
	v_mul_lo_u32 v42, v7, s90
	v_mul_lo_u32 v43, v6, s91
	v_mad_co_u64_u32 v[35:36], null, v6, s90, 0
	v_mul_lo_u32 v23, v9, s92
	v_mul_lo_u32 v41, v8, s93
	v_mad_co_u64_u32 v[33:34], null, v8, s92, 0
	;; [unrolled: 3-line block ×3, first 2 shown]
	v_mad_co_u64_u32 v[39:40], null, v10, s94, s[60:61]
	v_mul_lo_u32 v46, v10, s95
	v_mul_lo_u32 v47, v11, s94
	v_add3_u32 v42, v36, v43, v42
	v_add3_u32 v23, v34, v41, v23
	;; [unrolled: 1-line block ×3, first 2 shown]
	v_add_co_u32 v41, s7, s60, v35
	v_add_co_u32 v36, s6, s60, v33
	v_add3_u32 v40, v47, v40, v46
	v_add_co_u32 v34, vcc_lo, s60, v37
	s_wait_alu 0xf1ff
	v_add_co_ci_u32_e64 v42, null, s61, v42, s7
	v_add_co_ci_u32_e64 v37, null, s61, v23, s6
	s_wait_alu 0xfffd
	v_add_co_ci_u32_e64 v35, null, s61, v38, vcc_lo
	s_clause 0x3
	global_load_u8 v23, v[39:40], off
	global_load_u8 v33, v[41:42], off
	global_load_u8 v36, v[36:37], off
	global_load_u8 v34, v[34:35], off
	v_add_co_u32 v10, vcc_lo, v10, 4
	s_wait_alu 0xfffd
	v_add_co_ci_u32_e64 v11, null, 0, v11, vcc_lo
	v_add_co_u32 v8, vcc_lo, v8, 4
	s_wait_alu 0xfffd
	v_add_co_ci_u32_e64 v9, null, 0, v9, vcc_lo
	;; [unrolled: 3-line block ×3, first 2 shown]
	v_add_co_u32 v21, vcc_lo, v21, -4
	s_wait_alu 0xfffd
	v_add_co_ci_u32_e64 v22, null, -1, v22, vcc_lo
	v_add_co_u32 v4, vcc_lo, v4, 4
	s_wait_alu 0xfffd
	v_add_co_ci_u32_e64 v5, null, 0, v5, vcc_lo
	s_delay_alu instid0(VALU_DEP_3)
	v_cmp_eq_u64_e64 s6, 0, v[21:22]
	s_wait_alu 0xfffe
	s_or_b32 s9, s6, s9
	s_wait_loadcnt 0x0
	v_perm_b32 v35, v34, v33, 0xc0c0004
	v_perm_b32 v33, v33, v36, 0xc0c0004
	;; [unrolled: 1-line block ×4, first 2 shown]
	s_delay_alu instid0(VALU_DEP_2) | instskip(NEXT) | instid1(VALU_DEP_2)
	v_lshl_or_b32 v32, v33, 16, v32
	v_lshl_or_b32 v33, v34, 16, v35
	ds_store_b32 v24, v32
	v_add_nc_u32_e32 v24, 4, v24
	v_mov_b32_e32 v32, v33
	s_wait_alu 0xfffe
	s_and_not1_b32 exec_lo, exec_lo, s9
	s_cbranch_execnz .LBB78_42
; %bb.43:                               ;   in Loop: Header=BB78_23 Depth=1
	s_or_b32 exec_lo, exec_lo, s9
	v_add_co_u32 v4, vcc_lo, v2, v16
	s_wait_alu 0xfffd
	v_add_co_ci_u32_e64 v5, null, 0, v17, vcc_lo
	v_dual_mov_b32 v8, v18 :: v_dual_mov_b32 v9, v19
	s_delay_alu instid0(VALU_DEP_3)
	v_add_co_u32 v6, vcc_lo, v4, -1
	s_or_not1_b32 s6, s5, exec_lo
	s_wait_alu 0xfffd
	v_add_co_ci_u32_e64 v2, null, -1, v5, vcc_lo
.LBB78_44:                              ;   in Loop: Header=BB78_23 Depth=1
	s_wait_alu 0xfffe
	s_or_b32 exec_lo, exec_lo, s8
	s_and_saveexec_b32 s7, s6
	s_cbranch_execz .LBB78_48
; %bb.45:                               ;   in Loop: Header=BB78_23 Depth=1
	s_sub_nc_u64 s[8:9], 0, s[70:71]
	s_mov_b32 s12, 0
.LBB78_46:                              ;   Parent Loop BB78_23 Depth=1
                                        ; =>  This Inner Loop Header: Depth=2
	v_dual_mov_b32 v7, v5 :: v_dual_mov_b32 v6, v4
	s_wait_loadcnt 0x0
	ds_store_b8 v8, v23
	v_mul_lo_u32 v9, v7, s56
	v_mad_co_u64_u32 v[4:5], null, v6, s56, s[60:61]
	v_mul_lo_u32 v2, v6, s57
	s_delay_alu instid0(VALU_DEP_1)
	v_add3_u32 v5, v9, v5, v2
	v_dual_mov_b32 v9, v7 :: v_dual_mov_b32 v8, v6
	global_load_u8 v2, v[4:5], off
	v_add_co_u32 v4, vcc_lo, v6, s70
	s_wait_alu 0xfffd
	v_add_co_ci_u32_e64 v5, null, 0, v7, vcc_lo
	s_wait_alu 0xfffe
	s_delay_alu instid0(VALU_DEP_2) | instskip(NEXT) | instid1(VALU_DEP_2)
	v_add_co_u32 v6, s6, s8, v4
	v_cmp_le_u64_e32 vcc_lo, s[28:29], v[4:5]
	s_wait_alu 0xf1ff
	v_add_co_ci_u32_e64 v7, null, s9, v5, s6
	s_or_b32 s12, vcc_lo, s12
	s_wait_loadcnt 0x0
	v_mov_b32_e32 v23, v2
	s_wait_alu 0xfffe
	s_and_not1_b32 exec_lo, exec_lo, s12
	s_cbranch_execnz .LBB78_46
; %bb.47:                               ;   in Loop: Header=BB78_23 Depth=1
	s_or_b32 exec_lo, exec_lo, s12
	v_mov_b32_e32 v23, v2
.LBB78_48:                              ;   in Loop: Header=BB78_23 Depth=1
	s_wait_alu 0xfffe
	s_or_b32 exec_lo, exec_lo, s7
.LBB78_49:                              ;   in Loop: Header=BB78_23 Depth=1
	s_wait_alu 0xfffe
	s_or_b32 exec_lo, exec_lo, s11
	s_wait_loadcnt 0x0
	ds_store_b8 v6, v23
.LBB78_50:                              ;   in Loop: Header=BB78_23 Depth=1
	s_wait_alu 0xfffe
	s_or_b32 exec_lo, exec_lo, s10
	s_wait_loadcnt_dscnt 0x0
	s_barrier_signal -1
	s_barrier_wait -1
	global_inv scope:SCOPE_SE
	s_and_saveexec_b32 s6, s2
; %bb.51:                               ;   in Loop: Header=BB78_23 Depth=1
	v_dual_mov_b32 v4, s28 :: v_dual_mov_b32 v5, s29
	ds_store_b64 v3, v[4:5] offset:5120
; %bb.52:                               ;   in Loop: Header=BB78_23 Depth=1
	s_wait_alu 0xfffe
	s_or_b32 exec_lo, exec_lo, s6
	s_mov_b32 s6, -1
	s_wait_loadcnt_dscnt 0x0
	s_barrier_signal -1
	s_barrier_wait -1
.LBB78_53:                              ;   in Loop: Header=BB78_23 Depth=1
	s_wait_alu 0xfffe
	s_and_b32 vcc_lo, exec_lo, s6
	s_mov_b64 s[78:79], 0
	s_wait_alu 0xfffe
	s_cbranch_vccz .LBB78_55
; %bb.54:                               ;   in Loop: Header=BB78_23 Depth=1
	s_wait_loadcnt 0x0
	global_inv scope:SCOPE_SE
	ds_load_b64 v[4:5], v3 offset:5120
	s_wait_dscnt 0x0
	v_readfirstlane_b32 s78, v4
.LBB78_55:                              ;   in Loop: Header=BB78_23 Depth=1
	s_delay_alu instid0(VALU_DEP_1)
	s_cmp_lt_i32 s78, 1
	s_mov_b32 s6, -1
                                        ; implicit-def: $vgpr10_vgpr11
                                        ; implicit-def: $vgpr6_vgpr7
	s_cbranch_scc1 .LBB78_65
; %bb.56:                               ;   in Loop: Header=BB78_23 Depth=1
	s_wait_alu 0xfffe
	s_and_b32 vcc_lo, exec_lo, s6
	s_wait_alu 0xfffe
	s_cbranch_vccnz .LBB78_79
.LBB78_57:                              ;   in Loop: Header=BB78_23 Depth=1
	s_lshl_b32 s6, s103, 7
	s_and_saveexec_b32 s7, s1
	s_cbranch_execz .LBB78_59
.LBB78_58:                              ;   in Loop: Header=BB78_23 Depth=1
	s_wait_alu 0xfffe
	v_lshl_add_u32 v2, s6, 3, v27
	ds_store_b128 v2, v[4:7]
	ds_store_b128 v2, v[8:11] offset:16
.LBB78_59:                              ;   in Loop: Header=BB78_23 Depth=1
	s_wait_alu 0xfffe
	s_or_b32 exec_lo, exec_lo, s7
	s_wait_loadcnt_dscnt 0x0
	s_barrier_signal -1
	s_barrier_wait -1
	global_inv scope:SCOPE_SE
	s_and_saveexec_b32 s7, s33
	s_cbranch_execz .LBB78_93
; %bb.60:                               ;   in Loop: Header=BB78_23 Depth=1
	v_mov_b32_e32 v4, 0
	v_mov_b32_e32 v5, 0
	s_and_not1_b32 vcc_lo, exec_lo, s89
	s_wait_alu 0xfffe
	s_cbranch_vccnz .LBB78_92
; %bb.61:                               ;   in Loop: Header=BB78_23 Depth=1
	v_mov_b32_e32 v4, 0
	v_mov_b32_e32 v5, 0
	s_and_not1_b32 vcc_lo, exec_lo, s97
	s_wait_alu 0xfffe
	s_cbranch_vccnz .LBB78_89
; %bb.62:                               ;   in Loop: Header=BB78_23 Depth=1
	v_lshl_add_u32 v2, s103, 10, v29
	s_mov_b32 s8, 0
.LBB78_63:                              ;   Parent Loop BB78_23 Depth=1
                                        ; =>  This Inner Loop Header: Depth=2
	ds_load_2addr_b64 v[6:9], v2 offset1:4
	ds_load_2addr_b64 v[21:24], v2 offset0:8 offset1:12
	ds_load_2addr_b64 v[32:35], v2 offset0:16 offset1:20
	s_wait_alu 0xfffe
	s_add_co_i32 s8, s8, 8
	s_wait_alu 0xfffe
	s_cmp_eq_u32 s98, s8
	s_wait_dscnt 0x2
	v_add_co_u32 v4, vcc_lo, v6, v4
	s_wait_alu 0xfffd
	v_add_co_ci_u32_e64 v5, null, v7, v5, vcc_lo
	s_delay_alu instid0(VALU_DEP_2) | instskip(SKIP_1) | instid1(VALU_DEP_2)
	v_add_co_u32 v8, vcc_lo, v8, v4
	s_wait_alu 0xfffd
	v_add_co_ci_u32_e64 v9, null, v9, v5, vcc_lo
	ds_load_2addr_b64 v[4:7], v2 offset0:24 offset1:28
	s_wait_dscnt 0x2
	v_add_co_u32 v8, vcc_lo, v21, v8
	s_wait_alu 0xfffd
	v_add_co_ci_u32_e64 v9, null, v22, v9, vcc_lo
	v_add_nc_u32_e32 v2, 0x100, v2
	s_delay_alu instid0(VALU_DEP_3) | instskip(SKIP_1) | instid1(VALU_DEP_3)
	v_add_co_u32 v8, vcc_lo, v23, v8
	s_wait_alu 0xfffd
	v_add_co_ci_u32_e64 v9, null, v24, v9, vcc_lo
	s_wait_dscnt 0x1
	s_delay_alu instid0(VALU_DEP_2) | instskip(SKIP_1) | instid1(VALU_DEP_2)
	v_add_co_u32 v8, vcc_lo, v32, v8
	s_wait_alu 0xfffd
	v_add_co_ci_u32_e64 v9, null, v33, v9, vcc_lo
	s_delay_alu instid0(VALU_DEP_2) | instskip(SKIP_1) | instid1(VALU_DEP_2)
	v_add_co_u32 v8, vcc_lo, v34, v8
	s_wait_alu 0xfffd
	v_add_co_ci_u32_e64 v9, null, v35, v9, vcc_lo
	s_wait_dscnt 0x0
	s_delay_alu instid0(VALU_DEP_2) | instskip(SKIP_1) | instid1(VALU_DEP_2)
	v_add_co_u32 v4, vcc_lo, v4, v8
	s_wait_alu 0xfffd
	v_add_co_ci_u32_e64 v5, null, v5, v9, vcc_lo
	s_delay_alu instid0(VALU_DEP_2) | instskip(SKIP_1) | instid1(VALU_DEP_2)
	v_add_co_u32 v4, vcc_lo, v6, v4
	s_wait_alu 0xfffd
	v_add_co_ci_u32_e64 v5, null, v7, v5, vcc_lo
	s_cbranch_scc0 .LBB78_63
; %bb.64:                               ;   in Loop: Header=BB78_23 Depth=1
	s_mov_b32 s8, s98
	s_and_not1_b32 vcc_lo, exec_lo, s99
	s_wait_alu 0xfffe
	s_cbranch_vccz .LBB78_90
	s_branch .LBB78_92
.LBB78_65:                              ;   in Loop: Header=BB78_23 Depth=1
	global_load_u16 v2, v3, s[76:77]
	s_mov_b32 s7, s29
	s_wait_loadcnt 0x0
	v_readfirstlane_b32 s6, v2
	s_wait_alu 0xfffe
	s_and_b32 s8, 0xffff, s6
	s_mov_b32 s6, s71
	s_wait_alu 0xfffe
	s_lshl_b32 s18, s8, 2
	s_cmp_lg_u64 s[6:7], 0
	s_cbranch_scc0 .LBB78_88
; %bb.66:                               ;   in Loop: Header=BB78_23 Depth=1
	s_wait_alu 0xfffe
	s_cvt_f32_u32 s6, s18
	s_mov_b32 s19, s71
	s_wait_alu 0xfffe
	s_sub_nc_u64 s[8:9], 0, s[18:19]
	s_fmamk_f32 s6, s102, 0x0, s6
	s_wait_alu 0xfffe
	s_delay_alu instid0(SALU_CYCLE_2) | instskip(NEXT) | instid1(TRANS32_DEP_1)
	v_s_rcp_f32 s6, s6
	s_mul_f32 s6, s6, 0x5f7ffffc
	s_wait_alu 0xfffe
	s_delay_alu instid0(SALU_CYCLE_2) | instskip(SKIP_1) | instid1(SALU_CYCLE_2)
	s_mul_f32 s7, s6, 0x2f800000
	s_wait_alu 0xfffe
	s_trunc_f32 s7, s7
	s_wait_alu 0xfffe
	s_delay_alu instid0(SALU_CYCLE_2) | instskip(SKIP_2) | instid1(SALU_CYCLE_1)
	s_fmamk_f32 s6, s7, 0xcf800000, s6
	s_cvt_u32_f32 s7, s7
	s_wait_alu 0xfffe
	s_cvt_u32_f32 s6, s6
	s_wait_alu 0xfffe
	s_delay_alu instid0(SALU_CYCLE_2)
	s_mul_u64 s[10:11], s[8:9], s[6:7]
	s_wait_alu 0xfffe
	s_mul_hi_u32 s13, s6, s11
	s_mul_i32 s12, s6, s11
	s_mul_hi_u32 s70, s6, s10
	s_mul_i32 s15, s7, s10
	s_wait_alu 0xfffe
	s_add_nc_u64 s[12:13], s[70:71], s[12:13]
	s_mul_hi_u32 s14, s7, s10
	s_mul_hi_u32 s16, s7, s11
	s_mul_i32 s10, s7, s11
	s_wait_alu 0xfffe
	s_add_co_u32 s11, s12, s15
	s_add_co_ci_u32 s70, s13, s14
	s_add_co_ci_u32 s11, s16, 0
	s_wait_alu 0xfffe
	s_add_nc_u64 s[10:11], s[70:71], s[10:11]
	s_wait_alu 0xfffe
	s_add_co_u32 s6, s6, s10
	s_cselect_b32 s10, -1, 0
	s_wait_alu 0xfffe
	s_cmp_lg_u32 s10, 0
	s_add_co_ci_u32 s7, s7, s11
	s_wait_alu 0xfffe
	s_mul_u64 s[8:9], s[8:9], s[6:7]
	s_wait_alu 0xfffe
	s_mul_hi_u32 s11, s6, s9
	s_mul_i32 s10, s6, s9
	s_mul_hi_u32 s70, s6, s8
	s_mul_i32 s13, s7, s8
	s_wait_alu 0xfffe
	s_add_nc_u64 s[10:11], s[70:71], s[10:11]
	s_mul_hi_u32 s12, s7, s8
	s_mul_hi_u32 s14, s7, s9
	s_mul_i32 s8, s7, s9
	s_wait_alu 0xfffe
	s_add_co_u32 s9, s10, s13
	s_add_co_ci_u32 s70, s11, s12
	s_add_co_ci_u32 s9, s14, 0
	s_wait_alu 0xfffe
	s_add_nc_u64 s[8:9], s[70:71], s[8:9]
	s_wait_alu 0xfffe
	s_add_co_u32 s6, s6, s8
	s_cselect_b32 s8, -1, 0
	s_wait_alu 0xfffe
	s_mul_hi_u32 s70, s28, s6
	s_cmp_lg_u32 s8, 0
	s_mul_hi_u32 s10, s29, s6
	s_add_co_ci_u32 s8, s7, s9
	s_mul_i32 s9, s29, s6
	s_wait_alu 0xfffe
	s_mul_hi_u32 s7, s28, s8
	s_mul_i32 s6, s28, s8
	s_mul_hi_u32 s11, s29, s8
	s_wait_alu 0xfffe
	s_add_nc_u64 s[6:7], s[70:71], s[6:7]
	s_mul_i32 s8, s29, s8
	s_wait_alu 0xfffe
	s_add_co_u32 s6, s6, s9
	s_add_co_ci_u32 s70, s7, s10
	s_add_co_ci_u32 s9, s11, 0
	s_wait_alu 0xfffe
	s_add_nc_u64 s[6:7], s[70:71], s[8:9]
	s_wait_alu 0xfffe
	s_mul_u64 s[6:7], s[18:19], s[6:7]
	s_wait_alu 0xfffe
	s_sub_co_u32 s6, s28, s6
	s_cselect_b32 s8, -1, 0
	s_wait_alu 0xfffe
	s_cmp_lg_u32 s8, 0
	s_sub_co_ci_u32 s7, s29, s7
	s_sub_co_u32 s8, s6, s18
	s_cselect_b32 s9, -1, 0
	s_wait_alu 0xfffe
	s_cmp_lg_u32 s9, 0
	s_sub_co_ci_u32 s9, s7, 0
	;; [unrolled: 5-line block ×3, first 2 shown]
	s_cmp_ge_u32 s8, s18
	s_cselect_b32 s12, -1, 0
	s_cmp_eq_u32 s9, 0
	s_wait_alu 0xfffe
	s_cselect_b32 s12, s12, -1
	s_wait_alu 0xfffe
	s_cmp_lg_u32 s12, 0
	s_cselect_b32 s9, s11, s9
	s_cselect_b32 s8, s10, s8
	s_cmp_ge_u32 s6, s18
	s_cselect_b32 s10, -1, 0
	s_cmp_eq_u32 s7, 0
	s_wait_alu 0xfffe
	s_cselect_b32 s10, s10, -1
	s_wait_alu 0xfffe
	s_cmp_lg_u32 s10, 0
	s_cselect_b32 s7, s9, s7
	s_cselect_b32 s6, s8, s6
	s_cbranch_execnz .LBB78_68
.LBB78_67:                              ;   in Loop: Header=BB78_23 Depth=1
	s_wait_alu 0xfffe
	v_cvt_f32_u32_e32 v4, s18
	s_sub_co_i32 s7, 0, s18
	s_delay_alu instid0(VALU_DEP_1) | instskip(NEXT) | instid1(TRANS32_DEP_1)
	v_rcp_iflag_f32_e32 v4, v4
	v_mul_f32_e32 v4, 0x4f7ffffe, v4
	s_delay_alu instid0(VALU_DEP_1) | instskip(NEXT) | instid1(VALU_DEP_1)
	v_cvt_u32_f32_e32 v4, v4
	v_readfirstlane_b32 s6, v4
	s_wait_alu 0xfffe
	s_mul_i32 s7, s7, s6
	s_wait_alu 0xfffe
	s_mul_hi_u32 s7, s6, s7
	s_wait_alu 0xfffe
	s_add_co_i32 s6, s6, s7
	s_wait_alu 0xfffe
	s_mul_hi_u32 s6, s28, s6
	s_wait_alu 0xfffe
	s_mul_i32 s6, s6, s18
	s_wait_alu 0xfffe
	s_sub_co_i32 s6, s28, s6
	s_wait_alu 0xfffe
	s_sub_co_i32 s7, s6, s18
	s_cmp_ge_u32 s6, s18
	s_wait_alu 0xfffe
	s_cselect_b32 s6, s7, s6
	s_wait_alu 0xfffe
	s_sub_co_i32 s7, s6, s18
	s_cmp_ge_u32 s6, s18
	s_wait_alu 0xfffe
	s_cselect_b32 s70, s7, s6
	s_wait_alu 0xfffe
	s_mov_b64 s[6:7], s[70:71]
.LBB78_68:                              ;   in Loop: Header=BB78_23 Depth=1
	v_mov_b32_e32 v4, 0
	v_dual_mov_b32 v8, 0 :: v_dual_mov_b32 v5, 0
	v_dual_mov_b32 v6, 0 :: v_dual_mov_b32 v9, 0
	;; [unrolled: 1-line block ×3, first 2 shown]
	v_mov_b32_e32 v11, 0
	s_wait_alu 0xfffe
	s_sub_nc_u64 s[20:21], s[28:29], s[6:7]
	s_mov_b32 s17, exec_lo
	s_wait_alu 0xfffe
	v_cmpx_gt_u64_e64 s[20:21], v[14:15]
	s_cbranch_execz .LBB78_72
; %bb.69:                               ;   in Loop: Header=BB78_23 Depth=1
	v_dual_mov_b32 v22, v15 :: v_dual_mov_b32 v21, v14
	s_mov_b64 s[22:23], 0
	s_mov_b32 s19, 0
	s_mov_b64 s[24:25], 0
	s_mov_b64 s[80:81], 0
	;; [unrolled: 1-line block ×3, first 2 shown]
.LBB78_70:                              ;   Parent Loop BB78_23 Depth=1
                                        ; =>  This Inner Loop Header: Depth=2
	v_mad_co_u64_u32 v[4:5], null, v21, s56, s[60:61]
	v_mul_lo_u32 v6, v21, s57
	v_mul_lo_u32 v7, v22, s56
	s_delay_alu instid0(VALU_DEP_1) | instskip(NEXT) | instid1(VALU_DEP_4)
	v_add3_u32 v5, v7, v5, v6
	v_add_co_u32 v6, vcc_lo, v4, s56
	s_wait_alu 0xfffd
	s_delay_alu instid0(VALU_DEP_2)
	v_add_co_ci_u32_e64 v7, null, s57, v5, vcc_lo
	s_clause 0x1
	global_load_u8 v8, v[4:5], off
	global_load_u8 v9, v[6:7], off
	v_add_co_u32 v4, vcc_lo, v6, s56
	s_wait_alu 0xfffd
	v_add_co_ci_u32_e64 v5, null, s57, v7, vcc_lo
	s_delay_alu instid0(VALU_DEP_2)
	v_add_co_u32 v6, vcc_lo, v4, s56
	global_load_u8 v4, v[4:5], off
	s_wait_alu 0xfffd
	v_add_co_ci_u32_e64 v7, null, s57, v5, vcc_lo
	v_add_co_u32 v21, vcc_lo, v21, s18
	s_wait_alu 0xfffd
	v_add_co_ci_u32_e64 v22, null, 0, v22, vcc_lo
	global_load_u8 v5, v[6:7], off
	v_cmp_le_u64_e32 vcc_lo, s[20:21], v[21:22]
	s_wait_loadcnt 0x3
	v_and_b32_e32 v6, v30, v8
	v_bfe_u32 v7, v8, s100, 2
	s_wait_loadcnt 0x2
	v_bfe_u32 v8, v9, s100, 2
	s_delay_alu instid0(VALU_DEP_3)
	v_cmp_eq_u32_e64 s6, v6, v28
	v_and_b32_e32 v6, v30, v9
	v_cmp_eq_u32_e64 s7, 0, v7
	v_cmp_eq_u32_e64 s8, 1, v7
	;; [unrolled: 1-line block ×5, first 2 shown]
	s_wait_loadcnt 0x1
	v_and_b32_e32 v6, v30, v4
	v_bfe_u32 v4, v4, s100, 2
	v_cmp_eq_u32_e64 s12, 0, v8
	s_and_b32 s13, s6, s7
	v_cmp_eq_u32_e64 s7, 1, v8
	s_and_b32 s14, s6, s8
	;; [unrolled: 2-line block ×4, first 2 shown]
	s_wait_alu 0xfffe
	v_cndmask_b32_e64 v7, 0, 1, s13
	v_cndmask_b32_e64 v8, 0, 1, s14
	;; [unrolled: 1-line block ×4, first 2 shown]
	v_cmp_eq_u32_e64 s6, v6, v28
	s_wait_loadcnt 0x0
	v_and_b32_e32 v6, v30, v5
	v_bfe_u32 v5, v5, s100, 2
	v_cmp_eq_u32_e64 s10, 0, v4
	s_and_b32 s13, s11, s12
	v_cmp_eq_u32_e64 s12, 1, v4
	s_and_b32 s14, s11, s7
	;; [unrolled: 2-line block ×3, first 2 shown]
	v_cmp_eq_u32_e64 s8, 3, v4
	s_wait_alu 0xfffe
	v_cndmask_b32_e64 v4, 0, 1, s13
	s_and_b32 s16, s11, s9
	v_cmp_ne_u32_e64 s9, 0, v7
	v_cmp_ne_u32_e64 s11, 0, v8
	;; [unrolled: 1-line block ×3, first 2 shown]
	v_cndmask_b32_e64 v8, 0, 1, s15
	s_wait_alu 0xfffe
	v_cndmask_b32_e64 v9, 0, 1, s16
	v_cmp_eq_u32_e64 s15, v6, v28
	v_cmp_eq_u32_e64 s16, 0, v5
	s_and_b32 s44, s6, s10
	v_cndmask_b32_e64 v7, 0, 1, s14
	v_cmp_eq_u32_e64 s10, 1, v5
	s_and_b32 s45, s6, s12
	s_and_b32 s46, s6, s7
	;; [unrolled: 1-line block ×3, first 2 shown]
	v_cmp_ne_u32_e64 s6, 0, v4
	s_wait_alu 0xfffe
	v_cndmask_b32_e64 v4, 0, 1, s44
	v_cmp_eq_u32_e64 s12, 2, v5
	v_cmp_eq_u32_e64 s7, 3, v5
	v_cndmask_b32_e64 v5, 0, 1, s45
	s_bcnt1_i32_b32 s70, s9
	v_cmp_ne_u32_e64 s9, 0, v8
	s_and_b32 s16, s15, s16
	v_cmp_ne_u32_e64 s8, 0, v7
	v_cndmask_b32_e64 v6, 0, 1, s46
	v_cmp_ne_u32_e64 s14, 0, v10
	s_bcnt1_i32_b32 s44, s11
	v_cmp_ne_u32_e64 s11, 0, v9
	s_and_b32 s10, s15, s10
	s_bcnt1_i32_b32 s45, s6
	v_cmp_ne_u32_e64 s6, 0, v4
	s_wait_alu 0xfffe
	v_cndmask_b32_e64 v4, 0, 1, s16
	v_cndmask_b32_e64 v7, 0, 1, s47
	s_and_b32 s12, s15, s12
	s_and_b32 s15, s15, s7
	v_cmp_ne_u32_e64 s7, 0, v5
	v_cndmask_b32_e64 v5, 0, 1, s10
	s_bcnt1_i32_b32 s13, s13
	s_bcnt1_i32_b32 s10, s9
	;; [unrolled: 1-line block ×3, first 2 shown]
	v_cmp_ne_u32_e64 s8, 0, v6
	s_wait_alu 0xfffe
	v_cndmask_b32_e64 v6, 0, 1, s12
	s_bcnt1_i32_b32 s14, s14
	s_bcnt1_i32_b32 s11, s11
	s_add_co_i32 s10, s10, s13
	s_bcnt1_i32_b32 s13, s6
	v_cmp_ne_u32_e64 s6, 0, v4
	v_cmp_ne_u32_e64 s9, 0, v7
	v_cndmask_b32_e64 v7, 0, 1, s15
	s_wait_alu 0xfffe
	s_add_co_i32 s11, s11, s14
	s_bcnt1_i32_b32 s14, s7
	v_cmp_ne_u32_e64 s7, 0, v5
	s_add_co_i32 s12, s45, s70
	s_add_co_i32 s15, s16, s44
	s_bcnt1_i32_b32 s16, s8
	v_cmp_ne_u32_e64 s8, 0, v6
	s_wait_alu 0xfffe
	s_add_co_i32 s12, s12, s13
	s_bcnt1_i32_b32 s6, s6
	s_bcnt1_i32_b32 s44, s9
	v_cmp_ne_u32_e64 s9, 0, v7
	s_add_co_i32 s13, s15, s14
	s_bcnt1_i32_b32 s7, s7
	s_wait_alu 0xfffe
	s_add_co_i32 s70, s12, s6
	s_add_co_i32 s10, s10, s16
	s_bcnt1_i32_b32 s8, s8
	s_wait_alu 0xfffe
	s_add_nc_u64 s[82:83], s[82:83], s[70:71]
	s_add_co_i32 s70, s13, s7
	s_add_co_i32 s11, s11, s44
	s_bcnt1_i32_b32 s9, s9
	s_wait_alu 0xfffe
	s_add_nc_u64 s[80:81], s[80:81], s[70:71]
	s_add_co_i32 s70, s10, s8
	v_mov_b32_e32 v4, s82
	s_wait_alu 0xfffe
	s_add_nc_u64 s[24:25], s[24:25], s[70:71]
	s_add_co_i32 s70, s11, s9
	v_mov_b32_e32 v6, s80
	s_wait_alu 0xfffe
	s_add_nc_u64 s[22:23], s[22:23], s[70:71]
	v_mov_b32_e32 v8, s24
	s_wait_alu 0xfffe
	v_dual_mov_b32 v10, s22 :: v_dual_mov_b32 v5, s83
	v_mov_b32_e32 v7, s81
	v_mov_b32_e32 v9, s25
	;; [unrolled: 1-line block ×3, first 2 shown]
	s_or_b32 s19, vcc_lo, s19
	s_wait_alu 0xfffe
	s_and_not1_b32 exec_lo, exec_lo, s19
	s_cbranch_execnz .LBB78_70
; %bb.71:                               ;   in Loop: Header=BB78_23 Depth=1
	s_or_b32 exec_lo, exec_lo, s19
.LBB78_72:                              ;   in Loop: Header=BB78_23 Depth=1
	s_delay_alu instid0(SALU_CYCLE_1)
	s_or_b32 exec_lo, exec_lo, s17
	v_add_co_u32 v21, s6, s20, v0
	v_and_b32_e32 v2, 0xffff, v2
	s_wait_alu 0xf1ff
	v_add_co_ci_u32_e64 v22, null, s21, 0, s6
	s_mov_b32 s9, exec_lo
	v_cmpx_gt_u64_e64 s[28:29], v[21:22]
	s_cbranch_execz .LBB78_78
; %bb.73:                               ;   in Loop: Header=BB78_23 Depth=1
	v_mad_co_u64_u32 v[23:24], null, v21, s56, s[60:61]
	v_mul_lo_u32 v32, v21, s57
	v_mul_lo_u32 v33, v22, s56
	s_mov_b32 s10, 0
	s_delay_alu instid0(VALU_DEP_1)
	v_add3_u32 v24, v33, v24, v32
	global_load_u8 v24, v[23:24], off
	s_branch .LBB78_75
.LBB78_74:                              ;   in Loop: Header=BB78_75 Depth=2
	s_wait_alu 0xfffe
	s_or_b32 exec_lo, exec_lo, s7
	s_wait_loadcnt 0x0
	v_and_b32_e32 v24, 0xff, v24
	s_and_b32 s8, exec_lo, vcc_lo
	s_wait_alu 0xfffe
	s_or_b32 s10, s8, s10
	s_delay_alu instid0(VALU_DEP_1) | instskip(SKIP_1) | instid1(VALU_DEP_2)
	v_and_b32_e32 v32, v30, v24
	v_bfe_u32 v24, v24, s100, 2
	v_cmp_eq_u32_e64 s6, v32, v28
	s_delay_alu instid0(VALU_DEP_2)
	v_cmp_eq_u32_e64 s7, 0, v24
	v_cmp_eq_u32_e32 vcc_lo, 1, v24
	v_cmp_eq_u32_e64 s8, 2, v24
	s_and_b32 s7, s6, s7
	s_wait_alu 0xfffe
	v_cndmask_b32_e64 v32, 0, 1, s7
	s_and_b32 s7, s6, vcc_lo
	v_cmp_eq_u32_e32 vcc_lo, 3, v24
	s_wait_alu 0xfffe
	v_cndmask_b32_e64 v33, 0, 1, s7
	s_and_b32 s7, s6, s8
	s_wait_alu 0xfffe
	v_cndmask_b32_e64 v24, 0, 1, s7
	v_cmp_ne_u32_e64 s7, 0, v32
	v_cmp_ne_u32_e64 s8, 0, v33
	s_and_b32 s6, s6, vcc_lo
	s_wait_alu 0xfffe
	v_cndmask_b32_e64 v32, 0, 1, s6
	s_bcnt1_i32_b32 s6, s7
	v_cmp_ne_u32_e32 vcc_lo, 0, v24
	s_bcnt1_i32_b32 s7, s8
	s_wait_alu 0xfffe
	v_add_co_u32 v4, s6, v4, s6
	s_wait_alu 0xf1ff
	v_add_co_ci_u32_e64 v5, null, 0, v5, s6
	v_add_co_u32 v6, s6, v6, s7
	s_wait_alu 0xf1ff
	v_add_co_ci_u32_e64 v7, null, 0, v7, s6
	s_bcnt1_i32_b32 s6, vcc_lo
	v_cmp_ne_u32_e32 vcc_lo, 0, v32
	s_wait_alu 0xfffe
	v_add_co_u32 v8, s6, v8, s6
	s_wait_alu 0xf1ff
	v_add_co_ci_u32_e64 v9, null, 0, v9, s6
	s_bcnt1_i32_b32 s6, vcc_lo
	v_mov_b32_e32 v24, v23
	s_wait_alu 0xfffe
	v_add_co_u32 v10, vcc_lo, v10, s6
	s_wait_alu 0xfffd
	v_add_co_ci_u32_e64 v11, null, 0, v11, vcc_lo
	s_and_not1_b32 exec_lo, exec_lo, s10
	s_cbranch_execz .LBB78_77
.LBB78_75:                              ;   Parent Loop BB78_23 Depth=1
                                        ; =>  This Inner Loop Header: Depth=2
	v_add_co_u32 v21, vcc_lo, v21, v2
	s_wait_alu 0xfffd
	v_add_co_ci_u32_e64 v22, null, 0, v22, vcc_lo
	v_mov_b32_e32 v23, 0
	s_mov_b32 s7, exec_lo
	s_delay_alu instid0(VALU_DEP_2)
	v_cmp_le_u64_e32 vcc_lo, s[28:29], v[21:22]
	v_cmpx_gt_u64_e64 s[28:29], v[21:22]
	s_cbranch_execz .LBB78_74
; %bb.76:                               ;   in Loop: Header=BB78_75 Depth=2
	v_mad_co_u64_u32 v[32:33], null, v21, s56, s[60:61]
	v_mul_lo_u32 v23, v21, s57
	v_mul_lo_u32 v34, v22, s56
	s_delay_alu instid0(VALU_DEP_1)
	v_add3_u32 v33, v34, v33, v23
	global_load_u8 v23, v[32:33], off
	s_branch .LBB78_74
.LBB78_77:                              ;   in Loop: Header=BB78_23 Depth=1
	s_or_b32 exec_lo, exec_lo, s10
.LBB78_78:                              ;   in Loop: Header=BB78_23 Depth=1
	s_wait_alu 0xfffe
	s_or_b32 exec_lo, exec_lo, s9
	s_branch .LBB78_57
.LBB78_79:                              ;   in Loop: Header=BB78_23 Depth=1
	global_load_u16 v2, v3, s[76:77]
	v_mov_b32_e32 v6, 0
	v_mov_b32_e32 v8, 0
	v_dual_mov_b32 v10, 0 :: v_dual_mov_b32 v9, 0
	v_mov_b32_e32 v11, 0
	s_mov_b32 s46, exec_lo
	v_mov_b32_e32 v7, 0
	s_wait_loadcnt 0x0
	v_readfirstlane_b32 s6, v2
	v_and_b32_e32 v2, 0xffff, v2
	s_and_b32 s79, 0xffff, s6
	s_wait_alu 0xfffe
	s_lshl_b32 s45, s79, 2
	s_wait_alu 0xfffe
	s_cvt_f32_u32 s6, s45
	s_sub_co_i32 s7, 0, s45
	s_wait_alu 0xfffe
	s_delay_alu instid0(SALU_CYCLE_1) | instskip(NEXT) | instid1(TRANS32_DEP_1)
	v_rcp_iflag_f32_e32 v4, s6
	v_readfirstlane_b32 s6, v4
	s_mul_f32 s6, s6, 0x4f7ffffe
	s_wait_alu 0xfffe
	s_delay_alu instid0(SALU_CYCLE_2) | instskip(SKIP_1) | instid1(SALU_CYCLE_2)
	s_cvt_u32_f32 s6, s6
	s_wait_alu 0xfffe
	s_mul_i32 s7, s7, s6
	s_wait_alu 0xfffe
	s_mul_hi_u32 s7, s6, s7
	s_wait_alu 0xfffe
	s_add_co_i32 s6, s6, s7
	s_wait_alu 0xfffe
	s_mul_hi_u32 s6, s78, s6
	s_wait_alu 0xfffe
	s_mul_i32 s7, s6, s45
	s_add_co_i32 s8, s6, 1
	s_wait_alu 0xfffe
	s_sub_co_i32 s7, s78, s7
	s_wait_alu 0xfffe
	s_sub_co_i32 s9, s7, s45
	s_cmp_ge_u32 s7, s45
	s_cselect_b32 s6, s8, s6
	s_wait_alu 0xfffe
	s_cselect_b32 s7, s9, s7
	s_add_co_i32 s8, s6, 1
	s_wait_alu 0xfffe
	s_cmp_ge_u32 s7, s45
	s_cselect_b32 s44, s8, s6
	s_wait_alu 0xfffe
	v_mul_hi_u32 v5, s44, v2
	v_mul_lo_u32 v4, s44, v2
	s_delay_alu instid0(VALU_DEP_1) | instskip(SKIP_2) | instid1(VALU_DEP_3)
	v_lshlrev_b64_e32 v[21:22], 2, v[4:5]
	v_mov_b32_e32 v4, 0
	v_mov_b32_e32 v5, 0
	v_cmpx_gt_u64_e64 v[21:22], v[14:15]
	s_cbranch_execz .LBB78_83
; %bb.80:                               ;   in Loop: Header=BB78_23 Depth=1
	v_mov_b32_e32 v24, v15
	v_dual_mov_b32 v32, v14 :: v_dual_mov_b32 v23, v14
	s_mov_b64 s[80:81], 0
	s_mov_b32 s47, 0
	s_mov_b64 s[82:83], 0
	s_mov_b64 s[84:85], 0
	;; [unrolled: 1-line block ×3, first 2 shown]
.LBB78_81:                              ;   Parent Loop BB78_23 Depth=1
                                        ; =>  This Inner Loop Header: Depth=2
	ds_load_b32 v4, v32
	v_add_co_u32 v23, vcc_lo, v23, s45
	s_wait_alu 0xfffd
	v_add_co_ci_u32_e64 v24, null, 0, v24, vcc_lo
	s_delay_alu instid0(VALU_DEP_1)
	v_cmp_ge_u64_e32 vcc_lo, v[23:24], v[21:22]
	s_wait_dscnt 0x0
	v_and_b32_e32 v5, 0xff, v4
	v_bfe_u32 v6, v4, 8, 8
	v_bfe_u32 v7, v4, 16, 8
	v_lshrrev_b32_e32 v4, 24, v4
	s_delay_alu instid0(VALU_DEP_4) | instskip(NEXT) | instid1(VALU_DEP_4)
	v_and_b32_e32 v8, v30, v5
	v_and_b32_e32 v9, v30, v6
	v_bfe_u32 v5, v5, s100, 2
	v_bfe_u32 v6, v6, s100, 2
	s_delay_alu instid0(VALU_DEP_4)
	v_cmp_eq_u32_e64 s6, v8, v28
	v_and_b32_e32 v8, v30, v7
	v_bfe_u32 v7, v7, s100, 2
	v_cmp_eq_u32_e64 s7, v9, v28
	v_and_b32_e32 v9, v30, v4
	v_bfe_u32 v4, v4, s100, 2
	v_cmp_eq_u32_e64 s10, 0, v5
	v_cmp_eq_u32_e64 s11, 0, v6
	;; [unrolled: 1-line block ×9, first 2 shown]
	s_and_b32 s10, s6, s10
	s_and_b32 s11, s7, s11
	v_cmp_eq_u32_e64 s15, 1, v6
	v_cmp_eq_u32_e64 s18, 2, v5
	;; [unrolled: 1-line block ×7, first 2 shown]
	s_and_b32 s12, s8, s12
	s_wait_alu 0xfffe
	v_cndmask_b32_e64 v4, 0, 1, s10
	v_cndmask_b32_e64 v5, 0, 1, s11
	s_and_b32 s13, s9, s13
	v_cmp_eq_u32_e64 s20, 2, v7
	v_cmp_eq_u32_e64 s24, 3, v7
	v_cndmask_b32_e64 v6, 0, 1, s12
	s_and_b32 s14, s6, s14
	s_and_b32 s16, s8, s16
	;; [unrolled: 1-line block ×3, first 2 shown]
	s_wait_alu 0xfffe
	v_cndmask_b32_e64 v7, 0, 1, s13
	s_and_b32 s15, s7, s15
	s_and_b32 s18, s6, s18
	;; [unrolled: 1-line block ×5, first 2 shown]
	v_cndmask_b32_e64 v8, 0, 1, s14
	v_cmp_ne_u32_e64 s6, 0, v4
	v_cndmask_b32_e64 v4, 0, 1, s16
	v_cmp_ne_u32_e64 s7, 0, v5
	v_cndmask_b32_e64 v5, 0, 1, s17
	s_wait_alu 0xfffe
	v_cndmask_b32_e64 v9, 0, 1, s15
	s_and_b32 s20, s8, s20
	s_and_b32 s24, s8, s24
	v_cmp_ne_u32_e64 s8, 0, v6
	v_cndmask_b32_e64 v6, 0, 1, s18
	s_and_b32 s21, s9, s21
	s_and_b32 s25, s9, s25
	v_cmp_ne_u32_e64 s9, 0, v7
	v_cndmask_b32_e64 v7, 0, 1, s19
	v_cmp_ne_u32_e64 s10, 0, v8
	s_wait_alu 0xfffe
	v_cndmask_b32_e64 v8, 0, 1, s20
	v_cmp_ne_u32_e64 s12, 0, v4
	v_cndmask_b32_e64 v4, 0, 1, s22
	v_cmp_ne_u32_e64 s13, 0, v5
	;; [unrolled: 2-line block ×5, first 2 shown]
	v_cndmask_b32_e64 v7, 0, 1, s25
	s_bcnt1_i32_b32 s6, s6
	s_bcnt1_i32_b32 s7, s7
	v_cmp_ne_u32_e64 s16, 0, v8
	v_cmp_ne_u32_e64 s18, 0, v4
	;; [unrolled: 1-line block ×3, first 2 shown]
	s_bcnt1_i32_b32 s8, s8
	s_bcnt1_i32_b32 s10, s10
	;; [unrolled: 1-line block ×3, first 2 shown]
	s_wait_alu 0xfffe
	s_add_co_i32 s6, s7, s6
	v_cmp_ne_u32_e64 s17, 0, v9
	v_cmp_ne_u32_e64 s20, 0, v6
	s_bcnt1_i32_b32 s9, s9
	s_bcnt1_i32_b32 s12, s12
	;; [unrolled: 1-line block ×4, first 2 shown]
	s_add_co_i32 s7, s11, s10
	s_wait_alu 0xfffe
	s_add_co_i32 s6, s6, s8
	v_cmp_ne_u32_e64 s21, 0, v7
	s_bcnt1_i32_b32 s13, s13
	s_bcnt1_i32_b32 s16, s16
	;; [unrolled: 1-line block ×4, first 2 shown]
	s_add_co_i32 s10, s15, s14
	s_add_co_i32 s7, s7, s12
	s_wait_alu 0xfffe
	s_add_co_i32 s70, s6, s9
	s_bcnt1_i32_b32 s17, s17
	s_bcnt1_i32_b32 s20, s20
	s_add_co_i32 s11, s19, s18
	s_add_co_i32 s8, s10, s16
	s_wait_alu 0xfffe
	s_add_nc_u64 s[86:87], s[86:87], s[70:71]
	s_add_co_i32 s70, s7, s13
	s_bcnt1_i32_b32 s21, s21
	s_add_co_i32 s10, s11, s20
	s_wait_alu 0xfffe
	s_add_nc_u64 s[84:85], s[84:85], s[70:71]
	s_add_co_i32 s70, s8, s17
	v_mov_b32_e32 v4, s86
	s_wait_alu 0xfffe
	s_add_nc_u64 s[82:83], s[82:83], s[70:71]
	s_add_co_i32 s70, s10, s21
	v_mov_b32_e32 v6, s84
	s_wait_alu 0xfffe
	s_add_nc_u64 s[80:81], s[80:81], s[70:71]
	v_mov_b32_e32 v8, s82
	s_wait_alu 0xfffe
	v_mov_b32_e32 v10, s80
	v_dual_mov_b32 v5, s87 :: v_dual_add_nc_u32 v32, s45, v32
	v_mov_b32_e32 v7, s85
	v_mov_b32_e32 v9, s83
	;; [unrolled: 1-line block ×3, first 2 shown]
	s_or_b32 s47, vcc_lo, s47
	s_wait_alu 0xfffe
	s_and_not1_b32 exec_lo, exec_lo, s47
	s_cbranch_execnz .LBB78_81
; %bb.82:                               ;   in Loop: Header=BB78_23 Depth=1
	s_or_b32 exec_lo, exec_lo, s47
.LBB78_83:                              ;   in Loop: Header=BB78_23 Depth=1
	s_delay_alu instid0(SALU_CYCLE_1)
	s_or_b32 exec_lo, exec_lo, s46
	v_add_co_u32 v21, vcc_lo, v21, v0
	s_wait_alu 0xfffd
	v_add_co_ci_u32_e64 v22, null, 0, v22, vcc_lo
	s_and_b32 s70, s78, 0x7fffffff
	s_mov_b32 s11, exec_lo
	s_wait_alu 0xfffe
	v_cmpx_gt_u64_e64 s[70:71], v[21:22]
	s_cbranch_execz .LBB78_87
; %bb.84:                               ;   in Loop: Header=BB78_23 Depth=1
	s_mul_i32 s44, s44, s79
	s_mov_b32 s12, 0
	s_wait_alu 0xfffe
	v_lshl_add_u32 v23, s44, 2, v0
.LBB78_85:                              ;   Parent Loop BB78_23 Depth=1
                                        ; =>  This Inner Loop Header: Depth=2
	ds_load_u8 v24, v23
	v_add_co_u32 v21, vcc_lo, v21, v2
	s_wait_alu 0xfffd
	v_add_co_ci_u32_e64 v22, null, 0, v22, vcc_lo
	v_add_nc_u32_e32 v23, s79, v23
	s_delay_alu instid0(VALU_DEP_2) | instskip(SKIP_3) | instid1(VALU_DEP_2)
	v_cmp_le_u64_e32 vcc_lo, s[70:71], v[21:22]
	s_wait_dscnt 0x0
	v_and_b32_e32 v32, v30, v24
	v_bfe_u32 v24, v24, s100, 2
	v_cmp_eq_u32_e64 s6, v32, v28
	s_delay_alu instid0(VALU_DEP_2)
	v_cmp_eq_u32_e64 s7, 0, v24
	v_cmp_eq_u32_e64 s8, 1, v24
	;; [unrolled: 1-line block ×4, first 2 shown]
	s_and_b32 s7, s6, s7
	s_wait_alu 0xfffe
	v_cndmask_b32_e64 v24, 0, 1, s7
	s_and_b32 s7, s6, s8
	s_wait_alu 0xfffe
	v_cndmask_b32_e64 v32, 0, 1, s7
	s_and_b32 s7, s6, s9
	s_and_b32 s6, s6, s10
	s_wait_alu 0xfffe
	v_cndmask_b32_e64 v33, 0, 1, s7
	v_cndmask_b32_e64 v34, 0, 1, s6
	v_cmp_ne_u32_e64 s6, 0, v24
	v_cmp_ne_u32_e64 s7, 0, v32
	s_delay_alu instid0(VALU_DEP_4) | instskip(NEXT) | instid1(VALU_DEP_4)
	v_cmp_ne_u32_e64 s8, 0, v33
	v_cmp_ne_u32_e64 s9, 0, v34
	s_bcnt1_i32_b32 s6, s6
	s_bcnt1_i32_b32 s7, s7
	s_wait_alu 0xfffe
	v_add_co_u32 v4, s6, v4, s6
	s_bcnt1_i32_b32 s8, s8
	v_add_co_ci_u32_e64 v5, null, 0, v5, s6
	v_add_co_u32 v6, s6, v6, s7
	s_bcnt1_i32_b32 s9, s9
	v_add_co_ci_u32_e64 v7, null, 0, v7, s6
	s_wait_alu 0xfffe
	v_add_co_u32 v8, s6, v8, s8
	s_wait_alu 0xf1ff
	v_add_co_ci_u32_e64 v9, null, 0, v9, s6
	v_add_co_u32 v10, s6, v10, s9
	s_wait_alu 0xf1ff
	v_add_co_ci_u32_e64 v11, null, 0, v11, s6
	s_or_b32 s12, vcc_lo, s12
	s_wait_alu 0xfffe
	s_and_not1_b32 exec_lo, exec_lo, s12
	s_cbranch_execnz .LBB78_85
; %bb.86:                               ;   in Loop: Header=BB78_23 Depth=1
	s_or_b32 exec_lo, exec_lo, s12
.LBB78_87:                              ;   in Loop: Header=BB78_23 Depth=1
	s_delay_alu instid0(SALU_CYCLE_1)
	s_or_b32 exec_lo, exec_lo, s11
	s_lshl_b32 s6, s103, 7
	s_and_saveexec_b32 s7, s1
	s_cbranch_execnz .LBB78_58
	s_branch .LBB78_59
.LBB78_88:                              ;   in Loop: Header=BB78_23 Depth=1
                                        ; implicit-def: $sgpr6_sgpr7
	s_branch .LBB78_67
.LBB78_89:                              ;   in Loop: Header=BB78_23 Depth=1
	s_mov_b32 s8, 0
	s_and_not1_b32 vcc_lo, exec_lo, s99
	s_wait_alu 0xfffe
	s_cbranch_vccnz .LBB78_92
.LBB78_90:                              ;   in Loop: Header=BB78_23 Depth=1
	s_lshl_b32 s9, s103, 10
	s_lshl_b32 s8, s8, 5
	s_wait_alu 0xfffe
	v_add3_u32 v2, s9, s8, v29
	s_mov_b32 s8, s96
.LBB78_91:                              ;   Parent Loop BB78_23 Depth=1
                                        ; =>  This Inner Loop Header: Depth=2
	ds_load_b64 v[6:7], v2
	v_add_nc_u32_e32 v2, 32, v2
	s_wait_alu 0xfffe
	s_add_co_i32 s8, s8, -1
	s_wait_alu 0xfffe
	s_cmp_lg_u32 s8, 0
	s_wait_dscnt 0x0
	v_add_co_u32 v4, vcc_lo, v6, v4
	s_wait_alu 0xfffd
	v_add_co_ci_u32_e64 v5, null, v7, v5, vcc_lo
	s_cbranch_scc1 .LBB78_91
.LBB78_92:                              ;   in Loop: Header=BB78_23 Depth=1
	v_add_lshl_u32 v2, s6, v25, 3
	ds_store_b64 v2, v[4:5] offset:3072
.LBB78_93:                              ;   in Loop: Header=BB78_23 Depth=1
	s_wait_alu 0xfffe
	s_or_b32 exec_lo, exec_lo, s7
	s_lshl_b32 s6, s6, 3
	s_wait_loadcnt_dscnt 0x0
	s_wait_alu 0xfffe
	v_mov_b32_e32 v2, s6
	s_barrier_signal -1
	s_barrier_wait -1
	global_inv scope:SCOPE_SE
	v_cmp_eq_u64_e32 vcc_lo, 1, v[19:20]
	ds_load_b128 v[4:7], v2 offset:3072
	ds_load_b128 v[8:11], v2 offset:3088
	s_lshl_b32 s16, 3, s100
	s_mov_b32 s18, -1
	s_wait_alu 0xfffe
	s_not_b32 s20, s16
                                        ; implicit-def: $sgpr22
                                        ; implicit-def: $sgpr21
	s_wait_dscnt 0x1
	v_cmp_eq_u64_e64 s6, 1, v[4:5]
	s_wait_dscnt 0x0
	v_readfirstlane_b32 s10, v8
	v_readfirstlane_b32 s11, v9
	;; [unrolled: 1-line block ×4, first 2 shown]
	s_and_b32 s19, s6, vcc_lo
	s_mov_b32 s6, -1
	s_wait_alu 0xfffe
	s_and_saveexec_b32 s17, s19
	s_cbranch_execz .LBB78_125
; %bb.94:                               ;   in Loop: Header=BB78_23 Depth=1
	ds_load_b64 v[8:9], v3 offset:5120
	s_wait_loadcnt_dscnt 0x0
	s_barrier_signal -1
	s_barrier_wait -1
	global_inv scope:SCOPE_SE
	v_readfirstlane_b32 s6, v8
	v_readfirstlane_b32 s7, v9
	s_and_saveexec_b32 s12, s3
; %bb.95:                               ;   in Loop: Header=BB78_23 Depth=1
	ds_store_b8 v0, v3 offset:3072
; %bb.96:                               ;   in Loop: Header=BB78_23 Depth=1
	s_wait_alu 0xfffe
	s_or_b32 exec_lo, exec_lo, s12
	v_and_b32_e32 v28, s20, v28
	v_or_b32_e32 v30, s16, v30
	s_mov_b32 s21, -1
	s_mov_b32 s22, 0
	s_cmp_eq_u64 s[6:7], 0
	s_mov_b32 s14, 0
	s_mov_b32 s15, -1
	s_wait_loadcnt_dscnt 0x0
	s_barrier_signal -1
	s_barrier_wait -1
	global_inv scope:SCOPE_SE
                                        ; implicit-def: $vgpr31
	s_cbranch_scc1 .LBB78_110
; %bb.97:                               ;   in Loop: Header=BB78_23 Depth=1
	s_add_nc_u64 s[12:13], s[6:7], s[72:73]
	s_mov_b32 s14, s71
	s_wait_alu 0xfffe
	s_mov_b32 s15, s13
	s_wait_alu 0xfffe
	s_cmp_lg_u64 s[14:15], 0
	s_cbranch_scc0 .LBB78_151
; %bb.98:                               ;   in Loop: Header=BB78_23 Depth=1
	s_cvt_f32_u32 s14, s66
	s_sub_nc_u64 s[24:25], 0, s[66:67]
	s_wait_alu 0xfffe
	s_delay_alu instid0(SALU_CYCLE_1) | instskip(SKIP_1) | instid1(SALU_CYCLE_2)
	s_fmamk_f32 s14, s102, 0x0, s14
	s_wait_alu 0xfffe
	v_s_rcp_f32 s14, s14
	s_delay_alu instid0(TRANS32_DEP_1) | instskip(SKIP_1) | instid1(SALU_CYCLE_2)
	s_mul_f32 s14, s14, 0x5f7ffffc
	s_wait_alu 0xfffe
	s_mul_f32 s15, s14, 0x2f800000
	s_wait_alu 0xfffe
	s_delay_alu instid0(SALU_CYCLE_2) | instskip(SKIP_1) | instid1(SALU_CYCLE_2)
	s_trunc_f32 s15, s15
	s_wait_alu 0xfffe
	s_fmamk_f32 s14, s15, 0xcf800000, s14
	s_cvt_u32_f32 s15, s15
	s_wait_alu 0xfffe
	s_delay_alu instid0(SALU_CYCLE_1) | instskip(SKIP_1) | instid1(SALU_CYCLE_2)
	s_cvt_u32_f32 s14, s14
	s_wait_alu 0xfffe
	s_mul_u64 s[44:45], s[24:25], s[14:15]
	s_wait_alu 0xfffe
	s_mul_hi_u32 s47, s14, s45
	s_mul_i32 s46, s14, s45
	s_mul_hi_u32 s70, s14, s44
	s_mul_i32 s78, s15, s44
	s_wait_alu 0xfffe
	s_add_nc_u64 s[46:47], s[70:71], s[46:47]
	s_mul_hi_u32 s23, s15, s44
	s_mul_hi_u32 s79, s15, s45
	s_mul_i32 s44, s15, s45
	s_wait_alu 0xfffe
	s_add_co_u32 s45, s46, s78
	s_add_co_ci_u32 s70, s47, s23
	s_add_co_ci_u32 s45, s79, 0
	s_wait_alu 0xfffe
	s_add_nc_u64 s[44:45], s[70:71], s[44:45]
	s_wait_alu 0xfffe
	s_add_co_u32 s14, s14, s44
	s_cselect_b32 s23, -1, 0
	s_wait_alu 0xfffe
	s_cmp_lg_u32 s23, 0
	s_add_co_ci_u32 s15, s15, s45
	s_wait_alu 0xfffe
	s_mul_u64 s[24:25], s[24:25], s[14:15]
	s_wait_alu 0xfffe
	s_mul_hi_u32 s45, s14, s25
	s_mul_i32 s44, s14, s25
	s_mul_hi_u32 s70, s14, s24
	s_mul_i32 s46, s15, s24
	s_wait_alu 0xfffe
	s_add_nc_u64 s[44:45], s[70:71], s[44:45]
	s_mul_hi_u32 s23, s15, s24
	s_mul_hi_u32 s47, s15, s25
	s_mul_i32 s24, s15, s25
	s_wait_alu 0xfffe
	s_add_co_u32 s25, s44, s46
	s_add_co_ci_u32 s70, s45, s23
	s_add_co_ci_u32 s25, s47, 0
	s_wait_alu 0xfffe
	s_add_nc_u64 s[24:25], s[70:71], s[24:25]
	s_wait_alu 0xfffe
	s_add_co_u32 s14, s14, s24
	s_cselect_b32 s23, -1, 0
	s_wait_alu 0xfffe
	s_mul_hi_u32 s70, s12, s14
	s_cmp_lg_u32 s23, 0
	s_mul_hi_u32 s23, s13, s14
	s_add_co_ci_u32 s24, s15, s25
	s_mul_i32 s25, s13, s14
	s_wait_alu 0xfffe
	s_mul_hi_u32 s15, s12, s24
	s_mul_i32 s14, s12, s24
	s_mul_hi_u32 s44, s13, s24
	s_wait_alu 0xfffe
	s_add_nc_u64 s[14:15], s[70:71], s[14:15]
	s_mul_i32 s24, s13, s24
	s_wait_alu 0xfffe
	s_add_co_u32 s14, s14, s25
	s_add_co_ci_u32 s70, s15, s23
	s_add_co_ci_u32 s25, s44, 0
	s_wait_alu 0xfffe
	s_add_nc_u64 s[14:15], s[70:71], s[24:25]
	s_wait_alu 0xfffe
	s_mul_u64 s[14:15], s[66:67], s[14:15]
	s_wait_alu 0xfffe
	s_sub_co_u32 s14, s12, s14
	s_cselect_b32 s23, -1, 0
	s_wait_alu 0xfffe
	s_cmp_lg_u32 s23, 0
	s_sub_co_ci_u32 s15, s13, s15
	s_sub_co_u32 s23, s14, s66
	s_cselect_b32 s24, -1, 0
	s_wait_alu 0xfffe
	s_cmp_lg_u32 s24, 0
	s_sub_co_ci_u32 s24, s15, 0
	;; [unrolled: 5-line block ×3, first 2 shown]
	s_cmp_ge_u32 s23, s66
	s_cselect_b32 s45, -1, 0
	s_cmp_eq_u32 s24, 0
	s_wait_alu 0xfffe
	s_cselect_b32 s45, s45, -1
	s_wait_alu 0xfffe
	s_cmp_lg_u32 s45, 0
	s_cselect_b32 s24, s44, s24
	s_cselect_b32 s23, s25, s23
	s_cmp_ge_u32 s14, s66
	s_cselect_b32 s25, -1, 0
	s_cmp_eq_u32 s15, 0
	s_wait_alu 0xfffe
	s_cselect_b32 s25, s25, -1
	s_wait_alu 0xfffe
	s_cmp_lg_u32 s25, 0
	s_cselect_b32 s15, s24, s15
	s_cselect_b32 s14, s23, s14
	s_cbranch_execnz .LBB78_100
.LBB78_99:                              ;   in Loop: Header=BB78_23 Depth=1
	v_cvt_f32_u32_e32 v2, s66
	s_sub_co_i32 s15, 0, s66
	s_delay_alu instid0(VALU_DEP_1) | instskip(NEXT) | instid1(TRANS32_DEP_1)
	v_rcp_iflag_f32_e32 v2, v2
	v_mul_f32_e32 v2, 0x4f7ffffe, v2
	s_delay_alu instid0(VALU_DEP_1) | instskip(NEXT) | instid1(VALU_DEP_1)
	v_cvt_u32_f32_e32 v2, v2
	v_readfirstlane_b32 s14, v2
	s_wait_alu 0xfffe
	s_mul_i32 s15, s15, s14
	s_wait_alu 0xfffe
	s_mul_hi_u32 s15, s14, s15
	s_wait_alu 0xfffe
	s_add_co_i32 s14, s14, s15
	s_wait_alu 0xfffe
	s_mul_hi_u32 s14, s12, s14
	s_wait_alu 0xfffe
	s_mul_i32 s14, s14, s66
	s_wait_alu 0xfffe
	s_sub_co_i32 s14, s12, s14
	s_wait_alu 0xfffe
	s_sub_co_i32 s15, s14, s66
	s_cmp_ge_u32 s14, s66
	s_wait_alu 0xfffe
	s_cselect_b32 s14, s15, s14
	s_wait_alu 0xfffe
	s_sub_co_i32 s15, s14, s66
	s_cmp_ge_u32 s14, s66
	s_wait_alu 0xfffe
	s_cselect_b32 s70, s15, s14
	s_wait_alu 0xfffe
	s_mov_b64 s[14:15], s[70:71]
.LBB78_100:                             ;   in Loop: Header=BB78_23 Depth=1
	s_wait_alu 0xfffe
	s_sub_nc_u64 s[12:13], s[12:13], s[14:15]
	s_mov_b32 s15, 0
	s_mov_b32 s14, 0
	s_mov_b32 s23, exec_lo
                                        ; implicit-def: $vgpr31
	s_wait_alu 0xfffe
	v_cmpx_gt_u64_e64 s[12:13], v[0:1]
	s_cbranch_execz .LBB78_109
; %bb.101:                              ;   in Loop: Header=BB78_23 Depth=1
	v_dual_mov_b32 v2, v0 :: v_dual_mov_b32 v9, v1
	v_mov_b32_e32 v8, v0
                                        ; implicit-def: $sgpr24
	s_branch .LBB78_104
.LBB78_102:                             ;   in Loop: Header=BB78_104 Depth=2
	s_wait_alu 0xfffe
	s_or_b32 exec_lo, exec_lo, s25
	s_wait_loadcnt_dscnt 0x0
	s_barrier_signal -1
	s_barrier_wait -1
	global_inv scope:SCOPE_SE
	ds_load_u16 v10, v3 offset:3072
	s_mov_b32 s25, -1
	s_mov_b32 s44, -1
	s_wait_loadcnt_dscnt 0x0
	s_barrier_signal -1
	s_barrier_wait -1
	global_inv scope:SCOPE_SE
	v_and_b32_e32 v11, 0xff, v10
	s_delay_alu instid0(VALU_DEP_1)
	v_cmp_ne_u32_e32 vcc_lo, 0, v11
	s_cbranch_vccz .LBB78_107
.LBB78_103:                             ;   in Loop: Header=BB78_104 Depth=2
	s_wait_alu 0xfffe
	s_and_b32 s25, exec_lo, s25
	s_wait_alu 0xfffe
	s_or_b32 s14, s25, s14
	s_and_not1_b32 s24, s24, exec_lo
	s_and_b32 s25, s44, exec_lo
	s_wait_alu 0xfffe
	s_or_b32 s24, s24, s25
	s_and_not1_b32 exec_lo, exec_lo, s14
	s_cbranch_execz .LBB78_108
.LBB78_104:                             ;   Parent Loop BB78_23 Depth=1
                                        ; =>  This Inner Loop Header: Depth=2
	s_mov_b32 s25, exec_lo
	s_delay_alu instid0(VALU_DEP_1)
	v_cmpx_gt_u64_e64 s[6:7], v[8:9]
	s_cbranch_execz .LBB78_102
; %bb.105:                              ;   in Loop: Header=BB78_104 Depth=2
	ds_load_u8 v10, v2
	s_wait_dscnt 0x0
	v_and_b32_e32 v11, v10, v30
	s_delay_alu instid0(VALU_DEP_1) | instskip(NEXT) | instid1(VALU_DEP_1)
	v_and_b32_e32 v11, 0xff, v11
	v_cmp_eq_u32_e32 vcc_lo, v11, v28
	s_and_b32 exec_lo, exec_lo, vcc_lo
	s_cbranch_execz .LBB78_102
; %bb.106:                              ;   in Loop: Header=BB78_104 Depth=2
	v_lshlrev_b16 v10, 8, v10
	s_delay_alu instid0(VALU_DEP_1)
	v_or_b32_e32 v10, 1, v10
	ds_store_b16 v3, v10 offset:3072
	s_branch .LBB78_102
.LBB78_107:                             ;   in Loop: Header=BB78_104 Depth=2
	v_add_co_u32 v8, vcc_lo, v8, s66
	s_wait_alu 0xfffd
	v_add_co_ci_u32_e64 v9, null, 0, v9, vcc_lo
	v_add_nc_u32_e32 v2, s66, v2
	s_mov_b32 s44, 0
	s_delay_alu instid0(VALU_DEP_2)
	v_cmp_le_u64_e32 vcc_lo, s[12:13], v[8:9]
	s_or_not1_b32 s25, vcc_lo, exec_lo
	s_branch .LBB78_103
.LBB78_108:                             ;   in Loop: Header=BB78_23 Depth=1
	s_or_b32 exec_lo, exec_lo, s14
	v_and_b32_e32 v2, 0xffff, v10
	s_wait_alu 0xfffe
	s_and_b32 s14, s24, exec_lo
	s_delay_alu instid0(VALU_DEP_1)
	v_lshrrev_b32_e32 v31, 8, v2
.LBB78_109:                             ;   in Loop: Header=BB78_23 Depth=1
	s_or_b32 exec_lo, exec_lo, s23
.LBB78_110:                             ;   in Loop: Header=BB78_23 Depth=1
	s_wait_alu 0xfffe
	s_and_b32 vcc_lo, exec_lo, s15
	s_wait_alu 0xfffe
	s_cbranch_vccz .LBB78_124
; %bb.111:                              ;   in Loop: Header=BB78_23 Depth=1
	s_mov_b32 s6, s71
	s_mov_b32 s7, s75
	s_wait_alu 0xfffe
	s_cmp_lg_u64 s[6:7], 0
	s_cbranch_scc0 .LBB78_155
; %bb.112:                              ;   in Loop: Header=BB78_23 Depth=1
	s_cvt_f32_u32 s6, s66
	s_sub_nc_u64 s[12:13], 0, s[66:67]
	s_wait_alu 0xfffe
	s_delay_alu instid0(SALU_CYCLE_1) | instskip(SKIP_1) | instid1(SALU_CYCLE_2)
	s_fmamk_f32 s6, s102, 0x0, s6
	s_wait_alu 0xfffe
	v_s_rcp_f32 s6, s6
	s_delay_alu instid0(TRANS32_DEP_1) | instskip(SKIP_1) | instid1(SALU_CYCLE_2)
	s_mul_f32 s6, s6, 0x5f7ffffc
	s_wait_alu 0xfffe
	s_mul_f32 s7, s6, 0x2f800000
	s_wait_alu 0xfffe
	s_delay_alu instid0(SALU_CYCLE_2) | instskip(SKIP_1) | instid1(SALU_CYCLE_2)
	s_trunc_f32 s7, s7
	s_wait_alu 0xfffe
	s_fmamk_f32 s6, s7, 0xcf800000, s6
	s_cvt_u32_f32 s7, s7
	s_wait_alu 0xfffe
	s_delay_alu instid0(SALU_CYCLE_1) | instskip(SKIP_1) | instid1(SALU_CYCLE_2)
	s_cvt_u32_f32 s6, s6
	s_wait_alu 0xfffe
	s_mul_u64 s[22:23], s[12:13], s[6:7]
	s_wait_alu 0xfffe
	s_mul_hi_u32 s25, s6, s23
	s_mul_i32 s24, s6, s23
	s_mul_hi_u32 s70, s6, s22
	s_mul_i32 s21, s7, s22
	s_wait_alu 0xfffe
	s_add_nc_u64 s[24:25], s[70:71], s[24:25]
	s_mul_hi_u32 s15, s7, s22
	s_mul_hi_u32 s44, s7, s23
	s_wait_alu 0xfffe
	s_add_co_u32 s21, s24, s21
	s_add_co_ci_u32 s70, s25, s15
	s_mul_i32 s22, s7, s23
	s_add_co_ci_u32 s23, s44, 0
	s_wait_alu 0xfffe
	s_add_nc_u64 s[22:23], s[70:71], s[22:23]
	s_wait_alu 0xfffe
	s_add_co_u32 s6, s6, s22
	s_cselect_b32 s15, -1, 0
	s_wait_alu 0xfffe
	s_cmp_lg_u32 s15, 0
	s_add_co_ci_u32 s7, s7, s23
	s_wait_alu 0xfffe
	s_mul_u64 s[12:13], s[12:13], s[6:7]
	s_wait_alu 0xfffe
	s_mul_hi_u32 s23, s6, s13
	s_mul_i32 s22, s6, s13
	s_mul_hi_u32 s70, s6, s12
	s_mul_i32 s21, s7, s12
	s_wait_alu 0xfffe
	s_add_nc_u64 s[22:23], s[70:71], s[22:23]
	s_mul_hi_u32 s15, s7, s12
	s_mul_hi_u32 s24, s7, s13
	s_mul_i32 s12, s7, s13
	s_wait_alu 0xfffe
	s_add_co_u32 s13, s22, s21
	s_add_co_ci_u32 s70, s23, s15
	s_add_co_ci_u32 s13, s24, 0
	s_wait_alu 0xfffe
	s_add_nc_u64 s[12:13], s[70:71], s[12:13]
	s_wait_alu 0xfffe
	s_add_co_u32 s6, s6, s12
	s_cselect_b32 s12, -1, 0
	s_wait_alu 0xfffe
	s_mul_hi_u32 s70, s74, s6
	s_cmp_lg_u32 s12, 0
	s_mul_hi_u32 s15, s75, s6
	s_add_co_ci_u32 s12, s7, s13
	s_mul_i32 s13, s75, s6
	s_wait_alu 0xfffe
	s_mul_hi_u32 s7, s74, s12
	s_mul_i32 s6, s74, s12
	s_mul_hi_u32 s21, s75, s12
	s_wait_alu 0xfffe
	s_add_nc_u64 s[6:7], s[70:71], s[6:7]
	s_mul_i32 s12, s75, s12
	s_wait_alu 0xfffe
	s_add_co_u32 s6, s6, s13
	s_add_co_ci_u32 s70, s7, s15
	s_add_co_ci_u32 s13, s21, 0
	s_wait_alu 0xfffe
	s_add_nc_u64 s[6:7], s[70:71], s[12:13]
	s_wait_alu 0xfffe
	s_mul_u64 s[6:7], s[66:67], s[6:7]
	s_wait_alu 0xfffe
	s_sub_co_u32 s6, s74, s6
	s_cselect_b32 s12, -1, 0
	s_wait_alu 0xfffe
	s_cmp_lg_u32 s12, 0
	s_sub_co_ci_u32 s7, s75, s7
	s_sub_co_u32 s12, s6, s66
	s_cselect_b32 s13, -1, 0
	s_wait_alu 0xfffe
	s_cmp_lg_u32 s13, 0
	s_sub_co_ci_u32 s13, s7, 0
	;; [unrolled: 5-line block ×3, first 2 shown]
	s_cmp_ge_u32 s12, s66
	s_cselect_b32 s22, -1, 0
	s_cmp_eq_u32 s13, 0
	s_wait_alu 0xfffe
	s_cselect_b32 s22, s22, -1
	s_wait_alu 0xfffe
	s_cmp_lg_u32 s22, 0
	s_cselect_b32 s13, s21, s13
	s_cselect_b32 s12, s15, s12
	s_cmp_ge_u32 s6, s66
	s_cselect_b32 s15, -1, 0
	s_cmp_eq_u32 s7, 0
	s_wait_alu 0xfffe
	s_cselect_b32 s15, s15, -1
	s_wait_alu 0xfffe
	s_cmp_lg_u32 s15, 0
	s_cselect_b32 s7, s13, s7
	s_cselect_b32 s6, s12, s6
	s_cbranch_execnz .LBB78_114
.LBB78_113:                             ;   in Loop: Header=BB78_23 Depth=1
	v_cvt_f32_u32_e32 v2, s66
	s_sub_co_i32 s7, 0, s66
	s_delay_alu instid0(VALU_DEP_1) | instskip(NEXT) | instid1(TRANS32_DEP_1)
	v_rcp_iflag_f32_e32 v2, v2
	v_mul_f32_e32 v2, 0x4f7ffffe, v2
	s_delay_alu instid0(VALU_DEP_1) | instskip(NEXT) | instid1(VALU_DEP_1)
	v_cvt_u32_f32_e32 v2, v2
	v_readfirstlane_b32 s6, v2
	s_wait_alu 0xfffe
	s_mul_i32 s7, s7, s6
	s_wait_alu 0xfffe
	s_mul_hi_u32 s7, s6, s7
	s_wait_alu 0xfffe
	s_add_co_i32 s6, s6, s7
	s_wait_alu 0xfffe
	s_mul_hi_u32 s6, s74, s6
	s_wait_alu 0xfffe
	s_mul_i32 s6, s6, s66
	s_wait_alu 0xfffe
	s_sub_co_i32 s6, s74, s6
	s_wait_alu 0xfffe
	s_sub_co_i32 s7, s6, s66
	s_cmp_ge_u32 s6, s66
	s_wait_alu 0xfffe
	s_cselect_b32 s6, s7, s6
	s_wait_alu 0xfffe
	s_sub_co_i32 s7, s6, s66
	s_cmp_ge_u32 s6, s66
	s_wait_alu 0xfffe
	s_cselect_b32 s70, s7, s6
	s_wait_alu 0xfffe
	s_mov_b64 s[6:7], s[70:71]
.LBB78_114:                             ;   in Loop: Header=BB78_23 Depth=1
	s_wait_alu 0xfffe
	s_sub_nc_u64 s[6:7], s[74:75], s[6:7]
	s_mov_b32 s12, exec_lo
                                        ; implicit-def: $vgpr31
	s_wait_alu 0xfffe
	v_cmpx_gt_u64_e64 s[6:7], v[0:1]
	s_cbranch_execz .LBB78_123
; %bb.115:                              ;   in Loop: Header=BB78_23 Depth=1
	v_dual_mov_b32 v9, v1 :: v_dual_mov_b32 v8, v0
	s_mov_b32 s15, 0
                                        ; implicit-def: $sgpr13
	s_branch .LBB78_118
.LBB78_116:                             ;   in Loop: Header=BB78_118 Depth=2
	s_wait_alu 0xfffe
	s_or_b32 exec_lo, exec_lo, s21
	s_wait_loadcnt_dscnt 0x0
	s_barrier_signal -1
	s_barrier_wait -1
	global_inv scope:SCOPE_SE
	ds_load_u16 v2, v3 offset:3072
	s_mov_b32 s22, -1
	s_mov_b32 s21, -1
	s_wait_loadcnt_dscnt 0x0
	s_barrier_signal -1
	s_barrier_wait -1
	global_inv scope:SCOPE_SE
	v_and_b32_e32 v10, 0xff, v2
	s_delay_alu instid0(VALU_DEP_1)
	v_cmp_ne_u32_e32 vcc_lo, 0, v10
	s_cbranch_vccz .LBB78_121
.LBB78_117:                             ;   in Loop: Header=BB78_118 Depth=2
	s_wait_alu 0xfffe
	s_and_b32 s22, exec_lo, s22
	s_wait_alu 0xfffe
	s_or_b32 s15, s22, s15
	s_and_not1_b32 s13, s13, exec_lo
	s_and_b32 s21, s21, exec_lo
	s_wait_alu 0xfffe
	s_or_b32 s13, s13, s21
	s_and_not1_b32 exec_lo, exec_lo, s15
	s_cbranch_execz .LBB78_122
.LBB78_118:                             ;   Parent Loop BB78_23 Depth=1
                                        ; =>  This Inner Loop Header: Depth=2
	s_mov_b32 s21, exec_lo
	s_delay_alu instid0(VALU_DEP_1)
	v_cmpx_gt_u64_e64 s[28:29], v[8:9]
	s_cbranch_execz .LBB78_116
; %bb.119:                              ;   in Loop: Header=BB78_118 Depth=2
	v_mad_co_u64_u32 v[10:11], null, v8, s56, s[60:61]
	v_mul_lo_u32 v2, v8, s57
	v_mul_lo_u32 v21, v9, s56
	s_delay_alu instid0(VALU_DEP_1) | instskip(SKIP_3) | instid1(VALU_DEP_1)
	v_add3_u32 v11, v21, v11, v2
	global_load_u8 v2, v[10:11], off
	s_wait_loadcnt 0x0
	v_and_b32_e32 v10, v2, v30
	v_and_b32_e32 v10, 0xff, v10
	s_delay_alu instid0(VALU_DEP_1)
	v_cmp_eq_u32_e32 vcc_lo, v10, v28
	s_and_b32 exec_lo, exec_lo, vcc_lo
	s_cbranch_execz .LBB78_116
; %bb.120:                              ;   in Loop: Header=BB78_118 Depth=2
	v_lshlrev_b16 v2, 8, v2
	s_delay_alu instid0(VALU_DEP_1)
	v_or_b32_e32 v2, 1, v2
	ds_store_b16 v3, v2 offset:3072
	s_branch .LBB78_116
.LBB78_121:                             ;   in Loop: Header=BB78_118 Depth=2
	v_add_co_u32 v8, vcc_lo, v8, s66
	s_wait_alu 0xfffd
	v_add_co_ci_u32_e64 v9, null, 0, v9, vcc_lo
	s_mov_b32 s21, 0
	v_cmp_le_u64_e32 vcc_lo, s[6:7], v[8:9]
	s_or_not1_b32 s22, vcc_lo, exec_lo
	s_branch .LBB78_117
.LBB78_122:                             ;   in Loop: Header=BB78_23 Depth=1
	s_or_b32 exec_lo, exec_lo, s15
	v_and_b32_e32 v2, 0xffff, v2
	s_and_not1_b32 s6, s14, exec_lo
	s_wait_alu 0xfffe
	s_and_b32 s7, s13, exec_lo
	s_wait_alu 0xfffe
	s_or_b32 s14, s6, s7
	v_lshrrev_b32_e32 v31, 8, v2
.LBB78_123:                             ;   in Loop: Header=BB78_23 Depth=1
	s_or_b32 exec_lo, exec_lo, s12
	s_mov_b32 s21, 0
	s_mov_b32 s22, -1
.LBB78_124:                             ;   in Loop: Header=BB78_23 Depth=1
	s_wait_alu 0xfffe
	s_or_not1_b32 s6, s14, exec_lo
.LBB78_125:                             ;   in Loop: Header=BB78_23 Depth=1
	s_wait_alu 0xfffe
	s_or_b32 exec_lo, exec_lo, s17
	s_delay_alu instid0(SALU_CYCLE_1)
	s_and_not1_b32 s7, s64, exec_lo
	s_and_b32 s12, s22, exec_lo
	s_and_not1_b32 s13, s58, exec_lo
	s_and_b32 s14, s21, exec_lo
	s_and_not1_b32 vcc_hi, vcc_hi, exec_lo
	s_wait_alu 0xfffe
	s_or_b32 s64, s7, s12
	s_or_b32 s58, s13, s14
                                        ; implicit-def: $vgpr8_vgpr9
	s_and_saveexec_b32 s17, s6
	s_cbranch_execz .LBB78_22
; %bb.126:                              ;   in Loop: Header=BB78_23 Depth=1
	v_mov_b32_e32 v8, 1
	v_dual_mov_b32 v9, 0 :: v_dual_mov_b32 v2, 1
	s_xor_b32 s12, s19, -1
	s_mov_b32 s7, 0
	s_wait_alu 0xfffe
	s_and_saveexec_b32 s6, s12
	s_cbranch_execz .LBB78_135
; %bb.127:                              ;   in Loop: Header=BB78_23 Depth=1
	s_mov_b32 s7, exec_lo
	v_cmpx_le_u64_e64 v[19:20], v[4:5]
	s_wait_alu 0xfffe
	s_xor_b32 s7, exec_lo, s7
	s_cbranch_execz .LBB78_132
; %bb.128:                              ;   in Loop: Header=BB78_23 Depth=1
	ds_load_b64 v[8:9], v3 offset:5120
	v_and_b32_e32 v28, s20, v28
	v_or_b32_e32 v30, s16, v30
	s_wait_dscnt 0x0
	v_cmp_ne_u64_e32 vcc_lo, 0, v[8:9]
	s_cbranch_vccnz .LBB78_132
; %bb.129:                              ;   in Loop: Header=BB78_23 Depth=1
	s_and_saveexec_b32 s12, s2
; %bb.130:                              ;   in Loop: Header=BB78_23 Depth=1
	ds_store_b64 v3, v[4:5] offset:5128
; %bb.131:                              ;   in Loop: Header=BB78_23 Depth=1
	s_wait_alu 0xfffe
	s_or_b32 exec_lo, exec_lo, s12
	s_wait_loadcnt_dscnt 0x0
	s_barrier_signal -1
	s_barrier_wait -1
	global_inv scope:SCOPE_SE
.LBB78_132:                             ;   in Loop: Header=BB78_23 Depth=1
	s_wait_alu 0xfffe
	s_or_saveexec_b32 s7, s7
	v_mov_b32_e32 v2, 8
	s_mov_b32 s12, 0
	s_wait_alu 0xfffe
	s_xor_b32 exec_lo, exec_lo, s7
; %bb.133:                              ;   in Loop: Header=BB78_23 Depth=1
	v_sub_co_u32 v19, vcc_lo, v19, v4
	s_wait_alu 0xfffd
	v_sub_co_ci_u32_e64 v20, null, v20, v5, vcc_lo
	v_mov_b32_e32 v2, 0
	s_mov_b32 s12, exec_lo
; %bb.134:                              ;   in Loop: Header=BB78_23 Depth=1
	s_or_b32 exec_lo, exec_lo, s7
	s_delay_alu instid0(VALU_DEP_2)
	v_dual_mov_b32 v8, v19 :: v_dual_mov_b32 v9, v20
	s_wait_alu 0xfffe
	s_and_b32 s7, s12, exec_lo
.LBB78_135:                             ;   in Loop: Header=BB78_23 Depth=1
	s_wait_alu 0xfffe
	s_or_b32 exec_lo, exec_lo, s6
	s_mov_b32 s18, -1
	s_mov_b32 s6, -1
                                        ; implicit-def: $sgpr21
                                        ; implicit-def: $sgpr22
	s_and_saveexec_b32 s12, s7
	s_wait_alu 0xfffe
	s_xor_b32 s19, exec_lo, s12
	s_cbranch_execz .LBB78_280
; %bb.136:                              ;   in Loop: Header=BB78_23 Depth=1
	v_cmp_eq_u64_e32 vcc_lo, 1, v[6:7]
	v_cmp_eq_u64_e64 s6, 1, v[8:9]
                                        ; implicit-def: $sgpr22
                                        ; implicit-def: $sgpr21
	s_and_b32 s24, vcc_lo, s6
	s_mov_b32 s6, -1
	s_wait_alu 0xfffe
	s_and_saveexec_b32 s23, s24
	s_cbranch_execz .LBB78_173
; %bb.137:                              ;   in Loop: Header=BB78_23 Depth=1
	ds_load_b64 v[4:5], v3 offset:5120
	s_wait_loadcnt_dscnt 0x0
	s_barrier_signal -1
	s_barrier_wait -1
	global_inv scope:SCOPE_SE
	v_readfirstlane_b32 s6, v4
	v_readfirstlane_b32 s7, v5
	s_and_saveexec_b32 s12, s3
; %bb.138:                              ;   in Loop: Header=BB78_23 Depth=1
	ds_store_b8 v0, v3 offset:3072
; %bb.139:                              ;   in Loop: Header=BB78_23 Depth=1
	s_wait_alu 0xfffe
	s_or_b32 exec_lo, exec_lo, s12
	s_lshl_b32 s12, 1, s100
	v_or_b32_e32 v30, s16, v30
	s_wait_alu 0xfffe
	v_and_or_b32 v28, v28, s20, s12
	s_mov_b32 s21, -1
	s_mov_b32 s22, 0
	s_cmp_eq_u64 s[6:7], 0
	s_mov_b32 s14, 0
	s_mov_b32 s15, -1
	s_wait_loadcnt_dscnt 0x0
	s_barrier_signal -1
	s_barrier_wait -1
	global_inv scope:SCOPE_SE
                                        ; implicit-def: $vgpr31
	s_cbranch_scc1 .LBB78_158
; %bb.140:                              ;   in Loop: Header=BB78_23 Depth=1
	s_add_nc_u64 s[12:13], s[6:7], s[72:73]
	s_mov_b32 s14, s71
	s_wait_alu 0xfffe
	s_mov_b32 s15, s13
	s_wait_alu 0xfffe
	s_cmp_lg_u64 s[14:15], 0
	s_cbranch_scc0 .LBB78_200
; %bb.141:                              ;   in Loop: Header=BB78_23 Depth=1
	s_cvt_f32_u32 s14, s66
	s_sub_nc_u64 s[44:45], 0, s[66:67]
	s_wait_alu 0xfffe
	s_delay_alu instid0(SALU_CYCLE_1) | instskip(SKIP_1) | instid1(SALU_CYCLE_2)
	s_fmamk_f32 s14, s102, 0x0, s14
	s_wait_alu 0xfffe
	v_s_rcp_f32 s14, s14
	s_delay_alu instid0(TRANS32_DEP_1) | instskip(SKIP_1) | instid1(SALU_CYCLE_2)
	s_mul_f32 s14, s14, 0x5f7ffffc
	s_wait_alu 0xfffe
	s_mul_f32 s15, s14, 0x2f800000
	s_wait_alu 0xfffe
	s_delay_alu instid0(SALU_CYCLE_2) | instskip(SKIP_1) | instid1(SALU_CYCLE_2)
	s_trunc_f32 s15, s15
	s_wait_alu 0xfffe
	s_fmamk_f32 s14, s15, 0xcf800000, s14
	s_cvt_u32_f32 s15, s15
	s_wait_alu 0xfffe
	s_delay_alu instid0(SALU_CYCLE_1) | instskip(SKIP_1) | instid1(SALU_CYCLE_2)
	s_cvt_u32_f32 s14, s14
	s_wait_alu 0xfffe
	s_mul_u64 s[46:47], s[44:45], s[14:15]
	s_wait_alu 0xfffe
	s_mul_hi_u32 s79, s14, s47
	s_mul_i32 s78, s14, s47
	s_mul_hi_u32 s70, s14, s46
	s_mul_i32 s80, s15, s46
	s_wait_alu 0xfffe
	s_add_nc_u64 s[78:79], s[70:71], s[78:79]
	s_mul_hi_u32 s25, s15, s46
	s_mul_hi_u32 s81, s15, s47
	s_mul_i32 s46, s15, s47
	s_wait_alu 0xfffe
	s_add_co_u32 s47, s78, s80
	s_add_co_ci_u32 s70, s79, s25
	s_add_co_ci_u32 s47, s81, 0
	s_wait_alu 0xfffe
	s_add_nc_u64 s[46:47], s[70:71], s[46:47]
	s_wait_alu 0xfffe
	s_add_co_u32 s14, s14, s46
	s_cselect_b32 s25, -1, 0
	s_wait_alu 0xfffe
	s_cmp_lg_u32 s25, 0
	s_add_co_ci_u32 s15, s15, s47
	s_wait_alu 0xfffe
	s_mul_u64 s[44:45], s[44:45], s[14:15]
	s_wait_alu 0xfffe
	s_mul_hi_u32 s47, s14, s45
	s_mul_i32 s46, s14, s45
	s_mul_hi_u32 s70, s14, s44
	s_mul_i32 s78, s15, s44
	s_wait_alu 0xfffe
	s_add_nc_u64 s[46:47], s[70:71], s[46:47]
	s_mul_hi_u32 s25, s15, s44
	s_mul_hi_u32 s79, s15, s45
	s_mul_i32 s44, s15, s45
	s_wait_alu 0xfffe
	s_add_co_u32 s45, s46, s78
	s_add_co_ci_u32 s70, s47, s25
	s_add_co_ci_u32 s45, s79, 0
	s_wait_alu 0xfffe
	s_add_nc_u64 s[44:45], s[70:71], s[44:45]
	s_wait_alu 0xfffe
	s_add_co_u32 s14, s14, s44
	s_cselect_b32 s25, -1, 0
	s_wait_alu 0xfffe
	s_mul_hi_u32 s70, s12, s14
	s_cmp_lg_u32 s25, 0
	s_mul_hi_u32 s25, s13, s14
	s_add_co_ci_u32 s44, s15, s45
	s_mul_i32 s45, s13, s14
	s_wait_alu 0xfffe
	s_mul_hi_u32 s15, s12, s44
	s_mul_i32 s14, s12, s44
	s_mul_hi_u32 s46, s13, s44
	s_wait_alu 0xfffe
	s_add_nc_u64 s[14:15], s[70:71], s[14:15]
	s_mul_i32 s44, s13, s44
	s_wait_alu 0xfffe
	s_add_co_u32 s14, s14, s45
	s_add_co_ci_u32 s70, s15, s25
	s_add_co_ci_u32 s45, s46, 0
	s_wait_alu 0xfffe
	s_add_nc_u64 s[14:15], s[70:71], s[44:45]
	s_wait_alu 0xfffe
	s_mul_u64 s[14:15], s[66:67], s[14:15]
	s_wait_alu 0xfffe
	s_sub_co_u32 s14, s12, s14
	s_cselect_b32 s25, -1, 0
	s_wait_alu 0xfffe
	s_cmp_lg_u32 s25, 0
	s_sub_co_ci_u32 s15, s13, s15
	s_sub_co_u32 s25, s14, s66
	s_cselect_b32 s44, -1, 0
	s_wait_alu 0xfffe
	s_cmp_lg_u32 s44, 0
	s_sub_co_ci_u32 s44, s15, 0
	;; [unrolled: 5-line block ×3, first 2 shown]
	s_cmp_ge_u32 s25, s66
	s_cselect_b32 s47, -1, 0
	s_cmp_eq_u32 s44, 0
	s_wait_alu 0xfffe
	s_cselect_b32 s47, s47, -1
	s_wait_alu 0xfffe
	s_cmp_lg_u32 s47, 0
	s_cselect_b32 s44, s46, s44
	s_cselect_b32 s25, s45, s25
	s_cmp_ge_u32 s14, s66
	s_cselect_b32 s45, -1, 0
	s_cmp_eq_u32 s15, 0
	s_wait_alu 0xfffe
	s_cselect_b32 s45, s45, -1
	s_wait_alu 0xfffe
	s_cmp_lg_u32 s45, 0
	s_cselect_b32 s15, s44, s15
	s_cselect_b32 s14, s25, s14
	s_cbranch_execnz .LBB78_143
.LBB78_142:                             ;   in Loop: Header=BB78_23 Depth=1
	v_cvt_f32_u32_e32 v4, s66
	s_sub_co_i32 s15, 0, s66
	s_delay_alu instid0(VALU_DEP_1) | instskip(NEXT) | instid1(TRANS32_DEP_1)
	v_rcp_iflag_f32_e32 v4, v4
	v_mul_f32_e32 v4, 0x4f7ffffe, v4
	s_delay_alu instid0(VALU_DEP_1) | instskip(NEXT) | instid1(VALU_DEP_1)
	v_cvt_u32_f32_e32 v4, v4
	v_readfirstlane_b32 s14, v4
	s_wait_alu 0xfffe
	s_mul_i32 s15, s15, s14
	s_wait_alu 0xfffe
	s_mul_hi_u32 s15, s14, s15
	s_wait_alu 0xfffe
	s_add_co_i32 s14, s14, s15
	s_wait_alu 0xfffe
	s_mul_hi_u32 s14, s12, s14
	s_wait_alu 0xfffe
	s_mul_i32 s14, s14, s66
	s_wait_alu 0xfffe
	s_sub_co_i32 s14, s12, s14
	s_wait_alu 0xfffe
	s_sub_co_i32 s15, s14, s66
	s_cmp_ge_u32 s14, s66
	s_wait_alu 0xfffe
	s_cselect_b32 s14, s15, s14
	s_wait_alu 0xfffe
	s_sub_co_i32 s15, s14, s66
	s_cmp_ge_u32 s14, s66
	s_wait_alu 0xfffe
	s_cselect_b32 s70, s15, s14
	s_wait_alu 0xfffe
	s_mov_b64 s[14:15], s[70:71]
.LBB78_143:                             ;   in Loop: Header=BB78_23 Depth=1
	s_wait_alu 0xfffe
	s_sub_nc_u64 s[12:13], s[12:13], s[14:15]
	s_mov_b32 s15, 0
	s_mov_b32 s14, 0
	s_mov_b32 s25, exec_lo
                                        ; implicit-def: $vgpr31
	s_wait_alu 0xfffe
	v_cmpx_gt_u64_e64 s[12:13], v[0:1]
	s_cbranch_execz .LBB78_157
; %bb.144:                              ;   in Loop: Header=BB78_23 Depth=1
	v_dual_mov_b32 v10, v0 :: v_dual_mov_b32 v5, v1
	v_mov_b32_e32 v4, v0
                                        ; implicit-def: $sgpr44
	s_branch .LBB78_147
.LBB78_145:                             ;   in Loop: Header=BB78_147 Depth=2
	s_wait_alu 0xfffe
	s_or_b32 exec_lo, exec_lo, s45
	s_wait_loadcnt_dscnt 0x0
	s_barrier_signal -1
	s_barrier_wait -1
	global_inv scope:SCOPE_SE
	ds_load_u16 v11, v3 offset:3072
	s_mov_b32 s45, -1
	s_mov_b32 s46, -1
	s_wait_loadcnt_dscnt 0x0
	s_barrier_signal -1
	s_barrier_wait -1
	global_inv scope:SCOPE_SE
	v_and_b32_e32 v19, 0xff, v11
	s_delay_alu instid0(VALU_DEP_1)
	v_cmp_ne_u32_e32 vcc_lo, 0, v19
	s_cbranch_vccz .LBB78_150
.LBB78_146:                             ;   in Loop: Header=BB78_147 Depth=2
	s_wait_alu 0xfffe
	s_and_b32 s45, exec_lo, s45
	s_wait_alu 0xfffe
	s_or_b32 s14, s45, s14
	s_and_not1_b32 s44, s44, exec_lo
	s_and_b32 s45, s46, exec_lo
	s_wait_alu 0xfffe
	s_or_b32 s44, s44, s45
	s_and_not1_b32 exec_lo, exec_lo, s14
	s_cbranch_execz .LBB78_156
.LBB78_147:                             ;   Parent Loop BB78_23 Depth=1
                                        ; =>  This Inner Loop Header: Depth=2
	s_mov_b32 s45, exec_lo
	s_delay_alu instid0(VALU_DEP_1)
	v_cmpx_gt_u64_e64 s[6:7], v[4:5]
	s_cbranch_execz .LBB78_145
; %bb.148:                              ;   in Loop: Header=BB78_147 Depth=2
	ds_load_u8 v11, v10
	s_wait_dscnt 0x0
	v_and_b32_e32 v19, v11, v30
	s_delay_alu instid0(VALU_DEP_1) | instskip(NEXT) | instid1(VALU_DEP_1)
	v_and_b32_e32 v19, 0xff, v19
	v_cmp_eq_u32_e32 vcc_lo, v19, v28
	s_and_b32 exec_lo, exec_lo, vcc_lo
	s_cbranch_execz .LBB78_145
; %bb.149:                              ;   in Loop: Header=BB78_147 Depth=2
	v_lshlrev_b16 v11, 8, v11
	s_delay_alu instid0(VALU_DEP_1)
	v_or_b32_e32 v11, 1, v11
	ds_store_b16 v3, v11 offset:3072
	s_branch .LBB78_145
.LBB78_150:                             ;   in Loop: Header=BB78_147 Depth=2
	v_add_co_u32 v4, vcc_lo, v4, s66
	s_wait_alu 0xfffd
	v_add_co_ci_u32_e64 v5, null, 0, v5, vcc_lo
	v_add_nc_u32_e32 v10, s66, v10
	s_mov_b32 s46, 0
	s_delay_alu instid0(VALU_DEP_2)
	v_cmp_le_u64_e32 vcc_lo, s[12:13], v[4:5]
	s_or_not1_b32 s45, vcc_lo, exec_lo
	s_branch .LBB78_146
.LBB78_151:                             ;   in Loop: Header=BB78_23 Depth=1
                                        ; implicit-def: $sgpr14_sgpr15
	s_branch .LBB78_99
.LBB78_152:                             ;   in Loop: Header=BB78_23 Depth=1
	s_or_b32 exec_lo, exec_lo, s9
	s_wait_dscnt 0x0
	s_barrier_signal -1
	s_barrier_wait -1
	global_inv scope:SCOPE_SE
	s_and_saveexec_b32 s6, s2
	s_cbranch_execz .LBB78_154
; %bb.153:                              ;   in Loop: Header=BB78_23 Depth=1
	ds_load_b32 v4, v3 offset:5144
	s_wait_dscnt 0x0
	v_ashrrev_i32_e32 v5, 31, v4
	ds_store_b64 v3, v[4:5] offset:5120
.LBB78_154:                             ;   in Loop: Header=BB78_23 Depth=1
	s_wait_alu 0xfffe
	s_or_b32 exec_lo, exec_lo, s6
	s_wait_loadcnt_dscnt 0x0
	s_barrier_signal -1
	s_mov_b32 s6, -1
	s_barrier_wait -1
	s_and_b32 vcc_lo, exec_lo, s8
	s_wait_alu 0xfffe
	s_cbranch_vccnz .LBB78_38
	s_branch .LBB78_53
.LBB78_155:                             ;   in Loop: Header=BB78_23 Depth=1
                                        ; implicit-def: $sgpr6_sgpr7
	s_branch .LBB78_113
.LBB78_156:                             ;   in Loop: Header=BB78_23 Depth=1
	s_or_b32 exec_lo, exec_lo, s14
	v_and_b32_e32 v4, 0xffff, v11
	s_wait_alu 0xfffe
	s_and_b32 s14, s44, exec_lo
	s_delay_alu instid0(VALU_DEP_1)
	v_lshrrev_b32_e32 v31, 8, v4
.LBB78_157:                             ;   in Loop: Header=BB78_23 Depth=1
	s_or_b32 exec_lo, exec_lo, s25
.LBB78_158:                             ;   in Loop: Header=BB78_23 Depth=1
	s_wait_alu 0xfffe
	s_and_b32 vcc_lo, exec_lo, s15
	s_wait_alu 0xfffe
	s_cbranch_vccz .LBB78_172
; %bb.159:                              ;   in Loop: Header=BB78_23 Depth=1
	s_mov_b32 s6, s71
	s_mov_b32 s7, s75
	s_wait_alu 0xfffe
	s_cmp_lg_u64 s[6:7], 0
	s_cbranch_scc0 .LBB78_201
; %bb.160:                              ;   in Loop: Header=BB78_23 Depth=1
	s_cvt_f32_u32 s6, s66
	s_sub_nc_u64 s[12:13], 0, s[66:67]
	s_wait_alu 0xfffe
	s_delay_alu instid0(SALU_CYCLE_1) | instskip(SKIP_1) | instid1(SALU_CYCLE_2)
	s_fmamk_f32 s6, s102, 0x0, s6
	s_wait_alu 0xfffe
	v_s_rcp_f32 s6, s6
	s_delay_alu instid0(TRANS32_DEP_1) | instskip(SKIP_1) | instid1(SALU_CYCLE_2)
	s_mul_f32 s6, s6, 0x5f7ffffc
	s_wait_alu 0xfffe
	s_mul_f32 s7, s6, 0x2f800000
	s_wait_alu 0xfffe
	s_delay_alu instid0(SALU_CYCLE_2) | instskip(SKIP_1) | instid1(SALU_CYCLE_2)
	s_trunc_f32 s7, s7
	s_wait_alu 0xfffe
	s_fmamk_f32 s6, s7, 0xcf800000, s6
	s_cvt_u32_f32 s7, s7
	s_wait_alu 0xfffe
	s_delay_alu instid0(SALU_CYCLE_1) | instskip(SKIP_1) | instid1(SALU_CYCLE_2)
	s_cvt_u32_f32 s6, s6
	s_wait_alu 0xfffe
	s_mul_u64 s[44:45], s[12:13], s[6:7]
	s_wait_alu 0xfffe
	s_mul_hi_u32 s47, s6, s45
	s_mul_i32 s46, s6, s45
	s_mul_hi_u32 s70, s6, s44
	s_mul_i32 s21, s7, s44
	s_wait_alu 0xfffe
	s_add_nc_u64 s[46:47], s[70:71], s[46:47]
	s_mul_hi_u32 s15, s7, s44
	s_mul_hi_u32 s22, s7, s45
	s_wait_alu 0xfffe
	s_add_co_u32 s21, s46, s21
	s_add_co_ci_u32 s70, s47, s15
	s_mul_i32 s44, s7, s45
	s_add_co_ci_u32 s45, s22, 0
	s_wait_alu 0xfffe
	s_add_nc_u64 s[44:45], s[70:71], s[44:45]
	s_wait_alu 0xfffe
	s_add_co_u32 s6, s6, s44
	s_cselect_b32 s15, -1, 0
	s_wait_alu 0xfffe
	s_cmp_lg_u32 s15, 0
	s_add_co_ci_u32 s7, s7, s45
	s_wait_alu 0xfffe
	s_mul_u64 s[12:13], s[12:13], s[6:7]
	s_wait_alu 0xfffe
	s_mul_hi_u32 s45, s6, s13
	s_mul_i32 s44, s6, s13
	s_mul_hi_u32 s70, s6, s12
	s_mul_i32 s21, s7, s12
	s_wait_alu 0xfffe
	s_add_nc_u64 s[44:45], s[70:71], s[44:45]
	s_mul_hi_u32 s15, s7, s12
	s_mul_hi_u32 s22, s7, s13
	s_mul_i32 s12, s7, s13
	s_wait_alu 0xfffe
	s_add_co_u32 s13, s44, s21
	s_add_co_ci_u32 s70, s45, s15
	s_add_co_ci_u32 s13, s22, 0
	s_wait_alu 0xfffe
	s_add_nc_u64 s[12:13], s[70:71], s[12:13]
	s_wait_alu 0xfffe
	s_add_co_u32 s6, s6, s12
	s_cselect_b32 s12, -1, 0
	s_wait_alu 0xfffe
	s_mul_hi_u32 s70, s74, s6
	s_cmp_lg_u32 s12, 0
	s_mul_hi_u32 s15, s75, s6
	s_add_co_ci_u32 s12, s7, s13
	s_mul_i32 s13, s75, s6
	s_wait_alu 0xfffe
	s_mul_hi_u32 s7, s74, s12
	s_mul_i32 s6, s74, s12
	s_mul_hi_u32 s21, s75, s12
	s_wait_alu 0xfffe
	s_add_nc_u64 s[6:7], s[70:71], s[6:7]
	s_mul_i32 s12, s75, s12
	s_wait_alu 0xfffe
	s_add_co_u32 s6, s6, s13
	s_add_co_ci_u32 s70, s7, s15
	s_add_co_ci_u32 s13, s21, 0
	s_wait_alu 0xfffe
	s_add_nc_u64 s[6:7], s[70:71], s[12:13]
	s_wait_alu 0xfffe
	s_mul_u64 s[6:7], s[66:67], s[6:7]
	s_wait_alu 0xfffe
	s_sub_co_u32 s6, s74, s6
	s_cselect_b32 s12, -1, 0
	s_wait_alu 0xfffe
	s_cmp_lg_u32 s12, 0
	s_sub_co_ci_u32 s7, s75, s7
	s_sub_co_u32 s12, s6, s66
	s_cselect_b32 s13, -1, 0
	s_wait_alu 0xfffe
	s_cmp_lg_u32 s13, 0
	s_sub_co_ci_u32 s13, s7, 0
	;; [unrolled: 5-line block ×3, first 2 shown]
	s_cmp_ge_u32 s12, s66
	s_cselect_b32 s22, -1, 0
	s_cmp_eq_u32 s13, 0
	s_wait_alu 0xfffe
	s_cselect_b32 s22, s22, -1
	s_wait_alu 0xfffe
	s_cmp_lg_u32 s22, 0
	s_cselect_b32 s13, s21, s13
	s_cselect_b32 s12, s15, s12
	s_cmp_ge_u32 s6, s66
	s_cselect_b32 s15, -1, 0
	s_cmp_eq_u32 s7, 0
	s_wait_alu 0xfffe
	s_cselect_b32 s15, s15, -1
	s_wait_alu 0xfffe
	s_cmp_lg_u32 s15, 0
	s_cselect_b32 s7, s13, s7
	s_cselect_b32 s6, s12, s6
	s_cbranch_execnz .LBB78_162
.LBB78_161:                             ;   in Loop: Header=BB78_23 Depth=1
	v_cvt_f32_u32_e32 v4, s66
	s_sub_co_i32 s7, 0, s66
	s_delay_alu instid0(VALU_DEP_1) | instskip(NEXT) | instid1(TRANS32_DEP_1)
	v_rcp_iflag_f32_e32 v4, v4
	v_mul_f32_e32 v4, 0x4f7ffffe, v4
	s_delay_alu instid0(VALU_DEP_1) | instskip(NEXT) | instid1(VALU_DEP_1)
	v_cvt_u32_f32_e32 v4, v4
	v_readfirstlane_b32 s6, v4
	s_wait_alu 0xfffe
	s_mul_i32 s7, s7, s6
	s_wait_alu 0xfffe
	s_mul_hi_u32 s7, s6, s7
	s_wait_alu 0xfffe
	s_add_co_i32 s6, s6, s7
	s_wait_alu 0xfffe
	s_mul_hi_u32 s6, s74, s6
	s_wait_alu 0xfffe
	s_mul_i32 s6, s6, s66
	s_wait_alu 0xfffe
	s_sub_co_i32 s6, s74, s6
	s_wait_alu 0xfffe
	s_sub_co_i32 s7, s6, s66
	s_cmp_ge_u32 s6, s66
	s_wait_alu 0xfffe
	s_cselect_b32 s6, s7, s6
	s_wait_alu 0xfffe
	s_sub_co_i32 s7, s6, s66
	s_cmp_ge_u32 s6, s66
	s_wait_alu 0xfffe
	s_cselect_b32 s70, s7, s6
	s_wait_alu 0xfffe
	s_mov_b64 s[6:7], s[70:71]
.LBB78_162:                             ;   in Loop: Header=BB78_23 Depth=1
	s_wait_alu 0xfffe
	s_sub_nc_u64 s[6:7], s[74:75], s[6:7]
	s_mov_b32 s12, exec_lo
                                        ; implicit-def: $vgpr31
	s_wait_alu 0xfffe
	v_cmpx_gt_u64_e64 s[6:7], v[0:1]
	s_cbranch_execz .LBB78_171
; %bb.163:                              ;   in Loop: Header=BB78_23 Depth=1
	v_dual_mov_b32 v5, v1 :: v_dual_mov_b32 v4, v0
	s_mov_b32 s13, 0
                                        ; implicit-def: $sgpr15
	s_branch .LBB78_166
.LBB78_164:                             ;   in Loop: Header=BB78_166 Depth=2
	s_wait_alu 0xfffe
	s_or_b32 exec_lo, exec_lo, s21
	s_wait_loadcnt_dscnt 0x0
	s_barrier_signal -1
	s_barrier_wait -1
	global_inv scope:SCOPE_SE
	ds_load_u16 v10, v3 offset:3072
	s_mov_b32 s22, -1
	s_mov_b32 s21, -1
	s_wait_loadcnt_dscnt 0x0
	s_barrier_signal -1
	s_barrier_wait -1
	global_inv scope:SCOPE_SE
	v_and_b32_e32 v11, 0xff, v10
	s_delay_alu instid0(VALU_DEP_1)
	v_cmp_eq_u32_e32 vcc_lo, 0, v11
	s_cbranch_vccnz .LBB78_169
.LBB78_165:                             ;   in Loop: Header=BB78_166 Depth=2
	s_wait_alu 0xfffe
	s_and_b32 s22, exec_lo, s22
	s_wait_alu 0xfffe
	s_or_b32 s13, s22, s13
	s_and_not1_b32 s15, s15, exec_lo
	s_and_b32 s21, s21, exec_lo
	s_wait_alu 0xfffe
	s_or_b32 s15, s15, s21
	s_and_not1_b32 exec_lo, exec_lo, s13
	s_cbranch_execz .LBB78_170
.LBB78_166:                             ;   Parent Loop BB78_23 Depth=1
                                        ; =>  This Inner Loop Header: Depth=2
	s_mov_b32 s21, exec_lo
	s_delay_alu instid0(VALU_DEP_1)
	v_cmpx_gt_u64_e64 s[28:29], v[4:5]
	s_cbranch_execz .LBB78_164
; %bb.167:                              ;   in Loop: Header=BB78_166 Depth=2
	v_mad_co_u64_u32 v[10:11], null, v4, s56, s[60:61]
	v_mul_lo_u32 v19, v4, s57
	v_mul_lo_u32 v20, v5, s56
	s_delay_alu instid0(VALU_DEP_1) | instskip(SKIP_3) | instid1(VALU_DEP_1)
	v_add3_u32 v11, v20, v11, v19
	global_load_u8 v10, v[10:11], off
	s_wait_loadcnt 0x0
	v_and_b32_e32 v11, v10, v30
	v_and_b32_e32 v11, 0xff, v11
	s_delay_alu instid0(VALU_DEP_1)
	v_cmp_eq_u32_e32 vcc_lo, v11, v28
	s_and_b32 exec_lo, exec_lo, vcc_lo
	s_cbranch_execz .LBB78_164
; %bb.168:                              ;   in Loop: Header=BB78_166 Depth=2
	v_lshlrev_b16 v10, 8, v10
	s_delay_alu instid0(VALU_DEP_1)
	v_or_b32_e32 v10, 1, v10
	ds_store_b16 v3, v10 offset:3072
	s_branch .LBB78_164
.LBB78_169:                             ;   in Loop: Header=BB78_166 Depth=2
	v_add_co_u32 v4, vcc_lo, v4, s66
	s_wait_alu 0xfffd
	v_add_co_ci_u32_e64 v5, null, 0, v5, vcc_lo
	s_mov_b32 s21, 0
	v_cmp_le_u64_e32 vcc_lo, s[6:7], v[4:5]
	s_or_not1_b32 s22, vcc_lo, exec_lo
	s_branch .LBB78_165
.LBB78_170:                             ;   in Loop: Header=BB78_23 Depth=1
	s_or_b32 exec_lo, exec_lo, s13
	v_and_b32_e32 v4, 0xffff, v10
	s_and_not1_b32 s6, s14, exec_lo
	s_wait_alu 0xfffe
	s_and_b32 s7, s15, exec_lo
	s_wait_alu 0xfffe
	s_or_b32 s14, s6, s7
	v_lshrrev_b32_e32 v31, 8, v4
.LBB78_171:                             ;   in Loop: Header=BB78_23 Depth=1
	s_or_b32 exec_lo, exec_lo, s12
	s_mov_b32 s21, 0
	s_mov_b32 s22, -1
.LBB78_172:                             ;   in Loop: Header=BB78_23 Depth=1
	s_wait_alu 0xfffe
	s_or_not1_b32 s6, s14, exec_lo
.LBB78_173:                             ;   in Loop: Header=BB78_23 Depth=1
	s_wait_alu 0xfffe
	s_or_b32 exec_lo, exec_lo, s23
	s_mov_b32 s7, 0
	s_and_saveexec_b32 s23, s6
	s_cbranch_execz .LBB78_279
; %bb.174:                              ;   in Loop: Header=BB78_23 Depth=1
	v_mov_b32_e32 v4, 1
	v_dual_mov_b32 v5, 0 :: v_dual_mov_b32 v2, 1
	s_xor_b32 s12, s24, -1
	s_wait_alu 0xfffe
	s_and_saveexec_b32 s6, s12
	s_cbranch_execz .LBB78_184
; %bb.175:                              ;   in Loop: Header=BB78_23 Depth=1
	s_mov_b32 s7, exec_lo
	v_cmpx_le_u64_e64 v[8:9], v[6:7]
	s_wait_alu 0xfffe
	s_xor_b32 s7, exec_lo, s7
	s_cbranch_execz .LBB78_181
; %bb.176:                              ;   in Loop: Header=BB78_23 Depth=1
	ds_load_b64 v[4:5], v3 offset:5120
	s_lshl_b32 s12, 1, s100
	v_or_b32_e32 v30, s16, v30
	s_wait_alu 0xfffe
	v_and_or_b32 v28, v28, s20, s12
	s_wait_dscnt 0x0
	v_cmp_ne_u64_e32 vcc_lo, 0, v[4:5]
	s_cbranch_vccnz .LBB78_180
; %bb.177:                              ;   in Loop: Header=BB78_23 Depth=1
	s_and_saveexec_b32 s12, s2
; %bb.178:                              ;   in Loop: Header=BB78_23 Depth=1
	ds_store_b64 v3, v[6:7] offset:5128
; %bb.179:                              ;   in Loop: Header=BB78_23 Depth=1
	s_wait_alu 0xfffe
	s_or_b32 exec_lo, exec_lo, s12
	s_wait_loadcnt_dscnt 0x0
	s_barrier_signal -1
	s_barrier_wait -1
	global_inv scope:SCOPE_SE
.LBB78_180:                             ;   in Loop: Header=BB78_23 Depth=1
                                        ; implicit-def: $vgpr4_vgpr5_vgpr6_vgpr7
.LBB78_181:                             ;   in Loop: Header=BB78_23 Depth=1
	s_wait_alu 0xfffe
	s_or_saveexec_b32 s7, s7
	v_mov_b32_e32 v2, 8
	s_mov_b32 s12, 0
	s_wait_alu 0xfffe
	s_xor_b32 exec_lo, exec_lo, s7
; %bb.182:                              ;   in Loop: Header=BB78_23 Depth=1
	v_sub_co_u32 v8, vcc_lo, v8, v6
	s_wait_alu 0xfffd
	v_sub_co_ci_u32_e64 v9, null, v9, v7, vcc_lo
	v_mov_b32_e32 v2, 0
	s_mov_b32 s12, exec_lo
; %bb.183:                              ;   in Loop: Header=BB78_23 Depth=1
	s_or_b32 exec_lo, exec_lo, s7
	s_delay_alu instid0(VALU_DEP_2)
	v_dual_mov_b32 v4, v8 :: v_dual_mov_b32 v5, v9
	s_wait_alu 0xfffe
	s_and_b32 s7, s12, exec_lo
.LBB78_184:                             ;   in Loop: Header=BB78_23 Depth=1
	s_wait_alu 0xfffe
	s_or_b32 exec_lo, exec_lo, s6
	s_mov_b32 s6, -1
                                        ; implicit-def: $sgpr25
                                        ; implicit-def: $sgpr78
	s_and_saveexec_b32 s24, s7
	s_cbranch_execz .LBB78_278
; %bb.185:                              ;   in Loop: Header=BB78_23 Depth=1
	v_cmp_eq_u64_e32 vcc_lo, 1, v[4:5]
	s_cmp_eq_u64 s[10:11], 1
                                        ; implicit-def: $sgpr78
                                        ; implicit-def: $sgpr25
	s_cselect_b32 s6, -1, 0
	s_wait_alu 0xfffe
	s_and_b32 s79, s6, vcc_lo
	s_mov_b32 s6, -1
	s_wait_alu 0xfffe
	s_and_saveexec_b32 s80, s79
	s_cbranch_execz .LBB78_219
; %bb.186:                              ;   in Loop: Header=BB78_23 Depth=1
	ds_load_b64 v[6:7], v3 offset:5120
	s_wait_loadcnt_dscnt 0x0
	s_barrier_signal -1
	s_barrier_wait -1
	global_inv scope:SCOPE_SE
	v_readfirstlane_b32 s6, v6
	v_readfirstlane_b32 s7, v7
	s_and_saveexec_b32 s12, s3
; %bb.187:                              ;   in Loop: Header=BB78_23 Depth=1
	ds_store_b8 v0, v3 offset:3072
; %bb.188:                              ;   in Loop: Header=BB78_23 Depth=1
	s_wait_alu 0xfffe
	s_or_b32 exec_lo, exec_lo, s12
	s_lshl_b32 s12, 2, s100
	v_or_b32_e32 v30, s16, v30
	s_wait_alu 0xfffe
	v_and_or_b32 v28, v28, s20, s12
	s_mov_b32 s25, -1
	s_mov_b32 s78, 0
	s_cmp_eq_u64 s[6:7], 0
	s_mov_b32 s14, 0
	s_mov_b32 s15, -1
	s_wait_loadcnt_dscnt 0x0
	s_barrier_signal -1
	s_barrier_wait -1
	global_inv scope:SCOPE_SE
                                        ; implicit-def: $vgpr31
	s_cbranch_scc1 .LBB78_204
; %bb.189:                              ;   in Loop: Header=BB78_23 Depth=1
	s_add_nc_u64 s[12:13], s[6:7], s[72:73]
	s_mov_b32 s14, s71
	s_wait_alu 0xfffe
	s_mov_b32 s15, s13
	s_wait_alu 0xfffe
	s_cmp_lg_u64 s[14:15], 0
	s_cbranch_scc0 .LBB78_245
; %bb.190:                              ;   in Loop: Header=BB78_23 Depth=1
	s_cvt_f32_u32 s14, s66
	s_sub_nc_u64 s[44:45], 0, s[66:67]
	s_wait_alu 0xfffe
	s_delay_alu instid0(SALU_CYCLE_1) | instskip(SKIP_1) | instid1(SALU_CYCLE_2)
	s_fmamk_f32 s14, s102, 0x0, s14
	s_wait_alu 0xfffe
	v_s_rcp_f32 s14, s14
	s_delay_alu instid0(TRANS32_DEP_1) | instskip(SKIP_1) | instid1(SALU_CYCLE_2)
	s_mul_f32 s14, s14, 0x5f7ffffc
	s_wait_alu 0xfffe
	s_mul_f32 s15, s14, 0x2f800000
	s_wait_alu 0xfffe
	s_delay_alu instid0(SALU_CYCLE_2) | instskip(SKIP_1) | instid1(SALU_CYCLE_2)
	s_trunc_f32 s15, s15
	s_wait_alu 0xfffe
	s_fmamk_f32 s14, s15, 0xcf800000, s14
	s_cvt_u32_f32 s15, s15
	s_wait_alu 0xfffe
	s_delay_alu instid0(SALU_CYCLE_1) | instskip(SKIP_1) | instid1(SALU_CYCLE_2)
	s_cvt_u32_f32 s14, s14
	s_wait_alu 0xfffe
	s_mul_u64 s[46:47], s[44:45], s[14:15]
	s_wait_alu 0xfffe
	s_mul_hi_u32 s83, s14, s47
	s_mul_i32 s82, s14, s47
	s_mul_hi_u32 s70, s14, s46
	s_mul_i32 s84, s15, s46
	s_wait_alu 0xfffe
	s_add_nc_u64 s[82:83], s[70:71], s[82:83]
	s_mul_hi_u32 s81, s15, s46
	s_mul_hi_u32 s85, s15, s47
	s_mul_i32 s46, s15, s47
	s_wait_alu 0xfffe
	s_add_co_u32 s47, s82, s84
	s_add_co_ci_u32 s70, s83, s81
	s_add_co_ci_u32 s47, s85, 0
	s_wait_alu 0xfffe
	s_add_nc_u64 s[46:47], s[70:71], s[46:47]
	s_wait_alu 0xfffe
	s_add_co_u32 s14, s14, s46
	s_cselect_b32 s46, -1, 0
	s_wait_alu 0xfffe
	s_cmp_lg_u32 s46, 0
	s_add_co_ci_u32 s15, s15, s47
	s_wait_alu 0xfffe
	s_mul_u64 s[44:45], s[44:45], s[14:15]
	s_wait_alu 0xfffe
	s_mul_hi_u32 s47, s14, s45
	s_mul_i32 s46, s14, s45
	s_mul_hi_u32 s70, s14, s44
	s_mul_i32 s82, s15, s44
	s_wait_alu 0xfffe
	s_add_nc_u64 s[46:47], s[70:71], s[46:47]
	s_mul_hi_u32 s81, s15, s44
	s_mul_hi_u32 s83, s15, s45
	s_mul_i32 s44, s15, s45
	s_wait_alu 0xfffe
	s_add_co_u32 s45, s46, s82
	s_add_co_ci_u32 s70, s47, s81
	s_add_co_ci_u32 s45, s83, 0
	s_wait_alu 0xfffe
	s_add_nc_u64 s[44:45], s[70:71], s[44:45]
	s_wait_alu 0xfffe
	s_add_co_u32 s14, s14, s44
	s_cselect_b32 s44, -1, 0
	s_wait_alu 0xfffe
	s_mul_hi_u32 s70, s12, s14
	s_cmp_lg_u32 s44, 0
	s_mul_hi_u32 s46, s13, s14
	s_add_co_ci_u32 s44, s15, s45
	s_mul_i32 s45, s13, s14
	s_wait_alu 0xfffe
	s_mul_hi_u32 s15, s12, s44
	s_mul_i32 s14, s12, s44
	s_mul_hi_u32 s47, s13, s44
	s_wait_alu 0xfffe
	s_add_nc_u64 s[14:15], s[70:71], s[14:15]
	s_mul_i32 s44, s13, s44
	s_wait_alu 0xfffe
	s_add_co_u32 s14, s14, s45
	s_add_co_ci_u32 s70, s15, s46
	s_add_co_ci_u32 s45, s47, 0
	s_wait_alu 0xfffe
	s_add_nc_u64 s[14:15], s[70:71], s[44:45]
	s_wait_alu 0xfffe
	s_mul_u64 s[14:15], s[66:67], s[14:15]
	s_wait_alu 0xfffe
	s_sub_co_u32 s14, s12, s14
	s_cselect_b32 s44, -1, 0
	s_wait_alu 0xfffe
	s_cmp_lg_u32 s44, 0
	s_sub_co_ci_u32 s15, s13, s15
	s_sub_co_u32 s44, s14, s66
	s_cselect_b32 s45, -1, 0
	s_wait_alu 0xfffe
	s_cmp_lg_u32 s45, 0
	s_sub_co_ci_u32 s45, s15, 0
	;; [unrolled: 5-line block ×3, first 2 shown]
	s_cmp_ge_u32 s44, s66
	s_cselect_b32 s70, -1, 0
	s_cmp_eq_u32 s45, 0
	s_wait_alu 0xfffe
	s_cselect_b32 s70, s70, -1
	s_wait_alu 0xfffe
	s_cmp_lg_u32 s70, 0
	s_cselect_b32 s45, s47, s45
	s_cselect_b32 s44, s46, s44
	s_cmp_ge_u32 s14, s66
	s_cselect_b32 s46, -1, 0
	s_cmp_eq_u32 s15, 0
	s_wait_alu 0xfffe
	s_cselect_b32 s46, s46, -1
	s_wait_alu 0xfffe
	s_cmp_lg_u32 s46, 0
	s_cselect_b32 s15, s45, s15
	s_cselect_b32 s14, s44, s14
	s_cbranch_execnz .LBB78_192
.LBB78_191:                             ;   in Loop: Header=BB78_23 Depth=1
	v_cvt_f32_u32_e32 v6, s66
	s_sub_co_i32 s15, 0, s66
	s_delay_alu instid0(VALU_DEP_1) | instskip(NEXT) | instid1(TRANS32_DEP_1)
	v_rcp_iflag_f32_e32 v6, v6
	v_mul_f32_e32 v6, 0x4f7ffffe, v6
	s_delay_alu instid0(VALU_DEP_1) | instskip(NEXT) | instid1(VALU_DEP_1)
	v_cvt_u32_f32_e32 v6, v6
	v_readfirstlane_b32 s14, v6
	s_wait_alu 0xfffe
	s_mul_i32 s15, s15, s14
	s_wait_alu 0xfffe
	s_mul_hi_u32 s15, s14, s15
	s_wait_alu 0xfffe
	s_add_co_i32 s14, s14, s15
	s_wait_alu 0xfffe
	s_mul_hi_u32 s14, s12, s14
	s_wait_alu 0xfffe
	s_mul_i32 s14, s14, s66
	s_wait_alu 0xfffe
	s_sub_co_i32 s14, s12, s14
	s_wait_alu 0xfffe
	s_sub_co_i32 s15, s14, s66
	s_cmp_ge_u32 s14, s66
	s_wait_alu 0xfffe
	s_cselect_b32 s14, s15, s14
	s_wait_alu 0xfffe
	s_sub_co_i32 s15, s14, s66
	s_cmp_ge_u32 s14, s66
	s_wait_alu 0xfffe
	s_cselect_b32 s70, s15, s14
	s_wait_alu 0xfffe
	s_mov_b64 s[14:15], s[70:71]
.LBB78_192:                             ;   in Loop: Header=BB78_23 Depth=1
	s_wait_alu 0xfffe
	s_sub_nc_u64 s[12:13], s[12:13], s[14:15]
	s_mov_b32 s15, 0
	s_mov_b32 s14, 0
	s_mov_b32 s44, exec_lo
                                        ; implicit-def: $vgpr31
	s_wait_alu 0xfffe
	v_cmpx_gt_u64_e64 s[12:13], v[0:1]
	s_cbranch_execz .LBB78_203
; %bb.193:                              ;   in Loop: Header=BB78_23 Depth=1
	v_dual_mov_b32 v8, v0 :: v_dual_mov_b32 v7, v1
	v_mov_b32_e32 v6, v0
                                        ; implicit-def: $sgpr45
	s_branch .LBB78_196
.LBB78_194:                             ;   in Loop: Header=BB78_196 Depth=2
	s_wait_alu 0xfffe
	s_or_b32 exec_lo, exec_lo, s46
	s_wait_loadcnt_dscnt 0x0
	s_barrier_signal -1
	s_barrier_wait -1
	global_inv scope:SCOPE_SE
	ds_load_u16 v9, v3 offset:3072
	s_mov_b32 s46, -1
	s_mov_b32 s47, -1
	s_wait_loadcnt_dscnt 0x0
	s_barrier_signal -1
	s_barrier_wait -1
	global_inv scope:SCOPE_SE
	v_and_b32_e32 v10, 0xff, v9
	s_delay_alu instid0(VALU_DEP_1)
	v_cmp_ne_u32_e32 vcc_lo, 0, v10
	s_cbranch_vccz .LBB78_199
.LBB78_195:                             ;   in Loop: Header=BB78_196 Depth=2
	s_wait_alu 0xfffe
	s_and_b32 s46, exec_lo, s46
	s_wait_alu 0xfffe
	s_or_b32 s14, s46, s14
	s_and_not1_b32 s45, s45, exec_lo
	s_and_b32 s46, s47, exec_lo
	s_wait_alu 0xfffe
	s_or_b32 s45, s45, s46
	s_and_not1_b32 exec_lo, exec_lo, s14
	s_cbranch_execz .LBB78_202
.LBB78_196:                             ;   Parent Loop BB78_23 Depth=1
                                        ; =>  This Inner Loop Header: Depth=2
	s_mov_b32 s46, exec_lo
	s_delay_alu instid0(VALU_DEP_1)
	v_cmpx_gt_u64_e64 s[6:7], v[6:7]
	s_cbranch_execz .LBB78_194
; %bb.197:                              ;   in Loop: Header=BB78_196 Depth=2
	ds_load_u8 v9, v8
	s_wait_dscnt 0x0
	v_and_b32_e32 v10, v9, v30
	s_delay_alu instid0(VALU_DEP_1) | instskip(NEXT) | instid1(VALU_DEP_1)
	v_and_b32_e32 v10, 0xff, v10
	v_cmp_eq_u32_e32 vcc_lo, v10, v28
	s_and_b32 exec_lo, exec_lo, vcc_lo
	s_cbranch_execz .LBB78_194
; %bb.198:                              ;   in Loop: Header=BB78_196 Depth=2
	v_lshlrev_b16 v9, 8, v9
	s_delay_alu instid0(VALU_DEP_1)
	v_or_b32_e32 v9, 1, v9
	ds_store_b16 v3, v9 offset:3072
	s_branch .LBB78_194
.LBB78_199:                             ;   in Loop: Header=BB78_196 Depth=2
	v_add_co_u32 v6, vcc_lo, v6, s66
	s_wait_alu 0xfffd
	v_add_co_ci_u32_e64 v7, null, 0, v7, vcc_lo
	v_add_nc_u32_e32 v8, s66, v8
	s_mov_b32 s47, 0
	s_delay_alu instid0(VALU_DEP_2)
	v_cmp_le_u64_e32 vcc_lo, s[12:13], v[6:7]
	s_or_not1_b32 s46, vcc_lo, exec_lo
	s_branch .LBB78_195
.LBB78_200:                             ;   in Loop: Header=BB78_23 Depth=1
                                        ; implicit-def: $sgpr14_sgpr15
	s_branch .LBB78_142
.LBB78_201:                             ;   in Loop: Header=BB78_23 Depth=1
                                        ; implicit-def: $sgpr6_sgpr7
	s_branch .LBB78_161
.LBB78_202:                             ;   in Loop: Header=BB78_23 Depth=1
	s_or_b32 exec_lo, exec_lo, s14
	v_and_b32_e32 v6, 0xffff, v9
	s_wait_alu 0xfffe
	s_and_b32 s14, s45, exec_lo
	s_delay_alu instid0(VALU_DEP_1)
	v_lshrrev_b32_e32 v31, 8, v6
.LBB78_203:                             ;   in Loop: Header=BB78_23 Depth=1
	s_or_b32 exec_lo, exec_lo, s44
.LBB78_204:                             ;   in Loop: Header=BB78_23 Depth=1
	s_wait_alu 0xfffe
	s_and_b32 vcc_lo, exec_lo, s15
	s_wait_alu 0xfffe
	s_cbranch_vccz .LBB78_218
; %bb.205:                              ;   in Loop: Header=BB78_23 Depth=1
	s_mov_b32 s6, s71
	s_mov_b32 s7, s75
	s_wait_alu 0xfffe
	s_cmp_lg_u64 s[6:7], 0
	s_cbranch_scc0 .LBB78_246
; %bb.206:                              ;   in Loop: Header=BB78_23 Depth=1
	s_cvt_f32_u32 s6, s66
	s_sub_nc_u64 s[12:13], 0, s[66:67]
	s_wait_alu 0xfffe
	s_delay_alu instid0(SALU_CYCLE_1) | instskip(SKIP_1) | instid1(SALU_CYCLE_2)
	s_fmamk_f32 s6, s102, 0x0, s6
	s_wait_alu 0xfffe
	v_s_rcp_f32 s6, s6
	s_delay_alu instid0(TRANS32_DEP_1) | instskip(SKIP_1) | instid1(SALU_CYCLE_2)
	s_mul_f32 s6, s6, 0x5f7ffffc
	s_wait_alu 0xfffe
	s_mul_f32 s7, s6, 0x2f800000
	s_wait_alu 0xfffe
	s_delay_alu instid0(SALU_CYCLE_2) | instskip(SKIP_1) | instid1(SALU_CYCLE_2)
	s_trunc_f32 s7, s7
	s_wait_alu 0xfffe
	s_fmamk_f32 s6, s7, 0xcf800000, s6
	s_cvt_u32_f32 s7, s7
	s_wait_alu 0xfffe
	s_delay_alu instid0(SALU_CYCLE_1) | instskip(SKIP_1) | instid1(SALU_CYCLE_2)
	s_cvt_u32_f32 s6, s6
	s_wait_alu 0xfffe
	s_mul_u64 s[44:45], s[12:13], s[6:7]
	s_wait_alu 0xfffe
	s_mul_hi_u32 s47, s6, s45
	s_mul_i32 s46, s6, s45
	s_mul_hi_u32 s70, s6, s44
	s_mul_i32 s25, s7, s44
	s_wait_alu 0xfffe
	s_add_nc_u64 s[46:47], s[70:71], s[46:47]
	s_mul_hi_u32 s15, s7, s44
	s_mul_hi_u32 s78, s7, s45
	s_wait_alu 0xfffe
	s_add_co_u32 s25, s46, s25
	s_add_co_ci_u32 s70, s47, s15
	s_mul_i32 s44, s7, s45
	s_add_co_ci_u32 s45, s78, 0
	s_wait_alu 0xfffe
	s_add_nc_u64 s[44:45], s[70:71], s[44:45]
	s_wait_alu 0xfffe
	s_add_co_u32 s6, s6, s44
	s_cselect_b32 s15, -1, 0
	s_wait_alu 0xfffe
	s_cmp_lg_u32 s15, 0
	s_add_co_ci_u32 s7, s7, s45
	s_wait_alu 0xfffe
	s_mul_u64 s[12:13], s[12:13], s[6:7]
	s_wait_alu 0xfffe
	s_mul_hi_u32 s45, s6, s13
	s_mul_i32 s44, s6, s13
	s_mul_hi_u32 s70, s6, s12
	s_mul_i32 s25, s7, s12
	s_wait_alu 0xfffe
	s_add_nc_u64 s[44:45], s[70:71], s[44:45]
	s_mul_hi_u32 s15, s7, s12
	s_mul_hi_u32 s46, s7, s13
	s_mul_i32 s12, s7, s13
	s_wait_alu 0xfffe
	s_add_co_u32 s13, s44, s25
	s_add_co_ci_u32 s70, s45, s15
	s_add_co_ci_u32 s13, s46, 0
	s_wait_alu 0xfffe
	s_add_nc_u64 s[12:13], s[70:71], s[12:13]
	s_wait_alu 0xfffe
	s_add_co_u32 s6, s6, s12
	s_cselect_b32 s12, -1, 0
	s_wait_alu 0xfffe
	s_mul_hi_u32 s70, s74, s6
	s_cmp_lg_u32 s12, 0
	s_mul_hi_u32 s15, s75, s6
	s_add_co_ci_u32 s12, s7, s13
	s_mul_i32 s13, s75, s6
	s_wait_alu 0xfffe
	s_mul_hi_u32 s7, s74, s12
	s_mul_i32 s6, s74, s12
	s_mul_hi_u32 s25, s75, s12
	s_wait_alu 0xfffe
	s_add_nc_u64 s[6:7], s[70:71], s[6:7]
	s_mul_i32 s12, s75, s12
	s_wait_alu 0xfffe
	s_add_co_u32 s6, s6, s13
	s_add_co_ci_u32 s70, s7, s15
	s_add_co_ci_u32 s13, s25, 0
	s_wait_alu 0xfffe
	s_add_nc_u64 s[6:7], s[70:71], s[12:13]
	s_wait_alu 0xfffe
	s_mul_u64 s[6:7], s[66:67], s[6:7]
	s_wait_alu 0xfffe
	s_sub_co_u32 s6, s74, s6
	s_cselect_b32 s12, -1, 0
	s_wait_alu 0xfffe
	s_cmp_lg_u32 s12, 0
	s_sub_co_ci_u32 s7, s75, s7
	s_sub_co_u32 s12, s6, s66
	s_cselect_b32 s13, -1, 0
	s_wait_alu 0xfffe
	s_cmp_lg_u32 s13, 0
	s_sub_co_ci_u32 s13, s7, 0
	;; [unrolled: 5-line block ×3, first 2 shown]
	s_cmp_ge_u32 s12, s66
	s_cselect_b32 s44, -1, 0
	s_cmp_eq_u32 s13, 0
	s_wait_alu 0xfffe
	s_cselect_b32 s44, s44, -1
	s_wait_alu 0xfffe
	s_cmp_lg_u32 s44, 0
	s_cselect_b32 s13, s25, s13
	s_cselect_b32 s12, s15, s12
	s_cmp_ge_u32 s6, s66
	s_cselect_b32 s15, -1, 0
	s_cmp_eq_u32 s7, 0
	s_wait_alu 0xfffe
	s_cselect_b32 s15, s15, -1
	s_wait_alu 0xfffe
	s_cmp_lg_u32 s15, 0
	s_cselect_b32 s7, s13, s7
	s_cselect_b32 s6, s12, s6
	s_cbranch_execnz .LBB78_208
.LBB78_207:                             ;   in Loop: Header=BB78_23 Depth=1
	v_cvt_f32_u32_e32 v6, s66
	s_sub_co_i32 s7, 0, s66
	s_delay_alu instid0(VALU_DEP_1) | instskip(NEXT) | instid1(TRANS32_DEP_1)
	v_rcp_iflag_f32_e32 v6, v6
	v_mul_f32_e32 v6, 0x4f7ffffe, v6
	s_delay_alu instid0(VALU_DEP_1) | instskip(NEXT) | instid1(VALU_DEP_1)
	v_cvt_u32_f32_e32 v6, v6
	v_readfirstlane_b32 s6, v6
	s_wait_alu 0xfffe
	s_mul_i32 s7, s7, s6
	s_wait_alu 0xfffe
	s_mul_hi_u32 s7, s6, s7
	s_wait_alu 0xfffe
	s_add_co_i32 s6, s6, s7
	s_wait_alu 0xfffe
	s_mul_hi_u32 s6, s74, s6
	s_wait_alu 0xfffe
	s_mul_i32 s6, s6, s66
	s_wait_alu 0xfffe
	s_sub_co_i32 s6, s74, s6
	s_wait_alu 0xfffe
	s_sub_co_i32 s7, s6, s66
	s_cmp_ge_u32 s6, s66
	s_wait_alu 0xfffe
	s_cselect_b32 s6, s7, s6
	s_wait_alu 0xfffe
	s_sub_co_i32 s7, s6, s66
	s_cmp_ge_u32 s6, s66
	s_wait_alu 0xfffe
	s_cselect_b32 s70, s7, s6
	s_wait_alu 0xfffe
	s_mov_b64 s[6:7], s[70:71]
.LBB78_208:                             ;   in Loop: Header=BB78_23 Depth=1
	s_wait_alu 0xfffe
	s_sub_nc_u64 s[6:7], s[74:75], s[6:7]
	s_mov_b32 s12, exec_lo
                                        ; implicit-def: $vgpr31
	s_wait_alu 0xfffe
	v_cmpx_gt_u64_e64 s[6:7], v[0:1]
	s_cbranch_execz .LBB78_217
; %bb.209:                              ;   in Loop: Header=BB78_23 Depth=1
	v_dual_mov_b32 v7, v1 :: v_dual_mov_b32 v6, v0
	s_mov_b32 s13, 0
                                        ; implicit-def: $sgpr15
	s_branch .LBB78_212
.LBB78_210:                             ;   in Loop: Header=BB78_212 Depth=2
	s_wait_alu 0xfffe
	s_or_b32 exec_lo, exec_lo, s25
	s_wait_loadcnt_dscnt 0x0
	s_barrier_signal -1
	s_barrier_wait -1
	global_inv scope:SCOPE_SE
	ds_load_u16 v8, v3 offset:3072
	s_mov_b32 s44, -1
	s_mov_b32 s25, -1
	s_wait_loadcnt_dscnt 0x0
	s_barrier_signal -1
	s_barrier_wait -1
	global_inv scope:SCOPE_SE
	v_and_b32_e32 v9, 0xff, v8
	s_delay_alu instid0(VALU_DEP_1)
	v_cmp_eq_u32_e32 vcc_lo, 0, v9
	s_cbranch_vccnz .LBB78_215
.LBB78_211:                             ;   in Loop: Header=BB78_212 Depth=2
	s_wait_alu 0xfffe
	s_and_b32 s44, exec_lo, s44
	s_wait_alu 0xfffe
	s_or_b32 s13, s44, s13
	s_and_not1_b32 s15, s15, exec_lo
	s_and_b32 s25, s25, exec_lo
	s_wait_alu 0xfffe
	s_or_b32 s15, s15, s25
	s_and_not1_b32 exec_lo, exec_lo, s13
	s_cbranch_execz .LBB78_216
.LBB78_212:                             ;   Parent Loop BB78_23 Depth=1
                                        ; =>  This Inner Loop Header: Depth=2
	s_mov_b32 s25, exec_lo
	s_delay_alu instid0(VALU_DEP_1)
	v_cmpx_gt_u64_e64 s[28:29], v[6:7]
	s_cbranch_execz .LBB78_210
; %bb.213:                              ;   in Loop: Header=BB78_212 Depth=2
	v_mad_co_u64_u32 v[8:9], null, v6, s56, s[60:61]
	v_mul_lo_u32 v10, v6, s57
	v_mul_lo_u32 v11, v7, s56
	s_delay_alu instid0(VALU_DEP_1) | instskip(SKIP_3) | instid1(VALU_DEP_1)
	v_add3_u32 v9, v11, v9, v10
	global_load_u8 v8, v[8:9], off
	s_wait_loadcnt 0x0
	v_and_b32_e32 v9, v8, v30
	v_and_b32_e32 v9, 0xff, v9
	s_delay_alu instid0(VALU_DEP_1)
	v_cmp_eq_u32_e32 vcc_lo, v9, v28
	s_and_b32 exec_lo, exec_lo, vcc_lo
	s_cbranch_execz .LBB78_210
; %bb.214:                              ;   in Loop: Header=BB78_212 Depth=2
	v_lshlrev_b16 v8, 8, v8
	s_delay_alu instid0(VALU_DEP_1)
	v_or_b32_e32 v8, 1, v8
	ds_store_b16 v3, v8 offset:3072
	s_branch .LBB78_210
.LBB78_215:                             ;   in Loop: Header=BB78_212 Depth=2
	v_add_co_u32 v6, vcc_lo, v6, s66
	s_wait_alu 0xfffd
	v_add_co_ci_u32_e64 v7, null, 0, v7, vcc_lo
	s_mov_b32 s25, 0
	v_cmp_le_u64_e32 vcc_lo, s[6:7], v[6:7]
	s_or_not1_b32 s44, vcc_lo, exec_lo
	s_branch .LBB78_211
.LBB78_216:                             ;   in Loop: Header=BB78_23 Depth=1
	s_or_b32 exec_lo, exec_lo, s13
	v_and_b32_e32 v6, 0xffff, v8
	s_and_not1_b32 s6, s14, exec_lo
	s_wait_alu 0xfffe
	s_and_b32 s7, s15, exec_lo
	s_wait_alu 0xfffe
	s_or_b32 s14, s6, s7
	v_lshrrev_b32_e32 v31, 8, v6
.LBB78_217:                             ;   in Loop: Header=BB78_23 Depth=1
	s_or_b32 exec_lo, exec_lo, s12
	s_mov_b32 s25, 0
	s_mov_b32 s78, -1
.LBB78_218:                             ;   in Loop: Header=BB78_23 Depth=1
	s_wait_alu 0xfffe
	s_or_not1_b32 s6, s14, exec_lo
.LBB78_219:                             ;   in Loop: Header=BB78_23 Depth=1
	s_wait_alu 0xfffe
	s_or_b32 exec_lo, exec_lo, s80
	s_mov_b32 s7, 0
	s_and_saveexec_b32 s14, s6
	s_cbranch_execz .LBB78_277
; %bb.220:                              ;   in Loop: Header=BB78_23 Depth=1
	v_mov_b32_e32 v6, 1
	v_dual_mov_b32 v7, 0 :: v_dual_mov_b32 v2, 1
	s_xor_b32 s12, s79, -1
	s_wait_alu 0xfffe
	s_and_saveexec_b32 s6, s12
	s_cbranch_execz .LBB78_229
; %bb.221:                              ;   in Loop: Header=BB78_23 Depth=1
	s_mov_b32 s7, exec_lo
	v_cmpx_ge_u64_e64 s[10:11], v[4:5]
	s_wait_alu 0xfffe
	s_xor_b32 s7, exec_lo, s7
	s_cbranch_execz .LBB78_226
; %bb.222:                              ;   in Loop: Header=BB78_23 Depth=1
	ds_load_b64 v[6:7], v3 offset:5120
	s_lshl_b32 s12, 2, s100
	v_or_b32_e32 v30, s16, v30
	s_wait_alu 0xfffe
	v_and_or_b32 v28, v28, s20, s12
	s_wait_dscnt 0x0
	v_cmp_ne_u64_e32 vcc_lo, 0, v[6:7]
	s_cbranch_vccnz .LBB78_226
; %bb.223:                              ;   in Loop: Header=BB78_23 Depth=1
	s_and_saveexec_b32 s12, s2
; %bb.224:                              ;   in Loop: Header=BB78_23 Depth=1
	v_dual_mov_b32 v6, s10 :: v_dual_mov_b32 v7, s11
	ds_store_b64 v3, v[6:7] offset:5128
; %bb.225:                              ;   in Loop: Header=BB78_23 Depth=1
	s_wait_alu 0xfffe
	s_or_b32 exec_lo, exec_lo, s12
	s_wait_loadcnt_dscnt 0x0
	s_barrier_signal -1
	s_barrier_wait -1
	global_inv scope:SCOPE_SE
.LBB78_226:                             ;   in Loop: Header=BB78_23 Depth=1
	s_wait_alu 0xfffe
	s_or_saveexec_b32 s7, s7
	v_mov_b32_e32 v2, 8
	s_mov_b32 s12, 0
	s_wait_alu 0xfffe
	s_xor_b32 exec_lo, exec_lo, s7
; %bb.227:                              ;   in Loop: Header=BB78_23 Depth=1
	v_sub_co_u32 v4, vcc_lo, v4, s10
	s_wait_alu 0xfffd
	v_subrev_co_ci_u32_e64 v5, null, s11, v5, vcc_lo
	v_mov_b32_e32 v2, 0
	s_mov_b32 s12, exec_lo
; %bb.228:                              ;   in Loop: Header=BB78_23 Depth=1
	s_or_b32 exec_lo, exec_lo, s7
	s_delay_alu instid0(VALU_DEP_2)
	v_dual_mov_b32 v7, v5 :: v_dual_mov_b32 v6, v4
	s_wait_alu 0xfffe
	s_and_b32 s7, s12, exec_lo
.LBB78_229:                             ;   in Loop: Header=BB78_23 Depth=1
	s_wait_alu 0xfffe
	s_or_b32 exec_lo, exec_lo, s6
	s_mov_b32 s6, -1
                                        ; implicit-def: $sgpr81
                                        ; implicit-def: $sgpr80
	s_and_saveexec_b32 s15, s7
	s_cbranch_execz .LBB78_276
; %bb.230:                              ;   in Loop: Header=BB78_23 Depth=1
	v_cmp_eq_u64_e32 vcc_lo, 1, v[6:7]
	s_cmp_eq_u64 s[8:9], 1
	s_mov_b32 s7, -1
	s_cselect_b32 s6, -1, 0
                                        ; implicit-def: $sgpr81
                                        ; implicit-def: $sgpr80
	s_wait_alu 0xfffe
	s_and_b32 s20, s6, vcc_lo
	s_wait_alu 0xfffe
	s_and_saveexec_b32 s79, s20
	s_cbranch_execz .LBB78_264
; %bb.231:                              ;   in Loop: Header=BB78_23 Depth=1
	ds_load_b64 v[4:5], v3 offset:5120
	s_wait_loadcnt_dscnt 0x0
	s_barrier_signal -1
	s_barrier_wait -1
	global_inv scope:SCOPE_SE
	v_readfirstlane_b32 s6, v4
	v_readfirstlane_b32 s7, v5
	s_and_saveexec_b32 s10, s3
; %bb.232:                              ;   in Loop: Header=BB78_23 Depth=1
	ds_store_b8 v0, v3 offset:3072
; %bb.233:                              ;   in Loop: Header=BB78_23 Depth=1
	s_wait_alu 0xfffe
	s_or_b32 exec_lo, exec_lo, s10
	v_or_b32_e32 v28, s16, v28
	v_or_b32_e32 v30, s16, v30
	s_mov_b32 s80, -1
	s_mov_b32 s81, 0
	s_cmp_eq_u64 s[6:7], 0
	s_mov_b32 s12, 0
	s_mov_b32 s13, -1
	s_wait_loadcnt_dscnt 0x0
	s_barrier_signal -1
	s_barrier_wait -1
	global_inv scope:SCOPE_SE
                                        ; implicit-def: $vgpr31
	s_cbranch_scc1 .LBB78_249
; %bb.234:                              ;   in Loop: Header=BB78_23 Depth=1
	s_add_nc_u64 s[10:11], s[6:7], s[72:73]
	s_mov_b32 s12, s71
	s_wait_alu 0xfffe
	s_mov_b32 s13, s11
	s_wait_alu 0xfffe
	s_cmp_lg_u64 s[12:13], 0
	s_cbranch_scc0 .LBB78_283
; %bb.235:                              ;   in Loop: Header=BB78_23 Depth=1
	s_cvt_f32_u32 s12, s66
	s_sub_nc_u64 s[44:45], 0, s[66:67]
	s_wait_alu 0xfffe
	s_delay_alu instid0(SALU_CYCLE_1) | instskip(SKIP_1) | instid1(SALU_CYCLE_2)
	s_fmamk_f32 s12, s102, 0x0, s12
	s_wait_alu 0xfffe
	v_s_rcp_f32 s12, s12
	s_delay_alu instid0(TRANS32_DEP_1) | instskip(SKIP_1) | instid1(SALU_CYCLE_2)
	s_mul_f32 s12, s12, 0x5f7ffffc
	s_wait_alu 0xfffe
	s_mul_f32 s13, s12, 0x2f800000
	s_wait_alu 0xfffe
	s_delay_alu instid0(SALU_CYCLE_2) | instskip(SKIP_1) | instid1(SALU_CYCLE_2)
	s_trunc_f32 s13, s13
	s_wait_alu 0xfffe
	s_fmamk_f32 s12, s13, 0xcf800000, s12
	s_cvt_u32_f32 s13, s13
	s_wait_alu 0xfffe
	s_delay_alu instid0(SALU_CYCLE_1) | instskip(SKIP_1) | instid1(SALU_CYCLE_2)
	s_cvt_u32_f32 s12, s12
	s_wait_alu 0xfffe
	s_mul_u64 s[46:47], s[44:45], s[12:13]
	s_wait_alu 0xfffe
	s_mul_hi_u32 s83, s12, s47
	s_mul_i32 s82, s12, s47
	s_mul_hi_u32 s70, s12, s46
	s_mul_i32 s85, s13, s46
	s_wait_alu 0xfffe
	s_add_nc_u64 s[82:83], s[70:71], s[82:83]
	s_mul_hi_u32 s84, s13, s46
	s_mul_hi_u32 s86, s13, s47
	s_mul_i32 s46, s13, s47
	s_wait_alu 0xfffe
	s_add_co_u32 s47, s82, s85
	s_add_co_ci_u32 s70, s83, s84
	s_add_co_ci_u32 s47, s86, 0
	s_wait_alu 0xfffe
	s_add_nc_u64 s[46:47], s[70:71], s[46:47]
	s_wait_alu 0xfffe
	s_add_co_u32 s12, s12, s46
	s_cselect_b32 s46, -1, 0
	s_wait_alu 0xfffe
	s_cmp_lg_u32 s46, 0
	s_add_co_ci_u32 s13, s13, s47
	s_wait_alu 0xfffe
	s_mul_u64 s[44:45], s[44:45], s[12:13]
	s_wait_alu 0xfffe
	s_mul_hi_u32 s47, s12, s45
	s_mul_i32 s46, s12, s45
	s_mul_hi_u32 s70, s12, s44
	s_mul_i32 s83, s13, s44
	s_wait_alu 0xfffe
	s_add_nc_u64 s[46:47], s[70:71], s[46:47]
	s_mul_hi_u32 s82, s13, s44
	s_mul_hi_u32 s84, s13, s45
	s_mul_i32 s44, s13, s45
	s_wait_alu 0xfffe
	s_add_co_u32 s45, s46, s83
	s_add_co_ci_u32 s70, s47, s82
	s_add_co_ci_u32 s45, s84, 0
	s_wait_alu 0xfffe
	s_add_nc_u64 s[44:45], s[70:71], s[44:45]
	s_wait_alu 0xfffe
	s_add_co_u32 s12, s12, s44
	s_cselect_b32 s44, -1, 0
	s_wait_alu 0xfffe
	s_mul_hi_u32 s70, s10, s12
	s_cmp_lg_u32 s44, 0
	s_mul_hi_u32 s46, s11, s12
	s_add_co_ci_u32 s44, s13, s45
	s_mul_i32 s45, s11, s12
	s_wait_alu 0xfffe
	s_mul_hi_u32 s13, s10, s44
	s_mul_i32 s12, s10, s44
	s_mul_hi_u32 s47, s11, s44
	s_wait_alu 0xfffe
	s_add_nc_u64 s[12:13], s[70:71], s[12:13]
	s_mul_i32 s44, s11, s44
	s_wait_alu 0xfffe
	s_add_co_u32 s12, s12, s45
	s_add_co_ci_u32 s70, s13, s46
	s_add_co_ci_u32 s45, s47, 0
	s_wait_alu 0xfffe
	s_add_nc_u64 s[12:13], s[70:71], s[44:45]
	s_wait_alu 0xfffe
	s_mul_u64 s[12:13], s[66:67], s[12:13]
	s_wait_alu 0xfffe
	s_sub_co_u32 s12, s10, s12
	s_cselect_b32 s44, -1, 0
	s_wait_alu 0xfffe
	s_cmp_lg_u32 s44, 0
	s_sub_co_ci_u32 s13, s11, s13
	s_sub_co_u32 s44, s12, s66
	s_cselect_b32 s45, -1, 0
	s_wait_alu 0xfffe
	s_cmp_lg_u32 s45, 0
	s_sub_co_ci_u32 s45, s13, 0
	;; [unrolled: 5-line block ×3, first 2 shown]
	s_cmp_ge_u32 s44, s66
	s_cselect_b32 s70, -1, 0
	s_cmp_eq_u32 s45, 0
	s_wait_alu 0xfffe
	s_cselect_b32 s70, s70, -1
	s_wait_alu 0xfffe
	s_cmp_lg_u32 s70, 0
	s_cselect_b32 s45, s47, s45
	s_cselect_b32 s44, s46, s44
	s_cmp_ge_u32 s12, s66
	s_cselect_b32 s46, -1, 0
	s_cmp_eq_u32 s13, 0
	s_wait_alu 0xfffe
	s_cselect_b32 s46, s46, -1
	s_wait_alu 0xfffe
	s_cmp_lg_u32 s46, 0
	s_cselect_b32 s13, s45, s13
	s_cselect_b32 s12, s44, s12
	s_cbranch_execnz .LBB78_237
.LBB78_236:                             ;   in Loop: Header=BB78_23 Depth=1
	v_cvt_f32_u32_e32 v4, s66
	s_sub_co_i32 s13, 0, s66
	s_delay_alu instid0(VALU_DEP_1) | instskip(NEXT) | instid1(TRANS32_DEP_1)
	v_rcp_iflag_f32_e32 v4, v4
	v_mul_f32_e32 v4, 0x4f7ffffe, v4
	s_delay_alu instid0(VALU_DEP_1) | instskip(NEXT) | instid1(VALU_DEP_1)
	v_cvt_u32_f32_e32 v4, v4
	v_readfirstlane_b32 s12, v4
	s_wait_alu 0xfffe
	s_mul_i32 s13, s13, s12
	s_wait_alu 0xfffe
	s_mul_hi_u32 s13, s12, s13
	s_wait_alu 0xfffe
	s_add_co_i32 s12, s12, s13
	s_wait_alu 0xfffe
	s_mul_hi_u32 s12, s10, s12
	s_wait_alu 0xfffe
	s_mul_i32 s12, s12, s66
	s_wait_alu 0xfffe
	s_sub_co_i32 s12, s10, s12
	s_wait_alu 0xfffe
	s_sub_co_i32 s13, s12, s66
	s_cmp_ge_u32 s12, s66
	s_wait_alu 0xfffe
	s_cselect_b32 s12, s13, s12
	s_wait_alu 0xfffe
	s_sub_co_i32 s13, s12, s66
	s_cmp_ge_u32 s12, s66
	s_wait_alu 0xfffe
	s_cselect_b32 s70, s13, s12
	s_wait_alu 0xfffe
	s_mov_b64 s[12:13], s[70:71]
.LBB78_237:                             ;   in Loop: Header=BB78_23 Depth=1
	s_wait_alu 0xfffe
	s_sub_nc_u64 s[10:11], s[10:11], s[12:13]
	s_mov_b32 s13, 0
	s_mov_b32 s12, 0
	s_mov_b32 s44, exec_lo
                                        ; implicit-def: $vgpr31
	s_wait_alu 0xfffe
	v_cmpx_gt_u64_e64 s[10:11], v[0:1]
	s_cbranch_execz .LBB78_248
; %bb.238:                              ;   in Loop: Header=BB78_23 Depth=1
	v_dual_mov_b32 v8, v0 :: v_dual_mov_b32 v5, v1
	v_mov_b32_e32 v4, v0
                                        ; implicit-def: $sgpr45
	s_branch .LBB78_241
.LBB78_239:                             ;   in Loop: Header=BB78_241 Depth=2
	s_wait_alu 0xfffe
	s_or_b32 exec_lo, exec_lo, s46
	s_wait_loadcnt_dscnt 0x0
	s_barrier_signal -1
	s_barrier_wait -1
	global_inv scope:SCOPE_SE
	ds_load_u16 v9, v3 offset:3072
	s_mov_b32 s46, -1
	s_mov_b32 s47, -1
	s_wait_loadcnt_dscnt 0x0
	s_barrier_signal -1
	s_barrier_wait -1
	global_inv scope:SCOPE_SE
	v_and_b32_e32 v10, 0xff, v9
	s_delay_alu instid0(VALU_DEP_1)
	v_cmp_ne_u32_e32 vcc_lo, 0, v10
	s_cbranch_vccz .LBB78_244
.LBB78_240:                             ;   in Loop: Header=BB78_241 Depth=2
	s_wait_alu 0xfffe
	s_and_b32 s46, exec_lo, s46
	s_wait_alu 0xfffe
	s_or_b32 s12, s46, s12
	s_and_not1_b32 s45, s45, exec_lo
	s_and_b32 s46, s47, exec_lo
	s_wait_alu 0xfffe
	s_or_b32 s45, s45, s46
	s_and_not1_b32 exec_lo, exec_lo, s12
	s_cbranch_execz .LBB78_247
.LBB78_241:                             ;   Parent Loop BB78_23 Depth=1
                                        ; =>  This Inner Loop Header: Depth=2
	s_mov_b32 s46, exec_lo
	s_delay_alu instid0(VALU_DEP_1)
	v_cmpx_gt_u64_e64 s[6:7], v[4:5]
	s_cbranch_execz .LBB78_239
; %bb.242:                              ;   in Loop: Header=BB78_241 Depth=2
	ds_load_u8 v9, v8
	s_wait_dscnt 0x0
	v_and_b32_e32 v10, v9, v30
	s_delay_alu instid0(VALU_DEP_1) | instskip(NEXT) | instid1(VALU_DEP_1)
	v_and_b32_e32 v10, 0xff, v10
	v_cmp_eq_u32_e32 vcc_lo, v10, v28
	s_and_b32 exec_lo, exec_lo, vcc_lo
	s_cbranch_execz .LBB78_239
; %bb.243:                              ;   in Loop: Header=BB78_241 Depth=2
	v_lshlrev_b16 v9, 8, v9
	s_delay_alu instid0(VALU_DEP_1)
	v_or_b32_e32 v9, 1, v9
	ds_store_b16 v3, v9 offset:3072
	s_branch .LBB78_239
.LBB78_244:                             ;   in Loop: Header=BB78_241 Depth=2
	v_add_co_u32 v4, vcc_lo, v4, s66
	s_wait_alu 0xfffd
	v_add_co_ci_u32_e64 v5, null, 0, v5, vcc_lo
	v_add_nc_u32_e32 v8, s66, v8
	s_mov_b32 s47, 0
	s_delay_alu instid0(VALU_DEP_2)
	v_cmp_le_u64_e32 vcc_lo, s[10:11], v[4:5]
	s_or_not1_b32 s46, vcc_lo, exec_lo
	s_branch .LBB78_240
.LBB78_245:                             ;   in Loop: Header=BB78_23 Depth=1
                                        ; implicit-def: $sgpr14_sgpr15
	s_branch .LBB78_191
.LBB78_246:                             ;   in Loop: Header=BB78_23 Depth=1
                                        ; implicit-def: $sgpr6_sgpr7
	s_branch .LBB78_207
.LBB78_247:                             ;   in Loop: Header=BB78_23 Depth=1
	s_or_b32 exec_lo, exec_lo, s12
	v_and_b32_e32 v4, 0xffff, v9
	s_wait_alu 0xfffe
	s_and_b32 s12, s45, exec_lo
	s_delay_alu instid0(VALU_DEP_1)
	v_lshrrev_b32_e32 v31, 8, v4
.LBB78_248:                             ;   in Loop: Header=BB78_23 Depth=1
	s_or_b32 exec_lo, exec_lo, s44
.LBB78_249:                             ;   in Loop: Header=BB78_23 Depth=1
	s_wait_alu 0xfffe
	s_and_b32 vcc_lo, exec_lo, s13
	s_wait_alu 0xfffe
	s_cbranch_vccz .LBB78_263
; %bb.250:                              ;   in Loop: Header=BB78_23 Depth=1
	s_mov_b32 s6, s71
	s_mov_b32 s7, s75
	s_wait_alu 0xfffe
	s_cmp_lg_u64 s[6:7], 0
	s_cbranch_scc0 .LBB78_284
; %bb.251:                              ;   in Loop: Header=BB78_23 Depth=1
	s_cvt_f32_u32 s6, s66
	s_sub_nc_u64 s[10:11], 0, s[66:67]
	s_wait_alu 0xfffe
	s_delay_alu instid0(SALU_CYCLE_1) | instskip(SKIP_1) | instid1(SALU_CYCLE_2)
	s_fmamk_f32 s6, s102, 0x0, s6
	s_wait_alu 0xfffe
	v_s_rcp_f32 s6, s6
	s_delay_alu instid0(TRANS32_DEP_1) | instskip(SKIP_1) | instid1(SALU_CYCLE_2)
	s_mul_f32 s6, s6, 0x5f7ffffc
	s_wait_alu 0xfffe
	s_mul_f32 s7, s6, 0x2f800000
	s_wait_alu 0xfffe
	s_delay_alu instid0(SALU_CYCLE_2) | instskip(SKIP_1) | instid1(SALU_CYCLE_2)
	s_trunc_f32 s7, s7
	s_wait_alu 0xfffe
	s_fmamk_f32 s6, s7, 0xcf800000, s6
	s_cvt_u32_f32 s7, s7
	s_wait_alu 0xfffe
	s_delay_alu instid0(SALU_CYCLE_1) | instskip(SKIP_1) | instid1(SALU_CYCLE_2)
	s_cvt_u32_f32 s6, s6
	s_wait_alu 0xfffe
	s_mul_u64 s[44:45], s[10:11], s[6:7]
	s_wait_alu 0xfffe
	s_mul_hi_u32 s47, s6, s45
	s_mul_i32 s46, s6, s45
	s_mul_hi_u32 s70, s6, s44
	s_mul_i32 s80, s7, s44
	s_wait_alu 0xfffe
	s_add_nc_u64 s[46:47], s[70:71], s[46:47]
	s_mul_hi_u32 s13, s7, s44
	s_mul_hi_u32 s81, s7, s45
	s_mul_i32 s44, s7, s45
	s_wait_alu 0xfffe
	s_add_co_u32 s45, s46, s80
	s_add_co_ci_u32 s70, s47, s13
	s_add_co_ci_u32 s45, s81, 0
	s_wait_alu 0xfffe
	s_add_nc_u64 s[44:45], s[70:71], s[44:45]
	s_wait_alu 0xfffe
	s_add_co_u32 s6, s6, s44
	s_cselect_b32 s13, -1, 0
	s_wait_alu 0xfffe
	s_cmp_lg_u32 s13, 0
	s_add_co_ci_u32 s7, s7, s45
	s_wait_alu 0xfffe
	s_mul_u64 s[10:11], s[10:11], s[6:7]
	s_wait_alu 0xfffe
	s_mul_hi_u32 s45, s6, s11
	s_mul_i32 s44, s6, s11
	s_mul_hi_u32 s70, s6, s10
	s_mul_i32 s46, s7, s10
	s_wait_alu 0xfffe
	s_add_nc_u64 s[44:45], s[70:71], s[44:45]
	s_mul_hi_u32 s13, s7, s10
	s_mul_hi_u32 s47, s7, s11
	s_mul_i32 s10, s7, s11
	s_wait_alu 0xfffe
	s_add_co_u32 s11, s44, s46
	s_add_co_ci_u32 s70, s45, s13
	s_add_co_ci_u32 s11, s47, 0
	s_wait_alu 0xfffe
	s_add_nc_u64 s[10:11], s[70:71], s[10:11]
	s_wait_alu 0xfffe
	s_add_co_u32 s6, s6, s10
	s_cselect_b32 s10, -1, 0
	s_wait_alu 0xfffe
	s_mul_hi_u32 s70, s74, s6
	s_cmp_lg_u32 s10, 0
	s_mul_hi_u32 s13, s75, s6
	s_add_co_ci_u32 s10, s7, s11
	s_mul_i32 s11, s75, s6
	s_wait_alu 0xfffe
	s_mul_hi_u32 s7, s74, s10
	s_mul_i32 s6, s74, s10
	s_mul_hi_u32 s44, s75, s10
	s_wait_alu 0xfffe
	s_add_nc_u64 s[6:7], s[70:71], s[6:7]
	s_mul_i32 s10, s75, s10
	s_wait_alu 0xfffe
	s_add_co_u32 s6, s6, s11
	s_add_co_ci_u32 s70, s7, s13
	s_add_co_ci_u32 s11, s44, 0
	s_wait_alu 0xfffe
	s_add_nc_u64 s[6:7], s[70:71], s[10:11]
	s_wait_alu 0xfffe
	s_mul_u64 s[6:7], s[66:67], s[6:7]
	s_wait_alu 0xfffe
	s_sub_co_u32 s6, s74, s6
	s_cselect_b32 s10, -1, 0
	s_wait_alu 0xfffe
	s_cmp_lg_u32 s10, 0
	s_sub_co_ci_u32 s7, s75, s7
	s_sub_co_u32 s10, s6, s66
	s_cselect_b32 s11, -1, 0
	s_wait_alu 0xfffe
	s_cmp_lg_u32 s11, 0
	s_sub_co_ci_u32 s11, s7, 0
	s_sub_co_u32 s13, s10, s66
	s_cselect_b32 s44, -1, 0
	s_wait_alu 0xfffe
	s_cmp_lg_u32 s44, 0
	s_sub_co_ci_u32 s44, s11, 0
	s_cmp_ge_u32 s10, s66
	s_cselect_b32 s45, -1, 0
	s_cmp_eq_u32 s11, 0
	s_wait_alu 0xfffe
	s_cselect_b32 s45, s45, -1
	s_wait_alu 0xfffe
	s_cmp_lg_u32 s45, 0
	s_cselect_b32 s11, s44, s11
	s_cselect_b32 s10, s13, s10
	s_cmp_ge_u32 s6, s66
	s_cselect_b32 s13, -1, 0
	s_cmp_eq_u32 s7, 0
	s_wait_alu 0xfffe
	s_cselect_b32 s13, s13, -1
	s_wait_alu 0xfffe
	s_cmp_lg_u32 s13, 0
	s_cselect_b32 s7, s11, s7
	s_cselect_b32 s6, s10, s6
	s_cbranch_execnz .LBB78_253
.LBB78_252:                             ;   in Loop: Header=BB78_23 Depth=1
	v_cvt_f32_u32_e32 v4, s66
	s_sub_co_i32 s7, 0, s66
	s_delay_alu instid0(VALU_DEP_1) | instskip(NEXT) | instid1(TRANS32_DEP_1)
	v_rcp_iflag_f32_e32 v4, v4
	v_mul_f32_e32 v4, 0x4f7ffffe, v4
	s_delay_alu instid0(VALU_DEP_1) | instskip(NEXT) | instid1(VALU_DEP_1)
	v_cvt_u32_f32_e32 v4, v4
	v_readfirstlane_b32 s6, v4
	s_wait_alu 0xfffe
	s_mul_i32 s7, s7, s6
	s_wait_alu 0xfffe
	s_mul_hi_u32 s7, s6, s7
	s_wait_alu 0xfffe
	s_add_co_i32 s6, s6, s7
	s_wait_alu 0xfffe
	s_mul_hi_u32 s6, s74, s6
	s_wait_alu 0xfffe
	s_mul_i32 s6, s6, s66
	s_wait_alu 0xfffe
	s_sub_co_i32 s6, s74, s6
	s_wait_alu 0xfffe
	s_sub_co_i32 s7, s6, s66
	s_cmp_ge_u32 s6, s66
	s_wait_alu 0xfffe
	s_cselect_b32 s6, s7, s6
	s_wait_alu 0xfffe
	s_sub_co_i32 s7, s6, s66
	s_cmp_ge_u32 s6, s66
	s_wait_alu 0xfffe
	s_cselect_b32 s70, s7, s6
	s_wait_alu 0xfffe
	s_mov_b64 s[6:7], s[70:71]
.LBB78_253:                             ;   in Loop: Header=BB78_23 Depth=1
	s_wait_alu 0xfffe
	s_sub_nc_u64 s[6:7], s[74:75], s[6:7]
	s_mov_b32 s10, exec_lo
                                        ; implicit-def: $vgpr31
	s_wait_alu 0xfffe
	v_cmpx_gt_u64_e64 s[6:7], v[0:1]
	s_cbranch_execz .LBB78_262
; %bb.254:                              ;   in Loop: Header=BB78_23 Depth=1
	v_dual_mov_b32 v5, v1 :: v_dual_mov_b32 v4, v0
	s_mov_b32 s11, 0
                                        ; implicit-def: $sgpr13
	s_branch .LBB78_257
.LBB78_255:                             ;   in Loop: Header=BB78_257 Depth=2
	s_wait_alu 0xfffe
	s_or_b32 exec_lo, exec_lo, s44
	s_wait_loadcnt_dscnt 0x0
	s_barrier_signal -1
	s_barrier_wait -1
	global_inv scope:SCOPE_SE
	ds_load_u16 v8, v3 offset:3072
	s_mov_b32 s45, -1
	s_mov_b32 s44, -1
	s_wait_loadcnt_dscnt 0x0
	s_barrier_signal -1
	s_barrier_wait -1
	global_inv scope:SCOPE_SE
	v_and_b32_e32 v9, 0xff, v8
	s_delay_alu instid0(VALU_DEP_1)
	v_cmp_eq_u32_e32 vcc_lo, 0, v9
	s_cbranch_vccnz .LBB78_260
.LBB78_256:                             ;   in Loop: Header=BB78_257 Depth=2
	s_wait_alu 0xfffe
	s_and_b32 s45, exec_lo, s45
	s_wait_alu 0xfffe
	s_or_b32 s11, s45, s11
	s_and_not1_b32 s13, s13, exec_lo
	s_and_b32 s44, s44, exec_lo
	s_wait_alu 0xfffe
	s_or_b32 s13, s13, s44
	s_and_not1_b32 exec_lo, exec_lo, s11
	s_cbranch_execz .LBB78_261
.LBB78_257:                             ;   Parent Loop BB78_23 Depth=1
                                        ; =>  This Inner Loop Header: Depth=2
	s_mov_b32 s44, exec_lo
	s_delay_alu instid0(VALU_DEP_1)
	v_cmpx_gt_u64_e64 s[28:29], v[4:5]
	s_cbranch_execz .LBB78_255
; %bb.258:                              ;   in Loop: Header=BB78_257 Depth=2
	v_mad_co_u64_u32 v[8:9], null, v4, s56, s[60:61]
	v_mul_lo_u32 v10, v4, s57
	v_mul_lo_u32 v11, v5, s56
	s_delay_alu instid0(VALU_DEP_1) | instskip(SKIP_3) | instid1(VALU_DEP_1)
	v_add3_u32 v9, v11, v9, v10
	global_load_u8 v8, v[8:9], off
	s_wait_loadcnt 0x0
	v_and_b32_e32 v9, v8, v30
	v_and_b32_e32 v9, 0xff, v9
	s_delay_alu instid0(VALU_DEP_1)
	v_cmp_eq_u32_e32 vcc_lo, v9, v28
	s_and_b32 exec_lo, exec_lo, vcc_lo
	s_cbranch_execz .LBB78_255
; %bb.259:                              ;   in Loop: Header=BB78_257 Depth=2
	v_lshlrev_b16 v8, 8, v8
	s_delay_alu instid0(VALU_DEP_1)
	v_or_b32_e32 v8, 1, v8
	ds_store_b16 v3, v8 offset:3072
	s_branch .LBB78_255
.LBB78_260:                             ;   in Loop: Header=BB78_257 Depth=2
	v_add_co_u32 v4, vcc_lo, v4, s66
	s_wait_alu 0xfffd
	v_add_co_ci_u32_e64 v5, null, 0, v5, vcc_lo
	s_mov_b32 s44, 0
	v_cmp_le_u64_e32 vcc_lo, s[6:7], v[4:5]
	s_or_not1_b32 s45, vcc_lo, exec_lo
	s_branch .LBB78_256
.LBB78_261:                             ;   in Loop: Header=BB78_23 Depth=1
	s_or_b32 exec_lo, exec_lo, s11
	v_and_b32_e32 v4, 0xffff, v8
	s_and_not1_b32 s6, s12, exec_lo
	s_wait_alu 0xfffe
	s_and_b32 s7, s13, exec_lo
	s_wait_alu 0xfffe
	s_or_b32 s12, s6, s7
	v_lshrrev_b32_e32 v31, 8, v4
.LBB78_262:                             ;   in Loop: Header=BB78_23 Depth=1
	s_or_b32 exec_lo, exec_lo, s10
	s_mov_b32 s80, 0
	s_mov_b32 s81, -1
.LBB78_263:                             ;   in Loop: Header=BB78_23 Depth=1
	s_wait_alu 0xfffe
	s_or_not1_b32 s7, s12, exec_lo
.LBB78_264:                             ;   in Loop: Header=BB78_23 Depth=1
	s_wait_alu 0xfffe
	s_or_b32 exec_lo, exec_lo, s79
	s_mov_b32 s10, 0
	s_and_saveexec_b32 s6, s7
	s_cbranch_execz .LBB78_275
; %bb.265:                              ;   in Loop: Header=BB78_23 Depth=1
	v_mov_b32_e32 v4, 1
	v_dual_mov_b32 v5, 0 :: v_dual_mov_b32 v2, 1
	s_xor_b32 s10, s20, -1
	s_wait_alu 0xfffe
	s_and_saveexec_b32 s7, s10
	s_cbranch_execz .LBB78_274
; %bb.266:                              ;   in Loop: Header=BB78_23 Depth=1
	s_mov_b32 s10, exec_lo
	v_cmpx_ge_u64_e64 s[8:9], v[6:7]
	s_wait_alu 0xfffe
	s_xor_b32 s10, exec_lo, s10
	s_cbranch_execz .LBB78_271
; %bb.267:                              ;   in Loop: Header=BB78_23 Depth=1
	ds_load_b64 v[4:5], v3 offset:5120
	v_or_b32_e32 v28, s16, v28
	v_or_b32_e32 v30, s16, v30
	s_wait_dscnt 0x0
	v_cmp_ne_u64_e32 vcc_lo, 0, v[4:5]
	s_cbranch_vccnz .LBB78_271
; %bb.268:                              ;   in Loop: Header=BB78_23 Depth=1
	s_and_saveexec_b32 s11, s2
; %bb.269:                              ;   in Loop: Header=BB78_23 Depth=1
	v_dual_mov_b32 v4, s8 :: v_dual_mov_b32 v5, s9
	ds_store_b64 v3, v[4:5] offset:5128
; %bb.270:                              ;   in Loop: Header=BB78_23 Depth=1
	s_wait_alu 0xfffe
	s_or_b32 exec_lo, exec_lo, s11
	s_wait_loadcnt_dscnt 0x0
	s_barrier_signal -1
	s_barrier_wait -1
	global_inv scope:SCOPE_SE
.LBB78_271:                             ;   in Loop: Header=BB78_23 Depth=1
	s_wait_alu 0xfffe
	s_and_not1_saveexec_b32 s10, s10
; %bb.272:                              ;   in Loop: Header=BB78_23 Depth=1
	v_sub_co_u32 v6, vcc_lo, v6, s8
	s_wait_alu 0xfffd
	v_subrev_co_ci_u32_e64 v7, null, s9, v7, vcc_lo
; %bb.273:                              ;   in Loop: Header=BB78_23 Depth=1
	s_wait_alu 0xfffe
	s_or_b32 exec_lo, exec_lo, s10
	v_mov_b32_e32 v4, v6
	s_delay_alu instid0(VALU_DEP_2)
	v_dual_mov_b32 v2, 8 :: v_dual_mov_b32 v5, v7
.LBB78_274:                             ;   in Loop: Header=BB78_23 Depth=1
	s_wait_alu 0xfffe
	s_or_b32 exec_lo, exec_lo, s7
	s_delay_alu instid0(VALU_DEP_1)
	v_dual_mov_b32 v7, v5 :: v_dual_mov_b32 v6, v4
	s_mov_b32 s10, exec_lo
.LBB78_275:                             ;   in Loop: Header=BB78_23 Depth=1
	s_wait_alu 0xfffe
	s_or_b32 exec_lo, exec_lo, s6
	s_delay_alu instid0(SALU_CYCLE_1)
	s_or_not1_b32 s6, s10, exec_lo
.LBB78_276:                             ;   in Loop: Header=BB78_23 Depth=1
	s_wait_alu 0xfffe
	s_or_b32 exec_lo, exec_lo, s15
	v_dual_mov_b32 v4, v6 :: v_dual_mov_b32 v5, v7
	s_and_not1_b32 s7, s78, exec_lo
	s_and_b32 s8, s81, exec_lo
	s_and_not1_b32 s9, s25, exec_lo
	s_and_b32 s10, s80, exec_lo
	s_wait_alu 0xfffe
	s_or_b32 s78, s7, s8
	s_or_b32 s25, s9, s10
	s_and_b32 s7, s6, exec_lo
.LBB78_277:                             ;   in Loop: Header=BB78_23 Depth=1
	s_wait_alu 0xfffe
	s_or_b32 exec_lo, exec_lo, s14
	s_delay_alu instid0(SALU_CYCLE_1)
	s_or_not1_b32 s6, s7, exec_lo
.LBB78_278:                             ;   in Loop: Header=BB78_23 Depth=1
	s_wait_alu 0xfffe
	s_or_b32 exec_lo, exec_lo, s24
	v_dual_mov_b32 v9, v5 :: v_dual_mov_b32 v8, v4
	s_and_not1_b32 s7, s22, exec_lo
	s_and_b32 s8, s78, exec_lo
	s_and_not1_b32 s9, s21, exec_lo
	s_and_b32 s10, s25, exec_lo
	s_wait_alu 0xfffe
	s_or_b32 s22, s7, s8
	s_or_b32 s21, s9, s10
	s_and_b32 s7, s6, exec_lo
.LBB78_279:                             ;   in Loop: Header=BB78_23 Depth=1
	s_wait_alu 0xfffe
	s_or_b32 exec_lo, exec_lo, s23
	s_delay_alu instid0(SALU_CYCLE_1)
	s_or_not1_b32 s6, s7, exec_lo
.LBB78_280:                             ;   in Loop: Header=BB78_23 Depth=1
	s_wait_alu 0xfffe
	s_or_b32 exec_lo, exec_lo, s19
	s_mov_b32 s7, 0
	s_and_saveexec_b32 s8, s6
	s_wait_alu 0xfffe
	s_xor_b32 s6, exec_lo, s8
	s_cbranch_execz .LBB78_21
; %bb.281:                              ;   in Loop: Header=BB78_23 Depth=1
	v_and_b32_e32 v2, 7, v2
	s_mov_b32 s8, -1
	s_mov_b32 s7, -1
	s_mov_b32 s9, exec_lo
	s_delay_alu instid0(VALU_DEP_1)
	v_cmpx_eq_u32_e32 0, v2
	s_cbranch_execz .LBB78_20
; %bb.282:                              ;   in Loop: Header=BB78_23 Depth=1
	s_xor_b32 s103, s103, 1
	s_add_co_i32 s10, s100, -2
	s_cmp_eq_u32 s100, 0
	s_wait_alu 0xfffe
	s_mov_b32 s100, s10
	s_cselect_b32 s8, -1, 0
	s_xor_b32 s7, exec_lo, -1
	s_wait_alu 0xfffe
	s_or_not1_b32 s8, s8, exec_lo
	s_branch .LBB78_20
.LBB78_283:                             ;   in Loop: Header=BB78_23 Depth=1
                                        ; implicit-def: $sgpr12_sgpr13
	s_branch .LBB78_236
.LBB78_284:                             ;   in Loop: Header=BB78_23 Depth=1
                                        ; implicit-def: $sgpr6_sgpr7
	s_branch .LBB78_252
.LBB78_285:
	s_or_b32 exec_lo, exec_lo, s101
	s_xor_b32 s4, s65, -1
	s_xor_b32 s1, s59, -1
	;; [unrolled: 1-line block ×3, first 2 shown]
	s_mov_b32 s2, 0
	s_and_saveexec_b32 s5, s1
	s_wait_alu 0xfffe
	s_xor_b32 s1, exec_lo, s5
	s_cbranch_execnz .LBB78_290
; %bb.286:
	s_and_not1_saveexec_b32 s0, s1
	s_cbranch_execnz .LBB78_303
.LBB78_287:
	s_or_b32 exec_lo, exec_lo, s0
	s_and_saveexec_b32 s0, s2
.LBB78_288:
	; divergent unreachable
.LBB78_289:
	s_endpgm
.LBB78_290:
	s_and_saveexec_b32 s2, s4
	s_delay_alu instid0(SALU_CYCLE_1)
	s_xor_b32 s2, exec_lo, s2
	s_cbranch_execz .LBB78_301
; %bb.291:
	s_and_saveexec_b32 s4, s3
	s_wait_alu 0xfffe
	s_xor_b32 s3, exec_lo, s4
; %bb.292:
	v_mov_b32_e32 v31, v28
; %bb.293:
	s_or_b32 exec_lo, exec_lo, s3
	s_mul_u64 s[4:5], s[52:53], s[40:41]
	s_mul_u64 s[6:7], s[54:55], s[42:43]
	s_wait_alu 0xfffe
	s_sub_nc_u64 s[4:5], s[54:55], s[4:5]
	s_mul_u64 s[8:9], s[52:53], s[48:49]
	s_sub_nc_u64 s[6:7], s[26:27], s[6:7]
	s_wait_alu 0xfffe
	s_mul_u64 s[4:5], s[4:5], s[50:51]
	s_add_nc_u64 s[8:9], s[68:69], s[8:9]
	v_mov_b32_e32 v2, 0
	s_mul_u64 s[6:7], s[6:7], s[62:63]
	s_wait_alu 0xfffe
	s_add_nc_u64 s[4:5], s[8:9], s[4:5]
	s_wait_alu 0xfffe
	s_add_nc_u64 s[4:5], s[4:5], s[6:7]
	global_store_b8 v2, v31, s[4:5]
	s_and_saveexec_b32 s3, s0
	s_cbranch_execz .LBB78_300
; %bb.294:
	v_and_b32_e32 v4, 0xff, v31
	s_mov_b32 s0, 0
                                        ; implicit-def: $sgpr4
                                        ; implicit-def: $sgpr6
                                        ; implicit-def: $sgpr5
	s_branch .LBB78_296
.LBB78_295:                             ;   in Loop: Header=BB78_296 Depth=1
	s_wait_alu 0xfffe
	s_or_b32 exec_lo, exec_lo, s7
	s_delay_alu instid0(SALU_CYCLE_1)
	s_and_b32 s7, exec_lo, s6
	s_wait_alu 0xfffe
	s_or_b32 s0, s7, s0
	s_and_not1_b32 s4, s4, exec_lo
	s_and_b32 s7, s5, exec_lo
	s_wait_alu 0xfffe
	s_or_b32 s4, s4, s7
	s_and_not1_b32 exec_lo, exec_lo, s0
	s_cbranch_execz .LBB78_298
.LBB78_296:                             ; =>This Inner Loop Header: Depth=1
	v_dual_mov_b32 v3, v1 :: v_dual_mov_b32 v2, v0
	s_wait_alu 0xfffe
	s_or_b32 s5, s5, exec_lo
	s_or_b32 s6, s6, exec_lo
	s_delay_alu instid0(VALU_DEP_1) | instskip(SKIP_2) | instid1(VALU_DEP_1)
	v_mul_lo_u32 v6, v3, s56
	v_mad_co_u64_u32 v[0:1], null, v2, s56, s[60:61]
	v_mul_lo_u32 v5, v2, s57
	v_add3_u32 v1, v6, v1, v5
	global_load_u8 v0, v[0:1], off
	s_wait_loadcnt 0x0
	v_cmp_ne_u16_e32 vcc_lo, v0, v4
                                        ; implicit-def: $vgpr0_vgpr1
	s_and_saveexec_b32 s7, vcc_lo
	s_cbranch_execz .LBB78_295
; %bb.297:                              ;   in Loop: Header=BB78_296 Depth=1
	v_add_co_u32 v0, vcc_lo, v2, s66
	s_wait_alu 0xfffd
	v_add_co_ci_u32_e64 v1, null, 0, v3, vcc_lo
	s_wait_alu 0xfffe
	s_and_not1_b32 s6, s6, exec_lo
	s_and_not1_b32 s5, s5, exec_lo
	s_delay_alu instid0(VALU_DEP_1)
	v_cmp_le_u64_e32 vcc_lo, s[28:29], v[0:1]
	s_and_b32 s8, vcc_lo, exec_lo
	s_wait_alu 0xfffe
	s_or_b32 s6, s6, s8
	s_branch .LBB78_295
.LBB78_298:
	s_or_b32 exec_lo, exec_lo, s0
	s_wait_alu 0xfffe
	s_and_saveexec_b32 s0, s4
	s_delay_alu instid0(SALU_CYCLE_1)
	s_xor_b32 s0, exec_lo, s0
	s_cbranch_execz .LBB78_300
; %bb.299:
	v_readlane_b32 s8, v48, 2
	v_readlane_b32 s10, v48, 4
	v_readlane_b32 s11, v48, 5
	s_mul_u64 s[4:5], s[34:35], s[36:37]
	v_readlane_b32 s9, v48, 3
	s_wait_alu 0xfffe
	s_sub_nc_u64 s[4:5], s[30:31], s[4:5]
	v_mov_b32_e32 v0, 0
	s_wait_alu 0xfffe
	s_mul_u64 s[4:5], s[4:5], s[10:11]
	v_readlane_b32 s10, v48, 6
	v_readlane_b32 s11, v48, 7
	s_mul_u64 s[6:7], s[34:35], s[8:9]
	s_mul_u64 s[8:9], s[30:31], s[38:39]
	s_wait_alu 0xfffe
	s_lshl_b64 s[6:7], s[6:7], 3
	s_sub_nc_u64 s[8:9], s[26:27], s[8:9]
	s_wait_alu 0xfffe
	s_add_nc_u64 s[6:7], s[10:11], s[6:7]
	v_readlane_b32 s10, v48, 0
	v_readlane_b32 s11, v48, 1
	s_lshl_b64 s[4:5], s[4:5], 3
	s_wait_alu 0xfffe
	s_add_nc_u64 s[4:5], s[6:7], s[4:5]
	s_mul_u64 s[8:9], s[8:9], s[10:11]
	s_wait_alu 0xfffe
	s_lshl_b64 s[6:7], s[8:9], 3
	s_wait_alu 0xfffe
	s_add_nc_u64 s[4:5], s[4:5], s[6:7]
	global_store_b64 v0, v[2:3], s[4:5]
.LBB78_300:
	s_or_b32 exec_lo, exec_lo, s3
.LBB78_301:
	s_or_saveexec_b32 s0, s2
	s_mov_b32 s2, 0
	s_xor_b32 exec_lo, exec_lo, s0
	s_cbranch_execnz .LBB78_304
.LBB78_302:
	s_or_b32 exec_lo, exec_lo, s0
	s_delay_alu instid0(SALU_CYCLE_1)
	s_and_b32 s2, s2, exec_lo
	s_and_not1_saveexec_b32 s0, s1
	s_cbranch_execz .LBB78_287
.LBB78_303:
	s_or_b32 s2, s2, exec_lo
	s_trap 2
	s_or_b32 exec_lo, exec_lo, s0
	s_and_saveexec_b32 s0, s2
	s_cbranch_execnz .LBB78_288
	s_branch .LBB78_289
.LBB78_304:
	s_mov_b32 s2, exec_lo
	s_trap 2
	s_branch .LBB78_302
	.section	.rodata,"a",@progbits
	.p2align	6, 0x0
	.amdhsa_kernel _ZN2at6native12_GLOBAL__N_112gatherMedianIhmLi3EEEvNS_4cuda6detail10TensorInfoIT_T0_EENS5_IlS7_EENS5_IKS6_S7_EES7_S7_S7_b
		.amdhsa_group_segment_fixed_size 5152
		.amdhsa_private_segment_fixed_size 0
		.amdhsa_kernarg_size 1536
		.amdhsa_user_sgpr_count 2
		.amdhsa_user_sgpr_dispatch_ptr 0
		.amdhsa_user_sgpr_queue_ptr 0
		.amdhsa_user_sgpr_kernarg_segment_ptr 1
		.amdhsa_user_sgpr_dispatch_id 0
		.amdhsa_user_sgpr_private_segment_size 0
		.amdhsa_wavefront_size32 1
		.amdhsa_uses_dynamic_stack 0
		.amdhsa_enable_private_segment 0
		.amdhsa_system_sgpr_workgroup_id_x 1
		.amdhsa_system_sgpr_workgroup_id_y 1
		.amdhsa_system_sgpr_workgroup_id_z 1
		.amdhsa_system_sgpr_workgroup_info 0
		.amdhsa_system_vgpr_workitem_id 0
		.amdhsa_next_free_vgpr 49
		.amdhsa_next_free_sgpr 105
		.amdhsa_reserve_vcc 1
		.amdhsa_float_round_mode_32 0
		.amdhsa_float_round_mode_16_64 0
		.amdhsa_float_denorm_mode_32 3
		.amdhsa_float_denorm_mode_16_64 3
		.amdhsa_fp16_overflow 0
		.amdhsa_workgroup_processor_mode 1
		.amdhsa_memory_ordered 1
		.amdhsa_forward_progress 1
		.amdhsa_inst_pref_size 149
		.amdhsa_round_robin_scheduling 0
		.amdhsa_exception_fp_ieee_invalid_op 0
		.amdhsa_exception_fp_denorm_src 0
		.amdhsa_exception_fp_ieee_div_zero 0
		.amdhsa_exception_fp_ieee_overflow 0
		.amdhsa_exception_fp_ieee_underflow 0
		.amdhsa_exception_fp_ieee_inexact 0
		.amdhsa_exception_int_div_zero 0
	.end_amdhsa_kernel
	.section	.text._ZN2at6native12_GLOBAL__N_112gatherMedianIhmLi3EEEvNS_4cuda6detail10TensorInfoIT_T0_EENS5_IlS7_EENS5_IKS6_S7_EES7_S7_S7_b,"axG",@progbits,_ZN2at6native12_GLOBAL__N_112gatherMedianIhmLi3EEEvNS_4cuda6detail10TensorInfoIT_T0_EENS5_IlS7_EENS5_IKS6_S7_EES7_S7_S7_b,comdat
.Lfunc_end78:
	.size	_ZN2at6native12_GLOBAL__N_112gatherMedianIhmLi3EEEvNS_4cuda6detail10TensorInfoIT_T0_EENS5_IlS7_EENS5_IKS6_S7_EES7_S7_S7_b, .Lfunc_end78-_ZN2at6native12_GLOBAL__N_112gatherMedianIhmLi3EEEvNS_4cuda6detail10TensorInfoIT_T0_EENS5_IlS7_EENS5_IKS6_S7_EES7_S7_S7_b
                                        ; -- End function
	.set _ZN2at6native12_GLOBAL__N_112gatherMedianIhmLi3EEEvNS_4cuda6detail10TensorInfoIT_T0_EENS5_IlS7_EENS5_IKS6_S7_EES7_S7_S7_b.num_vgpr, 49
	.set _ZN2at6native12_GLOBAL__N_112gatherMedianIhmLi3EEEvNS_4cuda6detail10TensorInfoIT_T0_EENS5_IlS7_EENS5_IKS6_S7_EES7_S7_S7_b.num_agpr, 0
	.set _ZN2at6native12_GLOBAL__N_112gatherMedianIhmLi3EEEvNS_4cuda6detail10TensorInfoIT_T0_EENS5_IlS7_EENS5_IKS6_S7_EES7_S7_S7_b.numbered_sgpr, 105
	.set _ZN2at6native12_GLOBAL__N_112gatherMedianIhmLi3EEEvNS_4cuda6detail10TensorInfoIT_T0_EENS5_IlS7_EENS5_IKS6_S7_EES7_S7_S7_b.num_named_barrier, 0
	.set _ZN2at6native12_GLOBAL__N_112gatherMedianIhmLi3EEEvNS_4cuda6detail10TensorInfoIT_T0_EENS5_IlS7_EENS5_IKS6_S7_EES7_S7_S7_b.private_seg_size, 0
	.set _ZN2at6native12_GLOBAL__N_112gatherMedianIhmLi3EEEvNS_4cuda6detail10TensorInfoIT_T0_EENS5_IlS7_EENS5_IKS6_S7_EES7_S7_S7_b.uses_vcc, 1
	.set _ZN2at6native12_GLOBAL__N_112gatherMedianIhmLi3EEEvNS_4cuda6detail10TensorInfoIT_T0_EENS5_IlS7_EENS5_IKS6_S7_EES7_S7_S7_b.uses_flat_scratch, 0
	.set _ZN2at6native12_GLOBAL__N_112gatherMedianIhmLi3EEEvNS_4cuda6detail10TensorInfoIT_T0_EENS5_IlS7_EENS5_IKS6_S7_EES7_S7_S7_b.has_dyn_sized_stack, 0
	.set _ZN2at6native12_GLOBAL__N_112gatherMedianIhmLi3EEEvNS_4cuda6detail10TensorInfoIT_T0_EENS5_IlS7_EENS5_IKS6_S7_EES7_S7_S7_b.has_recursion, 0
	.set _ZN2at6native12_GLOBAL__N_112gatherMedianIhmLi3EEEvNS_4cuda6detail10TensorInfoIT_T0_EENS5_IlS7_EENS5_IKS6_S7_EES7_S7_S7_b.has_indirect_call, 0
	.section	.AMDGPU.csdata,"",@progbits
; Kernel info:
; codeLenInByte = 19024
; TotalNumSgprs: 107
; NumVgprs: 49
; ScratchSize: 0
; MemoryBound: 0
; FloatMode: 240
; IeeeMode: 1
; LDSByteSize: 5152 bytes/workgroup (compile time only)
; SGPRBlocks: 0
; VGPRBlocks: 6
; NumSGPRsForWavesPerEU: 107
; NumVGPRsForWavesPerEU: 49
; Occupancy: 16
; WaveLimiterHint : 1
; COMPUTE_PGM_RSRC2:SCRATCH_EN: 0
; COMPUTE_PGM_RSRC2:USER_SGPR: 2
; COMPUTE_PGM_RSRC2:TRAP_HANDLER: 0
; COMPUTE_PGM_RSRC2:TGID_X_EN: 1
; COMPUTE_PGM_RSRC2:TGID_Y_EN: 1
; COMPUTE_PGM_RSRC2:TGID_Z_EN: 1
; COMPUTE_PGM_RSRC2:TIDIG_COMP_CNT: 0
	.section	.text._ZN2at6native12_GLOBAL__N_112gatherMedianIhmLin1EEEvNS_4cuda6detail10TensorInfoIT_T0_EENS5_IlS7_EENS5_IKS6_S7_EES7_S7_S7_b,"axG",@progbits,_ZN2at6native12_GLOBAL__N_112gatherMedianIhmLin1EEEvNS_4cuda6detail10TensorInfoIT_T0_EENS5_IlS7_EENS5_IKS6_S7_EES7_S7_S7_b,comdat
	.globl	_ZN2at6native12_GLOBAL__N_112gatherMedianIhmLin1EEEvNS_4cuda6detail10TensorInfoIT_T0_EENS5_IlS7_EENS5_IKS6_S7_EES7_S7_S7_b ; -- Begin function _ZN2at6native12_GLOBAL__N_112gatherMedianIhmLin1EEEvNS_4cuda6detail10TensorInfoIT_T0_EENS5_IlS7_EENS5_IKS6_S7_EES7_S7_S7_b
	.p2align	8
	.type	_ZN2at6native12_GLOBAL__N_112gatherMedianIhmLin1EEEvNS_4cuda6detail10TensorInfoIT_T0_EENS5_IlS7_EENS5_IKS6_S7_EES7_S7_S7_b,@function
_ZN2at6native12_GLOBAL__N_112gatherMedianIhmLin1EEEvNS_4cuda6detail10TensorInfoIT_T0_EENS5_IlS7_EENS5_IKS6_S7_EES7_S7_S7_b: ; @_ZN2at6native12_GLOBAL__N_112gatherMedianIhmLin1EEEvNS_4cuda6detail10TensorInfoIT_T0_EENS5_IlS7_EENS5_IKS6_S7_EES7_S7_S7_b
; %bb.0:
	s_clause 0x1
	s_load_b64 s[4:5], s[0:1], 0x500
	s_load_b128 s[28:31], s[0:1], 0x4e0
	s_lshr_b32 s2, ttmp7, 16
	s_and_b32 s3, ttmp7, 0xffff
	s_wait_kmcnt 0x0
	s_mul_i32 s2, s5, s2
	s_delay_alu instid0(SALU_CYCLE_1) | instskip(SKIP_2) | instid1(SALU_CYCLE_1)
	s_add_co_i32 s2, s2, s3
	s_mov_b32 s3, 0
	s_mul_i32 s2, s2, s4
	s_add_co_i32 s2, s2, ttmp9
	s_delay_alu instid0(SALU_CYCLE_1)
	v_cmp_le_u64_e64 s5, s[30:31], s[2:3]
	s_and_b32 vcc_lo, exec_lo, s5
	s_cbranch_vccnz .LBB79_302
; %bb.1:
	s_clause 0x1
	s_load_b32 s5, s[0:1], 0x198
	s_load_b64 s[30:31], s[0:1], 0x4f0
	s_mov_b64 s[26:27], 0
	s_mov_b64 s[36:37], s[2:3]
	s_wait_kmcnt 0x0
	s_cmp_lt_i32 s5, 2
	s_cbranch_scc1 .LBB79_9
; %bb.2:
	s_mov_b32 s6, 0
	s_add_co_i32 s8, s5, -1
	s_mov_b32 s9, s6
	s_add_co_i32 s5, s5, 1
	s_lshl_b64 s[8:9], s[8:9], 3
	s_mov_b64 s[10:11], s[2:3]
	s_add_nc_u64 s[8:9], s[0:1], s[8:9]
	s_delay_alu instid0(SALU_CYCLE_1)
	s_add_nc_u64 s[8:9], s[8:9], 8
.LBB79_3:                               ; =>This Inner Loop Header: Depth=1
	s_load_b64 s[12:13], s[8:9], 0x0
                                        ; implicit-def: $sgpr36_sgpr37
	s_wait_kmcnt 0x0
	s_or_b64 s[14:15], s[10:11], s[12:13]
	s_delay_alu instid0(SALU_CYCLE_1)
	s_mov_b32 s7, s15
	s_wait_alu 0xfffe
	s_cmp_lg_u64 s[6:7], 0
	s_mov_b32 s7, -1
	s_cbranch_scc0 .LBB79_5
; %bb.4:                                ;   in Loop: Header=BB79_3 Depth=1
	s_cvt_f32_u32 s7, s12
	s_cvt_f32_u32 s14, s13
	s_sub_nc_u64 s[16:17], 0, s[12:13]
	s_mov_b32 s19, s6
	s_mov_b32 s23, s6
	s_wait_alu 0xfffe
	s_fmamk_f32 s7, s14, 0x4f800000, s7
	s_wait_alu 0xfffe
	s_delay_alu instid0(SALU_CYCLE_2) | instskip(NEXT) | instid1(TRANS32_DEP_1)
	v_s_rcp_f32 s7, s7
	s_mul_f32 s7, s7, 0x5f7ffffc
	s_wait_alu 0xfffe
	s_delay_alu instid0(SALU_CYCLE_2) | instskip(NEXT) | instid1(SALU_CYCLE_3)
	s_mul_f32 s14, s7, 0x2f800000
	s_trunc_f32 s14, s14
	s_delay_alu instid0(SALU_CYCLE_3) | instskip(SKIP_2) | instid1(SALU_CYCLE_1)
	s_fmamk_f32 s7, s14, 0xcf800000, s7
	s_cvt_u32_f32 s15, s14
	s_wait_alu 0xfffe
	s_cvt_u32_f32 s14, s7
	s_delay_alu instid0(SALU_CYCLE_3) | instskip(NEXT) | instid1(SALU_CYCLE_1)
	s_mul_u64 s[20:21], s[16:17], s[14:15]
	s_mul_hi_u32 s25, s14, s21
	s_mul_i32 s24, s14, s21
	s_mul_hi_u32 s18, s14, s20
	s_mul_i32 s22, s15, s20
	s_add_nc_u64 s[18:19], s[18:19], s[24:25]
	s_mul_hi_u32 s7, s15, s20
	s_mul_hi_u32 s33, s15, s21
	s_add_co_u32 s18, s18, s22
	s_wait_alu 0xfffe
	s_add_co_ci_u32 s22, s19, s7
	s_mul_i32 s20, s15, s21
	s_add_co_ci_u32 s21, s33, 0
	s_delay_alu instid0(SALU_CYCLE_1)
	s_add_nc_u64 s[18:19], s[22:23], s[20:21]
	s_mov_b32 s21, s6
	s_add_co_u32 s14, s14, s18
	s_cselect_b32 s7, -1, 0
	s_wait_alu 0xfffe
	s_cmp_lg_u32 s7, 0
	s_add_co_ci_u32 s15, s15, s19
	s_mov_b32 s19, s6
	s_mul_u64 s[16:17], s[16:17], s[14:15]
	s_delay_alu instid0(SALU_CYCLE_1)
	s_mul_hi_u32 s23, s14, s17
	s_mul_i32 s22, s14, s17
	s_mul_hi_u32 s18, s14, s16
	s_mul_i32 s20, s15, s16
	s_add_nc_u64 s[18:19], s[18:19], s[22:23]
	s_mul_hi_u32 s7, s15, s16
	s_mul_hi_u32 s24, s15, s17
	s_mul_i32 s16, s15, s17
	s_add_co_u32 s17, s18, s20
	s_wait_alu 0xfffe
	s_add_co_ci_u32 s20, s19, s7
	s_add_co_ci_u32 s17, s24, 0
	s_mov_b32 s19, s6
	s_add_nc_u64 s[16:17], s[20:21], s[16:17]
	s_delay_alu instid0(SALU_CYCLE_1)
	s_add_co_u32 s7, s14, s16
	s_cselect_b32 s14, -1, 0
	s_wait_alu 0xfffe
	s_mul_hi_u32 s18, s10, s7
	s_cmp_lg_u32 s14, 0
	s_mul_hi_u32 s20, s11, s7
	s_add_co_ci_u32 s16, s15, s17
	s_mul_i32 s7, s11, s7
	s_mul_hi_u32 s15, s10, s16
	s_mul_i32 s14, s10, s16
	s_mul_hi_u32 s17, s11, s16
	s_add_nc_u64 s[14:15], s[18:19], s[14:15]
	s_mul_i32 s16, s11, s16
	s_wait_alu 0xfffe
	s_add_co_u32 s7, s14, s7
	s_add_co_ci_u32 s20, s15, s20
	s_add_co_ci_u32 s17, s17, 0
	s_delay_alu instid0(SALU_CYCLE_1) | instskip(NEXT) | instid1(SALU_CYCLE_1)
	s_add_nc_u64 s[14:15], s[20:21], s[16:17]
	s_mul_u64 s[16:17], s[12:13], s[14:15]
	s_delay_alu instid0(SALU_CYCLE_1)
	s_sub_co_u32 s7, s10, s16
	s_cselect_b32 s16, -1, 0
	s_sub_co_i32 s18, s11, s17
	s_cmp_lg_u32 s16, 0
	s_sub_co_ci_u32 s18, s18, s13
	s_wait_alu 0xfffe
	s_sub_co_u32 s19, s7, s12
	s_cselect_b32 s20, -1, 0
	s_delay_alu instid0(SALU_CYCLE_1) | instskip(SKIP_1) | instid1(SALU_CYCLE_1)
	s_cmp_lg_u32 s20, 0
	s_sub_co_ci_u32 s18, s18, 0
	s_cmp_ge_u32 s18, s13
	s_cselect_b32 s20, -1, 0
	s_cmp_ge_u32 s19, s12
	s_cselect_b32 s21, -1, 0
	s_cmp_eq_u32 s18, s13
	s_add_nc_u64 s[18:19], s[14:15], 1
	s_cselect_b32 s22, s21, s20
	s_add_nc_u64 s[20:21], s[14:15], 2
	s_cmp_lg_u32 s22, 0
	s_cselect_b32 s18, s20, s18
	s_cselect_b32 s19, s21, s19
	s_cmp_lg_u32 s16, 0
	s_sub_co_ci_u32 s16, s11, s17
	s_delay_alu instid0(SALU_CYCLE_1)
	s_cmp_ge_u32 s16, s13
	s_cselect_b32 s17, -1, 0
	s_cmp_ge_u32 s7, s12
	s_cselect_b32 s7, -1, 0
	s_cmp_eq_u32 s16, s13
	s_wait_alu 0xfffe
	s_cselect_b32 s7, s7, s17
	s_wait_alu 0xfffe
	s_cmp_lg_u32 s7, 0
	s_mov_b32 s7, 0
	s_cselect_b32 s37, s19, s15
	s_cselect_b32 s36, s18, s14
.LBB79_5:                               ;   in Loop: Header=BB79_3 Depth=1
	s_wait_alu 0xfffe
	s_and_not1_b32 vcc_lo, exec_lo, s7
	s_cbranch_vccnz .LBB79_7
; %bb.6:                                ;   in Loop: Header=BB79_3 Depth=1
	v_cvt_f32_u32_e32 v1, s12
	s_sub_co_i32 s14, 0, s12
	s_mov_b32 s37, s6
	s_delay_alu instid0(VALU_DEP_1) | instskip(NEXT) | instid1(TRANS32_DEP_1)
	v_rcp_iflag_f32_e32 v1, v1
	v_mul_f32_e32 v1, 0x4f7ffffe, v1
	s_delay_alu instid0(VALU_DEP_1) | instskip(NEXT) | instid1(VALU_DEP_1)
	v_cvt_u32_f32_e32 v1, v1
	v_readfirstlane_b32 s7, v1
	s_mul_i32 s14, s14, s7
	s_delay_alu instid0(SALU_CYCLE_1) | instskip(NEXT) | instid1(SALU_CYCLE_1)
	s_mul_hi_u32 s14, s7, s14
	s_add_co_i32 s7, s7, s14
	s_wait_alu 0xfffe
	s_mul_hi_u32 s7, s10, s7
	s_wait_alu 0xfffe
	s_mul_i32 s14, s7, s12
	s_add_co_i32 s15, s7, 1
	s_sub_co_i32 s14, s10, s14
	s_delay_alu instid0(SALU_CYCLE_1)
	s_sub_co_i32 s16, s14, s12
	s_cmp_ge_u32 s14, s12
	s_cselect_b32 s7, s15, s7
	s_cselect_b32 s14, s16, s14
	s_wait_alu 0xfffe
	s_add_co_i32 s15, s7, 1
	s_cmp_ge_u32 s14, s12
	s_cselect_b32 s36, s15, s7
.LBB79_7:                               ;   in Loop: Header=BB79_3 Depth=1
	s_load_b64 s[14:15], s[8:9], 0xc8
	s_mul_u64 s[12:13], s[36:37], s[12:13]
	s_add_co_i32 s5, s5, -1
	s_wait_alu 0xfffe
	s_sub_nc_u64 s[10:11], s[10:11], s[12:13]
	s_cmp_gt_u32 s5, 2
	s_add_nc_u64 s[8:9], s[8:9], -8
	s_wait_kmcnt 0x0
	s_mul_u64 s[10:11], s[14:15], s[10:11]
	s_delay_alu instid0(SALU_CYCLE_1)
	s_add_nc_u64 s[26:27], s[10:11], s[26:27]
	s_cbranch_scc0 .LBB79_9
; %bb.8:                                ;   in Loop: Header=BB79_3 Depth=1
	s_mov_b64 s[10:11], s[36:37]
	s_branch .LBB79_3
.LBB79_9:
	s_load_b32 s5, s[0:1], 0x338
	s_add_nc_u64 s[6:7], s[0:1], 0x500
	s_add_nc_u64 s[8:9], s[0:1], 0x1a0
	s_mov_b64 s[34:35], 0
	s_mov_b64 s[38:39], s[2:3]
	s_wait_kmcnt 0x0
	s_cmp_lt_i32 s5, 2
	s_cbranch_scc1 .LBB79_17
; %bb.10:
	s_mov_b32 s10, 0
	s_add_co_i32 s12, s5, -1
	s_mov_b32 s13, s10
	s_add_co_i32 s5, s5, 1
	s_wait_alu 0xfffe
	s_lshl_b64 s[12:13], s[12:13], 3
	s_mov_b64 s[14:15], s[2:3]
	s_wait_alu 0xfffe
	s_add_nc_u64 s[12:13], s[8:9], s[12:13]
	s_wait_alu 0xfffe
	s_add_nc_u64 s[12:13], s[12:13], 8
.LBB79_11:                              ; =>This Inner Loop Header: Depth=1
	s_load_b64 s[16:17], s[12:13], 0x0
                                        ; implicit-def: $sgpr38_sgpr39
	s_wait_kmcnt 0x0
	s_or_b64 s[18:19], s[14:15], s[16:17]
	s_delay_alu instid0(SALU_CYCLE_1)
	s_mov_b32 s11, s19
	s_wait_alu 0xfffe
	s_cmp_lg_u64 s[10:11], 0
	s_mov_b32 s11, -1
	s_cbranch_scc0 .LBB79_13
; %bb.12:                               ;   in Loop: Header=BB79_11 Depth=1
	s_cvt_f32_u32 s11, s16
	s_cvt_f32_u32 s18, s17
	s_sub_nc_u64 s[20:21], 0, s[16:17]
	s_mov_b32 s23, s10
	s_mov_b32 s39, s10
	s_wait_alu 0xfffe
	s_fmamk_f32 s11, s18, 0x4f800000, s11
	s_wait_alu 0xfffe
	s_delay_alu instid0(SALU_CYCLE_2) | instskip(NEXT) | instid1(TRANS32_DEP_1)
	v_s_rcp_f32 s11, s11
	s_mul_f32 s11, s11, 0x5f7ffffc
	s_wait_alu 0xfffe
	s_delay_alu instid0(SALU_CYCLE_2) | instskip(NEXT) | instid1(SALU_CYCLE_3)
	s_mul_f32 s18, s11, 0x2f800000
	s_trunc_f32 s18, s18
	s_delay_alu instid0(SALU_CYCLE_3) | instskip(SKIP_2) | instid1(SALU_CYCLE_1)
	s_fmamk_f32 s11, s18, 0xcf800000, s11
	s_cvt_u32_f32 s19, s18
	s_wait_alu 0xfffe
	s_cvt_u32_f32 s18, s11
	s_delay_alu instid0(SALU_CYCLE_3) | instskip(NEXT) | instid1(SALU_CYCLE_1)
	s_mul_u64 s[24:25], s[20:21], s[18:19]
	s_mul_hi_u32 s41, s18, s25
	s_mul_i32 s40, s18, s25
	s_mul_hi_u32 s22, s18, s24
	s_mul_i32 s33, s19, s24
	s_add_nc_u64 s[22:23], s[22:23], s[40:41]
	s_mul_hi_u32 s11, s19, s24
	s_mul_hi_u32 s42, s19, s25
	s_add_co_u32 s22, s22, s33
	s_wait_alu 0xfffe
	s_add_co_ci_u32 s38, s23, s11
	s_mul_i32 s24, s19, s25
	s_add_co_ci_u32 s25, s42, 0
	s_delay_alu instid0(SALU_CYCLE_1)
	s_add_nc_u64 s[22:23], s[38:39], s[24:25]
	s_mov_b32 s25, s10
	s_add_co_u32 s18, s18, s22
	s_cselect_b32 s11, -1, 0
	s_wait_alu 0xfffe
	s_cmp_lg_u32 s11, 0
	s_add_co_ci_u32 s19, s19, s23
	s_mov_b32 s23, s10
	s_mul_u64 s[20:21], s[20:21], s[18:19]
	s_delay_alu instid0(SALU_CYCLE_1)
	s_mul_hi_u32 s39, s18, s21
	s_mul_i32 s38, s18, s21
	s_mul_hi_u32 s22, s18, s20
	s_mul_i32 s24, s19, s20
	s_add_nc_u64 s[22:23], s[22:23], s[38:39]
	s_mul_hi_u32 s11, s19, s20
	s_mul_hi_u32 s33, s19, s21
	s_mul_i32 s20, s19, s21
	s_add_co_u32 s21, s22, s24
	s_wait_alu 0xfffe
	s_add_co_ci_u32 s24, s23, s11
	s_add_co_ci_u32 s21, s33, 0
	s_mov_b32 s23, s10
	s_add_nc_u64 s[20:21], s[24:25], s[20:21]
	s_delay_alu instid0(SALU_CYCLE_1)
	s_add_co_u32 s11, s18, s20
	s_cselect_b32 s18, -1, 0
	s_wait_alu 0xfffe
	s_mul_hi_u32 s22, s14, s11
	s_cmp_lg_u32 s18, 0
	s_mul_hi_u32 s24, s15, s11
	s_add_co_ci_u32 s20, s19, s21
	s_mul_i32 s11, s15, s11
	s_mul_hi_u32 s19, s14, s20
	s_mul_i32 s18, s14, s20
	s_mul_hi_u32 s21, s15, s20
	s_add_nc_u64 s[18:19], s[22:23], s[18:19]
	s_mul_i32 s20, s15, s20
	s_wait_alu 0xfffe
	s_add_co_u32 s11, s18, s11
	s_add_co_ci_u32 s24, s19, s24
	s_add_co_ci_u32 s21, s21, 0
	s_delay_alu instid0(SALU_CYCLE_1) | instskip(NEXT) | instid1(SALU_CYCLE_1)
	s_add_nc_u64 s[18:19], s[24:25], s[20:21]
	s_mul_u64 s[20:21], s[16:17], s[18:19]
	s_delay_alu instid0(SALU_CYCLE_1)
	s_sub_co_u32 s11, s14, s20
	s_cselect_b32 s20, -1, 0
	s_sub_co_i32 s22, s15, s21
	s_cmp_lg_u32 s20, 0
	s_sub_co_ci_u32 s22, s22, s17
	s_wait_alu 0xfffe
	s_sub_co_u32 s23, s11, s16
	s_cselect_b32 s24, -1, 0
	s_delay_alu instid0(SALU_CYCLE_1) | instskip(SKIP_1) | instid1(SALU_CYCLE_1)
	s_cmp_lg_u32 s24, 0
	s_sub_co_ci_u32 s22, s22, 0
	s_cmp_ge_u32 s22, s17
	s_cselect_b32 s24, -1, 0
	s_cmp_ge_u32 s23, s16
	s_cselect_b32 s25, -1, 0
	s_cmp_eq_u32 s22, s17
	s_add_nc_u64 s[22:23], s[18:19], 1
	s_cselect_b32 s33, s25, s24
	s_add_nc_u64 s[24:25], s[18:19], 2
	s_cmp_lg_u32 s33, 0
	s_cselect_b32 s22, s24, s22
	s_cselect_b32 s23, s25, s23
	s_cmp_lg_u32 s20, 0
	s_sub_co_ci_u32 s20, s15, s21
	s_delay_alu instid0(SALU_CYCLE_1)
	s_cmp_ge_u32 s20, s17
	s_cselect_b32 s21, -1, 0
	s_cmp_ge_u32 s11, s16
	s_cselect_b32 s11, -1, 0
	s_cmp_eq_u32 s20, s17
	s_wait_alu 0xfffe
	s_cselect_b32 s11, s11, s21
	s_wait_alu 0xfffe
	s_cmp_lg_u32 s11, 0
	s_mov_b32 s11, 0
	s_cselect_b32 s39, s23, s19
	s_cselect_b32 s38, s22, s18
.LBB79_13:                              ;   in Loop: Header=BB79_11 Depth=1
	s_wait_alu 0xfffe
	s_and_not1_b32 vcc_lo, exec_lo, s11
	s_cbranch_vccnz .LBB79_15
; %bb.14:                               ;   in Loop: Header=BB79_11 Depth=1
	v_cvt_f32_u32_e32 v1, s16
	s_sub_co_i32 s18, 0, s16
	s_mov_b32 s39, s10
	s_delay_alu instid0(VALU_DEP_1) | instskip(NEXT) | instid1(TRANS32_DEP_1)
	v_rcp_iflag_f32_e32 v1, v1
	v_mul_f32_e32 v1, 0x4f7ffffe, v1
	s_delay_alu instid0(VALU_DEP_1) | instskip(NEXT) | instid1(VALU_DEP_1)
	v_cvt_u32_f32_e32 v1, v1
	v_readfirstlane_b32 s11, v1
	s_mul_i32 s18, s18, s11
	s_delay_alu instid0(SALU_CYCLE_1) | instskip(NEXT) | instid1(SALU_CYCLE_1)
	s_mul_hi_u32 s18, s11, s18
	s_add_co_i32 s11, s11, s18
	s_wait_alu 0xfffe
	s_mul_hi_u32 s11, s14, s11
	s_wait_alu 0xfffe
	s_mul_i32 s18, s11, s16
	s_add_co_i32 s19, s11, 1
	s_sub_co_i32 s18, s14, s18
	s_delay_alu instid0(SALU_CYCLE_1)
	s_sub_co_i32 s20, s18, s16
	s_cmp_ge_u32 s18, s16
	s_cselect_b32 s11, s19, s11
	s_cselect_b32 s18, s20, s18
	s_wait_alu 0xfffe
	s_add_co_i32 s19, s11, 1
	s_cmp_ge_u32 s18, s16
	s_cselect_b32 s38, s19, s11
.LBB79_15:                              ;   in Loop: Header=BB79_11 Depth=1
	s_load_b64 s[18:19], s[12:13], 0xc8
	s_mul_u64 s[16:17], s[38:39], s[16:17]
	s_add_co_i32 s5, s5, -1
	s_wait_alu 0xfffe
	s_sub_nc_u64 s[14:15], s[14:15], s[16:17]
	s_cmp_gt_u32 s5, 2
	s_add_nc_u64 s[12:13], s[12:13], -8
	s_wait_kmcnt 0x0
	s_mul_u64 s[14:15], s[18:19], s[14:15]
	s_delay_alu instid0(SALU_CYCLE_1)
	s_add_nc_u64 s[34:35], s[14:15], s[34:35]
	s_cbranch_scc0 .LBB79_17
; %bb.16:                               ;   in Loop: Header=BB79_11 Depth=1
	s_mov_b64 s[14:15], s[38:39]
	s_branch .LBB79_11
.LBB79_17:
	s_clause 0x1
	s_load_b64 s[40:41], s[0:1], 0xd0
	s_load_b32 s5, s[0:1], 0x4d8
	s_mov_b64 s[10:11], 0
	s_wait_kmcnt 0x0
	s_cmp_lt_i32 s5, 2
	s_cbranch_scc1 .LBB79_25
; %bb.18:
	s_mov_b32 s12, 0
	s_add_co_i32 s10, s5, -1
	s_wait_alu 0xfffe
	s_mov_b32 s11, s12
	s_add_nc_u64 s[14:15], s[0:1], 0x340
	s_wait_alu 0xfffe
	s_lshl_b64 s[10:11], s[10:11], 3
	s_add_co_i32 s5, s5, 1
	s_wait_alu 0xfffe
	s_add_nc_u64 s[10:11], s[14:15], s[10:11]
	s_wait_alu 0xfffe
	s_add_nc_u64 s[14:15], s[10:11], 8
	s_mov_b64 s[10:11], 0
.LBB79_19:                              ; =>This Inner Loop Header: Depth=1
	s_load_b64 s[16:17], s[14:15], 0x0
	s_wait_kmcnt 0x0
	s_or_b64 s[18:19], s[2:3], s[16:17]
	s_delay_alu instid0(SALU_CYCLE_1)
	s_mov_b32 s13, s19
                                        ; implicit-def: $sgpr18_sgpr19
	s_wait_alu 0xfffe
	s_cmp_lg_u64 s[12:13], 0
	s_mov_b32 s13, -1
	s_cbranch_scc0 .LBB79_21
; %bb.20:                               ;   in Loop: Header=BB79_19 Depth=1
	s_cvt_f32_u32 s13, s16
	s_cvt_f32_u32 s18, s17
	s_sub_nc_u64 s[20:21], 0, s[16:17]
	s_mov_b32 s23, s12
	s_mov_b32 s43, s12
	s_wait_alu 0xfffe
	s_fmamk_f32 s13, s18, 0x4f800000, s13
	s_wait_alu 0xfffe
	s_delay_alu instid0(SALU_CYCLE_2) | instskip(NEXT) | instid1(TRANS32_DEP_1)
	v_s_rcp_f32 s13, s13
	s_mul_f32 s13, s13, 0x5f7ffffc
	s_wait_alu 0xfffe
	s_delay_alu instid0(SALU_CYCLE_2) | instskip(NEXT) | instid1(SALU_CYCLE_3)
	s_mul_f32 s18, s13, 0x2f800000
	s_trunc_f32 s18, s18
	s_delay_alu instid0(SALU_CYCLE_3) | instskip(SKIP_2) | instid1(SALU_CYCLE_1)
	s_fmamk_f32 s13, s18, 0xcf800000, s13
	s_cvt_u32_f32 s19, s18
	s_wait_alu 0xfffe
	s_cvt_u32_f32 s18, s13
	s_delay_alu instid0(SALU_CYCLE_3) | instskip(NEXT) | instid1(SALU_CYCLE_1)
	s_mul_u64 s[24:25], s[20:21], s[18:19]
	s_mul_hi_u32 s45, s18, s25
	s_mul_i32 s44, s18, s25
	s_mul_hi_u32 s22, s18, s24
	s_mul_i32 s33, s19, s24
	s_add_nc_u64 s[22:23], s[22:23], s[44:45]
	s_mul_hi_u32 s13, s19, s24
	s_mul_hi_u32 s46, s19, s25
	s_add_co_u32 s22, s22, s33
	s_wait_alu 0xfffe
	s_add_co_ci_u32 s42, s23, s13
	s_mul_i32 s24, s19, s25
	s_add_co_ci_u32 s25, s46, 0
	s_delay_alu instid0(SALU_CYCLE_1)
	s_add_nc_u64 s[22:23], s[42:43], s[24:25]
	s_mov_b32 s25, s12
	s_add_co_u32 s18, s18, s22
	s_cselect_b32 s13, -1, 0
	s_wait_alu 0xfffe
	s_cmp_lg_u32 s13, 0
	s_add_co_ci_u32 s19, s19, s23
	s_mov_b32 s23, s12
	s_mul_u64 s[20:21], s[20:21], s[18:19]
	s_delay_alu instid0(SALU_CYCLE_1)
	s_mul_hi_u32 s43, s18, s21
	s_mul_i32 s42, s18, s21
	s_mul_hi_u32 s22, s18, s20
	s_mul_i32 s24, s19, s20
	s_add_nc_u64 s[22:23], s[22:23], s[42:43]
	s_mul_hi_u32 s13, s19, s20
	s_mul_hi_u32 s33, s19, s21
	s_mul_i32 s20, s19, s21
	s_add_co_u32 s21, s22, s24
	s_wait_alu 0xfffe
	s_add_co_ci_u32 s24, s23, s13
	s_add_co_ci_u32 s21, s33, 0
	s_mov_b32 s23, s12
	s_add_nc_u64 s[20:21], s[24:25], s[20:21]
	s_delay_alu instid0(SALU_CYCLE_1)
	s_add_co_u32 s13, s18, s20
	s_cselect_b32 s18, -1, 0
	s_wait_alu 0xfffe
	s_mul_hi_u32 s22, s2, s13
	s_cmp_lg_u32 s18, 0
	s_mul_hi_u32 s24, s3, s13
	s_add_co_ci_u32 s20, s19, s21
	s_mul_i32 s13, s3, s13
	s_mul_hi_u32 s19, s2, s20
	s_mul_i32 s18, s2, s20
	s_mul_hi_u32 s21, s3, s20
	s_add_nc_u64 s[18:19], s[22:23], s[18:19]
	s_mul_i32 s20, s3, s20
	s_wait_alu 0xfffe
	s_add_co_u32 s13, s18, s13
	s_add_co_ci_u32 s24, s19, s24
	s_add_co_ci_u32 s21, s21, 0
	s_delay_alu instid0(SALU_CYCLE_1) | instskip(NEXT) | instid1(SALU_CYCLE_1)
	s_add_nc_u64 s[18:19], s[24:25], s[20:21]
	s_mul_u64 s[20:21], s[16:17], s[18:19]
	s_delay_alu instid0(SALU_CYCLE_1)
	s_sub_co_u32 s13, s2, s20
	s_cselect_b32 s20, -1, 0
	s_sub_co_i32 s22, s3, s21
	s_cmp_lg_u32 s20, 0
	s_sub_co_ci_u32 s22, s22, s17
	s_wait_alu 0xfffe
	s_sub_co_u32 s23, s13, s16
	s_cselect_b32 s24, -1, 0
	s_delay_alu instid0(SALU_CYCLE_1) | instskip(SKIP_1) | instid1(SALU_CYCLE_1)
	s_cmp_lg_u32 s24, 0
	s_sub_co_ci_u32 s22, s22, 0
	s_cmp_ge_u32 s22, s17
	s_cselect_b32 s24, -1, 0
	s_cmp_ge_u32 s23, s16
	s_cselect_b32 s25, -1, 0
	s_cmp_eq_u32 s22, s17
	s_add_nc_u64 s[22:23], s[18:19], 1
	s_cselect_b32 s33, s25, s24
	s_add_nc_u64 s[24:25], s[18:19], 2
	s_cmp_lg_u32 s33, 0
	s_cselect_b32 s22, s24, s22
	s_cselect_b32 s23, s25, s23
	s_cmp_lg_u32 s20, 0
	s_sub_co_ci_u32 s20, s3, s21
	s_delay_alu instid0(SALU_CYCLE_1)
	s_cmp_ge_u32 s20, s17
	s_cselect_b32 s21, -1, 0
	s_cmp_ge_u32 s13, s16
	s_cselect_b32 s13, -1, 0
	s_cmp_eq_u32 s20, s17
	s_wait_alu 0xfffe
	s_cselect_b32 s13, s13, s21
	s_wait_alu 0xfffe
	s_cmp_lg_u32 s13, 0
	s_mov_b32 s13, 0
	s_cselect_b32 s19, s23, s19
	s_cselect_b32 s18, s22, s18
.LBB79_21:                              ;   in Loop: Header=BB79_19 Depth=1
	s_wait_alu 0xfffe
	s_and_not1_b32 vcc_lo, exec_lo, s13
	s_cbranch_vccnz .LBB79_23
; %bb.22:                               ;   in Loop: Header=BB79_19 Depth=1
	v_cvt_f32_u32_e32 v1, s16
	s_sub_co_i32 s18, 0, s16
	s_delay_alu instid0(VALU_DEP_1) | instskip(NEXT) | instid1(TRANS32_DEP_1)
	v_rcp_iflag_f32_e32 v1, v1
	v_mul_f32_e32 v1, 0x4f7ffffe, v1
	s_delay_alu instid0(VALU_DEP_1) | instskip(NEXT) | instid1(VALU_DEP_1)
	v_cvt_u32_f32_e32 v1, v1
	v_readfirstlane_b32 s13, v1
	s_mul_i32 s18, s18, s13
	s_delay_alu instid0(SALU_CYCLE_1) | instskip(NEXT) | instid1(SALU_CYCLE_1)
	s_mul_hi_u32 s18, s13, s18
	s_add_co_i32 s13, s13, s18
	s_wait_alu 0xfffe
	s_mul_hi_u32 s13, s2, s13
	s_wait_alu 0xfffe
	s_mul_i32 s18, s13, s16
	s_add_co_i32 s19, s13, 1
	s_sub_co_i32 s18, s2, s18
	s_delay_alu instid0(SALU_CYCLE_1)
	s_sub_co_i32 s20, s18, s16
	s_cmp_ge_u32 s18, s16
	s_cselect_b32 s13, s19, s13
	s_cselect_b32 s18, s20, s18
	s_wait_alu 0xfffe
	s_add_co_i32 s19, s13, 1
	s_cmp_ge_u32 s18, s16
	s_cselect_b32 s18, s19, s13
	s_mov_b32 s19, s12
.LBB79_23:                              ;   in Loop: Header=BB79_19 Depth=1
	s_load_b64 s[20:21], s[14:15], 0xc8
	s_mul_u64 s[16:17], s[18:19], s[16:17]
	s_add_co_i32 s5, s5, -1
	s_wait_alu 0xfffe
	s_sub_nc_u64 s[2:3], s[2:3], s[16:17]
	s_cmp_gt_u32 s5, 2
	s_add_nc_u64 s[14:15], s[14:15], -8
	s_wait_kmcnt 0x0
	s_wait_alu 0xfffe
	s_mul_u64 s[2:3], s[20:21], s[2:3]
	s_wait_alu 0xfffe
	s_add_nc_u64 s[10:11], s[2:3], s[10:11]
	s_cbranch_scc0 .LBB79_26
; %bb.24:                               ;   in Loop: Header=BB79_19 Depth=1
	s_mov_b64 s[2:3], s[18:19]
	s_branch .LBB79_19
.LBB79_25:
	s_mov_b64 s[18:19], s[2:3]
.LBB79_26:
	s_load_b64 s[42:43], s[8:9], 0xd0
	v_cmp_eq_u32_e64 s2, 0, v0
	s_and_saveexec_b32 s3, s2
; %bb.27:
	v_mov_b32_e32 v1, 0
	s_delay_alu instid0(VALU_DEP_1)
	v_mov_b32_e32 v2, v1
	ds_store_b64 v1, v[1:2] offset:5136
; %bb.28:
	s_wait_alu 0xfffe
	s_or_b32 exec_lo, exec_lo, s3
	v_dual_mov_b32 v1, 0 :: v_dual_mov_b32 v28, s28
	s_wait_dscnt 0x0
	s_barrier_signal -1
	s_barrier_wait -1
	global_inv scope:SCOPE_SE
	s_wait_loadcnt 0x0
	s_barrier_signal -1
	s_barrier_wait -1
	global_inv scope:SCOPE_SE
	ds_load_b64 v[1:2], v1 offset:5136
	s_load_b32 s3, s[0:1], 0x4f8
	v_mov_b32_e32 v29, s29
	s_wait_dscnt 0x0
	v_cmp_gt_i64_e32 vcc_lo, 1, v[1:2]
	s_wait_kmcnt 0x0
	s_bitcmp1_b32 s3, 0
	s_cselect_b32 s3, -1, 0
	s_wait_alu 0xfffe
	s_or_b32 s3, s3, vcc_lo
	s_wait_alu 0xfffe
	s_and_not1_b32 vcc_lo, exec_lo, s3
	s_cbranch_vccnz .LBB79_30
; %bb.29:
	v_not_b32_e32 v1, v1
	v_not_b32_e32 v2, v2
	s_delay_alu instid0(VALU_DEP_2) | instskip(NEXT) | instid1(VALU_DEP_1)
	v_add_co_u32 v1, vcc_lo, s28, v1
	v_add_co_ci_u32_e64 v2, null, s29, v2, vcc_lo
	s_delay_alu instid0(VALU_DEP_1) | instskip(NEXT) | instid1(VALU_DEP_1)
	v_lshrrev_b64 v[1:2], 1, v[1:2]
	v_add_co_u32 v28, vcc_lo, v1, 1
	s_wait_alu 0xfffd
	s_delay_alu instid0(VALU_DEP_2)
	v_add_co_ci_u32_e64 v29, null, 0, v2, vcc_lo
.LBB79_30:
	s_clause 0x1
	s_load_b64 s[12:13], s[0:1], 0x410
	s_load_b64 s[8:9], s[0:1], 0x340
	s_and_saveexec_b32 s3, s2
	s_cbranch_execz .LBB79_32
; %bb.31:
	v_dual_mov_b32 v1, 0 :: v_dual_mov_b32 v4, s29
	s_delay_alu instid0(VALU_DEP_1)
	v_dual_mov_b32 v3, s28 :: v_dual_mov_b32 v2, v1
	ds_store_b32 v1, v1 offset:5144
	ds_store_b128 v1, v[1:4] offset:5120
.LBB79_32:
	s_wait_alu 0xfffe
	s_or_b32 exec_lo, exec_lo, s3
	v_mad_co_u64_u32 v[4:5], null, s30, v0, 0
	v_mov_b32_e32 v3, 0
	v_mbcnt_lo_u32_b32 v34, -1, 0
	s_wait_kmcnt 0x0
	s_mul_u64 s[12:13], s[12:13], s[18:19]
	v_cmp_gt_u32_e32 vcc_lo, 32, v0
	s_clause 0x1
	s_load_b64 s[48:49], s[0:1], 0x0
	s_load_b64 s[44:45], s[0:1], 0x1a0
	s_add_nc_u64 s[0:1], s[8:9], s[12:13]
	v_mov_b32_e32 v2, v5
	v_cmp_gt_i32_e64 s3, 4, v34
	v_mov_b32_e32 v1, v3
	s_add_nc_u64 s[50:51], s[0:1], s[10:11]
	s_wait_loadcnt_dscnt 0x0
	v_mad_co_u64_u32 v[6:7], null, s31, v0, v[2:3]
	v_add_nc_u32_e32 v2, 2, v0
	s_and_b32 s33, vcc_lo, s3
	v_add_co_u32 v14, vcc_lo, s50, v4
	v_lshlrev_b64_e64 v[7:8], v34, -1
	s_barrier_signal -1
	s_wait_alu 0xfffd
	s_delay_alu instid0(VALU_DEP_4)
	v_add_co_ci_u32_e64 v15, null, s51, v6, vcc_lo
	v_cmp_gt_u64_e32 vcc_lo, s[28:29], v[2:3]
	v_dual_mov_b32 v5, v6 :: v_dual_lshlrev_b32 v16, 2, v0
	v_not_b32_e32 v35, v7
	v_not_b32_e32 v7, v0
	s_barrier_wait -1
	s_wait_alu 0xfffd
	v_cndmask_b32_e64 v2, v2, s28, vcc_lo
	global_inv scope:SCOPE_SE
	s_load_b32 s5, s[6:7], 0xc
	v_cndmask_b32_e64 v8, 0, s29, vcc_lo
	v_or_b32_e32 v9, 3, v16
	v_add_co_u32 v7, vcc_lo, v2, v7
	v_mov_b32_e32 v17, v3
	s_wait_alu 0xfffd
	v_add_co_ci_u32_e64 v8, null, -1, v8, vcc_lo
	s_delay_alu instid0(VALU_DEP_3) | instskip(SKIP_2) | instid1(VALU_DEP_4)
	v_and_b32_e32 v18, -4, v7
	v_mad_co_u64_u32 v[21:22], null, s30, v9, 0
	v_or_b32_e32 v11, 2, v16
	v_mov_b32_e32 v19, v8
	s_delay_alu instid0(VALU_DEP_4)
	v_add_co_u32 v20, vcc_lo, v18, v0
	s_wait_alu 0xfffd
	v_add_co_ci_u32_e64 v2, null, 0, v8, vcc_lo
	v_mad_co_u64_u32 v[23:24], null, s30, v11, 0
	v_mad_co_u64_u32 v[25:26], null, s30, v16, s[30:31]
	v_mov_b32_e32 v2, v22
	s_wait_kmcnt 0x0
	s_and_b32 s46, s5, 0xffff
	s_bfe_u32 s14, s5, 0xb0005
	s_cmp_gt_u32 s46, 31
	s_movk_i32 s5, 0x3e0
	v_mad_co_u64_u32 v[9:10], null, s31, v9, v[2:3]
	s_cselect_b32 s81, -1, 0
	v_and_or_b32 v36, v0, s5, 0xc00
	s_cmp_lt_u32 ttmp9, s4
	v_cmp_lt_u64_e64 s4, 3, v[7:8]
	v_cmp_ne_u64_e64 s5, v[7:8], v[18:19]
	v_dual_mov_b32 v7, v24 :: v_dual_mov_b32 v8, v26
	s_cselect_b32 s54, 12, 18
	s_add_co_i32 s15, s14, -1
	s_add_nc_u64 s[10:11], s[10:11], s[12:13]
	s_and_b32 s15, s15, 0xffff
	v_mad_co_u64_u32 v[10:11], null, s31, v11, v[7:8]
	v_mad_co_u64_u32 v[7:8], null, s31, v16, v[8:9]
	s_wait_alu 0xfffe
	s_add_nc_u64 s[60:61], s[8:9], s[10:11]
	s_mov_b32 s55, 0
	s_bfe_u32 s88, s46, 0x30005
	v_mul_lo_u32 v40, 0, s30
	s_cmp_gt_u32 s15, 6
	v_add_co_u32 v12, vcc_lo, s60, v4
	v_cmp_gt_u64_e64 s0, s[28:29], v[0:1]
	v_cmp_lt_u64_e64 s80, 0xc00, s[28:29]
	s_mov_b32 s47, s55
	v_lshlrev_b64_e32 v[26:27], 2, v[4:5]
	v_cmp_eq_u32_e64 s1, 0, v34
	v_cmp_gt_u32_e64 s3, 2, v0
	s_cselect_b32 s89, -1, 0
	s_and_b32 s90, s14, 0x7f8
	v_dual_mov_b32 v24, v9 :: v_dual_mov_b32 v37, v10
	v_dual_mov_b32 v38, v7 :: v_dual_mov_b32 v41, 0
	v_lshl_or_b32 v39, v34, 3, 0xc00
	s_wait_alu 0xfffd
	v_add_co_ci_u32_e64 v13, null, s61, v6, vcc_lo
	v_mov_b32_e32 v42, 0
	v_mov_b32_e32 v22, 0
	s_add_nc_u64 s[56:57], s[46:47], -1
	s_cmp_lg_u32 s88, 0
	s_add_nc_u64 s[58:59], s[56:57], s[28:29]
	s_mov_b32 s82, s30
	s_mov_b32 s83, s31
	s_mov_b32 s84, s30
	s_mov_b32 s85, s31
	s_mov_b32 s86, s30
	s_mov_b32 s87, s31
	s_mov_b32 s91, 6
	s_cselect_b32 s92, -1, 0
	s_lshl_b64 s[62:63], s[30:31], 2
	s_mul_u64 s[52:53], s[30:31], s[46:47]
	s_mov_b32 s93, 0x4f800000
	s_add_nc_u64 s[64:65], s[6:7], s[54:55]
	s_mov_b32 s94, 0
	s_mov_b32 s95, 0
                                        ; implicit-def: $sgpr99
                                        ; implicit-def: $sgpr101
                                        ; implicit-def: $sgpr96
                                        ; implicit-def: $sgpr98
                                        ; implicit-def: $sgpr100
                                        ; implicit-def: $sgpr97
	s_branch .LBB79_36
.LBB79_33:                              ;   in Loop: Header=BB79_36 Depth=1
	s_wait_alu 0xfffe
	s_or_b32 exec_lo, exec_lo, s9
	s_delay_alu instid0(SALU_CYCLE_1)
	s_and_b32 s7, s7, exec_lo
	s_and_not1_b32 s22, s22, exec_lo
	s_and_not1_b32 s21, s21, exec_lo
	s_or_not1_b32 s18, s8, exec_lo
.LBB79_34:                              ;   in Loop: Header=BB79_36 Depth=1
	s_wait_alu 0xfffe
	s_or_b32 exec_lo, exec_lo, s6
	s_delay_alu instid0(SALU_CYCLE_1)
	s_and_not1_b32 s6, s97, exec_lo
	s_and_b32 s7, s7, exec_lo
	s_and_not1_b32 s8, s98, exec_lo
	s_wait_alu 0xfffe
	s_or_b32 s97, s6, s7
	s_and_not1_b32 s6, s100, exec_lo
	s_and_b32 s7, s22, exec_lo
	s_and_b32 s9, s21, exec_lo
	s_wait_alu 0xfffe
	s_or_b32 s100, s6, s7
	s_or_b32 s98, s8, s9
	s_or_not1_b32 s18, s18, exec_lo
.LBB79_35:                              ;   in Loop: Header=BB79_36 Depth=1
	s_wait_alu 0xfffe
	s_or_b32 exec_lo, exec_lo, s17
	s_delay_alu instid0(SALU_CYCLE_1)
	s_and_b32 s6, exec_lo, s18
	v_dual_mov_b32 v29, v9 :: v_dual_mov_b32 v28, v8
	s_wait_alu 0xfffe
	s_or_b32 s94, s6, s94
	s_and_not1_b32 s6, s96, exec_lo
	s_and_b32 s7, s97, exec_lo
	s_and_not1_b32 s8, s101, exec_lo
	s_wait_alu 0xfffe
	s_or_b32 s96, s6, s7
	s_and_b32 s6, s100, exec_lo
	s_and_not1_b32 s7, s99, exec_lo
	s_and_b32 s9, s98, exec_lo
	s_wait_alu 0xfffe
	s_or_b32 s101, s8, s6
	s_or_b32 s99, s7, s9
	s_and_not1_b32 exec_lo, exec_lo, s94
	s_cbranch_execz .LBB79_298
.LBB79_36:                              ; =>This Loop Header: Depth=1
                                        ;     Child Loop BB79_41 Depth 2
                                        ;     Child Loop BB79_55 Depth 2
	;; [unrolled: 1-line block ×17, first 2 shown]
	ds_load_b128 v[4:7], v3 offset:5120
	s_wait_dscnt 0x0
	v_readfirstlane_b32 s67, v5
	v_readfirstlane_b32 s66, v4
	s_cmp_lg_u64 s[66:67], 0
	s_cbranch_scc1 .LBB79_68
; %bb.37:                               ;   in Loop: Header=BB79_36 Depth=1
	s_and_b32 vcc_lo, exec_lo, s80
	s_wait_alu 0xfffe
	s_cbranch_vccz .LBB79_49
; %bb.38:                               ;   in Loop: Header=BB79_36 Depth=1
	v_cmp_gt_u64_e32 vcc_lo, 0xc01, v[6:7]
	s_mov_b32 s8, 0
	s_mov_b32 s6, 0
	s_cbranch_vccz .LBB79_50
; %bb.39:                               ;   in Loop: Header=BB79_36 Depth=1
	global_load_u16 v2, v3, s[64:65]
	global_load_u8 v8, v[14:15], off
	s_mov_b32 s9, 0
	s_wait_loadcnt 0x1
	v_and_b32_e32 v2, 0xffff, v2
	s_delay_alu instid0(VALU_DEP_1) | instskip(SKIP_3) | instid1(VALU_DEP_3)
	v_add_co_u32 v4, s6, v0, v2
	s_wait_alu 0xf1fe
	v_add_co_ci_u32_e64 v5, null, 0, 0, s6
	v_mul_lo_u32 v6, v2, s31
	v_mul_lo_u32 v10, s31, v4
	v_mul_hi_u32 v11, v2, s30
	s_delay_alu instid0(VALU_DEP_4) | instskip(SKIP_2) | instid1(VALU_DEP_2)
	v_mul_lo_u32 v7, s30, v5
	v_mad_co_u64_u32 v[4:5], null, s30, v4, s[60:61]
	v_add_nc_u32_e32 v6, v6, v40
	v_add3_u32 v5, v10, v5, v7
	s_delay_alu instid0(VALU_DEP_2)
	v_dual_mov_b32 v7, v1 :: v_dual_add_nc_u32 v10, v6, v11
	v_mul_lo_u32 v9, v2, s30
	v_mov_b32_e32 v6, v0
	s_branch .LBB79_41
.LBB79_40:                              ;   in Loop: Header=BB79_41 Depth=2
	s_wait_alu 0xfffe
	s_or_b32 exec_lo, exec_lo, s7
	v_add_co_u32 v4, vcc_lo, v4, v9
	s_wait_alu 0xfffd
	v_add_co_ci_u32_e64 v5, null, v5, v10, vcc_lo
	v_mov_b32_e32 v8, v11
	s_and_not1_b32 exec_lo, exec_lo, s9
	s_cbranch_execz .LBB79_165
.LBB79_41:                              ;   Parent Loop BB79_36 Depth=1
                                        ; =>  This Inner Loop Header: Depth=2
	s_delay_alu instid0(VALU_DEP_1)
	v_add_co_u32 v6, vcc_lo, v6, v2
	s_wait_alu 0xfffd
	v_add_co_ci_u32_e64 v7, null, 0, v7, vcc_lo
	s_wait_dscnt 0x0
	v_dual_mov_b32 v30, 0 :: v_dual_mov_b32 v11, 0
	s_mov_b32 s7, exec_lo
	s_delay_alu instid0(VALU_DEP_2)
	v_cmp_le_u64_e32 vcc_lo, s[28:29], v[6:7]
	v_cmpx_gt_u64_e64 s[28:29], v[6:7]
	s_cbranch_execz .LBB79_43
; %bb.42:                               ;   in Loop: Header=BB79_41 Depth=2
	global_load_u8 v11, v[4:5], off
.LBB79_43:                              ;   in Loop: Header=BB79_41 Depth=2
	s_wait_alu 0xfffe
	s_or_b32 exec_lo, exec_lo, s7
	s_wait_loadcnt 0x0
	v_and_b32_e32 v31, v8, v41
	s_delay_alu instid0(VALU_DEP_1) | instskip(NEXT) | instid1(VALU_DEP_1)
	v_and_b32_e32 v31, 0xff, v31
	v_cmp_eq_u32_e64 s6, v31, v22
	s_cmp_lg_u32 s6, 0
	s_cselect_b32 s7, -1, 0
	s_wait_alu 0xfffe
	s_and_b32 s7, s1, s7
	s_wait_alu 0xfffe
	s_and_saveexec_b32 s10, s7
	s_cbranch_execz .LBB79_47
; %bb.44:                               ;   in Loop: Header=BB79_41 Depth=2
	s_mov_b32 s13, exec_lo
	s_bcnt1_i32_b32 s11, s6
	s_wait_alu 0xfffe
	v_mbcnt_lo_u32_b32 v30, s13, 0
	s_mov_b32 s12, exec_lo
                                        ; implicit-def: $vgpr31
	s_delay_alu instid0(VALU_DEP_1)
	v_cmpx_eq_u32_e32 0, v30
; %bb.45:                               ;   in Loop: Header=BB79_41 Depth=2
	s_bcnt1_i32_b32 s7, s13
	s_wait_alu 0xfffe
	s_mul_i32 s7, s11, s7
	s_wait_alu 0xfffe
	v_mov_b32_e32 v31, s7
	ds_add_rtn_u32 v31, v3, v31 offset:5144
; %bb.46:                               ;   in Loop: Header=BB79_41 Depth=2
	s_or_b32 exec_lo, exec_lo, s12
	s_wait_dscnt 0x0
	v_readfirstlane_b32 s7, v31
	s_wait_alu 0xf1ff
	s_delay_alu instid0(VALU_DEP_1)
	v_mad_u32_u24 v30, s11, v30, s7
.LBB79_47:                              ;   in Loop: Header=BB79_41 Depth=2
	s_wait_alu 0xfffe
	s_or_b32 exec_lo, exec_lo, s10
	ds_bpermute_b32 v30, v3, v30
	s_and_b32 s7, exec_lo, vcc_lo
	s_wait_alu 0xfffe
	s_or_b32 s9, s7, s9
	s_and_saveexec_b32 s7, s6
	s_cbranch_execz .LBB79_40
; %bb.48:                               ;   in Loop: Header=BB79_41 Depth=2
	v_and_b32_e32 v31, s6, v35
	s_wait_dscnt 0x0
	s_delay_alu instid0(VALU_DEP_1)
	v_bcnt_u32_b32 v30, v31, v30
	ds_store_b8 v30, v8
	s_branch .LBB79_40
.LBB79_49:                              ;   in Loop: Header=BB79_36 Depth=1
	s_mov_b32 s8, -1
	s_mov_b32 s6, 0
.LBB79_50:                              ;   in Loop: Header=BB79_36 Depth=1
	s_wait_alu 0xfffe
	s_and_b32 vcc_lo, exec_lo, s8
	s_wait_alu 0xfffe
	s_cbranch_vccz .LBB79_66
.LBB79_51:                              ;   in Loop: Header=BB79_36 Depth=1
	s_and_saveexec_b32 s12, s0
	s_cbranch_execz .LBB79_63
; %bb.52:                               ;   in Loop: Header=BB79_36 Depth=1
	global_load_u16 v4, v3, s[64:65]
	global_load_u8 v32, v[14:15], off
	v_mov_b32_e32 v8, v0
	s_mov_b32 s13, exec_lo
	s_wait_loadcnt 0x1
	v_and_b32_e32 v2, 0xffff, v4
	v_readfirstlane_b32 s6, v4
	s_delay_alu instid0(VALU_DEP_2) | instskip(NEXT) | instid1(VALU_DEP_1)
	v_add_nc_u32_e32 v2, v2, v0
	v_cmpx_gt_u64_e64 s[28:29], v[2:3]
	s_cbranch_execz .LBB79_62
; %bb.53:                               ;   in Loop: Header=BB79_36 Depth=1
	s_and_b32 s54, s6, 0xffff
	v_dual_mov_b32 v7, v1 :: v_dual_mov_b32 v6, v0
	s_wait_alu 0xfffe
	s_cmp_eq_u32 s54, 1
	v_dual_mov_b32 v5, v3 :: v_dual_mov_b32 v4, v2
	s_cselect_b32 s6, -1, 0
                                        ; implicit-def: $vgpr8_vgpr9
	s_wait_alu 0xfffe
	s_and_b32 s7, s4, s6
	s_mov_b32 s6, -1
	s_wait_alu 0xfffe
	s_and_saveexec_b32 s8, s7
	s_cbranch_execz .LBB79_57
; %bb.54:                               ;   in Loop: Header=BB79_36 Depth=1
	v_add_co_u32 v8, s6, v2, 3
	s_wait_alu 0xf1ff
	v_add_co_ci_u32_e64 v9, null, 0, 0, s6
	v_add_co_u32 v6, s6, v2, 2
	s_wait_alu 0xf1ff
	v_add_co_ci_u32_e64 v7, null, 0, 0, s6
	;; [unrolled: 3-line block ×3, first 2 shown]
	v_mov_b32_e32 v11, v9
	v_dual_mov_b32 v31, v19 :: v_dual_mov_b32 v10, v8
	s_wait_loadcnt 0x0
	v_dual_mov_b32 v30, v18 :: v_dual_lshlrev_b32 v43, 24, v32
	v_mov_b32_e32 v9, v7
	v_dual_mov_b32 v33, v0 :: v_dual_mov_b32 v8, v6
	v_mov_b32_e32 v7, v5
	v_mov_b32_e32 v6, v4
	;; [unrolled: 1-line block ×4, first 2 shown]
	s_mov_b32 s9, 0
.LBB79_55:                              ;   Parent Loop BB79_36 Depth=1
                                        ; =>  This Inner Loop Header: Depth=2
	v_mul_lo_u32 v53, v7, s82
	v_mul_lo_u32 v54, v6, s83
	v_mad_co_u64_u32 v[46:47], null, v6, s82, 0
	v_mul_lo_u32 v32, v9, s84
	v_mul_lo_u32 v52, v8, s85
	v_mad_co_u64_u32 v[44:45], null, v8, s84, 0
	;; [unrolled: 3-line block ×3, first 2 shown]
	v_mad_co_u64_u32 v[50:51], null, v10, s86, s[50:51]
	v_mul_lo_u32 v57, v10, s87
	v_mul_lo_u32 v58, v11, s86
	v_add3_u32 v53, v47, v54, v53
	v_add3_u32 v32, v45, v52, v32
	;; [unrolled: 1-line block ×3, first 2 shown]
	v_add_co_u32 v52, s7, s50, v46
	v_add_co_u32 v47, s6, s50, v44
	v_add3_u32 v51, v58, v51, v57
	v_add_co_u32 v45, vcc_lo, s50, v48
	s_wait_alu 0xf1ff
	v_add_co_ci_u32_e64 v53, null, s51, v53, s7
	v_add_co_ci_u32_e64 v48, null, s51, v32, s6
	s_wait_alu 0xfffd
	v_add_co_ci_u32_e64 v46, null, s51, v49, vcc_lo
	s_clause 0x3
	global_load_u8 v32, v[50:51], off
	global_load_u8 v44, v[52:53], off
	;; [unrolled: 1-line block ×4, first 2 shown]
	v_add_co_u32 v10, vcc_lo, v10, 4
	s_wait_alu 0xfffd
	v_add_co_ci_u32_e64 v11, null, 0, v11, vcc_lo
	v_add_co_u32 v8, vcc_lo, v8, 4
	s_wait_alu 0xfffd
	v_add_co_ci_u32_e64 v9, null, 0, v9, vcc_lo
	;; [unrolled: 3-line block ×3, first 2 shown]
	v_add_co_u32 v30, vcc_lo, v30, -4
	s_wait_alu 0xfffd
	v_add_co_ci_u32_e64 v31, null, -1, v31, vcc_lo
	v_add_co_u32 v4, vcc_lo, v4, 4
	s_wait_alu 0xfffd
	v_add_co_ci_u32_e64 v5, null, 0, v5, vcc_lo
	s_delay_alu instid0(VALU_DEP_3)
	v_cmp_eq_u64_e64 s6, 0, v[30:31]
	s_wait_alu 0xfffe
	s_or_b32 s9, s6, s9
	s_wait_loadcnt 0x0
	v_perm_b32 v46, v45, v44, 0xc0c0004
	v_perm_b32 v44, v44, v47, 0xc0c0004
	v_perm_b32 v43, v43, v45, 0xc0c0007
	v_perm_b32 v45, v47, v32, 0xc0c0004
	s_delay_alu instid0(VALU_DEP_2) | instskip(NEXT) | instid1(VALU_DEP_2)
	v_lshl_or_b32 v43, v44, 16, v43
	v_lshl_or_b32 v44, v45, 16, v46
	ds_store_b32 v33, v43
	v_add_nc_u32_e32 v33, 4, v33
	v_mov_b32_e32 v43, v44
	s_wait_alu 0xfffe
	s_and_not1_b32 exec_lo, exec_lo, s9
	s_cbranch_execnz .LBB79_55
; %bb.56:                               ;   in Loop: Header=BB79_36 Depth=1
	s_or_b32 exec_lo, exec_lo, s9
	v_add_co_u32 v4, vcc_lo, v2, v18
	s_wait_alu 0xfffd
	v_add_co_ci_u32_e64 v5, null, 0, v19, vcc_lo
	v_dual_mov_b32 v6, v20 :: v_dual_mov_b32 v7, v21
	s_delay_alu instid0(VALU_DEP_3)
	v_add_co_u32 v8, vcc_lo, v4, -1
	s_or_not1_b32 s6, s5, exec_lo
	s_wait_alu 0xfffd
	v_add_co_ci_u32_e64 v2, null, -1, v5, vcc_lo
.LBB79_57:                              ;   in Loop: Header=BB79_36 Depth=1
	s_wait_alu 0xfffe
	s_or_b32 exec_lo, exec_lo, s8
	s_and_saveexec_b32 s7, s6
	s_cbranch_execz .LBB79_61
; %bb.58:                               ;   in Loop: Header=BB79_36 Depth=1
	v_mad_co_u64_u32 v[9:10], null, s30, v4, s[60:61]
	v_mul_lo_u32 v2, s30, v5
	v_mul_lo_u32 v7, s31, v4
	s_sub_nc_u64 s[8:9], 0, s[54:55]
	s_mul_u64 s[10:11], s[30:31], s[54:55]
	s_mov_b32 s14, 0
	s_delay_alu instid0(VALU_DEP_1)
	v_add3_u32 v10, v7, v10, v2
.LBB79_59:                              ;   Parent Loop BB79_36 Depth=1
                                        ; =>  This Inner Loop Header: Depth=2
	global_load_u8 v2, v[9:10], off
	v_dual_mov_b32 v8, v5 :: v_dual_mov_b32 v7, v4
	s_wait_alu 0xfffe
	v_add_co_u32 v9, vcc_lo, v9, s10
	s_wait_alu 0xfffd
	v_add_co_ci_u32_e64 v10, null, s11, v10, vcc_lo
	v_add_co_u32 v4, s6, v7, s54
	s_wait_alu 0xf1ff
	v_add_co_ci_u32_e64 v5, null, 0, v8, s6
	s_wait_loadcnt 0x1
	ds_store_b8 v6, v32
	v_mov_b32_e32 v6, v7
	v_mov_b32_e32 v7, v8
	v_cmp_le_u64_e32 vcc_lo, s[28:29], v[4:5]
	v_add_co_u32 v8, s6, s8, v4
	s_wait_alu 0xf1ff
	v_add_co_ci_u32_e64 v7, null, s9, v5, s6
	s_or_b32 s14, vcc_lo, s14
	s_wait_loadcnt 0x0
	v_mov_b32_e32 v32, v2
	s_wait_alu 0xfffe
	s_and_not1_b32 exec_lo, exec_lo, s14
	s_cbranch_execnz .LBB79_59
; %bb.60:                               ;   in Loop: Header=BB79_36 Depth=1
	s_or_b32 exec_lo, exec_lo, s14
	v_mov_b32_e32 v32, v2
.LBB79_61:                              ;   in Loop: Header=BB79_36 Depth=1
	s_wait_alu 0xfffe
	s_or_b32 exec_lo, exec_lo, s7
.LBB79_62:                              ;   in Loop: Header=BB79_36 Depth=1
	s_wait_alu 0xfffe
	s_or_b32 exec_lo, exec_lo, s13
	s_wait_loadcnt 0x0
	ds_store_b8 v8, v32
.LBB79_63:                              ;   in Loop: Header=BB79_36 Depth=1
	s_wait_alu 0xfffe
	s_or_b32 exec_lo, exec_lo, s12
	s_wait_loadcnt_dscnt 0x0
	s_barrier_signal -1
	s_barrier_wait -1
	global_inv scope:SCOPE_SE
	s_and_saveexec_b32 s6, s2
; %bb.64:                               ;   in Loop: Header=BB79_36 Depth=1
	v_dual_mov_b32 v4, s28 :: v_dual_mov_b32 v5, s29
	ds_store_b64 v3, v[4:5] offset:5120
; %bb.65:                               ;   in Loop: Header=BB79_36 Depth=1
	s_wait_alu 0xfffe
	s_or_b32 exec_lo, exec_lo, s6
	s_wait_loadcnt_dscnt 0x0
	s_barrier_signal -1
	s_mov_b32 s6, -1
	s_barrier_wait -1
.LBB79_66:                              ;   in Loop: Header=BB79_36 Depth=1
	s_wait_alu 0xfffe
	s_and_b32 vcc_lo, exec_lo, s6
	s_mov_b64 s[66:67], 0
	s_wait_alu 0xfffe
	s_cbranch_vccz .LBB79_68
; %bb.67:                               ;   in Loop: Header=BB79_36 Depth=1
	s_wait_loadcnt 0x0
	global_inv scope:SCOPE_SE
	ds_load_b64 v[4:5], v3 offset:5120
	s_wait_dscnt 0x0
	v_readfirstlane_b32 s66, v4
.LBB79_68:                              ;   in Loop: Header=BB79_36 Depth=1
	s_delay_alu instid0(VALU_DEP_1)
	s_cmp_lt_i32 s66, 1
	s_mov_b32 s6, -1
                                        ; implicit-def: $vgpr10_vgpr11
                                        ; implicit-def: $vgpr6_vgpr7
	s_cbranch_scc1 .LBB79_78
; %bb.69:                               ;   in Loop: Header=BB79_36 Depth=1
	s_wait_alu 0xfffe
	s_and_b32 vcc_lo, exec_lo, s6
	s_wait_alu 0xfffe
	s_cbranch_vccnz .LBB79_92
.LBB79_70:                              ;   in Loop: Header=BB79_36 Depth=1
	s_lshl_b32 s6, s95, 7
	s_and_saveexec_b32 s7, s1
	s_cbranch_execz .LBB79_72
.LBB79_71:                              ;   in Loop: Header=BB79_36 Depth=1
	s_wait_alu 0xfffe
	v_lshl_add_u32 v2, s6, 3, v36
	ds_store_b128 v2, v[4:7]
	ds_store_b128 v2, v[8:11] offset:16
.LBB79_72:                              ;   in Loop: Header=BB79_36 Depth=1
	s_wait_alu 0xfffe
	s_or_b32 exec_lo, exec_lo, s7
	s_wait_loadcnt_dscnt 0x0
	s_barrier_signal -1
	s_barrier_wait -1
	global_inv scope:SCOPE_SE
	s_and_saveexec_b32 s7, s33
	s_cbranch_execz .LBB79_106
; %bb.73:                               ;   in Loop: Header=BB79_36 Depth=1
	v_mov_b32_e32 v4, 0
	v_mov_b32_e32 v5, 0
	s_and_not1_b32 vcc_lo, exec_lo, s81
	s_wait_alu 0xfffe
	s_cbranch_vccnz .LBB79_105
; %bb.74:                               ;   in Loop: Header=BB79_36 Depth=1
	v_mov_b32_e32 v4, 0
	v_mov_b32_e32 v5, 0
	s_and_not1_b32 vcc_lo, exec_lo, s89
	s_wait_alu 0xfffe
	s_cbranch_vccnz .LBB79_102
; %bb.75:                               ;   in Loop: Header=BB79_36 Depth=1
	v_lshl_add_u32 v2, s95, 10, v39
	s_mov_b32 s8, 0
.LBB79_76:                              ;   Parent Loop BB79_36 Depth=1
                                        ; =>  This Inner Loop Header: Depth=2
	ds_load_2addr_b64 v[6:9], v2 offset1:4
	ds_load_2addr_b64 v[30:33], v2 offset0:8 offset1:12
	ds_load_2addr_b64 v[43:46], v2 offset0:16 offset1:20
	s_wait_alu 0xfffe
	s_add_co_i32 s8, s8, 8
	s_wait_alu 0xfffe
	s_cmp_eq_u32 s90, s8
	s_wait_dscnt 0x2
	v_add_co_u32 v4, vcc_lo, v6, v4
	s_wait_alu 0xfffd
	v_add_co_ci_u32_e64 v5, null, v7, v5, vcc_lo
	s_delay_alu instid0(VALU_DEP_2) | instskip(SKIP_1) | instid1(VALU_DEP_2)
	v_add_co_u32 v8, vcc_lo, v8, v4
	s_wait_alu 0xfffd
	v_add_co_ci_u32_e64 v9, null, v9, v5, vcc_lo
	ds_load_2addr_b64 v[4:7], v2 offset0:24 offset1:28
	s_wait_dscnt 0x2
	v_add_co_u32 v8, vcc_lo, v30, v8
	s_wait_alu 0xfffd
	v_add_co_ci_u32_e64 v9, null, v31, v9, vcc_lo
	v_add_nc_u32_e32 v2, 0x100, v2
	s_delay_alu instid0(VALU_DEP_3) | instskip(SKIP_1) | instid1(VALU_DEP_3)
	v_add_co_u32 v8, vcc_lo, v32, v8
	s_wait_alu 0xfffd
	v_add_co_ci_u32_e64 v9, null, v33, v9, vcc_lo
	s_wait_dscnt 0x1
	s_delay_alu instid0(VALU_DEP_2) | instskip(SKIP_1) | instid1(VALU_DEP_2)
	v_add_co_u32 v8, vcc_lo, v43, v8
	s_wait_alu 0xfffd
	v_add_co_ci_u32_e64 v9, null, v44, v9, vcc_lo
	s_delay_alu instid0(VALU_DEP_2) | instskip(SKIP_1) | instid1(VALU_DEP_2)
	v_add_co_u32 v8, vcc_lo, v45, v8
	s_wait_alu 0xfffd
	v_add_co_ci_u32_e64 v9, null, v46, v9, vcc_lo
	s_wait_dscnt 0x0
	s_delay_alu instid0(VALU_DEP_2) | instskip(SKIP_1) | instid1(VALU_DEP_2)
	v_add_co_u32 v4, vcc_lo, v4, v8
	s_wait_alu 0xfffd
	v_add_co_ci_u32_e64 v5, null, v5, v9, vcc_lo
	s_delay_alu instid0(VALU_DEP_2) | instskip(SKIP_1) | instid1(VALU_DEP_2)
	v_add_co_u32 v4, vcc_lo, v6, v4
	s_wait_alu 0xfffd
	v_add_co_ci_u32_e64 v5, null, v7, v5, vcc_lo
	s_cbranch_scc0 .LBB79_76
; %bb.77:                               ;   in Loop: Header=BB79_36 Depth=1
	s_mov_b32 s8, s90
	s_and_not1_b32 vcc_lo, exec_lo, s92
	s_wait_alu 0xfffe
	s_cbranch_vccz .LBB79_103
	s_branch .LBB79_105
.LBB79_78:                              ;   in Loop: Header=BB79_36 Depth=1
	global_load_u16 v2, v3, s[64:65]
	s_mov_b32 s7, s29
	s_wait_loadcnt 0x0
	v_readfirstlane_b32 s6, v2
	s_wait_alu 0xfffe
	s_and_b32 s8, 0xffff, s6
	s_mov_b32 s6, s55
	s_wait_alu 0xfffe
	s_lshl_b32 s68, s8, 2
	s_cmp_lg_u64 s[6:7], 0
	s_cbranch_scc0 .LBB79_101
; %bb.79:                               ;   in Loop: Header=BB79_36 Depth=1
	s_wait_alu 0xfffe
	s_cvt_f32_u32 s6, s68
	s_mov_b32 s69, s55
	s_wait_alu 0xfffe
	s_sub_nc_u64 s[8:9], 0, s[68:69]
	s_fmamk_f32 s6, s93, 0x0, s6
	s_wait_alu 0xfffe
	s_delay_alu instid0(SALU_CYCLE_2) | instskip(NEXT) | instid1(TRANS32_DEP_1)
	v_s_rcp_f32 s6, s6
	s_mul_f32 s6, s6, 0x5f7ffffc
	s_wait_alu 0xfffe
	s_delay_alu instid0(SALU_CYCLE_2) | instskip(SKIP_1) | instid1(SALU_CYCLE_2)
	s_mul_f32 s7, s6, 0x2f800000
	s_wait_alu 0xfffe
	s_trunc_f32 s7, s7
	s_wait_alu 0xfffe
	s_delay_alu instid0(SALU_CYCLE_2) | instskip(SKIP_2) | instid1(SALU_CYCLE_1)
	s_fmamk_f32 s6, s7, 0xcf800000, s6
	s_cvt_u32_f32 s7, s7
	s_wait_alu 0xfffe
	s_cvt_u32_f32 s6, s6
	s_wait_alu 0xfffe
	s_delay_alu instid0(SALU_CYCLE_2)
	s_mul_u64 s[10:11], s[8:9], s[6:7]
	s_wait_alu 0xfffe
	s_mul_hi_u32 s13, s6, s11
	s_mul_i32 s12, s6, s11
	s_mul_hi_u32 s54, s6, s10
	s_mul_i32 s15, s7, s10
	s_wait_alu 0xfffe
	s_add_nc_u64 s[12:13], s[54:55], s[12:13]
	s_mul_hi_u32 s14, s7, s10
	s_mul_hi_u32 s16, s7, s11
	s_mul_i32 s10, s7, s11
	s_wait_alu 0xfffe
	s_add_co_u32 s11, s12, s15
	s_add_co_ci_u32 s54, s13, s14
	s_add_co_ci_u32 s11, s16, 0
	s_wait_alu 0xfffe
	s_add_nc_u64 s[10:11], s[54:55], s[10:11]
	s_wait_alu 0xfffe
	s_add_co_u32 s6, s6, s10
	s_cselect_b32 s10, -1, 0
	s_wait_alu 0xfffe
	s_cmp_lg_u32 s10, 0
	s_add_co_ci_u32 s7, s7, s11
	s_wait_alu 0xfffe
	s_mul_u64 s[8:9], s[8:9], s[6:7]
	s_wait_alu 0xfffe
	s_mul_hi_u32 s11, s6, s9
	s_mul_i32 s10, s6, s9
	s_mul_hi_u32 s54, s6, s8
	s_mul_i32 s13, s7, s8
	s_wait_alu 0xfffe
	s_add_nc_u64 s[10:11], s[54:55], s[10:11]
	s_mul_hi_u32 s12, s7, s8
	s_mul_hi_u32 s14, s7, s9
	s_mul_i32 s8, s7, s9
	s_wait_alu 0xfffe
	s_add_co_u32 s9, s10, s13
	s_add_co_ci_u32 s54, s11, s12
	s_add_co_ci_u32 s9, s14, 0
	s_wait_alu 0xfffe
	s_add_nc_u64 s[8:9], s[54:55], s[8:9]
	s_wait_alu 0xfffe
	s_add_co_u32 s6, s6, s8
	s_cselect_b32 s8, -1, 0
	s_wait_alu 0xfffe
	s_mul_hi_u32 s54, s28, s6
	s_cmp_lg_u32 s8, 0
	s_mul_hi_u32 s10, s29, s6
	s_add_co_ci_u32 s8, s7, s9
	s_mul_i32 s9, s29, s6
	s_wait_alu 0xfffe
	s_mul_hi_u32 s7, s28, s8
	s_mul_i32 s6, s28, s8
	s_mul_hi_u32 s11, s29, s8
	s_wait_alu 0xfffe
	s_add_nc_u64 s[6:7], s[54:55], s[6:7]
	s_mul_i32 s8, s29, s8
	s_wait_alu 0xfffe
	s_add_co_u32 s6, s6, s9
	s_add_co_ci_u32 s54, s7, s10
	s_add_co_ci_u32 s9, s11, 0
	s_wait_alu 0xfffe
	s_add_nc_u64 s[6:7], s[54:55], s[8:9]
	s_wait_alu 0xfffe
	s_mul_u64 s[6:7], s[68:69], s[6:7]
	s_wait_alu 0xfffe
	s_sub_co_u32 s6, s28, s6
	s_cselect_b32 s8, -1, 0
	s_wait_alu 0xfffe
	s_cmp_lg_u32 s8, 0
	s_sub_co_ci_u32 s7, s29, s7
	s_sub_co_u32 s8, s6, s68
	s_cselect_b32 s9, -1, 0
	s_wait_alu 0xfffe
	s_cmp_lg_u32 s9, 0
	s_sub_co_ci_u32 s9, s7, 0
	;; [unrolled: 5-line block ×3, first 2 shown]
	s_cmp_ge_u32 s8, s68
	s_cselect_b32 s12, -1, 0
	s_cmp_eq_u32 s9, 0
	s_wait_alu 0xfffe
	s_cselect_b32 s12, s12, -1
	s_wait_alu 0xfffe
	s_cmp_lg_u32 s12, 0
	s_cselect_b32 s9, s11, s9
	s_cselect_b32 s8, s10, s8
	s_cmp_ge_u32 s6, s68
	s_cselect_b32 s10, -1, 0
	s_cmp_eq_u32 s7, 0
	s_wait_alu 0xfffe
	s_cselect_b32 s10, s10, -1
	s_wait_alu 0xfffe
	s_cmp_lg_u32 s10, 0
	s_cselect_b32 s7, s9, s7
	s_cselect_b32 s6, s8, s6
	s_cbranch_execnz .LBB79_81
.LBB79_80:                              ;   in Loop: Header=BB79_36 Depth=1
	s_wait_alu 0xfffe
	v_cvt_f32_u32_e32 v4, s68
	s_sub_co_i32 s7, 0, s68
	s_delay_alu instid0(VALU_DEP_1) | instskip(NEXT) | instid1(TRANS32_DEP_1)
	v_rcp_iflag_f32_e32 v4, v4
	v_mul_f32_e32 v4, 0x4f7ffffe, v4
	s_delay_alu instid0(VALU_DEP_1) | instskip(NEXT) | instid1(VALU_DEP_1)
	v_cvt_u32_f32_e32 v4, v4
	v_readfirstlane_b32 s6, v4
	s_wait_alu 0xfffe
	s_mul_i32 s7, s7, s6
	s_wait_alu 0xfffe
	s_mul_hi_u32 s7, s6, s7
	s_wait_alu 0xfffe
	s_add_co_i32 s6, s6, s7
	s_wait_alu 0xfffe
	s_mul_hi_u32 s6, s28, s6
	s_wait_alu 0xfffe
	s_mul_i32 s6, s6, s68
	s_wait_alu 0xfffe
	s_sub_co_i32 s6, s28, s6
	s_wait_alu 0xfffe
	s_sub_co_i32 s7, s6, s68
	s_cmp_ge_u32 s6, s68
	s_wait_alu 0xfffe
	s_cselect_b32 s6, s7, s6
	s_wait_alu 0xfffe
	s_sub_co_i32 s7, s6, s68
	s_cmp_ge_u32 s6, s68
	s_wait_alu 0xfffe
	s_cselect_b32 s54, s7, s6
	s_wait_alu 0xfffe
	s_mov_b64 s[6:7], s[54:55]
.LBB79_81:                              ;   in Loop: Header=BB79_36 Depth=1
	v_mov_b32_e32 v4, 0
	v_dual_mov_b32 v8, 0 :: v_dual_mov_b32 v5, 0
	v_dual_mov_b32 v6, 0 :: v_dual_mov_b32 v9, 0
	;; [unrolled: 1-line block ×3, first 2 shown]
	v_dual_mov_b32 v11, 0 :: v_dual_and_b32 v2, 0xffff, v2
	s_wait_alu 0xfffe
	s_sub_nc_u64 s[70:71], s[28:29], s[6:7]
	s_mov_b32 s67, exec_lo
	s_wait_alu 0xfffe
	v_cmpx_gt_u64_e64 s[70:71], v[16:17]
	s_cbranch_execz .LBB79_85
; %bb.82:                               ;   in Loop: Header=BB79_36 Depth=1
	v_mul_lo_u32 v4, v2, s63
	v_mul_lo_u32 v5, 0, s62
	v_mul_hi_u32 v6, v2, s62
	v_mul_lo_u32 v43, v2, s62
	v_dual_mov_b32 v30, s50 :: v_dual_mov_b32 v33, v17
	v_mov_b32_e32 v32, v16
	s_mov_b64 s[72:73], 0
	v_dual_mov_b32 v31, s51 :: v_dual_add_nc_u32 v4, v4, v5
	s_mov_b32 s69, 0
	s_mov_b64 s[74:75], 0
	s_mov_b64 s[76:77], 0
	;; [unrolled: 1-line block ×3, first 2 shown]
	v_add_nc_u32_e32 v44, v4, v6
.LBB79_83:                              ;   Parent Loop BB79_36 Depth=1
                                        ; =>  This Inner Loop Header: Depth=2
	v_add_co_u32 v4, vcc_lo, v30, v26
	s_wait_alu 0xfffd
	v_add_co_ci_u32_e64 v5, null, v31, v27, vcc_lo
	v_add_co_u32 v6, vcc_lo, v30, v25
	s_wait_alu 0xfffd
	v_add_co_ci_u32_e64 v7, null, v31, v38, vcc_lo
	;; [unrolled: 3-line block ×4, first 2 shown]
	s_clause 0x3
	global_load_u8 v4, v[4:5], off
	global_load_u8 v5, v[6:7], off
	;; [unrolled: 1-line block ×4, first 2 shown]
	v_add_co_u32 v32, vcc_lo, v32, s68
	s_wait_alu 0xfffd
	v_add_co_ci_u32_e64 v33, null, 0, v33, vcc_lo
	v_add_co_u32 v30, vcc_lo, v30, v43
	s_wait_alu 0xfffd
	v_add_co_ci_u32_e64 v31, null, v31, v44, vcc_lo
	s_delay_alu instid0(VALU_DEP_3)
	v_cmp_le_u64_e32 vcc_lo, s[70:71], v[32:33]
	s_wait_loadcnt 0x3
	v_and_b32_e32 v8, v41, v4
	v_bfe_u32 v4, v4, s91, 2
	s_wait_loadcnt 0x2
	v_and_b32_e32 v9, v41, v5
	v_bfe_u32 v5, v5, s91, 2
	;; [unrolled: 3-line block ×3, first 2 shown]
	v_cmp_eq_u32_e64 s6, v8, v22
	v_cmp_eq_u32_e64 s10, 0, v4
	s_wait_loadcnt 0x0
	v_and_b32_e32 v11, v41, v7
	v_bfe_u32 v7, v7, s91, 2
	v_cmp_eq_u32_e64 s7, v9, v22
	v_cmp_eq_u32_e64 s11, 0, v5
	;; [unrolled: 1-line block ×4, first 2 shown]
	s_and_b32 s10, s6, s10
	v_cmp_eq_u32_e64 s9, v11, v22
	v_cmp_eq_u32_e64 s13, 0, v7
	v_cmp_eq_u32_e64 s14, 1, v4
	v_cmp_eq_u32_e64 s18, 2, v4
	v_cmp_eq_u32_e64 s22, 3, v4
	s_wait_alu 0xfffe
	v_cndmask_b32_e64 v4, 0, 1, s10
	s_and_b32 s10, s7, s11
	v_cmp_eq_u32_e64 s15, 1, v5
	v_cmp_eq_u32_e64 s19, 2, v5
	v_cmp_eq_u32_e64 s23, 3, v5
	s_wait_alu 0xfffe
	v_cndmask_b32_e64 v5, 0, 1, s10
	s_and_b32 s10, s8, s12
	v_cmp_eq_u32_e64 s16, 1, v6
	v_cmp_eq_u32_e64 s20, 2, v6
	v_cmp_eq_u32_e64 s24, 3, v6
	;; [unrolled: 6-line block ×3, first 2 shown]
	s_wait_alu 0xfffe
	v_cndmask_b32_e64 v7, 0, 1, s10
	s_and_b32 s10, s6, s14
	s_wait_alu 0xfffe
	v_cndmask_b32_e64 v8, 0, 1, s10
	s_and_b32 s10, s7, s15
	;; [unrolled: 3-line block ×4, first 2 shown]
	v_cmp_ne_u32_e64 s11, 0, v9
	s_wait_alu 0xfffe
	v_cndmask_b32_e64 v11, 0, 1, s10
	s_and_b32 s10, s6, s18
	s_and_b32 s6, s6, s22
	s_wait_alu 0xfffe
	v_cndmask_b32_e64 v45, 0, 1, s10
	v_cndmask_b32_e64 v49, 0, 1, s6
	s_and_b32 s6, s7, s23
	s_and_b32 s10, s7, s19
	s_wait_alu 0xfffe
	v_cndmask_b32_e64 v50, 0, 1, s6
	s_and_b32 s6, s8, s24
	v_cndmask_b32_e64 v46, 0, 1, s10
	s_and_b32 s10, s8, s20
	s_wait_alu 0xfffe
	v_cndmask_b32_e64 v51, 0, 1, s6
	s_and_b32 s6, s9, s25
	v_cndmask_b32_e64 v47, 0, 1, s10
	s_and_b32 s10, s9, s21
	s_wait_alu 0xfffe
	v_cndmask_b32_e64 v52, 0, 1, s6
	v_cmp_ne_u32_e64 s6, 0, v4
	v_cmp_ne_u32_e64 s7, 0, v5
	v_cndmask_b32_e64 v48, 0, 1, s10
	v_cmp_ne_u32_e64 s8, 0, v6
	v_cmp_ne_u32_e64 s10, 0, v8
	;; [unrolled: 1-line block ×6, first 2 shown]
	s_bcnt1_i32_b32 s6, s6
	s_bcnt1_i32_b32 s7, s7
	v_cmp_ne_u32_e64 s13, 0, v11
	v_cmp_ne_u32_e64 s16, 0, v47
	;; [unrolled: 1-line block ×4, first 2 shown]
	s_bcnt1_i32_b32 s8, s8
	s_bcnt1_i32_b32 s10, s10
	;; [unrolled: 1-line block ×3, first 2 shown]
	s_wait_alu 0xfffe
	s_add_co_i32 s6, s7, s6
	v_cmp_ne_u32_e64 s17, 0, v48
	v_cmp_ne_u32_e64 s20, 0, v51
	s_bcnt1_i32_b32 s9, s9
	s_bcnt1_i32_b32 s12, s12
	;; [unrolled: 1-line block ×4, first 2 shown]
	s_add_co_i32 s7, s11, s10
	s_wait_alu 0xfffe
	s_add_co_i32 s6, s6, s8
	v_cmp_ne_u32_e64 s21, 0, v52
	s_bcnt1_i32_b32 s13, s13
	s_bcnt1_i32_b32 s16, s16
	;; [unrolled: 1-line block ×4, first 2 shown]
	s_add_co_i32 s10, s15, s14
	s_add_co_i32 s7, s7, s12
	s_wait_alu 0xfffe
	s_add_co_i32 s54, s6, s9
	s_bcnt1_i32_b32 s17, s17
	s_bcnt1_i32_b32 s20, s20
	s_add_co_i32 s11, s19, s18
	s_add_co_i32 s8, s10, s16
	s_wait_alu 0xfffe
	s_add_nc_u64 s[78:79], s[78:79], s[54:55]
	s_add_co_i32 s54, s7, s13
	s_bcnt1_i32_b32 s21, s21
	s_add_co_i32 s10, s11, s20
	s_wait_alu 0xfffe
	s_add_nc_u64 s[76:77], s[76:77], s[54:55]
	s_add_co_i32 s54, s8, s17
	v_mov_b32_e32 v4, s78
	s_wait_alu 0xfffe
	s_add_nc_u64 s[74:75], s[74:75], s[54:55]
	s_add_co_i32 s54, s10, s21
	v_mov_b32_e32 v6, s76
	s_wait_alu 0xfffe
	s_add_nc_u64 s[72:73], s[72:73], s[54:55]
	v_mov_b32_e32 v5, s79
	v_dual_mov_b32 v7, s77 :: v_dual_mov_b32 v8, s74
	s_wait_alu 0xfffe
	v_dual_mov_b32 v9, s75 :: v_dual_mov_b32 v10, s72
	v_mov_b32_e32 v11, s73
	s_or_b32 s69, vcc_lo, s69
	s_wait_alu 0xfffe
	s_and_not1_b32 exec_lo, exec_lo, s69
	s_cbranch_execnz .LBB79_83
; %bb.84:                               ;   in Loop: Header=BB79_36 Depth=1
	s_or_b32 exec_lo, exec_lo, s69
.LBB79_85:                              ;   in Loop: Header=BB79_36 Depth=1
	s_delay_alu instid0(SALU_CYCLE_1)
	s_or_b32 exec_lo, exec_lo, s67
	v_add_co_u32 v30, s6, s70, v0
	s_wait_alu 0xf1ff
	v_add_co_ci_u32_e64 v31, null, s71, 0, s6
	s_mov_b32 s9, exec_lo
	v_cmpx_gt_u64_e64 s[28:29], v[30:31]
	s_cbranch_execz .LBB79_91
; %bb.86:                               ;   in Loop: Header=BB79_36 Depth=1
	v_mad_co_u64_u32 v[32:33], null, v30, s30, s[50:51]
	v_mul_lo_u32 v43, v30, s31
	v_mul_lo_u32 v44, v31, s30
	s_mov_b32 s10, 0
	s_delay_alu instid0(VALU_DEP_1)
	v_add3_u32 v33, v44, v33, v43
	global_load_u8 v33, v[32:33], off
	s_branch .LBB79_88
.LBB79_87:                              ;   in Loop: Header=BB79_88 Depth=2
	s_wait_alu 0xfffe
	s_or_b32 exec_lo, exec_lo, s7
	s_wait_loadcnt 0x0
	v_and_b32_e32 v33, 0xff, v33
	s_and_b32 s8, exec_lo, vcc_lo
	s_wait_alu 0xfffe
	s_or_b32 s10, s8, s10
	s_delay_alu instid0(VALU_DEP_1) | instskip(SKIP_1) | instid1(VALU_DEP_2)
	v_and_b32_e32 v43, v41, v33
	v_bfe_u32 v33, v33, s91, 2
	v_cmp_eq_u32_e64 s6, v43, v22
	s_delay_alu instid0(VALU_DEP_2)
	v_cmp_eq_u32_e64 s7, 0, v33
	v_cmp_eq_u32_e32 vcc_lo, 1, v33
	v_cmp_eq_u32_e64 s8, 2, v33
	s_and_b32 s7, s6, s7
	s_wait_alu 0xfffe
	v_cndmask_b32_e64 v43, 0, 1, s7
	s_and_b32 s7, s6, vcc_lo
	v_cmp_eq_u32_e32 vcc_lo, 3, v33
	s_wait_alu 0xfffe
	v_cndmask_b32_e64 v44, 0, 1, s7
	s_and_b32 s7, s6, s8
	s_wait_alu 0xfffe
	v_cndmask_b32_e64 v33, 0, 1, s7
	v_cmp_ne_u32_e64 s7, 0, v43
	v_cmp_ne_u32_e64 s8, 0, v44
	s_and_b32 s6, s6, vcc_lo
	s_wait_alu 0xfffe
	v_cndmask_b32_e64 v43, 0, 1, s6
	s_bcnt1_i32_b32 s6, s7
	v_cmp_ne_u32_e32 vcc_lo, 0, v33
	s_bcnt1_i32_b32 s7, s8
	s_wait_alu 0xfffe
	v_add_co_u32 v4, s6, v4, s6
	s_wait_alu 0xf1ff
	v_add_co_ci_u32_e64 v5, null, 0, v5, s6
	v_add_co_u32 v6, s6, v6, s7
	s_wait_alu 0xf1ff
	v_add_co_ci_u32_e64 v7, null, 0, v7, s6
	s_bcnt1_i32_b32 s6, vcc_lo
	v_cmp_ne_u32_e32 vcc_lo, 0, v43
	s_wait_alu 0xfffe
	v_add_co_u32 v8, s6, v8, s6
	s_wait_alu 0xf1ff
	v_add_co_ci_u32_e64 v9, null, 0, v9, s6
	s_bcnt1_i32_b32 s6, vcc_lo
	v_mov_b32_e32 v33, v32
	s_wait_alu 0xfffe
	v_add_co_u32 v10, vcc_lo, v10, s6
	s_wait_alu 0xfffd
	v_add_co_ci_u32_e64 v11, null, 0, v11, vcc_lo
	s_and_not1_b32 exec_lo, exec_lo, s10
	s_cbranch_execz .LBB79_90
.LBB79_88:                              ;   Parent Loop BB79_36 Depth=1
                                        ; =>  This Inner Loop Header: Depth=2
	v_add_co_u32 v30, vcc_lo, v30, v2
	s_wait_alu 0xfffd
	v_add_co_ci_u32_e64 v31, null, 0, v31, vcc_lo
	v_mov_b32_e32 v32, 0
	s_mov_b32 s7, exec_lo
	s_delay_alu instid0(VALU_DEP_2)
	v_cmp_le_u64_e32 vcc_lo, s[28:29], v[30:31]
	v_cmpx_gt_u64_e64 s[28:29], v[30:31]
	s_cbranch_execz .LBB79_87
; %bb.89:                               ;   in Loop: Header=BB79_88 Depth=2
	v_mad_co_u64_u32 v[43:44], null, v30, s30, s[50:51]
	v_mul_lo_u32 v32, v30, s31
	v_mul_lo_u32 v45, v31, s30
	s_delay_alu instid0(VALU_DEP_1)
	v_add3_u32 v44, v45, v44, v32
	global_load_u8 v32, v[43:44], off
	s_branch .LBB79_87
.LBB79_90:                              ;   in Loop: Header=BB79_36 Depth=1
	s_or_b32 exec_lo, exec_lo, s10
.LBB79_91:                              ;   in Loop: Header=BB79_36 Depth=1
	s_wait_alu 0xfffe
	s_or_b32 exec_lo, exec_lo, s9
	s_branch .LBB79_70
.LBB79_92:                              ;   in Loop: Header=BB79_36 Depth=1
	global_load_u16 v2, v3, s[64:65]
	v_mov_b32_e32 v6, 0
	v_mov_b32_e32 v8, 0
	v_dual_mov_b32 v10, 0 :: v_dual_mov_b32 v9, 0
	v_mov_b32_e32 v11, 0
	s_mov_b32 s78, exec_lo
	v_mov_b32_e32 v7, 0
	s_wait_loadcnt 0x0
	v_readfirstlane_b32 s6, v2
	v_and_b32_e32 v2, 0xffff, v2
	s_and_b32 s67, 0xffff, s6
	s_wait_alu 0xfffe
	s_lshl_b32 s77, s67, 2
	s_wait_alu 0xfffe
	s_cvt_f32_u32 s6, s77
	s_sub_co_i32 s7, 0, s77
	s_wait_alu 0xfffe
	s_delay_alu instid0(SALU_CYCLE_1) | instskip(NEXT) | instid1(TRANS32_DEP_1)
	v_rcp_iflag_f32_e32 v4, s6
	v_readfirstlane_b32 s6, v4
	s_mul_f32 s6, s6, 0x4f7ffffe
	s_wait_alu 0xfffe
	s_delay_alu instid0(SALU_CYCLE_2) | instskip(SKIP_1) | instid1(SALU_CYCLE_2)
	s_cvt_u32_f32 s6, s6
	s_wait_alu 0xfffe
	s_mul_i32 s7, s7, s6
	s_wait_alu 0xfffe
	s_mul_hi_u32 s7, s6, s7
	s_wait_alu 0xfffe
	s_add_co_i32 s6, s6, s7
	s_wait_alu 0xfffe
	s_mul_hi_u32 s6, s66, s6
	s_wait_alu 0xfffe
	s_mul_i32 s7, s6, s77
	s_add_co_i32 s8, s6, 1
	s_wait_alu 0xfffe
	s_sub_co_i32 s7, s66, s7
	s_wait_alu 0xfffe
	s_sub_co_i32 s9, s7, s77
	s_cmp_ge_u32 s7, s77
	s_cselect_b32 s6, s8, s6
	s_wait_alu 0xfffe
	s_cselect_b32 s7, s9, s7
	s_add_co_i32 s8, s6, 1
	s_wait_alu 0xfffe
	s_cmp_ge_u32 s7, s77
	s_cselect_b32 s76, s8, s6
	s_wait_alu 0xfffe
	v_mul_hi_u32 v5, s76, v2
	v_mul_lo_u32 v4, s76, v2
	s_delay_alu instid0(VALU_DEP_1) | instskip(SKIP_2) | instid1(VALU_DEP_3)
	v_lshlrev_b64_e32 v[30:31], 2, v[4:5]
	v_mov_b32_e32 v4, 0
	v_mov_b32_e32 v5, 0
	v_cmpx_gt_u64_e64 v[30:31], v[16:17]
	s_cbranch_execz .LBB79_96
; %bb.93:                               ;   in Loop: Header=BB79_36 Depth=1
	v_mov_b32_e32 v33, v17
	v_dual_mov_b32 v43, v16 :: v_dual_mov_b32 v32, v16
	s_mov_b64 s[68:69], 0
	s_mov_b32 s79, 0
	s_mov_b64 s[70:71], 0
	s_mov_b64 s[72:73], 0
	;; [unrolled: 1-line block ×3, first 2 shown]
.LBB79_94:                              ;   Parent Loop BB79_36 Depth=1
                                        ; =>  This Inner Loop Header: Depth=2
	ds_load_b32 v4, v43
	v_add_co_u32 v32, vcc_lo, v32, s77
	s_wait_alu 0xfffd
	v_add_co_ci_u32_e64 v33, null, 0, v33, vcc_lo
	s_delay_alu instid0(VALU_DEP_1)
	v_cmp_ge_u64_e32 vcc_lo, v[32:33], v[30:31]
	s_wait_dscnt 0x0
	v_and_b32_e32 v5, 0xff, v4
	v_bfe_u32 v6, v4, 8, 8
	v_bfe_u32 v7, v4, 16, 8
	v_lshrrev_b32_e32 v4, 24, v4
	s_delay_alu instid0(VALU_DEP_4)
	v_and_b32_e32 v8, v41, v5
	v_bfe_u32 v5, v5, s91, 2
	v_and_b32_e32 v9, v41, v6
	v_bfe_u32 v6, v6, s91, 2
	v_and_b32_e32 v10, v41, v7
	v_bfe_u32 v7, v7, s91, 2
	v_cmp_eq_u32_e64 s6, v8, v22
	v_cmp_eq_u32_e64 s10, 0, v5
	v_and_b32_e32 v11, v41, v4
	v_bfe_u32 v4, v4, s91, 2
	v_cmp_eq_u32_e64 s7, v9, v22
	v_cmp_eq_u32_e64 s11, 0, v6
	;; [unrolled: 1-line block ×4, first 2 shown]
	s_and_b32 s10, s6, s10
	v_cmp_eq_u32_e64 s9, v11, v22
	v_cmp_eq_u32_e64 s13, 0, v4
	;; [unrolled: 1-line block ×5, first 2 shown]
	s_wait_alu 0xfffe
	v_cndmask_b32_e64 v4, 0, 1, s10
	s_and_b32 s10, s7, s11
	v_cmp_eq_u32_e64 s14, 1, v5
	v_cmp_eq_u32_e64 s18, 2, v5
	v_cmp_eq_u32_e64 s22, 3, v5
	s_wait_alu 0xfffe
	v_cndmask_b32_e64 v5, 0, 1, s10
	s_and_b32 s10, s8, s12
	v_cmp_eq_u32_e64 s15, 1, v6
	v_cmp_eq_u32_e64 s19, 2, v6
	v_cmp_eq_u32_e64 s23, 3, v6
	s_wait_alu 0xfffe
	v_cndmask_b32_e64 v6, 0, 1, s10
	s_and_b32 s10, s9, s13
	v_cmp_eq_u32_e64 s16, 1, v7
	v_cmp_eq_u32_e64 s20, 2, v7
	v_cmp_eq_u32_e64 s24, 3, v7
	s_wait_alu 0xfffe
	v_cndmask_b32_e64 v7, 0, 1, s10
	s_and_b32 s10, s6, s14
	s_wait_alu 0xfffe
	v_cndmask_b32_e64 v8, 0, 1, s10
	s_and_b32 s10, s7, s15
	;; [unrolled: 3-line block ×4, first 2 shown]
	v_cmp_ne_u32_e64 s11, 0, v9
	s_wait_alu 0xfffe
	v_cndmask_b32_e64 v11, 0, 1, s10
	s_and_b32 s10, s6, s18
	s_and_b32 s6, s6, s22
	s_wait_alu 0xfffe
	v_cndmask_b32_e64 v44, 0, 1, s10
	v_cndmask_b32_e64 v48, 0, 1, s6
	s_and_b32 s6, s7, s23
	s_and_b32 s10, s7, s19
	s_wait_alu 0xfffe
	v_cndmask_b32_e64 v49, 0, 1, s6
	s_and_b32 s6, s8, s24
	v_cndmask_b32_e64 v45, 0, 1, s10
	s_and_b32 s10, s8, s20
	s_wait_alu 0xfffe
	v_cndmask_b32_e64 v50, 0, 1, s6
	s_and_b32 s6, s9, s25
	v_cndmask_b32_e64 v46, 0, 1, s10
	s_and_b32 s10, s9, s21
	s_wait_alu 0xfffe
	v_cndmask_b32_e64 v51, 0, 1, s6
	v_cmp_ne_u32_e64 s6, 0, v4
	v_cmp_ne_u32_e64 s7, 0, v5
	v_cndmask_b32_e64 v47, 0, 1, s10
	v_cmp_ne_u32_e64 s8, 0, v6
	v_cmp_ne_u32_e64 s10, 0, v8
	;; [unrolled: 1-line block ×6, first 2 shown]
	s_bcnt1_i32_b32 s6, s6
	s_bcnt1_i32_b32 s7, s7
	v_cmp_ne_u32_e64 s13, 0, v11
	v_cmp_ne_u32_e64 s16, 0, v46
	;; [unrolled: 1-line block ×4, first 2 shown]
	s_bcnt1_i32_b32 s8, s8
	s_bcnt1_i32_b32 s10, s10
	;; [unrolled: 1-line block ×3, first 2 shown]
	s_wait_alu 0xfffe
	s_add_co_i32 s6, s7, s6
	v_cmp_ne_u32_e64 s17, 0, v47
	v_cmp_ne_u32_e64 s20, 0, v50
	s_bcnt1_i32_b32 s9, s9
	s_bcnt1_i32_b32 s12, s12
	;; [unrolled: 1-line block ×4, first 2 shown]
	s_add_co_i32 s7, s11, s10
	s_wait_alu 0xfffe
	s_add_co_i32 s6, s6, s8
	v_cmp_ne_u32_e64 s21, 0, v51
	s_bcnt1_i32_b32 s13, s13
	s_bcnt1_i32_b32 s16, s16
	;; [unrolled: 1-line block ×4, first 2 shown]
	s_add_co_i32 s10, s15, s14
	s_add_co_i32 s7, s7, s12
	s_wait_alu 0xfffe
	s_add_co_i32 s54, s6, s9
	s_bcnt1_i32_b32 s17, s17
	s_bcnt1_i32_b32 s20, s20
	s_add_co_i32 s11, s19, s18
	s_add_co_i32 s8, s10, s16
	s_wait_alu 0xfffe
	s_add_nc_u64 s[74:75], s[74:75], s[54:55]
	s_add_co_i32 s54, s7, s13
	s_bcnt1_i32_b32 s21, s21
	s_add_co_i32 s10, s11, s20
	s_wait_alu 0xfffe
	s_add_nc_u64 s[72:73], s[72:73], s[54:55]
	s_add_co_i32 s54, s8, s17
	v_dual_mov_b32 v4, s74 :: v_dual_add_nc_u32 v43, s77, v43
	s_wait_alu 0xfffe
	s_add_nc_u64 s[70:71], s[70:71], s[54:55]
	s_add_co_i32 s54, s10, s21
	v_mov_b32_e32 v6, s72
	s_wait_alu 0xfffe
	s_add_nc_u64 s[68:69], s[68:69], s[54:55]
	v_mov_b32_e32 v8, s70
	s_wait_alu 0xfffe
	v_dual_mov_b32 v10, s68 :: v_dual_mov_b32 v5, s75
	v_mov_b32_e32 v7, s73
	v_mov_b32_e32 v9, s71
	;; [unrolled: 1-line block ×3, first 2 shown]
	s_or_b32 s79, vcc_lo, s79
	s_wait_alu 0xfffe
	s_and_not1_b32 exec_lo, exec_lo, s79
	s_cbranch_execnz .LBB79_94
; %bb.95:                               ;   in Loop: Header=BB79_36 Depth=1
	s_or_b32 exec_lo, exec_lo, s79
.LBB79_96:                              ;   in Loop: Header=BB79_36 Depth=1
	s_delay_alu instid0(SALU_CYCLE_1)
	s_or_b32 exec_lo, exec_lo, s78
	v_add_co_u32 v30, vcc_lo, v30, v0
	s_wait_alu 0xfffd
	v_add_co_ci_u32_e64 v31, null, 0, v31, vcc_lo
	s_and_b32 s54, s66, 0x7fffffff
	s_mov_b32 s11, exec_lo
	s_wait_alu 0xfffe
	v_cmpx_gt_u64_e64 s[54:55], v[30:31]
	s_cbranch_execz .LBB79_100
; %bb.97:                               ;   in Loop: Header=BB79_36 Depth=1
	s_mul_i32 s76, s76, s67
	s_mov_b32 s12, 0
	s_wait_alu 0xfffe
	v_lshl_add_u32 v32, s76, 2, v0
.LBB79_98:                              ;   Parent Loop BB79_36 Depth=1
                                        ; =>  This Inner Loop Header: Depth=2
	ds_load_u8 v33, v32
	v_add_co_u32 v30, vcc_lo, v30, v2
	s_wait_alu 0xfffd
	v_add_co_ci_u32_e64 v31, null, 0, v31, vcc_lo
	v_add_nc_u32_e32 v32, s67, v32
	s_delay_alu instid0(VALU_DEP_2) | instskip(SKIP_3) | instid1(VALU_DEP_2)
	v_cmp_le_u64_e32 vcc_lo, s[54:55], v[30:31]
	s_wait_dscnt 0x0
	v_and_b32_e32 v43, v41, v33
	v_bfe_u32 v33, v33, s91, 2
	v_cmp_eq_u32_e64 s6, v43, v22
	s_delay_alu instid0(VALU_DEP_2)
	v_cmp_eq_u32_e64 s7, 0, v33
	v_cmp_eq_u32_e64 s8, 1, v33
	;; [unrolled: 1-line block ×4, first 2 shown]
	s_and_b32 s7, s6, s7
	s_wait_alu 0xfffe
	v_cndmask_b32_e64 v33, 0, 1, s7
	s_and_b32 s7, s6, s8
	s_wait_alu 0xfffe
	v_cndmask_b32_e64 v43, 0, 1, s7
	s_and_b32 s7, s6, s9
	s_and_b32 s6, s6, s10
	s_wait_alu 0xfffe
	v_cndmask_b32_e64 v44, 0, 1, s7
	v_cndmask_b32_e64 v45, 0, 1, s6
	v_cmp_ne_u32_e64 s6, 0, v33
	v_cmp_ne_u32_e64 s7, 0, v43
	s_delay_alu instid0(VALU_DEP_4) | instskip(NEXT) | instid1(VALU_DEP_4)
	v_cmp_ne_u32_e64 s8, 0, v44
	v_cmp_ne_u32_e64 s9, 0, v45
	s_bcnt1_i32_b32 s6, s6
	s_bcnt1_i32_b32 s7, s7
	s_wait_alu 0xfffe
	v_add_co_u32 v4, s6, v4, s6
	s_bcnt1_i32_b32 s8, s8
	v_add_co_ci_u32_e64 v5, null, 0, v5, s6
	v_add_co_u32 v6, s6, v6, s7
	s_bcnt1_i32_b32 s9, s9
	v_add_co_ci_u32_e64 v7, null, 0, v7, s6
	s_wait_alu 0xfffe
	v_add_co_u32 v8, s6, v8, s8
	s_wait_alu 0xf1ff
	v_add_co_ci_u32_e64 v9, null, 0, v9, s6
	v_add_co_u32 v10, s6, v10, s9
	s_wait_alu 0xf1ff
	v_add_co_ci_u32_e64 v11, null, 0, v11, s6
	s_or_b32 s12, vcc_lo, s12
	s_wait_alu 0xfffe
	s_and_not1_b32 exec_lo, exec_lo, s12
	s_cbranch_execnz .LBB79_98
; %bb.99:                               ;   in Loop: Header=BB79_36 Depth=1
	s_or_b32 exec_lo, exec_lo, s12
.LBB79_100:                             ;   in Loop: Header=BB79_36 Depth=1
	s_delay_alu instid0(SALU_CYCLE_1)
	s_or_b32 exec_lo, exec_lo, s11
	s_lshl_b32 s6, s95, 7
	s_and_saveexec_b32 s7, s1
	s_cbranch_execnz .LBB79_71
	s_branch .LBB79_72
.LBB79_101:                             ;   in Loop: Header=BB79_36 Depth=1
                                        ; implicit-def: $sgpr6_sgpr7
	s_branch .LBB79_80
.LBB79_102:                             ;   in Loop: Header=BB79_36 Depth=1
	s_mov_b32 s8, 0
	s_and_not1_b32 vcc_lo, exec_lo, s92
	s_wait_alu 0xfffe
	s_cbranch_vccnz .LBB79_105
.LBB79_103:                             ;   in Loop: Header=BB79_36 Depth=1
	s_lshl_b32 s9, s95, 10
	s_lshl_b32 s8, s8, 5
	s_wait_alu 0xfffe
	v_add3_u32 v2, s9, s8, v39
	s_mov_b32 s8, s88
.LBB79_104:                             ;   Parent Loop BB79_36 Depth=1
                                        ; =>  This Inner Loop Header: Depth=2
	ds_load_b64 v[6:7], v2
	v_add_nc_u32_e32 v2, 32, v2
	s_wait_alu 0xfffe
	s_add_co_i32 s8, s8, -1
	s_wait_alu 0xfffe
	s_cmp_lg_u32 s8, 0
	s_wait_dscnt 0x0
	v_add_co_u32 v4, vcc_lo, v6, v4
	s_wait_alu 0xfffd
	v_add_co_ci_u32_e64 v5, null, v7, v5, vcc_lo
	s_cbranch_scc1 .LBB79_104
.LBB79_105:                             ;   in Loop: Header=BB79_36 Depth=1
	v_add_lshl_u32 v2, s6, v34, 3
	ds_store_b64 v2, v[4:5] offset:3072
.LBB79_106:                             ;   in Loop: Header=BB79_36 Depth=1
	s_wait_alu 0xfffe
	s_or_b32 exec_lo, exec_lo, s7
	s_lshl_b32 s6, s6, 3
	s_wait_loadcnt_dscnt 0x0
	s_wait_alu 0xfffe
	v_mov_b32_e32 v2, s6
	s_barrier_signal -1
	s_barrier_wait -1
	global_inv scope:SCOPE_SE
	v_cmp_eq_u64_e32 vcc_lo, 1, v[28:29]
	ds_load_b128 v[4:7], v2 offset:3072
	ds_load_b128 v[8:11], v2 offset:3088
	s_lshl_b32 s16, 3, s91
	s_mov_b32 s18, -1
	s_wait_alu 0xfffe
	s_not_b32 s20, s16
                                        ; implicit-def: $sgpr22
                                        ; implicit-def: $sgpr21
	s_wait_dscnt 0x1
	v_cmp_eq_u64_e64 s6, 1, v[4:5]
	s_wait_dscnt 0x0
	v_readfirstlane_b32 s10, v8
	v_readfirstlane_b32 s11, v9
	v_readfirstlane_b32 s8, v10
	v_readfirstlane_b32 s9, v11
	s_and_b32 s19, s6, vcc_lo
	s_mov_b32 s6, -1
	s_and_saveexec_b32 s17, s19
	s_cbranch_execz .LBB79_138
; %bb.107:                              ;   in Loop: Header=BB79_36 Depth=1
	ds_load_b64 v[8:9], v3 offset:5120
	s_wait_loadcnt_dscnt 0x0
	s_barrier_signal -1
	s_barrier_wait -1
	global_inv scope:SCOPE_SE
	v_readfirstlane_b32 s6, v8
	v_readfirstlane_b32 s7, v9
	s_and_saveexec_b32 s12, s3
; %bb.108:                              ;   in Loop: Header=BB79_36 Depth=1
	ds_store_b8 v0, v3 offset:3072
; %bb.109:                              ;   in Loop: Header=BB79_36 Depth=1
	s_wait_alu 0xfffe
	s_or_b32 exec_lo, exec_lo, s12
	v_and_b32_e32 v22, s20, v22
	v_or_b32_e32 v41, s16, v41
	s_mov_b32 s21, -1
	s_mov_b32 s22, 0
	s_cmp_eq_u64 s[6:7], 0
	s_mov_b32 s14, 0
	s_mov_b32 s15, -1
	s_wait_loadcnt_dscnt 0x0
	s_barrier_signal -1
	s_barrier_wait -1
	global_inv scope:SCOPE_SE
                                        ; implicit-def: $vgpr42
	s_cbranch_scc1 .LBB79_123
; %bb.110:                              ;   in Loop: Header=BB79_36 Depth=1
	s_add_nc_u64 s[12:13], s[6:7], s[56:57]
	s_mov_b32 s14, s55
	s_wait_alu 0xfffe
	s_mov_b32 s15, s13
	s_wait_alu 0xfffe
	s_cmp_lg_u64 s[14:15], 0
	s_cbranch_scc0 .LBB79_164
; %bb.111:                              ;   in Loop: Header=BB79_36 Depth=1
	s_cvt_f32_u32 s14, s46
	s_sub_nc_u64 s[24:25], 0, s[46:47]
	s_wait_alu 0xfffe
	s_delay_alu instid0(SALU_CYCLE_1) | instskip(SKIP_1) | instid1(SALU_CYCLE_2)
	s_fmamk_f32 s14, s93, 0x0, s14
	s_wait_alu 0xfffe
	v_s_rcp_f32 s14, s14
	s_delay_alu instid0(TRANS32_DEP_1) | instskip(SKIP_1) | instid1(SALU_CYCLE_2)
	s_mul_f32 s14, s14, 0x5f7ffffc
	s_wait_alu 0xfffe
	s_mul_f32 s15, s14, 0x2f800000
	s_wait_alu 0xfffe
	s_delay_alu instid0(SALU_CYCLE_2) | instskip(SKIP_1) | instid1(SALU_CYCLE_2)
	s_trunc_f32 s15, s15
	s_wait_alu 0xfffe
	s_fmamk_f32 s14, s15, 0xcf800000, s14
	s_cvt_u32_f32 s15, s15
	s_wait_alu 0xfffe
	s_delay_alu instid0(SALU_CYCLE_1) | instskip(SKIP_1) | instid1(SALU_CYCLE_2)
	s_cvt_u32_f32 s14, s14
	s_wait_alu 0xfffe
	s_mul_u64 s[66:67], s[24:25], s[14:15]
	s_wait_alu 0xfffe
	s_mul_hi_u32 s69, s14, s67
	s_mul_i32 s68, s14, s67
	s_mul_hi_u32 s54, s14, s66
	s_mul_i32 s70, s15, s66
	s_wait_alu 0xfffe
	s_add_nc_u64 s[68:69], s[54:55], s[68:69]
	s_mul_hi_u32 s23, s15, s66
	s_mul_hi_u32 s71, s15, s67
	s_wait_alu 0xfffe
	s_add_co_u32 s54, s68, s70
	s_add_co_ci_u32 s54, s69, s23
	s_mul_i32 s66, s15, s67
	s_add_co_ci_u32 s67, s71, 0
	s_wait_alu 0xfffe
	s_add_nc_u64 s[66:67], s[54:55], s[66:67]
	s_wait_alu 0xfffe
	s_add_co_u32 s14, s14, s66
	s_cselect_b32 s23, -1, 0
	s_delay_alu instid0(SALU_CYCLE_1) | instskip(SKIP_3) | instid1(SALU_CYCLE_1)
	s_cmp_lg_u32 s23, 0
	s_add_co_ci_u32 s15, s15, s67
	s_wait_alu 0xfffe
	s_mul_u64 s[24:25], s[24:25], s[14:15]
	s_mul_hi_u32 s67, s14, s25
	s_mul_i32 s66, s14, s25
	s_mul_hi_u32 s54, s14, s24
	s_mul_i32 s68, s15, s24
	s_wait_alu 0xfffe
	s_add_nc_u64 s[66:67], s[54:55], s[66:67]
	s_mul_hi_u32 s23, s15, s24
	s_mul_hi_u32 s69, s15, s25
	s_mul_i32 s24, s15, s25
	s_wait_alu 0xfffe
	s_add_co_u32 s25, s66, s68
	s_add_co_ci_u32 s54, s67, s23
	s_add_co_ci_u32 s25, s69, 0
	s_wait_alu 0xfffe
	s_add_nc_u64 s[24:25], s[54:55], s[24:25]
	s_delay_alu instid0(SALU_CYCLE_1)
	s_add_co_u32 s14, s14, s24
	s_cselect_b32 s23, -1, 0
	s_wait_alu 0xfffe
	s_mul_hi_u32 s54, s12, s14
	s_cmp_lg_u32 s23, 0
	s_mul_hi_u32 s23, s13, s14
	s_add_co_ci_u32 s24, s15, s25
	s_mul_i32 s25, s13, s14
	s_mul_hi_u32 s15, s12, s24
	s_mul_i32 s14, s12, s24
	s_mul_hi_u32 s66, s13, s24
	s_wait_alu 0xfffe
	s_add_nc_u64 s[14:15], s[54:55], s[14:15]
	s_mul_i32 s24, s13, s24
	s_wait_alu 0xfffe
	s_add_co_u32 s14, s14, s25
	s_add_co_ci_u32 s54, s15, s23
	s_add_co_ci_u32 s25, s66, 0
	s_wait_alu 0xfffe
	s_add_nc_u64 s[14:15], s[54:55], s[24:25]
	s_wait_alu 0xfffe
	s_mul_u64 s[14:15], s[46:47], s[14:15]
	s_wait_alu 0xfffe
	s_sub_co_u32 s14, s12, s14
	s_cselect_b32 s23, -1, 0
	s_delay_alu instid0(SALU_CYCLE_1) | instskip(SKIP_4) | instid1(SALU_CYCLE_1)
	s_cmp_lg_u32 s23, 0
	s_sub_co_ci_u32 s15, s13, s15
	s_wait_alu 0xfffe
	s_sub_co_u32 s23, s14, s46
	s_cselect_b32 s24, -1, 0
	s_cmp_lg_u32 s24, 0
	s_sub_co_ci_u32 s24, s15, 0
	s_sub_co_u32 s25, s23, s46
	s_cselect_b32 s54, -1, 0
	s_wait_alu 0xfffe
	s_cmp_lg_u32 s54, 0
	s_sub_co_ci_u32 s54, s24, 0
	s_cmp_ge_u32 s23, s46
	s_cselect_b32 s66, -1, 0
	s_cmp_eq_u32 s24, 0
	s_wait_alu 0xfffe
	s_cselect_b32 s66, s66, -1
	s_wait_alu 0xfffe
	s_cmp_lg_u32 s66, 0
	s_cselect_b32 s24, s54, s24
	s_cselect_b32 s23, s25, s23
	s_cmp_ge_u32 s14, s46
	s_cselect_b32 s25, -1, 0
	s_cmp_eq_u32 s15, 0
	s_cselect_b32 s25, s25, -1
	s_delay_alu instid0(SALU_CYCLE_1)
	s_cmp_lg_u32 s25, 0
	s_cselect_b32 s15, s24, s15
	s_cselect_b32 s14, s23, s14
	s_cbranch_execnz .LBB79_113
.LBB79_112:                             ;   in Loop: Header=BB79_36 Depth=1
	v_cvt_f32_u32_e32 v2, s46
	s_sub_co_i32 s15, 0, s46
	s_delay_alu instid0(VALU_DEP_1) | instskip(NEXT) | instid1(TRANS32_DEP_1)
	v_rcp_iflag_f32_e32 v2, v2
	v_mul_f32_e32 v2, 0x4f7ffffe, v2
	s_delay_alu instid0(VALU_DEP_1) | instskip(NEXT) | instid1(VALU_DEP_1)
	v_cvt_u32_f32_e32 v2, v2
	v_readfirstlane_b32 s14, v2
	s_wait_alu 0xfffe
	s_mul_i32 s15, s15, s14
	s_wait_alu 0xfffe
	s_mul_hi_u32 s15, s14, s15
	s_wait_alu 0xfffe
	s_add_co_i32 s14, s14, s15
	s_wait_alu 0xfffe
	s_mul_hi_u32 s14, s12, s14
	s_wait_alu 0xfffe
	s_mul_i32 s14, s14, s46
	s_wait_alu 0xfffe
	s_sub_co_i32 s14, s12, s14
	s_wait_alu 0xfffe
	s_sub_co_i32 s15, s14, s46
	s_cmp_ge_u32 s14, s46
	s_wait_alu 0xfffe
	s_cselect_b32 s14, s15, s14
	s_wait_alu 0xfffe
	s_sub_co_i32 s15, s14, s46
	s_cmp_ge_u32 s14, s46
	s_wait_alu 0xfffe
	s_cselect_b32 s54, s15, s14
	s_wait_alu 0xfffe
	s_mov_b64 s[14:15], s[54:55]
.LBB79_113:                             ;   in Loop: Header=BB79_36 Depth=1
	s_wait_alu 0xfffe
	s_sub_nc_u64 s[12:13], s[12:13], s[14:15]
	s_mov_b32 s15, 0
	s_mov_b32 s14, 0
	s_mov_b32 s23, exec_lo
                                        ; implicit-def: $vgpr42
	s_wait_alu 0xfffe
	v_cmpx_gt_u64_e64 s[12:13], v[0:1]
	s_cbranch_execz .LBB79_122
; %bb.114:                              ;   in Loop: Header=BB79_36 Depth=1
	v_dual_mov_b32 v2, v0 :: v_dual_mov_b32 v9, v1
	v_mov_b32_e32 v8, v0
                                        ; implicit-def: $sgpr24
	s_branch .LBB79_117
.LBB79_115:                             ;   in Loop: Header=BB79_117 Depth=2
	s_or_b32 exec_lo, exec_lo, s25
	s_wait_loadcnt_dscnt 0x0
	s_barrier_signal -1
	s_barrier_wait -1
	global_inv scope:SCOPE_SE
	ds_load_u16 v10, v3 offset:3072
	s_mov_b32 s25, -1
	s_mov_b32 s54, -1
	s_wait_loadcnt_dscnt 0x0
	s_barrier_signal -1
	s_barrier_wait -1
	global_inv scope:SCOPE_SE
	v_and_b32_e32 v11, 0xff, v10
	s_delay_alu instid0(VALU_DEP_1)
	v_cmp_ne_u32_e32 vcc_lo, 0, v11
	s_cbranch_vccz .LBB79_120
.LBB79_116:                             ;   in Loop: Header=BB79_117 Depth=2
	s_and_b32 s25, exec_lo, s25
	s_delay_alu instid0(SALU_CYCLE_1) | instskip(SKIP_3) | instid1(SALU_CYCLE_1)
	s_or_b32 s14, s25, s14
	s_and_not1_b32 s24, s24, exec_lo
	s_wait_alu 0xfffe
	s_and_b32 s25, s54, exec_lo
	s_or_b32 s24, s24, s25
	s_and_not1_b32 exec_lo, exec_lo, s14
	s_cbranch_execz .LBB79_121
.LBB79_117:                             ;   Parent Loop BB79_36 Depth=1
                                        ; =>  This Inner Loop Header: Depth=2
	s_mov_b32 s25, exec_lo
	s_delay_alu instid0(VALU_DEP_1)
	v_cmpx_gt_u64_e64 s[6:7], v[8:9]
	s_cbranch_execz .LBB79_115
; %bb.118:                              ;   in Loop: Header=BB79_117 Depth=2
	ds_load_u8 v10, v2
	s_wait_dscnt 0x0
	v_and_b32_e32 v11, v10, v41
	s_delay_alu instid0(VALU_DEP_1) | instskip(NEXT) | instid1(VALU_DEP_1)
	v_and_b32_e32 v11, 0xff, v11
	v_cmp_eq_u32_e32 vcc_lo, v11, v22
	s_and_b32 exec_lo, exec_lo, vcc_lo
	s_cbranch_execz .LBB79_115
; %bb.119:                              ;   in Loop: Header=BB79_117 Depth=2
	v_lshlrev_b16 v10, 8, v10
	s_delay_alu instid0(VALU_DEP_1)
	v_or_b32_e32 v10, 1, v10
	ds_store_b16 v3, v10 offset:3072
	s_branch .LBB79_115
.LBB79_120:                             ;   in Loop: Header=BB79_117 Depth=2
	v_add_co_u32 v8, vcc_lo, v8, s46
	s_wait_alu 0xfffd
	v_add_co_ci_u32_e64 v9, null, 0, v9, vcc_lo
	v_add_nc_u32_e32 v2, s46, v2
	s_mov_b32 s54, 0
	s_delay_alu instid0(VALU_DEP_2)
	v_cmp_le_u64_e32 vcc_lo, s[12:13], v[8:9]
	s_or_not1_b32 s25, vcc_lo, exec_lo
	s_branch .LBB79_116
.LBB79_121:                             ;   in Loop: Header=BB79_36 Depth=1
	s_or_b32 exec_lo, exec_lo, s14
	v_and_b32_e32 v2, 0xffff, v10
	s_and_b32 s14, s24, exec_lo
	s_delay_alu instid0(VALU_DEP_1)
	v_lshrrev_b32_e32 v42, 8, v2
.LBB79_122:                             ;   in Loop: Header=BB79_36 Depth=1
	s_or_b32 exec_lo, exec_lo, s23
.LBB79_123:                             ;   in Loop: Header=BB79_36 Depth=1
	s_wait_alu 0xfffe
	s_and_b32 vcc_lo, exec_lo, s15
	s_wait_alu 0xfffe
	s_cbranch_vccz .LBB79_137
; %bb.124:                              ;   in Loop: Header=BB79_36 Depth=1
	s_mov_b32 s6, s55
	s_mov_b32 s7, s59
	s_wait_alu 0xfffe
	s_cmp_lg_u64 s[6:7], 0
	s_cbranch_scc0 .LBB79_168
; %bb.125:                              ;   in Loop: Header=BB79_36 Depth=1
	s_cvt_f32_u32 s6, s46
	s_sub_nc_u64 s[12:13], 0, s[46:47]
	s_wait_alu 0xfffe
	s_delay_alu instid0(SALU_CYCLE_1) | instskip(SKIP_1) | instid1(SALU_CYCLE_2)
	s_fmamk_f32 s6, s93, 0x0, s6
	s_wait_alu 0xfffe
	v_s_rcp_f32 s6, s6
	s_delay_alu instid0(TRANS32_DEP_1) | instskip(SKIP_1) | instid1(SALU_CYCLE_2)
	s_mul_f32 s6, s6, 0x5f7ffffc
	s_wait_alu 0xfffe
	s_mul_f32 s7, s6, 0x2f800000
	s_wait_alu 0xfffe
	s_delay_alu instid0(SALU_CYCLE_2) | instskip(SKIP_1) | instid1(SALU_CYCLE_2)
	s_trunc_f32 s7, s7
	s_wait_alu 0xfffe
	s_fmamk_f32 s6, s7, 0xcf800000, s6
	s_cvt_u32_f32 s7, s7
	s_wait_alu 0xfffe
	s_delay_alu instid0(SALU_CYCLE_1) | instskip(SKIP_1) | instid1(SALU_CYCLE_2)
	s_cvt_u32_f32 s6, s6
	s_wait_alu 0xfffe
	s_mul_u64 s[22:23], s[12:13], s[6:7]
	s_delay_alu instid0(SALU_CYCLE_1)
	s_mul_hi_u32 s25, s6, s23
	s_mul_i32 s24, s6, s23
	s_mul_hi_u32 s54, s6, s22
	s_mul_i32 s21, s7, s22
	s_wait_alu 0xfffe
	s_add_nc_u64 s[24:25], s[54:55], s[24:25]
	s_mul_hi_u32 s15, s7, s22
	s_mul_hi_u32 s66, s7, s23
	s_add_co_u32 s21, s24, s21
	s_wait_alu 0xfffe
	s_add_co_ci_u32 s54, s25, s15
	s_mul_i32 s22, s7, s23
	s_add_co_ci_u32 s23, s66, 0
	s_wait_alu 0xfffe
	s_add_nc_u64 s[22:23], s[54:55], s[22:23]
	s_delay_alu instid0(SALU_CYCLE_1)
	s_add_co_u32 s6, s6, s22
	s_cselect_b32 s15, -1, 0
	s_wait_alu 0xfffe
	s_cmp_lg_u32 s15, 0
	s_add_co_ci_u32 s7, s7, s23
	s_wait_alu 0xfffe
	s_mul_u64 s[12:13], s[12:13], s[6:7]
	s_wait_alu 0xfffe
	s_mul_hi_u32 s23, s6, s13
	s_mul_i32 s22, s6, s13
	s_mul_hi_u32 s54, s6, s12
	s_mul_i32 s21, s7, s12
	s_wait_alu 0xfffe
	s_add_nc_u64 s[22:23], s[54:55], s[22:23]
	s_mul_hi_u32 s15, s7, s12
	s_mul_hi_u32 s24, s7, s13
	s_mul_i32 s12, s7, s13
	s_add_co_u32 s13, s22, s21
	s_wait_alu 0xfffe
	s_add_co_ci_u32 s54, s23, s15
	s_add_co_ci_u32 s13, s24, 0
	s_wait_alu 0xfffe
	s_add_nc_u64 s[12:13], s[54:55], s[12:13]
	s_wait_alu 0xfffe
	s_add_co_u32 s6, s6, s12
	s_cselect_b32 s12, -1, 0
	s_wait_alu 0xfffe
	s_mul_hi_u32 s54, s58, s6
	s_cmp_lg_u32 s12, 0
	s_mul_hi_u32 s15, s59, s6
	s_add_co_ci_u32 s12, s7, s13
	s_mul_i32 s13, s59, s6
	s_wait_alu 0xfffe
	s_mul_hi_u32 s7, s58, s12
	s_mul_i32 s6, s58, s12
	s_mul_hi_u32 s21, s59, s12
	s_wait_alu 0xfffe
	s_add_nc_u64 s[6:7], s[54:55], s[6:7]
	s_mul_i32 s12, s59, s12
	s_wait_alu 0xfffe
	s_add_co_u32 s6, s6, s13
	s_add_co_ci_u32 s54, s7, s15
	s_add_co_ci_u32 s13, s21, 0
	s_wait_alu 0xfffe
	s_add_nc_u64 s[6:7], s[54:55], s[12:13]
	s_wait_alu 0xfffe
	s_mul_u64 s[6:7], s[46:47], s[6:7]
	s_wait_alu 0xfffe
	s_sub_co_u32 s6, s58, s6
	s_cselect_b32 s12, -1, 0
	s_wait_alu 0xfffe
	s_cmp_lg_u32 s12, 0
	s_sub_co_ci_u32 s7, s59, s7
	s_sub_co_u32 s12, s6, s46
	s_cselect_b32 s13, -1, 0
	s_wait_alu 0xfffe
	s_cmp_lg_u32 s13, 0
	s_sub_co_ci_u32 s13, s7, 0
	;; [unrolled: 5-line block ×3, first 2 shown]
	s_cmp_ge_u32 s12, s46
	s_cselect_b32 s22, -1, 0
	s_cmp_eq_u32 s13, 0
	s_cselect_b32 s22, s22, -1
	s_delay_alu instid0(SALU_CYCLE_1)
	s_cmp_lg_u32 s22, 0
	s_wait_alu 0xfffe
	s_cselect_b32 s13, s21, s13
	s_cselect_b32 s12, s15, s12
	s_cmp_ge_u32 s6, s46
	s_cselect_b32 s15, -1, 0
	s_cmp_eq_u32 s7, 0
	s_wait_alu 0xfffe
	s_cselect_b32 s15, s15, -1
	s_wait_alu 0xfffe
	s_cmp_lg_u32 s15, 0
	s_cselect_b32 s7, s13, s7
	s_cselect_b32 s6, s12, s6
	s_cbranch_execnz .LBB79_127
.LBB79_126:                             ;   in Loop: Header=BB79_36 Depth=1
	v_cvt_f32_u32_e32 v2, s46
	s_sub_co_i32 s7, 0, s46
	s_delay_alu instid0(VALU_DEP_1) | instskip(NEXT) | instid1(TRANS32_DEP_1)
	v_rcp_iflag_f32_e32 v2, v2
	v_mul_f32_e32 v2, 0x4f7ffffe, v2
	s_delay_alu instid0(VALU_DEP_1) | instskip(NEXT) | instid1(VALU_DEP_1)
	v_cvt_u32_f32_e32 v2, v2
	v_readfirstlane_b32 s6, v2
	s_wait_alu 0xfffe
	s_mul_i32 s7, s7, s6
	s_wait_alu 0xfffe
	s_mul_hi_u32 s7, s6, s7
	s_wait_alu 0xfffe
	s_add_co_i32 s6, s6, s7
	s_wait_alu 0xfffe
	s_mul_hi_u32 s6, s58, s6
	s_wait_alu 0xfffe
	s_mul_i32 s6, s6, s46
	s_wait_alu 0xfffe
	s_sub_co_i32 s6, s58, s6
	s_wait_alu 0xfffe
	s_sub_co_i32 s7, s6, s46
	s_cmp_ge_u32 s6, s46
	s_wait_alu 0xfffe
	s_cselect_b32 s6, s7, s6
	s_wait_alu 0xfffe
	s_sub_co_i32 s7, s6, s46
	s_cmp_ge_u32 s6, s46
	s_wait_alu 0xfffe
	s_cselect_b32 s54, s7, s6
	s_wait_alu 0xfffe
	s_mov_b64 s[6:7], s[54:55]
.LBB79_127:                             ;   in Loop: Header=BB79_36 Depth=1
	s_wait_alu 0xfffe
	s_sub_nc_u64 s[12:13], s[58:59], s[6:7]
	s_mov_b32 s7, exec_lo
                                        ; implicit-def: $vgpr42
	s_wait_alu 0xfffe
	v_cmpx_gt_u64_e64 s[12:13], v[0:1]
	s_cbranch_execz .LBB79_136
; %bb.128:                              ;   in Loop: Header=BB79_36 Depth=1
	v_dual_mov_b32 v8, v12 :: v_dual_mov_b32 v9, v13
	v_dual_mov_b32 v11, v1 :: v_dual_mov_b32 v10, v0
	s_mov_b32 s21, 0
                                        ; implicit-def: $sgpr15
	s_branch .LBB79_131
.LBB79_129:                             ;   in Loop: Header=BB79_131 Depth=2
	s_wait_alu 0xfffe
	s_or_b32 exec_lo, exec_lo, s6
	s_wait_loadcnt_dscnt 0x0
	s_barrier_signal -1
	s_barrier_wait -1
	global_inv scope:SCOPE_SE
	ds_load_u16 v2, v3 offset:3072
	s_mov_b32 s6, -1
	s_mov_b32 s22, -1
	s_wait_loadcnt_dscnt 0x0
	s_barrier_signal -1
	s_barrier_wait -1
	global_inv scope:SCOPE_SE
	v_and_b32_e32 v30, 0xff, v2
	s_delay_alu instid0(VALU_DEP_1)
	v_cmp_ne_u32_e32 vcc_lo, 0, v30
	s_cbranch_vccz .LBB79_134
.LBB79_130:                             ;   in Loop: Header=BB79_131 Depth=2
	s_wait_alu 0xfffe
	s_and_b32 s6, exec_lo, s6
	s_wait_alu 0xfffe
	s_or_b32 s21, s6, s21
	s_and_not1_b32 s6, s15, exec_lo
	s_and_b32 s15, s22, exec_lo
	s_wait_alu 0xfffe
	s_or_b32 s15, s6, s15
	s_and_not1_b32 exec_lo, exec_lo, s21
	s_cbranch_execz .LBB79_135
.LBB79_131:                             ;   Parent Loop BB79_36 Depth=1
                                        ; =>  This Inner Loop Header: Depth=2
	s_mov_b32 s6, exec_lo
	s_delay_alu instid0(VALU_DEP_1)
	v_cmpx_gt_u64_e64 s[28:29], v[10:11]
	s_cbranch_execz .LBB79_129
; %bb.132:                              ;   in Loop: Header=BB79_131 Depth=2
	global_load_u8 v2, v[8:9], off
	s_wait_loadcnt 0x0
	v_and_b32_e32 v30, v2, v41
	s_delay_alu instid0(VALU_DEP_1) | instskip(NEXT) | instid1(VALU_DEP_1)
	v_and_b32_e32 v30, 0xff, v30
	v_cmp_eq_u32_e32 vcc_lo, v30, v22
	s_and_b32 exec_lo, exec_lo, vcc_lo
	s_cbranch_execz .LBB79_129
; %bb.133:                              ;   in Loop: Header=BB79_131 Depth=2
	v_lshlrev_b16 v2, 8, v2
	s_delay_alu instid0(VALU_DEP_1)
	v_or_b32_e32 v2, 1, v2
	ds_store_b16 v3, v2 offset:3072
	s_branch .LBB79_129
.LBB79_134:                             ;   in Loop: Header=BB79_131 Depth=2
	v_add_co_u32 v10, vcc_lo, v10, s46
	s_wait_alu 0xfffd
	v_add_co_ci_u32_e64 v11, null, 0, v11, vcc_lo
	v_add_co_u32 v8, s6, v8, s52
	s_wait_alu 0xf1fe
	v_add_co_ci_u32_e64 v9, null, s53, v9, s6
	s_delay_alu instid0(VALU_DEP_3)
	v_cmp_le_u64_e32 vcc_lo, s[12:13], v[10:11]
	s_mov_b32 s22, 0
	s_or_not1_b32 s6, vcc_lo, exec_lo
	s_branch .LBB79_130
.LBB79_135:                             ;   in Loop: Header=BB79_36 Depth=1
	s_or_b32 exec_lo, exec_lo, s21
	v_and_b32_e32 v2, 0xffff, v2
	s_and_not1_b32 s6, s14, exec_lo
	s_wait_alu 0xfffe
	s_and_b32 s12, s15, exec_lo
	s_wait_alu 0xfffe
	s_or_b32 s14, s6, s12
	v_lshrrev_b32_e32 v42, 8, v2
.LBB79_136:                             ;   in Loop: Header=BB79_36 Depth=1
	s_or_b32 exec_lo, exec_lo, s7
	s_mov_b32 s21, 0
	s_mov_b32 s22, -1
.LBB79_137:                             ;   in Loop: Header=BB79_36 Depth=1
	s_wait_alu 0xfffe
	s_or_not1_b32 s6, s14, exec_lo
.LBB79_138:                             ;   in Loop: Header=BB79_36 Depth=1
	s_wait_alu 0xfffe
	s_or_b32 exec_lo, exec_lo, s17
	s_delay_alu instid0(SALU_CYCLE_1)
	s_and_not1_b32 s7, s100, exec_lo
	s_and_b32 s12, s22, exec_lo
	s_and_not1_b32 s13, s98, exec_lo
	s_and_b32 s14, s21, exec_lo
	s_and_not1_b32 s97, s97, exec_lo
	s_wait_alu 0xfffe
	s_or_b32 s100, s7, s12
	s_or_b32 s98, s13, s14
                                        ; implicit-def: $vgpr8_vgpr9
	s_and_saveexec_b32 s17, s6
	s_cbranch_execz .LBB79_35
; %bb.139:                              ;   in Loop: Header=BB79_36 Depth=1
	v_mov_b32_e32 v8, 1
	v_dual_mov_b32 v9, 0 :: v_dual_mov_b32 v2, 1
	s_xor_b32 s12, s19, -1
	s_mov_b32 s7, 0
	s_wait_alu 0xfffe
	s_and_saveexec_b32 s6, s12
	s_cbranch_execz .LBB79_148
; %bb.140:                              ;   in Loop: Header=BB79_36 Depth=1
	s_mov_b32 s7, exec_lo
	v_cmpx_le_u64_e64 v[28:29], v[4:5]
	s_wait_alu 0xfffe
	s_xor_b32 s7, exec_lo, s7
	s_cbranch_execz .LBB79_145
; %bb.141:                              ;   in Loop: Header=BB79_36 Depth=1
	ds_load_b64 v[8:9], v3 offset:5120
	v_and_b32_e32 v22, s20, v22
	v_or_b32_e32 v41, s16, v41
	s_wait_dscnt 0x0
	v_cmp_ne_u64_e32 vcc_lo, 0, v[8:9]
	s_cbranch_vccnz .LBB79_145
; %bb.142:                              ;   in Loop: Header=BB79_36 Depth=1
	s_and_saveexec_b32 s12, s2
; %bb.143:                              ;   in Loop: Header=BB79_36 Depth=1
	ds_store_b64 v3, v[4:5] offset:5128
; %bb.144:                              ;   in Loop: Header=BB79_36 Depth=1
	s_wait_alu 0xfffe
	s_or_b32 exec_lo, exec_lo, s12
	s_wait_loadcnt_dscnt 0x0
	s_barrier_signal -1
	s_barrier_wait -1
	global_inv scope:SCOPE_SE
.LBB79_145:                             ;   in Loop: Header=BB79_36 Depth=1
	s_wait_alu 0xfffe
	s_or_saveexec_b32 s7, s7
	v_mov_b32_e32 v2, 8
	s_mov_b32 s12, 0
	s_wait_alu 0xfffe
	s_xor_b32 exec_lo, exec_lo, s7
; %bb.146:                              ;   in Loop: Header=BB79_36 Depth=1
	v_sub_co_u32 v28, vcc_lo, v28, v4
	s_wait_alu 0xfffd
	v_sub_co_ci_u32_e64 v29, null, v29, v5, vcc_lo
	v_mov_b32_e32 v2, 0
	s_mov_b32 s12, exec_lo
; %bb.147:                              ;   in Loop: Header=BB79_36 Depth=1
	s_or_b32 exec_lo, exec_lo, s7
	s_delay_alu instid0(VALU_DEP_2)
	v_dual_mov_b32 v8, v28 :: v_dual_mov_b32 v9, v29
	s_wait_alu 0xfffe
	s_and_b32 s7, s12, exec_lo
.LBB79_148:                             ;   in Loop: Header=BB79_36 Depth=1
	s_wait_alu 0xfffe
	s_or_b32 exec_lo, exec_lo, s6
	s_mov_b32 s18, -1
	s_mov_b32 s6, -1
                                        ; implicit-def: $sgpr21
                                        ; implicit-def: $sgpr22
	s_and_saveexec_b32 s12, s7
	s_wait_alu 0xfffe
	s_xor_b32 s19, exec_lo, s12
	s_cbranch_execz .LBB79_293
; %bb.149:                              ;   in Loop: Header=BB79_36 Depth=1
	v_cmp_eq_u64_e32 vcc_lo, 1, v[6:7]
	v_cmp_eq_u64_e64 s6, 1, v[8:9]
                                        ; implicit-def: $sgpr22
                                        ; implicit-def: $sgpr21
	s_and_b32 s24, vcc_lo, s6
	s_mov_b32 s6, -1
	s_and_saveexec_b32 s23, s24
	s_cbranch_execz .LBB79_186
; %bb.150:                              ;   in Loop: Header=BB79_36 Depth=1
	ds_load_b64 v[4:5], v3 offset:5120
	s_wait_loadcnt_dscnt 0x0
	s_barrier_signal -1
	s_barrier_wait -1
	global_inv scope:SCOPE_SE
	v_readfirstlane_b32 s6, v4
	v_readfirstlane_b32 s7, v5
	s_and_saveexec_b32 s12, s3
; %bb.151:                              ;   in Loop: Header=BB79_36 Depth=1
	ds_store_b8 v0, v3 offset:3072
; %bb.152:                              ;   in Loop: Header=BB79_36 Depth=1
	s_wait_alu 0xfffe
	s_or_b32 exec_lo, exec_lo, s12
	s_lshl_b32 s12, 1, s91
	v_or_b32_e32 v41, s16, v41
	s_wait_alu 0xfffe
	v_and_or_b32 v22, v22, s20, s12
	s_mov_b32 s21, -1
	s_mov_b32 s22, 0
	s_cmp_eq_u64 s[6:7], 0
	s_mov_b32 s14, 0
	s_mov_b32 s15, -1
	s_wait_loadcnt_dscnt 0x0
	s_barrier_signal -1
	s_barrier_wait -1
	global_inv scope:SCOPE_SE
                                        ; implicit-def: $vgpr42
	s_cbranch_scc1 .LBB79_171
; %bb.153:                              ;   in Loop: Header=BB79_36 Depth=1
	s_add_nc_u64 s[12:13], s[6:7], s[56:57]
	s_mov_b32 s14, s55
	s_wait_alu 0xfffe
	s_mov_b32 s15, s13
	s_wait_alu 0xfffe
	s_cmp_lg_u64 s[14:15], 0
	s_cbranch_scc0 .LBB79_213
; %bb.154:                              ;   in Loop: Header=BB79_36 Depth=1
	s_cvt_f32_u32 s14, s46
	s_sub_nc_u64 s[66:67], 0, s[46:47]
	s_wait_alu 0xfffe
	s_delay_alu instid0(SALU_CYCLE_1) | instskip(SKIP_1) | instid1(SALU_CYCLE_2)
	s_fmamk_f32 s14, s93, 0x0, s14
	s_wait_alu 0xfffe
	v_s_rcp_f32 s14, s14
	s_delay_alu instid0(TRANS32_DEP_1) | instskip(SKIP_1) | instid1(SALU_CYCLE_2)
	s_mul_f32 s14, s14, 0x5f7ffffc
	s_wait_alu 0xfffe
	s_mul_f32 s15, s14, 0x2f800000
	s_wait_alu 0xfffe
	s_delay_alu instid0(SALU_CYCLE_2) | instskip(SKIP_1) | instid1(SALU_CYCLE_2)
	s_trunc_f32 s15, s15
	s_wait_alu 0xfffe
	s_fmamk_f32 s14, s15, 0xcf800000, s14
	s_cvt_u32_f32 s15, s15
	s_wait_alu 0xfffe
	s_delay_alu instid0(SALU_CYCLE_1) | instskip(SKIP_1) | instid1(SALU_CYCLE_2)
	s_cvt_u32_f32 s14, s14
	s_wait_alu 0xfffe
	s_mul_u64 s[68:69], s[66:67], s[14:15]
	s_wait_alu 0xfffe
	s_mul_hi_u32 s71, s14, s69
	s_mul_i32 s70, s14, s69
	s_mul_hi_u32 s54, s14, s68
	s_mul_i32 s72, s15, s68
	s_wait_alu 0xfffe
	s_add_nc_u64 s[70:71], s[54:55], s[70:71]
	s_mul_hi_u32 s25, s15, s68
	s_mul_hi_u32 s73, s15, s69
	s_wait_alu 0xfffe
	s_add_co_u32 s54, s70, s72
	s_add_co_ci_u32 s54, s71, s25
	s_mul_i32 s68, s15, s69
	s_add_co_ci_u32 s69, s73, 0
	s_wait_alu 0xfffe
	s_add_nc_u64 s[68:69], s[54:55], s[68:69]
	s_wait_alu 0xfffe
	s_add_co_u32 s14, s14, s68
	s_cselect_b32 s25, -1, 0
	s_delay_alu instid0(SALU_CYCLE_1)
	s_cmp_lg_u32 s25, 0
	s_add_co_ci_u32 s15, s15, s69
	s_wait_alu 0xfffe
	s_mul_u64 s[66:67], s[66:67], s[14:15]
	s_wait_alu 0xfffe
	s_mul_hi_u32 s69, s14, s67
	s_mul_i32 s68, s14, s67
	s_mul_hi_u32 s54, s14, s66
	s_mul_i32 s70, s15, s66
	s_wait_alu 0xfffe
	s_add_nc_u64 s[68:69], s[54:55], s[68:69]
	s_mul_hi_u32 s25, s15, s66
	s_mul_hi_u32 s71, s15, s67
	s_wait_alu 0xfffe
	s_add_co_u32 s54, s68, s70
	s_add_co_ci_u32 s54, s69, s25
	s_mul_i32 s66, s15, s67
	s_add_co_ci_u32 s67, s71, 0
	s_wait_alu 0xfffe
	s_add_nc_u64 s[66:67], s[54:55], s[66:67]
	s_wait_alu 0xfffe
	s_add_co_u32 s14, s14, s66
	s_cselect_b32 s25, -1, 0
	s_wait_alu 0xfffe
	s_mul_hi_u32 s54, s12, s14
	s_cmp_lg_u32 s25, 0
	s_mul_hi_u32 s25, s13, s14
	s_add_co_ci_u32 s66, s15, s67
	s_mul_i32 s67, s13, s14
	s_wait_alu 0xfffe
	s_mul_hi_u32 s15, s12, s66
	s_mul_i32 s14, s12, s66
	s_mul_hi_u32 s68, s13, s66
	s_wait_alu 0xfffe
	s_add_nc_u64 s[14:15], s[54:55], s[14:15]
	s_mul_i32 s66, s13, s66
	s_wait_alu 0xfffe
	s_add_co_u32 s14, s14, s67
	s_add_co_ci_u32 s54, s15, s25
	s_add_co_ci_u32 s67, s68, 0
	s_wait_alu 0xfffe
	s_add_nc_u64 s[14:15], s[54:55], s[66:67]
	s_wait_alu 0xfffe
	s_mul_u64 s[14:15], s[46:47], s[14:15]
	s_wait_alu 0xfffe
	s_sub_co_u32 s14, s12, s14
	s_cselect_b32 s25, -1, 0
	s_delay_alu instid0(SALU_CYCLE_1)
	s_cmp_lg_u32 s25, 0
	s_sub_co_ci_u32 s15, s13, s15
	s_wait_alu 0xfffe
	s_sub_co_u32 s25, s14, s46
	s_cselect_b32 s54, -1, 0
	s_wait_alu 0xfffe
	s_cmp_lg_u32 s54, 0
	s_sub_co_ci_u32 s54, s15, 0
	s_sub_co_u32 s66, s25, s46
	s_cselect_b32 s67, -1, 0
	s_wait_alu 0xfffe
	s_cmp_lg_u32 s67, 0
	s_sub_co_ci_u32 s67, s54, 0
	s_cmp_ge_u32 s25, s46
	s_cselect_b32 s68, -1, 0
	s_cmp_eq_u32 s54, 0
	s_wait_alu 0xfffe
	s_cselect_b32 s68, s68, -1
	s_wait_alu 0xfffe
	s_cmp_lg_u32 s68, 0
	s_cselect_b32 s54, s67, s54
	s_cselect_b32 s25, s66, s25
	s_cmp_ge_u32 s14, s46
	s_cselect_b32 s66, -1, 0
	s_cmp_eq_u32 s15, 0
	s_wait_alu 0xfffe
	s_cselect_b32 s66, s66, -1
	s_wait_alu 0xfffe
	s_cmp_lg_u32 s66, 0
	s_cselect_b32 s15, s54, s15
	s_cselect_b32 s14, s25, s14
	s_cbranch_execnz .LBB79_156
.LBB79_155:                             ;   in Loop: Header=BB79_36 Depth=1
	v_cvt_f32_u32_e32 v4, s46
	s_sub_co_i32 s15, 0, s46
	s_delay_alu instid0(VALU_DEP_1) | instskip(NEXT) | instid1(TRANS32_DEP_1)
	v_rcp_iflag_f32_e32 v4, v4
	v_mul_f32_e32 v4, 0x4f7ffffe, v4
	s_delay_alu instid0(VALU_DEP_1) | instskip(NEXT) | instid1(VALU_DEP_1)
	v_cvt_u32_f32_e32 v4, v4
	v_readfirstlane_b32 s14, v4
	s_wait_alu 0xfffe
	s_mul_i32 s15, s15, s14
	s_wait_alu 0xfffe
	s_mul_hi_u32 s15, s14, s15
	s_wait_alu 0xfffe
	s_add_co_i32 s14, s14, s15
	s_wait_alu 0xfffe
	s_mul_hi_u32 s14, s12, s14
	s_wait_alu 0xfffe
	s_mul_i32 s14, s14, s46
	s_wait_alu 0xfffe
	s_sub_co_i32 s14, s12, s14
	s_wait_alu 0xfffe
	s_sub_co_i32 s15, s14, s46
	s_cmp_ge_u32 s14, s46
	s_wait_alu 0xfffe
	s_cselect_b32 s14, s15, s14
	s_wait_alu 0xfffe
	s_sub_co_i32 s15, s14, s46
	s_cmp_ge_u32 s14, s46
	s_wait_alu 0xfffe
	s_cselect_b32 s54, s15, s14
	s_wait_alu 0xfffe
	s_mov_b64 s[14:15], s[54:55]
.LBB79_156:                             ;   in Loop: Header=BB79_36 Depth=1
	s_wait_alu 0xfffe
	s_sub_nc_u64 s[12:13], s[12:13], s[14:15]
	s_mov_b32 s15, 0
	s_mov_b32 s14, 0
	s_mov_b32 s25, exec_lo
                                        ; implicit-def: $vgpr42
	s_wait_alu 0xfffe
	v_cmpx_gt_u64_e64 s[12:13], v[0:1]
	s_cbranch_execz .LBB79_170
; %bb.157:                              ;   in Loop: Header=BB79_36 Depth=1
	v_dual_mov_b32 v10, v0 :: v_dual_mov_b32 v5, v1
	v_mov_b32_e32 v4, v0
                                        ; implicit-def: $sgpr54
	s_branch .LBB79_160
.LBB79_158:                             ;   in Loop: Header=BB79_160 Depth=2
	s_wait_alu 0xfffe
	s_or_b32 exec_lo, exec_lo, s66
	s_wait_loadcnt_dscnt 0x0
	s_barrier_signal -1
	s_barrier_wait -1
	global_inv scope:SCOPE_SE
	ds_load_u16 v11, v3 offset:3072
	s_mov_b32 s66, -1
	s_mov_b32 s67, -1
	s_wait_loadcnt_dscnt 0x0
	s_barrier_signal -1
	s_barrier_wait -1
	global_inv scope:SCOPE_SE
	v_and_b32_e32 v28, 0xff, v11
	s_delay_alu instid0(VALU_DEP_1)
	v_cmp_ne_u32_e32 vcc_lo, 0, v28
	s_cbranch_vccz .LBB79_163
.LBB79_159:                             ;   in Loop: Header=BB79_160 Depth=2
	s_wait_alu 0xfffe
	s_and_b32 s66, exec_lo, s66
	s_wait_alu 0xfffe
	s_or_b32 s14, s66, s14
	s_and_not1_b32 s54, s54, exec_lo
	s_and_b32 s66, s67, exec_lo
	s_wait_alu 0xfffe
	s_or_b32 s54, s54, s66
	s_and_not1_b32 exec_lo, exec_lo, s14
	s_cbranch_execz .LBB79_169
.LBB79_160:                             ;   Parent Loop BB79_36 Depth=1
                                        ; =>  This Inner Loop Header: Depth=2
	s_mov_b32 s66, exec_lo
	s_delay_alu instid0(VALU_DEP_1)
	v_cmpx_gt_u64_e64 s[6:7], v[4:5]
	s_cbranch_execz .LBB79_158
; %bb.161:                              ;   in Loop: Header=BB79_160 Depth=2
	ds_load_u8 v11, v10
	s_wait_dscnt 0x0
	v_and_b32_e32 v28, v11, v41
	s_delay_alu instid0(VALU_DEP_1) | instskip(NEXT) | instid1(VALU_DEP_1)
	v_and_b32_e32 v28, 0xff, v28
	v_cmp_eq_u32_e32 vcc_lo, v28, v22
	s_and_b32 exec_lo, exec_lo, vcc_lo
	s_cbranch_execz .LBB79_158
; %bb.162:                              ;   in Loop: Header=BB79_160 Depth=2
	v_lshlrev_b16 v11, 8, v11
	s_delay_alu instid0(VALU_DEP_1)
	v_or_b32_e32 v11, 1, v11
	ds_store_b16 v3, v11 offset:3072
	s_branch .LBB79_158
.LBB79_163:                             ;   in Loop: Header=BB79_160 Depth=2
	v_add_co_u32 v4, vcc_lo, v4, s46
	s_wait_alu 0xfffd
	v_add_co_ci_u32_e64 v5, null, 0, v5, vcc_lo
	v_add_nc_u32_e32 v10, s46, v10
	s_mov_b32 s67, 0
	s_delay_alu instid0(VALU_DEP_2)
	v_cmp_le_u64_e32 vcc_lo, s[12:13], v[4:5]
	s_or_not1_b32 s66, vcc_lo, exec_lo
	s_branch .LBB79_159
.LBB79_164:                             ;   in Loop: Header=BB79_36 Depth=1
                                        ; implicit-def: $sgpr14_sgpr15
	s_branch .LBB79_112
.LBB79_165:                             ;   in Loop: Header=BB79_36 Depth=1
	s_or_b32 exec_lo, exec_lo, s9
	s_wait_dscnt 0x0
	s_barrier_signal -1
	s_barrier_wait -1
	global_inv scope:SCOPE_SE
	s_and_saveexec_b32 s6, s2
	s_cbranch_execz .LBB79_167
; %bb.166:                              ;   in Loop: Header=BB79_36 Depth=1
	ds_load_b32 v4, v3 offset:5144
	s_wait_dscnt 0x0
	v_ashrrev_i32_e32 v5, 31, v4
	ds_store_b64 v3, v[4:5] offset:5120
.LBB79_167:                             ;   in Loop: Header=BB79_36 Depth=1
	s_wait_alu 0xfffe
	s_or_b32 exec_lo, exec_lo, s6
	s_wait_loadcnt_dscnt 0x0
	s_barrier_signal -1
	s_mov_b32 s6, -1
	s_barrier_wait -1
	s_and_b32 vcc_lo, exec_lo, s8
	s_wait_alu 0xfffe
	s_cbranch_vccnz .LBB79_51
	s_branch .LBB79_66
.LBB79_168:                             ;   in Loop: Header=BB79_36 Depth=1
                                        ; implicit-def: $sgpr6_sgpr7
	s_branch .LBB79_126
.LBB79_169:                             ;   in Loop: Header=BB79_36 Depth=1
	s_or_b32 exec_lo, exec_lo, s14
	v_and_b32_e32 v4, 0xffff, v11
	s_wait_alu 0xfffe
	s_and_b32 s14, s54, exec_lo
	s_delay_alu instid0(VALU_DEP_1)
	v_lshrrev_b32_e32 v42, 8, v4
.LBB79_170:                             ;   in Loop: Header=BB79_36 Depth=1
	s_or_b32 exec_lo, exec_lo, s25
.LBB79_171:                             ;   in Loop: Header=BB79_36 Depth=1
	s_wait_alu 0xfffe
	s_and_b32 vcc_lo, exec_lo, s15
	s_wait_alu 0xfffe
	s_cbranch_vccz .LBB79_185
; %bb.172:                              ;   in Loop: Header=BB79_36 Depth=1
	s_mov_b32 s6, s55
	s_mov_b32 s7, s59
	s_wait_alu 0xfffe
	s_cmp_lg_u64 s[6:7], 0
	s_cbranch_scc0 .LBB79_214
; %bb.173:                              ;   in Loop: Header=BB79_36 Depth=1
	s_cvt_f32_u32 s6, s46
	s_sub_nc_u64 s[12:13], 0, s[46:47]
	s_wait_alu 0xfffe
	s_delay_alu instid0(SALU_CYCLE_1) | instskip(SKIP_1) | instid1(SALU_CYCLE_2)
	s_fmamk_f32 s6, s93, 0x0, s6
	s_wait_alu 0xfffe
	v_s_rcp_f32 s6, s6
	s_delay_alu instid0(TRANS32_DEP_1) | instskip(SKIP_1) | instid1(SALU_CYCLE_2)
	s_mul_f32 s6, s6, 0x5f7ffffc
	s_wait_alu 0xfffe
	s_mul_f32 s7, s6, 0x2f800000
	s_wait_alu 0xfffe
	s_delay_alu instid0(SALU_CYCLE_2) | instskip(SKIP_1) | instid1(SALU_CYCLE_2)
	s_trunc_f32 s7, s7
	s_wait_alu 0xfffe
	s_fmamk_f32 s6, s7, 0xcf800000, s6
	s_cvt_u32_f32 s7, s7
	s_wait_alu 0xfffe
	s_delay_alu instid0(SALU_CYCLE_1) | instskip(SKIP_1) | instid1(SALU_CYCLE_2)
	s_cvt_u32_f32 s6, s6
	s_wait_alu 0xfffe
	s_mul_u64 s[66:67], s[12:13], s[6:7]
	s_wait_alu 0xfffe
	s_mul_hi_u32 s69, s6, s67
	s_mul_i32 s68, s6, s67
	s_mul_hi_u32 s54, s6, s66
	s_mul_i32 s21, s7, s66
	s_wait_alu 0xfffe
	s_add_nc_u64 s[68:69], s[54:55], s[68:69]
	s_mul_hi_u32 s15, s7, s66
	s_mul_hi_u32 s22, s7, s67
	s_wait_alu 0xfffe
	s_add_co_u32 s21, s68, s21
	s_add_co_ci_u32 s54, s69, s15
	s_mul_i32 s66, s7, s67
	s_add_co_ci_u32 s67, s22, 0
	s_wait_alu 0xfffe
	s_add_nc_u64 s[66:67], s[54:55], s[66:67]
	s_wait_alu 0xfffe
	s_add_co_u32 s6, s6, s66
	s_cselect_b32 s15, -1, 0
	s_wait_alu 0xfffe
	s_cmp_lg_u32 s15, 0
	s_add_co_ci_u32 s7, s7, s67
	s_wait_alu 0xfffe
	s_mul_u64 s[12:13], s[12:13], s[6:7]
	s_wait_alu 0xfffe
	s_mul_hi_u32 s67, s6, s13
	s_mul_i32 s66, s6, s13
	s_mul_hi_u32 s54, s6, s12
	s_mul_i32 s21, s7, s12
	s_wait_alu 0xfffe
	s_add_nc_u64 s[66:67], s[54:55], s[66:67]
	s_mul_hi_u32 s15, s7, s12
	s_mul_hi_u32 s22, s7, s13
	s_mul_i32 s12, s7, s13
	s_wait_alu 0xfffe
	s_add_co_u32 s13, s66, s21
	s_add_co_ci_u32 s54, s67, s15
	s_add_co_ci_u32 s13, s22, 0
	s_wait_alu 0xfffe
	s_add_nc_u64 s[12:13], s[54:55], s[12:13]
	s_wait_alu 0xfffe
	s_add_co_u32 s6, s6, s12
	s_cselect_b32 s12, -1, 0
	s_wait_alu 0xfffe
	s_mul_hi_u32 s54, s58, s6
	s_cmp_lg_u32 s12, 0
	s_mul_hi_u32 s15, s59, s6
	s_add_co_ci_u32 s12, s7, s13
	s_mul_i32 s13, s59, s6
	s_wait_alu 0xfffe
	s_mul_hi_u32 s7, s58, s12
	s_mul_i32 s6, s58, s12
	s_mul_hi_u32 s21, s59, s12
	s_wait_alu 0xfffe
	s_add_nc_u64 s[6:7], s[54:55], s[6:7]
	s_mul_i32 s12, s59, s12
	s_wait_alu 0xfffe
	s_add_co_u32 s6, s6, s13
	s_add_co_ci_u32 s54, s7, s15
	s_add_co_ci_u32 s13, s21, 0
	s_wait_alu 0xfffe
	s_add_nc_u64 s[6:7], s[54:55], s[12:13]
	s_wait_alu 0xfffe
	s_mul_u64 s[6:7], s[46:47], s[6:7]
	s_wait_alu 0xfffe
	s_sub_co_u32 s6, s58, s6
	s_cselect_b32 s12, -1, 0
	s_wait_alu 0xfffe
	s_cmp_lg_u32 s12, 0
	s_sub_co_ci_u32 s7, s59, s7
	s_sub_co_u32 s12, s6, s46
	s_cselect_b32 s13, -1, 0
	s_wait_alu 0xfffe
	s_cmp_lg_u32 s13, 0
	s_sub_co_ci_u32 s13, s7, 0
	;; [unrolled: 5-line block ×3, first 2 shown]
	s_cmp_ge_u32 s12, s46
	s_cselect_b32 s22, -1, 0
	s_cmp_eq_u32 s13, 0
	s_cselect_b32 s22, s22, -1
	s_delay_alu instid0(SALU_CYCLE_1)
	s_cmp_lg_u32 s22, 0
	s_wait_alu 0xfffe
	s_cselect_b32 s13, s21, s13
	s_cselect_b32 s12, s15, s12
	s_cmp_ge_u32 s6, s46
	s_cselect_b32 s15, -1, 0
	s_cmp_eq_u32 s7, 0
	s_wait_alu 0xfffe
	s_cselect_b32 s15, s15, -1
	s_wait_alu 0xfffe
	s_cmp_lg_u32 s15, 0
	s_cselect_b32 s7, s13, s7
	s_cselect_b32 s6, s12, s6
	s_cbranch_execnz .LBB79_175
.LBB79_174:                             ;   in Loop: Header=BB79_36 Depth=1
	v_cvt_f32_u32_e32 v4, s46
	s_sub_co_i32 s7, 0, s46
	s_delay_alu instid0(VALU_DEP_1) | instskip(NEXT) | instid1(TRANS32_DEP_1)
	v_rcp_iflag_f32_e32 v4, v4
	v_mul_f32_e32 v4, 0x4f7ffffe, v4
	s_delay_alu instid0(VALU_DEP_1) | instskip(NEXT) | instid1(VALU_DEP_1)
	v_cvt_u32_f32_e32 v4, v4
	v_readfirstlane_b32 s6, v4
	s_wait_alu 0xfffe
	s_mul_i32 s7, s7, s6
	s_wait_alu 0xfffe
	s_mul_hi_u32 s7, s6, s7
	s_wait_alu 0xfffe
	s_add_co_i32 s6, s6, s7
	s_wait_alu 0xfffe
	s_mul_hi_u32 s6, s58, s6
	s_wait_alu 0xfffe
	s_mul_i32 s6, s6, s46
	s_wait_alu 0xfffe
	s_sub_co_i32 s6, s58, s6
	s_wait_alu 0xfffe
	s_sub_co_i32 s7, s6, s46
	s_cmp_ge_u32 s6, s46
	s_wait_alu 0xfffe
	s_cselect_b32 s6, s7, s6
	s_wait_alu 0xfffe
	s_sub_co_i32 s7, s6, s46
	s_cmp_ge_u32 s6, s46
	s_wait_alu 0xfffe
	s_cselect_b32 s54, s7, s6
	s_wait_alu 0xfffe
	s_mov_b64 s[6:7], s[54:55]
.LBB79_175:                             ;   in Loop: Header=BB79_36 Depth=1
	s_wait_alu 0xfffe
	s_sub_nc_u64 s[12:13], s[58:59], s[6:7]
	s_mov_b32 s7, exec_lo
                                        ; implicit-def: $vgpr42
	s_wait_alu 0xfffe
	v_cmpx_gt_u64_e64 s[12:13], v[0:1]
	s_cbranch_execz .LBB79_184
; %bb.176:                              ;   in Loop: Header=BB79_36 Depth=1
	v_dual_mov_b32 v4, v12 :: v_dual_mov_b32 v5, v13
	v_dual_mov_b32 v11, v1 :: v_dual_mov_b32 v10, v0
	s_mov_b32 s15, 0
                                        ; implicit-def: $sgpr21
	s_branch .LBB79_179
.LBB79_177:                             ;   in Loop: Header=BB79_179 Depth=2
	s_wait_alu 0xfffe
	s_or_b32 exec_lo, exec_lo, s6
	s_wait_loadcnt_dscnt 0x0
	s_barrier_signal -1
	s_barrier_wait -1
	global_inv scope:SCOPE_SE
	ds_load_u16 v28, v3 offset:3072
	s_mov_b32 s6, -1
	s_mov_b32 s22, -1
	s_wait_loadcnt_dscnt 0x0
	s_barrier_signal -1
	s_barrier_wait -1
	global_inv scope:SCOPE_SE
	v_and_b32_e32 v29, 0xff, v28
	s_delay_alu instid0(VALU_DEP_1)
	v_cmp_eq_u32_e32 vcc_lo, 0, v29
	s_cbranch_vccnz .LBB79_182
.LBB79_178:                             ;   in Loop: Header=BB79_179 Depth=2
	s_wait_alu 0xfffe
	s_and_b32 s6, exec_lo, s6
	s_wait_alu 0xfffe
	s_or_b32 s15, s6, s15
	s_and_not1_b32 s6, s21, exec_lo
	s_and_b32 s21, s22, exec_lo
	s_wait_alu 0xfffe
	s_or_b32 s21, s6, s21
	s_and_not1_b32 exec_lo, exec_lo, s15
	s_cbranch_execz .LBB79_183
.LBB79_179:                             ;   Parent Loop BB79_36 Depth=1
                                        ; =>  This Inner Loop Header: Depth=2
	s_mov_b32 s6, exec_lo
	s_delay_alu instid0(VALU_DEP_1)
	v_cmpx_gt_u64_e64 s[28:29], v[10:11]
	s_cbranch_execz .LBB79_177
; %bb.180:                              ;   in Loop: Header=BB79_179 Depth=2
	global_load_u8 v28, v[4:5], off
	s_wait_loadcnt 0x0
	v_and_b32_e32 v29, v28, v41
	s_delay_alu instid0(VALU_DEP_1) | instskip(NEXT) | instid1(VALU_DEP_1)
	v_and_b32_e32 v29, 0xff, v29
	v_cmp_eq_u32_e32 vcc_lo, v29, v22
	s_and_b32 exec_lo, exec_lo, vcc_lo
	s_cbranch_execz .LBB79_177
; %bb.181:                              ;   in Loop: Header=BB79_179 Depth=2
	v_lshlrev_b16 v28, 8, v28
	s_delay_alu instid0(VALU_DEP_1)
	v_or_b32_e32 v28, 1, v28
	ds_store_b16 v3, v28 offset:3072
	s_branch .LBB79_177
.LBB79_182:                             ;   in Loop: Header=BB79_179 Depth=2
	v_add_co_u32 v10, vcc_lo, v10, s46
	s_wait_alu 0xfffd
	v_add_co_ci_u32_e64 v11, null, 0, v11, vcc_lo
	v_add_co_u32 v4, s6, v4, s52
	s_wait_alu 0xf1fe
	v_add_co_ci_u32_e64 v5, null, s53, v5, s6
	s_delay_alu instid0(VALU_DEP_3)
	v_cmp_le_u64_e32 vcc_lo, s[12:13], v[10:11]
	s_mov_b32 s22, 0
	s_or_not1_b32 s6, vcc_lo, exec_lo
	s_branch .LBB79_178
.LBB79_183:                             ;   in Loop: Header=BB79_36 Depth=1
	s_or_b32 exec_lo, exec_lo, s15
	v_and_b32_e32 v4, 0xffff, v28
	s_and_not1_b32 s6, s14, exec_lo
	s_wait_alu 0xfffe
	s_and_b32 s12, s21, exec_lo
	s_wait_alu 0xfffe
	s_or_b32 s14, s6, s12
	v_lshrrev_b32_e32 v42, 8, v4
.LBB79_184:                             ;   in Loop: Header=BB79_36 Depth=1
	s_or_b32 exec_lo, exec_lo, s7
	s_mov_b32 s21, 0
	s_mov_b32 s22, -1
.LBB79_185:                             ;   in Loop: Header=BB79_36 Depth=1
	s_wait_alu 0xfffe
	s_or_not1_b32 s6, s14, exec_lo
.LBB79_186:                             ;   in Loop: Header=BB79_36 Depth=1
	s_or_b32 exec_lo, exec_lo, s23
	s_mov_b32 s7, 0
	s_wait_alu 0xfffe
	s_and_saveexec_b32 s23, s6
	s_cbranch_execz .LBB79_292
; %bb.187:                              ;   in Loop: Header=BB79_36 Depth=1
	v_mov_b32_e32 v4, 1
	v_dual_mov_b32 v5, 0 :: v_dual_mov_b32 v2, 1
	s_xor_b32 s12, s24, -1
	s_wait_alu 0xfffe
	s_and_saveexec_b32 s6, s12
	s_cbranch_execz .LBB79_197
; %bb.188:                              ;   in Loop: Header=BB79_36 Depth=1
	s_mov_b32 s7, exec_lo
	v_cmpx_le_u64_e64 v[8:9], v[6:7]
	s_wait_alu 0xfffe
	s_xor_b32 s7, exec_lo, s7
	s_cbranch_execz .LBB79_194
; %bb.189:                              ;   in Loop: Header=BB79_36 Depth=1
	ds_load_b64 v[4:5], v3 offset:5120
	s_lshl_b32 s12, 1, s91
	v_or_b32_e32 v41, s16, v41
	s_wait_alu 0xfffe
	v_and_or_b32 v22, v22, s20, s12
	s_wait_dscnt 0x0
	v_cmp_ne_u64_e32 vcc_lo, 0, v[4:5]
	s_cbranch_vccnz .LBB79_193
; %bb.190:                              ;   in Loop: Header=BB79_36 Depth=1
	s_and_saveexec_b32 s12, s2
; %bb.191:                              ;   in Loop: Header=BB79_36 Depth=1
	ds_store_b64 v3, v[6:7] offset:5128
; %bb.192:                              ;   in Loop: Header=BB79_36 Depth=1
	s_wait_alu 0xfffe
	s_or_b32 exec_lo, exec_lo, s12
	s_wait_loadcnt_dscnt 0x0
	s_barrier_signal -1
	s_barrier_wait -1
	global_inv scope:SCOPE_SE
.LBB79_193:                             ;   in Loop: Header=BB79_36 Depth=1
                                        ; implicit-def: $vgpr4_vgpr5_vgpr6_vgpr7
.LBB79_194:                             ;   in Loop: Header=BB79_36 Depth=1
	s_wait_alu 0xfffe
	s_or_saveexec_b32 s7, s7
	v_mov_b32_e32 v2, 8
	s_mov_b32 s12, 0
	s_wait_alu 0xfffe
	s_xor_b32 exec_lo, exec_lo, s7
; %bb.195:                              ;   in Loop: Header=BB79_36 Depth=1
	v_sub_co_u32 v8, vcc_lo, v8, v6
	s_wait_alu 0xfffd
	v_sub_co_ci_u32_e64 v9, null, v9, v7, vcc_lo
	v_mov_b32_e32 v2, 0
	s_mov_b32 s12, exec_lo
; %bb.196:                              ;   in Loop: Header=BB79_36 Depth=1
	s_or_b32 exec_lo, exec_lo, s7
	s_delay_alu instid0(VALU_DEP_2)
	v_dual_mov_b32 v4, v8 :: v_dual_mov_b32 v5, v9
	s_wait_alu 0xfffe
	s_and_b32 s7, s12, exec_lo
.LBB79_197:                             ;   in Loop: Header=BB79_36 Depth=1
	s_wait_alu 0xfffe
	s_or_b32 exec_lo, exec_lo, s6
	s_mov_b32 s6, -1
                                        ; implicit-def: $sgpr25
                                        ; implicit-def: $sgpr66
	s_and_saveexec_b32 s24, s7
	s_cbranch_execz .LBB79_291
; %bb.198:                              ;   in Loop: Header=BB79_36 Depth=1
	v_cmp_eq_u64_e32 vcc_lo, 1, v[4:5]
	s_cmp_eq_u64 s[10:11], 1
                                        ; implicit-def: $sgpr66
                                        ; implicit-def: $sgpr25
	s_cselect_b32 s6, -1, 0
	s_wait_alu 0xfffe
	s_and_b32 s67, s6, vcc_lo
	s_mov_b32 s6, -1
	s_wait_alu 0xfffe
	s_and_saveexec_b32 s68, s67
	s_cbranch_execz .LBB79_232
; %bb.199:                              ;   in Loop: Header=BB79_36 Depth=1
	ds_load_b64 v[6:7], v3 offset:5120
	s_wait_loadcnt_dscnt 0x0
	s_barrier_signal -1
	s_barrier_wait -1
	global_inv scope:SCOPE_SE
	v_readfirstlane_b32 s6, v6
	v_readfirstlane_b32 s7, v7
	s_and_saveexec_b32 s12, s3
; %bb.200:                              ;   in Loop: Header=BB79_36 Depth=1
	ds_store_b8 v0, v3 offset:3072
; %bb.201:                              ;   in Loop: Header=BB79_36 Depth=1
	s_wait_alu 0xfffe
	s_or_b32 exec_lo, exec_lo, s12
	s_lshl_b32 s12, 2, s91
	v_or_b32_e32 v41, s16, v41
	s_wait_alu 0xfffe
	v_and_or_b32 v22, v22, s20, s12
	s_mov_b32 s25, -1
	s_mov_b32 s66, 0
	s_cmp_eq_u64 s[6:7], 0
	s_mov_b32 s14, 0
	s_mov_b32 s15, -1
	s_wait_loadcnt_dscnt 0x0
	s_barrier_signal -1
	s_barrier_wait -1
	global_inv scope:SCOPE_SE
                                        ; implicit-def: $vgpr42
	s_cbranch_scc1 .LBB79_217
; %bb.202:                              ;   in Loop: Header=BB79_36 Depth=1
	s_add_nc_u64 s[12:13], s[6:7], s[56:57]
	s_mov_b32 s14, s55
	s_wait_alu 0xfffe
	s_mov_b32 s15, s13
	s_wait_alu 0xfffe
	s_cmp_lg_u64 s[14:15], 0
	s_cbranch_scc0 .LBB79_258
; %bb.203:                              ;   in Loop: Header=BB79_36 Depth=1
	s_cvt_f32_u32 s14, s46
	s_sub_nc_u64 s[70:71], 0, s[46:47]
	s_wait_alu 0xfffe
	s_delay_alu instid0(SALU_CYCLE_1) | instskip(SKIP_1) | instid1(SALU_CYCLE_2)
	s_fmamk_f32 s14, s93, 0x0, s14
	s_wait_alu 0xfffe
	v_s_rcp_f32 s14, s14
	s_delay_alu instid0(TRANS32_DEP_1) | instskip(SKIP_1) | instid1(SALU_CYCLE_2)
	s_mul_f32 s14, s14, 0x5f7ffffc
	s_wait_alu 0xfffe
	s_mul_f32 s15, s14, 0x2f800000
	s_wait_alu 0xfffe
	s_delay_alu instid0(SALU_CYCLE_2) | instskip(SKIP_1) | instid1(SALU_CYCLE_2)
	s_trunc_f32 s15, s15
	s_wait_alu 0xfffe
	s_fmamk_f32 s14, s15, 0xcf800000, s14
	s_cvt_u32_f32 s15, s15
	s_wait_alu 0xfffe
	s_delay_alu instid0(SALU_CYCLE_1) | instskip(SKIP_1) | instid1(SALU_CYCLE_2)
	s_cvt_u32_f32 s14, s14
	s_wait_alu 0xfffe
	s_mul_u64 s[72:73], s[70:71], s[14:15]
	s_wait_alu 0xfffe
	s_mul_hi_u32 s75, s14, s73
	s_mul_i32 s74, s14, s73
	s_mul_hi_u32 s54, s14, s72
	s_mul_i32 s76, s15, s72
	s_wait_alu 0xfffe
	s_add_nc_u64 s[74:75], s[54:55], s[74:75]
	s_mul_hi_u32 s69, s15, s72
	s_mul_hi_u32 s77, s15, s73
	s_wait_alu 0xfffe
	s_add_co_u32 s54, s74, s76
	s_add_co_ci_u32 s54, s75, s69
	s_mul_i32 s72, s15, s73
	s_add_co_ci_u32 s73, s77, 0
	s_wait_alu 0xfffe
	s_add_nc_u64 s[72:73], s[54:55], s[72:73]
	s_wait_alu 0xfffe
	s_add_co_u32 s14, s14, s72
	s_cselect_b32 s54, -1, 0
	s_wait_alu 0xfffe
	s_cmp_lg_u32 s54, 0
	s_add_co_ci_u32 s15, s15, s73
	s_wait_alu 0xfffe
	s_mul_u64 s[70:71], s[70:71], s[14:15]
	s_wait_alu 0xfffe
	s_mul_hi_u32 s73, s14, s71
	s_mul_i32 s72, s14, s71
	s_mul_hi_u32 s54, s14, s70
	s_mul_i32 s74, s15, s70
	s_wait_alu 0xfffe
	s_add_nc_u64 s[72:73], s[54:55], s[72:73]
	s_mul_hi_u32 s69, s15, s70
	s_mul_hi_u32 s75, s15, s71
	s_wait_alu 0xfffe
	s_add_co_u32 s54, s72, s74
	s_add_co_ci_u32 s54, s73, s69
	s_mul_i32 s70, s15, s71
	s_add_co_ci_u32 s71, s75, 0
	s_wait_alu 0xfffe
	s_add_nc_u64 s[70:71], s[54:55], s[70:71]
	s_wait_alu 0xfffe
	s_add_co_u32 s14, s14, s70
	s_cselect_b32 s69, -1, 0
	s_wait_alu 0xfffe
	s_mul_hi_u32 s54, s12, s14
	s_cmp_lg_u32 s69, 0
	s_mul_hi_u32 s69, s13, s14
	s_add_co_ci_u32 s70, s15, s71
	s_mul_i32 s71, s13, s14
	s_wait_alu 0xfffe
	s_mul_hi_u32 s15, s12, s70
	s_mul_i32 s14, s12, s70
	s_mul_hi_u32 s72, s13, s70
	s_wait_alu 0xfffe
	s_add_nc_u64 s[14:15], s[54:55], s[14:15]
	s_mul_i32 s70, s13, s70
	s_wait_alu 0xfffe
	s_add_co_u32 s14, s14, s71
	s_add_co_ci_u32 s54, s15, s69
	s_add_co_ci_u32 s71, s72, 0
	s_wait_alu 0xfffe
	s_add_nc_u64 s[14:15], s[54:55], s[70:71]
	s_wait_alu 0xfffe
	s_mul_u64 s[14:15], s[46:47], s[14:15]
	s_wait_alu 0xfffe
	s_sub_co_u32 s14, s12, s14
	s_cselect_b32 s54, -1, 0
	s_wait_alu 0xfffe
	s_cmp_lg_u32 s54, 0
	s_sub_co_ci_u32 s15, s13, s15
	s_sub_co_u32 s54, s14, s46
	s_cselect_b32 s69, -1, 0
	s_wait_alu 0xfffe
	s_cmp_lg_u32 s69, 0
	s_sub_co_ci_u32 s69, s15, 0
	;; [unrolled: 5-line block ×3, first 2 shown]
	s_cmp_ge_u32 s54, s46
	s_cselect_b32 s72, -1, 0
	s_cmp_eq_u32 s69, 0
	s_wait_alu 0xfffe
	s_cselect_b32 s72, s72, -1
	s_wait_alu 0xfffe
	s_cmp_lg_u32 s72, 0
	s_cselect_b32 s69, s71, s69
	s_cselect_b32 s54, s70, s54
	s_cmp_ge_u32 s14, s46
	s_cselect_b32 s70, -1, 0
	s_cmp_eq_u32 s15, 0
	s_wait_alu 0xfffe
	s_cselect_b32 s70, s70, -1
	s_wait_alu 0xfffe
	s_cmp_lg_u32 s70, 0
	s_cselect_b32 s15, s69, s15
	s_cselect_b32 s14, s54, s14
	s_cbranch_execnz .LBB79_205
.LBB79_204:                             ;   in Loop: Header=BB79_36 Depth=1
	v_cvt_f32_u32_e32 v6, s46
	s_sub_co_i32 s15, 0, s46
	s_delay_alu instid0(VALU_DEP_1) | instskip(NEXT) | instid1(TRANS32_DEP_1)
	v_rcp_iflag_f32_e32 v6, v6
	v_mul_f32_e32 v6, 0x4f7ffffe, v6
	s_delay_alu instid0(VALU_DEP_1) | instskip(NEXT) | instid1(VALU_DEP_1)
	v_cvt_u32_f32_e32 v6, v6
	v_readfirstlane_b32 s14, v6
	s_wait_alu 0xfffe
	s_mul_i32 s15, s15, s14
	s_wait_alu 0xfffe
	s_mul_hi_u32 s15, s14, s15
	s_wait_alu 0xfffe
	s_add_co_i32 s14, s14, s15
	s_wait_alu 0xfffe
	s_mul_hi_u32 s14, s12, s14
	s_wait_alu 0xfffe
	s_mul_i32 s14, s14, s46
	s_wait_alu 0xfffe
	s_sub_co_i32 s14, s12, s14
	s_wait_alu 0xfffe
	s_sub_co_i32 s15, s14, s46
	s_cmp_ge_u32 s14, s46
	s_wait_alu 0xfffe
	s_cselect_b32 s14, s15, s14
	s_wait_alu 0xfffe
	s_sub_co_i32 s15, s14, s46
	s_cmp_ge_u32 s14, s46
	s_wait_alu 0xfffe
	s_cselect_b32 s54, s15, s14
	s_wait_alu 0xfffe
	s_mov_b64 s[14:15], s[54:55]
.LBB79_205:                             ;   in Loop: Header=BB79_36 Depth=1
	s_wait_alu 0xfffe
	s_sub_nc_u64 s[12:13], s[12:13], s[14:15]
	s_mov_b32 s15, 0
	s_mov_b32 s14, 0
	s_mov_b32 s54, exec_lo
                                        ; implicit-def: $vgpr42
	s_wait_alu 0xfffe
	v_cmpx_gt_u64_e64 s[12:13], v[0:1]
	s_cbranch_execz .LBB79_216
; %bb.206:                              ;   in Loop: Header=BB79_36 Depth=1
	v_dual_mov_b32 v8, v0 :: v_dual_mov_b32 v7, v1
	v_mov_b32_e32 v6, v0
                                        ; implicit-def: $sgpr69
	s_branch .LBB79_209
.LBB79_207:                             ;   in Loop: Header=BB79_209 Depth=2
	s_wait_alu 0xfffe
	s_or_b32 exec_lo, exec_lo, s70
	s_wait_loadcnt_dscnt 0x0
	s_barrier_signal -1
	s_barrier_wait -1
	global_inv scope:SCOPE_SE
	ds_load_u16 v9, v3 offset:3072
	s_mov_b32 s70, -1
	s_mov_b32 s71, -1
	s_wait_loadcnt_dscnt 0x0
	s_barrier_signal -1
	s_barrier_wait -1
	global_inv scope:SCOPE_SE
	v_and_b32_e32 v10, 0xff, v9
	s_delay_alu instid0(VALU_DEP_1)
	v_cmp_ne_u32_e32 vcc_lo, 0, v10
	s_cbranch_vccz .LBB79_212
.LBB79_208:                             ;   in Loop: Header=BB79_209 Depth=2
	s_wait_alu 0xfffe
	s_and_b32 s70, exec_lo, s70
	s_wait_alu 0xfffe
	s_or_b32 s14, s70, s14
	s_and_not1_b32 s69, s69, exec_lo
	s_and_b32 s70, s71, exec_lo
	s_wait_alu 0xfffe
	s_or_b32 s69, s69, s70
	s_and_not1_b32 exec_lo, exec_lo, s14
	s_cbranch_execz .LBB79_215
.LBB79_209:                             ;   Parent Loop BB79_36 Depth=1
                                        ; =>  This Inner Loop Header: Depth=2
	s_mov_b32 s70, exec_lo
	s_delay_alu instid0(VALU_DEP_1)
	v_cmpx_gt_u64_e64 s[6:7], v[6:7]
	s_cbranch_execz .LBB79_207
; %bb.210:                              ;   in Loop: Header=BB79_209 Depth=2
	ds_load_u8 v9, v8
	s_wait_dscnt 0x0
	v_and_b32_e32 v10, v9, v41
	s_delay_alu instid0(VALU_DEP_1) | instskip(NEXT) | instid1(VALU_DEP_1)
	v_and_b32_e32 v10, 0xff, v10
	v_cmp_eq_u32_e32 vcc_lo, v10, v22
	s_and_b32 exec_lo, exec_lo, vcc_lo
	s_cbranch_execz .LBB79_207
; %bb.211:                              ;   in Loop: Header=BB79_209 Depth=2
	v_lshlrev_b16 v9, 8, v9
	s_delay_alu instid0(VALU_DEP_1)
	v_or_b32_e32 v9, 1, v9
	ds_store_b16 v3, v9 offset:3072
	s_branch .LBB79_207
.LBB79_212:                             ;   in Loop: Header=BB79_209 Depth=2
	v_add_co_u32 v6, vcc_lo, v6, s46
	s_wait_alu 0xfffd
	v_add_co_ci_u32_e64 v7, null, 0, v7, vcc_lo
	v_add_nc_u32_e32 v8, s46, v8
	s_mov_b32 s71, 0
	s_delay_alu instid0(VALU_DEP_2)
	v_cmp_le_u64_e32 vcc_lo, s[12:13], v[6:7]
	s_or_not1_b32 s70, vcc_lo, exec_lo
	s_branch .LBB79_208
.LBB79_213:                             ;   in Loop: Header=BB79_36 Depth=1
                                        ; implicit-def: $sgpr14_sgpr15
	s_branch .LBB79_155
.LBB79_214:                             ;   in Loop: Header=BB79_36 Depth=1
                                        ; implicit-def: $sgpr6_sgpr7
	s_branch .LBB79_174
.LBB79_215:                             ;   in Loop: Header=BB79_36 Depth=1
	s_or_b32 exec_lo, exec_lo, s14
	v_and_b32_e32 v6, 0xffff, v9
	s_wait_alu 0xfffe
	s_and_b32 s14, s69, exec_lo
	s_delay_alu instid0(VALU_DEP_1)
	v_lshrrev_b32_e32 v42, 8, v6
.LBB79_216:                             ;   in Loop: Header=BB79_36 Depth=1
	s_or_b32 exec_lo, exec_lo, s54
.LBB79_217:                             ;   in Loop: Header=BB79_36 Depth=1
	s_wait_alu 0xfffe
	s_and_b32 vcc_lo, exec_lo, s15
	s_wait_alu 0xfffe
	s_cbranch_vccz .LBB79_231
; %bb.218:                              ;   in Loop: Header=BB79_36 Depth=1
	s_mov_b32 s6, s55
	s_mov_b32 s7, s59
	s_wait_alu 0xfffe
	s_cmp_lg_u64 s[6:7], 0
	s_cbranch_scc0 .LBB79_259
; %bb.219:                              ;   in Loop: Header=BB79_36 Depth=1
	s_cvt_f32_u32 s6, s46
	s_sub_nc_u64 s[12:13], 0, s[46:47]
	s_wait_alu 0xfffe
	s_delay_alu instid0(SALU_CYCLE_1) | instskip(SKIP_1) | instid1(SALU_CYCLE_2)
	s_fmamk_f32 s6, s93, 0x0, s6
	s_wait_alu 0xfffe
	v_s_rcp_f32 s6, s6
	s_delay_alu instid0(TRANS32_DEP_1) | instskip(SKIP_1) | instid1(SALU_CYCLE_2)
	s_mul_f32 s6, s6, 0x5f7ffffc
	s_wait_alu 0xfffe
	s_mul_f32 s7, s6, 0x2f800000
	s_wait_alu 0xfffe
	s_delay_alu instid0(SALU_CYCLE_2) | instskip(SKIP_1) | instid1(SALU_CYCLE_2)
	s_trunc_f32 s7, s7
	s_wait_alu 0xfffe
	s_fmamk_f32 s6, s7, 0xcf800000, s6
	s_cvt_u32_f32 s7, s7
	s_wait_alu 0xfffe
	s_delay_alu instid0(SALU_CYCLE_1) | instskip(SKIP_1) | instid1(SALU_CYCLE_2)
	s_cvt_u32_f32 s6, s6
	s_wait_alu 0xfffe
	s_mul_u64 s[70:71], s[12:13], s[6:7]
	s_wait_alu 0xfffe
	s_mul_hi_u32 s73, s6, s71
	s_mul_i32 s72, s6, s71
	s_mul_hi_u32 s54, s6, s70
	s_mul_i32 s25, s7, s70
	s_wait_alu 0xfffe
	s_add_nc_u64 s[72:73], s[54:55], s[72:73]
	s_mul_hi_u32 s15, s7, s70
	s_mul_hi_u32 s66, s7, s71
	s_wait_alu 0xfffe
	s_add_co_u32 s25, s72, s25
	s_add_co_ci_u32 s54, s73, s15
	s_mul_i32 s70, s7, s71
	s_add_co_ci_u32 s71, s66, 0
	s_wait_alu 0xfffe
	s_add_nc_u64 s[70:71], s[54:55], s[70:71]
	s_wait_alu 0xfffe
	s_add_co_u32 s6, s6, s70
	s_cselect_b32 s15, -1, 0
	s_wait_alu 0xfffe
	s_cmp_lg_u32 s15, 0
	s_add_co_ci_u32 s7, s7, s71
	s_wait_alu 0xfffe
	s_mul_u64 s[12:13], s[12:13], s[6:7]
	s_wait_alu 0xfffe
	s_mul_hi_u32 s71, s6, s13
	s_mul_i32 s70, s6, s13
	s_mul_hi_u32 s54, s6, s12
	s_mul_i32 s25, s7, s12
	s_wait_alu 0xfffe
	s_add_nc_u64 s[70:71], s[54:55], s[70:71]
	s_mul_hi_u32 s15, s7, s12
	s_mul_hi_u32 s66, s7, s13
	s_mul_i32 s12, s7, s13
	s_wait_alu 0xfffe
	s_add_co_u32 s13, s70, s25
	s_add_co_ci_u32 s54, s71, s15
	s_add_co_ci_u32 s13, s66, 0
	s_wait_alu 0xfffe
	s_add_nc_u64 s[12:13], s[54:55], s[12:13]
	s_wait_alu 0xfffe
	s_add_co_u32 s6, s6, s12
	s_cselect_b32 s12, -1, 0
	s_wait_alu 0xfffe
	s_mul_hi_u32 s54, s58, s6
	s_cmp_lg_u32 s12, 0
	s_mul_hi_u32 s15, s59, s6
	s_add_co_ci_u32 s12, s7, s13
	s_mul_i32 s13, s59, s6
	s_wait_alu 0xfffe
	s_mul_hi_u32 s7, s58, s12
	s_mul_i32 s6, s58, s12
	s_mul_hi_u32 s25, s59, s12
	s_wait_alu 0xfffe
	s_add_nc_u64 s[6:7], s[54:55], s[6:7]
	s_mul_i32 s12, s59, s12
	s_wait_alu 0xfffe
	s_add_co_u32 s6, s6, s13
	s_add_co_ci_u32 s54, s7, s15
	s_add_co_ci_u32 s13, s25, 0
	s_wait_alu 0xfffe
	s_add_nc_u64 s[6:7], s[54:55], s[12:13]
	s_wait_alu 0xfffe
	s_mul_u64 s[6:7], s[46:47], s[6:7]
	s_wait_alu 0xfffe
	s_sub_co_u32 s6, s58, s6
	s_cselect_b32 s12, -1, 0
	s_wait_alu 0xfffe
	s_cmp_lg_u32 s12, 0
	s_sub_co_ci_u32 s7, s59, s7
	s_sub_co_u32 s12, s6, s46
	s_cselect_b32 s13, -1, 0
	s_wait_alu 0xfffe
	s_cmp_lg_u32 s13, 0
	s_sub_co_ci_u32 s13, s7, 0
	s_sub_co_u32 s15, s12, s46
	s_cselect_b32 s25, -1, 0
	s_delay_alu instid0(SALU_CYCLE_1)
	s_cmp_lg_u32 s25, 0
	s_wait_alu 0xfffe
	s_sub_co_ci_u32 s25, s13, 0
	s_cmp_ge_u32 s12, s46
	s_cselect_b32 s54, -1, 0
	s_cmp_eq_u32 s13, 0
	s_wait_alu 0xfffe
	s_cselect_b32 s54, s54, -1
	s_wait_alu 0xfffe
	s_cmp_lg_u32 s54, 0
	s_cselect_b32 s13, s25, s13
	s_cselect_b32 s12, s15, s12
	s_cmp_ge_u32 s6, s46
	s_cselect_b32 s15, -1, 0
	s_cmp_eq_u32 s7, 0
	s_wait_alu 0xfffe
	s_cselect_b32 s15, s15, -1
	s_wait_alu 0xfffe
	s_cmp_lg_u32 s15, 0
	s_cselect_b32 s7, s13, s7
	s_cselect_b32 s6, s12, s6
	s_cbranch_execnz .LBB79_221
.LBB79_220:                             ;   in Loop: Header=BB79_36 Depth=1
	v_cvt_f32_u32_e32 v6, s46
	s_sub_co_i32 s7, 0, s46
	s_delay_alu instid0(VALU_DEP_1) | instskip(NEXT) | instid1(TRANS32_DEP_1)
	v_rcp_iflag_f32_e32 v6, v6
	v_mul_f32_e32 v6, 0x4f7ffffe, v6
	s_delay_alu instid0(VALU_DEP_1) | instskip(NEXT) | instid1(VALU_DEP_1)
	v_cvt_u32_f32_e32 v6, v6
	v_readfirstlane_b32 s6, v6
	s_wait_alu 0xfffe
	s_mul_i32 s7, s7, s6
	s_wait_alu 0xfffe
	s_mul_hi_u32 s7, s6, s7
	s_wait_alu 0xfffe
	s_add_co_i32 s6, s6, s7
	s_wait_alu 0xfffe
	s_mul_hi_u32 s6, s58, s6
	s_wait_alu 0xfffe
	s_mul_i32 s6, s6, s46
	s_wait_alu 0xfffe
	s_sub_co_i32 s6, s58, s6
	s_wait_alu 0xfffe
	s_sub_co_i32 s7, s6, s46
	s_cmp_ge_u32 s6, s46
	s_wait_alu 0xfffe
	s_cselect_b32 s6, s7, s6
	s_wait_alu 0xfffe
	s_sub_co_i32 s7, s6, s46
	s_cmp_ge_u32 s6, s46
	s_wait_alu 0xfffe
	s_cselect_b32 s54, s7, s6
	s_wait_alu 0xfffe
	s_mov_b64 s[6:7], s[54:55]
.LBB79_221:                             ;   in Loop: Header=BB79_36 Depth=1
	s_wait_alu 0xfffe
	s_sub_nc_u64 s[12:13], s[58:59], s[6:7]
	s_mov_b32 s7, exec_lo
                                        ; implicit-def: $vgpr42
	s_wait_alu 0xfffe
	v_cmpx_gt_u64_e64 s[12:13], v[0:1]
	s_cbranch_execz .LBB79_230
; %bb.222:                              ;   in Loop: Header=BB79_36 Depth=1
	v_dual_mov_b32 v6, v12 :: v_dual_mov_b32 v7, v13
	v_dual_mov_b32 v9, v1 :: v_dual_mov_b32 v8, v0
	s_mov_b32 s15, 0
                                        ; implicit-def: $sgpr25
	s_branch .LBB79_225
.LBB79_223:                             ;   in Loop: Header=BB79_225 Depth=2
	s_wait_alu 0xfffe
	s_or_b32 exec_lo, exec_lo, s6
	s_wait_loadcnt_dscnt 0x0
	s_barrier_signal -1
	s_barrier_wait -1
	global_inv scope:SCOPE_SE
	ds_load_u16 v10, v3 offset:3072
	s_mov_b32 s6, -1
	s_mov_b32 s54, -1
	s_wait_loadcnt_dscnt 0x0
	s_barrier_signal -1
	s_barrier_wait -1
	global_inv scope:SCOPE_SE
	v_and_b32_e32 v11, 0xff, v10
	s_delay_alu instid0(VALU_DEP_1)
	v_cmp_eq_u32_e32 vcc_lo, 0, v11
	s_cbranch_vccnz .LBB79_228
.LBB79_224:                             ;   in Loop: Header=BB79_225 Depth=2
	s_wait_alu 0xfffe
	s_and_b32 s6, exec_lo, s6
	s_wait_alu 0xfffe
	s_or_b32 s15, s6, s15
	s_and_not1_b32 s6, s25, exec_lo
	s_and_b32 s25, s54, exec_lo
	s_wait_alu 0xfffe
	s_or_b32 s25, s6, s25
	s_and_not1_b32 exec_lo, exec_lo, s15
	s_cbranch_execz .LBB79_229
.LBB79_225:                             ;   Parent Loop BB79_36 Depth=1
                                        ; =>  This Inner Loop Header: Depth=2
	s_mov_b32 s6, exec_lo
	s_delay_alu instid0(VALU_DEP_1)
	v_cmpx_gt_u64_e64 s[28:29], v[8:9]
	s_cbranch_execz .LBB79_223
; %bb.226:                              ;   in Loop: Header=BB79_225 Depth=2
	global_load_u8 v10, v[6:7], off
	s_wait_loadcnt 0x0
	v_and_b32_e32 v11, v10, v41
	s_delay_alu instid0(VALU_DEP_1) | instskip(NEXT) | instid1(VALU_DEP_1)
	v_and_b32_e32 v11, 0xff, v11
	v_cmp_eq_u32_e32 vcc_lo, v11, v22
	s_and_b32 exec_lo, exec_lo, vcc_lo
	s_cbranch_execz .LBB79_223
; %bb.227:                              ;   in Loop: Header=BB79_225 Depth=2
	v_lshlrev_b16 v10, 8, v10
	s_delay_alu instid0(VALU_DEP_1)
	v_or_b32_e32 v10, 1, v10
	ds_store_b16 v3, v10 offset:3072
	s_branch .LBB79_223
.LBB79_228:                             ;   in Loop: Header=BB79_225 Depth=2
	v_add_co_u32 v8, vcc_lo, v8, s46
	s_wait_alu 0xfffd
	v_add_co_ci_u32_e64 v9, null, 0, v9, vcc_lo
	v_add_co_u32 v6, s6, v6, s52
	s_wait_alu 0xf1fe
	v_add_co_ci_u32_e64 v7, null, s53, v7, s6
	s_delay_alu instid0(VALU_DEP_3)
	v_cmp_le_u64_e32 vcc_lo, s[12:13], v[8:9]
	s_mov_b32 s54, 0
	s_or_not1_b32 s6, vcc_lo, exec_lo
	s_branch .LBB79_224
.LBB79_229:                             ;   in Loop: Header=BB79_36 Depth=1
	s_or_b32 exec_lo, exec_lo, s15
	v_and_b32_e32 v6, 0xffff, v10
	s_and_not1_b32 s6, s14, exec_lo
	s_and_b32 s12, s25, exec_lo
	s_wait_alu 0xfffe
	s_or_b32 s14, s6, s12
	v_lshrrev_b32_e32 v42, 8, v6
.LBB79_230:                             ;   in Loop: Header=BB79_36 Depth=1
	s_or_b32 exec_lo, exec_lo, s7
	s_mov_b32 s25, 0
	s_mov_b32 s66, -1
.LBB79_231:                             ;   in Loop: Header=BB79_36 Depth=1
	s_wait_alu 0xfffe
	s_or_not1_b32 s6, s14, exec_lo
.LBB79_232:                             ;   in Loop: Header=BB79_36 Depth=1
	s_wait_alu 0xfffe
	s_or_b32 exec_lo, exec_lo, s68
	s_mov_b32 s7, 0
	s_and_saveexec_b32 s14, s6
	s_cbranch_execz .LBB79_290
; %bb.233:                              ;   in Loop: Header=BB79_36 Depth=1
	v_mov_b32_e32 v6, 1
	v_dual_mov_b32 v7, 0 :: v_dual_mov_b32 v2, 1
	s_xor_b32 s12, s67, -1
	s_wait_alu 0xfffe
	s_and_saveexec_b32 s6, s12
	s_cbranch_execz .LBB79_242
; %bb.234:                              ;   in Loop: Header=BB79_36 Depth=1
	s_mov_b32 s7, exec_lo
	v_cmpx_ge_u64_e64 s[10:11], v[4:5]
	s_wait_alu 0xfffe
	s_xor_b32 s7, exec_lo, s7
	s_cbranch_execz .LBB79_239
; %bb.235:                              ;   in Loop: Header=BB79_36 Depth=1
	ds_load_b64 v[6:7], v3 offset:5120
	s_lshl_b32 s12, 2, s91
	v_or_b32_e32 v41, s16, v41
	s_wait_alu 0xfffe
	v_and_or_b32 v22, v22, s20, s12
	s_wait_dscnt 0x0
	v_cmp_ne_u64_e32 vcc_lo, 0, v[6:7]
	s_cbranch_vccnz .LBB79_239
; %bb.236:                              ;   in Loop: Header=BB79_36 Depth=1
	s_and_saveexec_b32 s12, s2
; %bb.237:                              ;   in Loop: Header=BB79_36 Depth=1
	v_dual_mov_b32 v6, s10 :: v_dual_mov_b32 v7, s11
	ds_store_b64 v3, v[6:7] offset:5128
; %bb.238:                              ;   in Loop: Header=BB79_36 Depth=1
	s_wait_alu 0xfffe
	s_or_b32 exec_lo, exec_lo, s12
	s_wait_loadcnt_dscnt 0x0
	s_barrier_signal -1
	s_barrier_wait -1
	global_inv scope:SCOPE_SE
.LBB79_239:                             ;   in Loop: Header=BB79_36 Depth=1
	s_wait_alu 0xfffe
	s_or_saveexec_b32 s7, s7
	v_mov_b32_e32 v2, 8
	s_mov_b32 s12, 0
	s_wait_alu 0xfffe
	s_xor_b32 exec_lo, exec_lo, s7
; %bb.240:                              ;   in Loop: Header=BB79_36 Depth=1
	v_sub_co_u32 v4, vcc_lo, v4, s10
	s_wait_alu 0xfffd
	v_subrev_co_ci_u32_e64 v5, null, s11, v5, vcc_lo
	v_mov_b32_e32 v2, 0
	s_mov_b32 s12, exec_lo
; %bb.241:                              ;   in Loop: Header=BB79_36 Depth=1
	s_or_b32 exec_lo, exec_lo, s7
	s_delay_alu instid0(VALU_DEP_2)
	v_dual_mov_b32 v7, v5 :: v_dual_mov_b32 v6, v4
	s_wait_alu 0xfffe
	s_and_b32 s7, s12, exec_lo
.LBB79_242:                             ;   in Loop: Header=BB79_36 Depth=1
	s_wait_alu 0xfffe
	s_or_b32 exec_lo, exec_lo, s6
	s_mov_b32 s6, -1
                                        ; implicit-def: $sgpr69
                                        ; implicit-def: $sgpr68
	s_and_saveexec_b32 s15, s7
	s_cbranch_execz .LBB79_289
; %bb.243:                              ;   in Loop: Header=BB79_36 Depth=1
	v_cmp_eq_u64_e32 vcc_lo, 1, v[6:7]
	s_cmp_eq_u64 s[8:9], 1
	s_mov_b32 s7, -1
	s_cselect_b32 s6, -1, 0
                                        ; implicit-def: $sgpr69
                                        ; implicit-def: $sgpr68
	s_wait_alu 0xfffe
	s_and_b32 s20, s6, vcc_lo
	s_wait_alu 0xfffe
	s_and_saveexec_b32 s67, s20
	s_cbranch_execz .LBB79_277
; %bb.244:                              ;   in Loop: Header=BB79_36 Depth=1
	ds_load_b64 v[4:5], v3 offset:5120
	s_wait_loadcnt_dscnt 0x0
	s_barrier_signal -1
	s_barrier_wait -1
	global_inv scope:SCOPE_SE
	v_readfirstlane_b32 s6, v4
	v_readfirstlane_b32 s7, v5
	s_and_saveexec_b32 s10, s3
; %bb.245:                              ;   in Loop: Header=BB79_36 Depth=1
	ds_store_b8 v0, v3 offset:3072
; %bb.246:                              ;   in Loop: Header=BB79_36 Depth=1
	s_wait_alu 0xfffe
	s_or_b32 exec_lo, exec_lo, s10
	v_or_b32_e32 v22, s16, v22
	v_or_b32_e32 v41, s16, v41
	s_mov_b32 s68, -1
	s_mov_b32 s69, 0
	s_cmp_eq_u64 s[6:7], 0
	s_mov_b32 s12, 0
	s_mov_b32 s13, -1
	s_wait_loadcnt_dscnt 0x0
	s_barrier_signal -1
	s_barrier_wait -1
	global_inv scope:SCOPE_SE
                                        ; implicit-def: $vgpr42
	s_cbranch_scc1 .LBB79_262
; %bb.247:                              ;   in Loop: Header=BB79_36 Depth=1
	s_add_nc_u64 s[10:11], s[6:7], s[56:57]
	s_mov_b32 s12, s55
	s_wait_alu 0xfffe
	s_mov_b32 s13, s11
	s_wait_alu 0xfffe
	s_cmp_lg_u64 s[12:13], 0
	s_cbranch_scc0 .LBB79_296
; %bb.248:                              ;   in Loop: Header=BB79_36 Depth=1
	s_cvt_f32_u32 s12, s46
	s_sub_nc_u64 s[70:71], 0, s[46:47]
	s_wait_alu 0xfffe
	s_delay_alu instid0(SALU_CYCLE_1) | instskip(SKIP_1) | instid1(SALU_CYCLE_2)
	s_fmamk_f32 s12, s93, 0x0, s12
	s_wait_alu 0xfffe
	v_s_rcp_f32 s12, s12
	s_delay_alu instid0(TRANS32_DEP_1) | instskip(SKIP_1) | instid1(SALU_CYCLE_2)
	s_mul_f32 s12, s12, 0x5f7ffffc
	s_wait_alu 0xfffe
	s_mul_f32 s13, s12, 0x2f800000
	s_wait_alu 0xfffe
	s_delay_alu instid0(SALU_CYCLE_2) | instskip(SKIP_1) | instid1(SALU_CYCLE_2)
	s_trunc_f32 s13, s13
	s_wait_alu 0xfffe
	s_fmamk_f32 s12, s13, 0xcf800000, s12
	s_cvt_u32_f32 s13, s13
	s_wait_alu 0xfffe
	s_delay_alu instid0(SALU_CYCLE_1) | instskip(SKIP_1) | instid1(SALU_CYCLE_2)
	s_cvt_u32_f32 s12, s12
	s_wait_alu 0xfffe
	s_mul_u64 s[72:73], s[70:71], s[12:13]
	s_wait_alu 0xfffe
	s_mul_hi_u32 s75, s12, s73
	s_mul_i32 s74, s12, s73
	s_mul_hi_u32 s54, s12, s72
	s_mul_i32 s77, s13, s72
	s_wait_alu 0xfffe
	s_add_nc_u64 s[74:75], s[54:55], s[74:75]
	s_mul_hi_u32 s76, s13, s72
	s_mul_hi_u32 s78, s13, s73
	s_wait_alu 0xfffe
	s_add_co_u32 s54, s74, s77
	s_add_co_ci_u32 s54, s75, s76
	s_mul_i32 s72, s13, s73
	s_add_co_ci_u32 s73, s78, 0
	s_wait_alu 0xfffe
	s_add_nc_u64 s[72:73], s[54:55], s[72:73]
	s_wait_alu 0xfffe
	s_add_co_u32 s12, s12, s72
	s_cselect_b32 s54, -1, 0
	s_wait_alu 0xfffe
	s_cmp_lg_u32 s54, 0
	s_add_co_ci_u32 s13, s13, s73
	s_wait_alu 0xfffe
	s_mul_u64 s[70:71], s[70:71], s[12:13]
	s_wait_alu 0xfffe
	s_mul_hi_u32 s73, s12, s71
	s_mul_i32 s72, s12, s71
	s_mul_hi_u32 s54, s12, s70
	s_mul_i32 s75, s13, s70
	s_wait_alu 0xfffe
	s_add_nc_u64 s[72:73], s[54:55], s[72:73]
	s_mul_hi_u32 s74, s13, s70
	s_mul_hi_u32 s76, s13, s71
	s_wait_alu 0xfffe
	s_add_co_u32 s54, s72, s75
	s_add_co_ci_u32 s54, s73, s74
	s_mul_i32 s70, s13, s71
	s_add_co_ci_u32 s71, s76, 0
	s_wait_alu 0xfffe
	s_add_nc_u64 s[70:71], s[54:55], s[70:71]
	s_wait_alu 0xfffe
	s_add_co_u32 s12, s12, s70
	s_cselect_b32 s70, -1, 0
	s_wait_alu 0xfffe
	s_mul_hi_u32 s54, s10, s12
	s_cmp_lg_u32 s70, 0
	s_mul_hi_u32 s72, s11, s12
	s_add_co_ci_u32 s70, s13, s71
	s_mul_i32 s71, s11, s12
	s_wait_alu 0xfffe
	s_mul_hi_u32 s13, s10, s70
	s_mul_i32 s12, s10, s70
	s_mul_hi_u32 s73, s11, s70
	s_wait_alu 0xfffe
	s_add_nc_u64 s[12:13], s[54:55], s[12:13]
	s_mul_i32 s70, s11, s70
	s_wait_alu 0xfffe
	s_add_co_u32 s12, s12, s71
	s_add_co_ci_u32 s54, s13, s72
	s_add_co_ci_u32 s71, s73, 0
	s_wait_alu 0xfffe
	s_add_nc_u64 s[12:13], s[54:55], s[70:71]
	s_wait_alu 0xfffe
	s_mul_u64 s[12:13], s[46:47], s[12:13]
	s_wait_alu 0xfffe
	s_sub_co_u32 s12, s10, s12
	s_cselect_b32 s54, -1, 0
	s_wait_alu 0xfffe
	s_cmp_lg_u32 s54, 0
	s_sub_co_ci_u32 s13, s11, s13
	s_sub_co_u32 s54, s12, s46
	s_cselect_b32 s70, -1, 0
	s_wait_alu 0xfffe
	s_cmp_lg_u32 s70, 0
	s_sub_co_ci_u32 s70, s13, 0
	s_sub_co_u32 s71, s54, s46
	s_cselect_b32 s72, -1, 0
	s_wait_alu 0xfffe
	s_cmp_lg_u32 s72, 0
	s_sub_co_ci_u32 s72, s70, 0
	s_cmp_ge_u32 s54, s46
	s_cselect_b32 s73, -1, 0
	s_cmp_eq_u32 s70, 0
	s_wait_alu 0xfffe
	s_cselect_b32 s73, s73, -1
	s_wait_alu 0xfffe
	s_cmp_lg_u32 s73, 0
	s_cselect_b32 s70, s72, s70
	s_cselect_b32 s54, s71, s54
	s_cmp_ge_u32 s12, s46
	s_cselect_b32 s71, -1, 0
	s_cmp_eq_u32 s13, 0
	s_wait_alu 0xfffe
	s_cselect_b32 s71, s71, -1
	s_wait_alu 0xfffe
	s_cmp_lg_u32 s71, 0
	s_cselect_b32 s13, s70, s13
	s_cselect_b32 s12, s54, s12
	s_cbranch_execnz .LBB79_250
.LBB79_249:                             ;   in Loop: Header=BB79_36 Depth=1
	v_cvt_f32_u32_e32 v4, s46
	s_sub_co_i32 s13, 0, s46
	s_delay_alu instid0(VALU_DEP_1) | instskip(NEXT) | instid1(TRANS32_DEP_1)
	v_rcp_iflag_f32_e32 v4, v4
	v_mul_f32_e32 v4, 0x4f7ffffe, v4
	s_delay_alu instid0(VALU_DEP_1) | instskip(NEXT) | instid1(VALU_DEP_1)
	v_cvt_u32_f32_e32 v4, v4
	v_readfirstlane_b32 s12, v4
	s_wait_alu 0xfffe
	s_mul_i32 s13, s13, s12
	s_wait_alu 0xfffe
	s_mul_hi_u32 s13, s12, s13
	s_wait_alu 0xfffe
	s_add_co_i32 s12, s12, s13
	s_wait_alu 0xfffe
	s_mul_hi_u32 s12, s10, s12
	s_wait_alu 0xfffe
	s_mul_i32 s12, s12, s46
	s_wait_alu 0xfffe
	s_sub_co_i32 s12, s10, s12
	s_wait_alu 0xfffe
	s_sub_co_i32 s13, s12, s46
	s_cmp_ge_u32 s12, s46
	s_wait_alu 0xfffe
	s_cselect_b32 s12, s13, s12
	s_wait_alu 0xfffe
	s_sub_co_i32 s13, s12, s46
	s_cmp_ge_u32 s12, s46
	s_wait_alu 0xfffe
	s_cselect_b32 s54, s13, s12
	s_wait_alu 0xfffe
	s_mov_b64 s[12:13], s[54:55]
.LBB79_250:                             ;   in Loop: Header=BB79_36 Depth=1
	s_wait_alu 0xfffe
	s_sub_nc_u64 s[10:11], s[10:11], s[12:13]
	s_mov_b32 s13, 0
	s_mov_b32 s12, 0
	s_mov_b32 s54, exec_lo
                                        ; implicit-def: $vgpr42
	s_wait_alu 0xfffe
	v_cmpx_gt_u64_e64 s[10:11], v[0:1]
	s_cbranch_execz .LBB79_261
; %bb.251:                              ;   in Loop: Header=BB79_36 Depth=1
	v_dual_mov_b32 v8, v0 :: v_dual_mov_b32 v5, v1
	v_mov_b32_e32 v4, v0
                                        ; implicit-def: $sgpr70
	s_branch .LBB79_254
.LBB79_252:                             ;   in Loop: Header=BB79_254 Depth=2
	s_wait_alu 0xfffe
	s_or_b32 exec_lo, exec_lo, s71
	s_wait_loadcnt_dscnt 0x0
	s_barrier_signal -1
	s_barrier_wait -1
	global_inv scope:SCOPE_SE
	ds_load_u16 v9, v3 offset:3072
	s_mov_b32 s71, -1
	s_mov_b32 s72, -1
	s_wait_loadcnt_dscnt 0x0
	s_barrier_signal -1
	s_barrier_wait -1
	global_inv scope:SCOPE_SE
	v_and_b32_e32 v10, 0xff, v9
	s_delay_alu instid0(VALU_DEP_1)
	v_cmp_ne_u32_e32 vcc_lo, 0, v10
	s_cbranch_vccz .LBB79_257
.LBB79_253:                             ;   in Loop: Header=BB79_254 Depth=2
	s_wait_alu 0xfffe
	s_and_b32 s71, exec_lo, s71
	s_wait_alu 0xfffe
	s_or_b32 s12, s71, s12
	s_and_not1_b32 s70, s70, exec_lo
	s_and_b32 s71, s72, exec_lo
	s_wait_alu 0xfffe
	s_or_b32 s70, s70, s71
	s_and_not1_b32 exec_lo, exec_lo, s12
	s_cbranch_execz .LBB79_260
.LBB79_254:                             ;   Parent Loop BB79_36 Depth=1
                                        ; =>  This Inner Loop Header: Depth=2
	s_mov_b32 s71, exec_lo
	s_delay_alu instid0(VALU_DEP_1)
	v_cmpx_gt_u64_e64 s[6:7], v[4:5]
	s_cbranch_execz .LBB79_252
; %bb.255:                              ;   in Loop: Header=BB79_254 Depth=2
	ds_load_u8 v9, v8
	s_wait_dscnt 0x0
	v_and_b32_e32 v10, v9, v41
	s_delay_alu instid0(VALU_DEP_1) | instskip(NEXT) | instid1(VALU_DEP_1)
	v_and_b32_e32 v10, 0xff, v10
	v_cmp_eq_u32_e32 vcc_lo, v10, v22
	s_and_b32 exec_lo, exec_lo, vcc_lo
	s_cbranch_execz .LBB79_252
; %bb.256:                              ;   in Loop: Header=BB79_254 Depth=2
	v_lshlrev_b16 v9, 8, v9
	s_delay_alu instid0(VALU_DEP_1)
	v_or_b32_e32 v9, 1, v9
	ds_store_b16 v3, v9 offset:3072
	s_branch .LBB79_252
.LBB79_257:                             ;   in Loop: Header=BB79_254 Depth=2
	v_add_co_u32 v4, vcc_lo, v4, s46
	s_wait_alu 0xfffd
	v_add_co_ci_u32_e64 v5, null, 0, v5, vcc_lo
	v_add_nc_u32_e32 v8, s46, v8
	s_mov_b32 s72, 0
	s_delay_alu instid0(VALU_DEP_2)
	v_cmp_le_u64_e32 vcc_lo, s[10:11], v[4:5]
	s_or_not1_b32 s71, vcc_lo, exec_lo
	s_branch .LBB79_253
.LBB79_258:                             ;   in Loop: Header=BB79_36 Depth=1
                                        ; implicit-def: $sgpr14_sgpr15
	s_branch .LBB79_204
.LBB79_259:                             ;   in Loop: Header=BB79_36 Depth=1
                                        ; implicit-def: $sgpr6_sgpr7
	s_branch .LBB79_220
.LBB79_260:                             ;   in Loop: Header=BB79_36 Depth=1
	s_or_b32 exec_lo, exec_lo, s12
	v_and_b32_e32 v4, 0xffff, v9
	s_wait_alu 0xfffe
	s_and_b32 s12, s70, exec_lo
	s_delay_alu instid0(VALU_DEP_1)
	v_lshrrev_b32_e32 v42, 8, v4
.LBB79_261:                             ;   in Loop: Header=BB79_36 Depth=1
	s_or_b32 exec_lo, exec_lo, s54
.LBB79_262:                             ;   in Loop: Header=BB79_36 Depth=1
	s_wait_alu 0xfffe
	s_and_b32 vcc_lo, exec_lo, s13
	s_wait_alu 0xfffe
	s_cbranch_vccz .LBB79_276
; %bb.263:                              ;   in Loop: Header=BB79_36 Depth=1
	s_mov_b32 s6, s55
	s_mov_b32 s7, s59
	s_wait_alu 0xfffe
	s_cmp_lg_u64 s[6:7], 0
	s_cbranch_scc0 .LBB79_297
; %bb.264:                              ;   in Loop: Header=BB79_36 Depth=1
	s_cvt_f32_u32 s6, s46
	s_sub_nc_u64 s[10:11], 0, s[46:47]
	s_wait_alu 0xfffe
	s_delay_alu instid0(SALU_CYCLE_1) | instskip(SKIP_1) | instid1(SALU_CYCLE_2)
	s_fmamk_f32 s6, s93, 0x0, s6
	s_wait_alu 0xfffe
	v_s_rcp_f32 s6, s6
	s_delay_alu instid0(TRANS32_DEP_1) | instskip(SKIP_1) | instid1(SALU_CYCLE_2)
	s_mul_f32 s6, s6, 0x5f7ffffc
	s_wait_alu 0xfffe
	s_mul_f32 s7, s6, 0x2f800000
	s_wait_alu 0xfffe
	s_delay_alu instid0(SALU_CYCLE_2) | instskip(SKIP_1) | instid1(SALU_CYCLE_2)
	s_trunc_f32 s7, s7
	s_wait_alu 0xfffe
	s_fmamk_f32 s6, s7, 0xcf800000, s6
	s_cvt_u32_f32 s7, s7
	s_wait_alu 0xfffe
	s_delay_alu instid0(SALU_CYCLE_1) | instskip(SKIP_1) | instid1(SALU_CYCLE_2)
	s_cvt_u32_f32 s6, s6
	s_wait_alu 0xfffe
	s_mul_u64 s[68:69], s[10:11], s[6:7]
	s_wait_alu 0xfffe
	s_mul_hi_u32 s71, s6, s69
	s_mul_i32 s70, s6, s69
	s_mul_hi_u32 s54, s6, s68
	s_mul_i32 s72, s7, s68
	s_wait_alu 0xfffe
	s_add_nc_u64 s[70:71], s[54:55], s[70:71]
	s_mul_hi_u32 s13, s7, s68
	s_mul_hi_u32 s73, s7, s69
	s_wait_alu 0xfffe
	s_add_co_u32 s54, s70, s72
	s_add_co_ci_u32 s54, s71, s13
	s_mul_i32 s68, s7, s69
	s_add_co_ci_u32 s69, s73, 0
	s_wait_alu 0xfffe
	s_add_nc_u64 s[68:69], s[54:55], s[68:69]
	s_wait_alu 0xfffe
	s_add_co_u32 s6, s6, s68
	s_cselect_b32 s13, -1, 0
	s_wait_alu 0xfffe
	s_cmp_lg_u32 s13, 0
	s_add_co_ci_u32 s7, s7, s69
	s_wait_alu 0xfffe
	s_mul_u64 s[10:11], s[10:11], s[6:7]
	s_wait_alu 0xfffe
	s_mul_hi_u32 s69, s6, s11
	s_mul_i32 s68, s6, s11
	s_mul_hi_u32 s54, s6, s10
	s_mul_i32 s70, s7, s10
	s_wait_alu 0xfffe
	s_add_nc_u64 s[68:69], s[54:55], s[68:69]
	s_mul_hi_u32 s13, s7, s10
	s_mul_hi_u32 s71, s7, s11
	s_mul_i32 s10, s7, s11
	s_wait_alu 0xfffe
	s_add_co_u32 s11, s68, s70
	s_add_co_ci_u32 s54, s69, s13
	s_add_co_ci_u32 s11, s71, 0
	s_wait_alu 0xfffe
	s_add_nc_u64 s[10:11], s[54:55], s[10:11]
	s_wait_alu 0xfffe
	s_add_co_u32 s6, s6, s10
	s_cselect_b32 s10, -1, 0
	s_wait_alu 0xfffe
	s_mul_hi_u32 s54, s58, s6
	s_cmp_lg_u32 s10, 0
	s_mul_hi_u32 s13, s59, s6
	s_add_co_ci_u32 s10, s7, s11
	s_mul_i32 s11, s59, s6
	s_wait_alu 0xfffe
	s_mul_hi_u32 s7, s58, s10
	s_mul_i32 s6, s58, s10
	s_mul_hi_u32 s68, s59, s10
	s_wait_alu 0xfffe
	s_add_nc_u64 s[6:7], s[54:55], s[6:7]
	s_mul_i32 s10, s59, s10
	s_wait_alu 0xfffe
	s_add_co_u32 s6, s6, s11
	s_add_co_ci_u32 s54, s7, s13
	s_add_co_ci_u32 s11, s68, 0
	s_wait_alu 0xfffe
	s_add_nc_u64 s[6:7], s[54:55], s[10:11]
	s_wait_alu 0xfffe
	s_mul_u64 s[6:7], s[46:47], s[6:7]
	s_wait_alu 0xfffe
	s_sub_co_u32 s6, s58, s6
	s_cselect_b32 s10, -1, 0
	s_wait_alu 0xfffe
	s_cmp_lg_u32 s10, 0
	s_sub_co_ci_u32 s7, s59, s7
	s_sub_co_u32 s10, s6, s46
	s_cselect_b32 s11, -1, 0
	s_wait_alu 0xfffe
	s_cmp_lg_u32 s11, 0
	s_sub_co_ci_u32 s11, s7, 0
	;; [unrolled: 5-line block ×3, first 2 shown]
	s_cmp_ge_u32 s10, s46
	s_cselect_b32 s68, -1, 0
	s_cmp_eq_u32 s11, 0
	s_wait_alu 0xfffe
	s_cselect_b32 s68, s68, -1
	s_wait_alu 0xfffe
	s_cmp_lg_u32 s68, 0
	s_cselect_b32 s11, s54, s11
	s_cselect_b32 s10, s13, s10
	s_cmp_ge_u32 s6, s46
	s_cselect_b32 s13, -1, 0
	s_cmp_eq_u32 s7, 0
	s_wait_alu 0xfffe
	s_cselect_b32 s13, s13, -1
	s_wait_alu 0xfffe
	s_cmp_lg_u32 s13, 0
	s_cselect_b32 s7, s11, s7
	s_cselect_b32 s6, s10, s6
	s_cbranch_execnz .LBB79_266
.LBB79_265:                             ;   in Loop: Header=BB79_36 Depth=1
	v_cvt_f32_u32_e32 v4, s46
	s_sub_co_i32 s7, 0, s46
	s_delay_alu instid0(VALU_DEP_1) | instskip(NEXT) | instid1(TRANS32_DEP_1)
	v_rcp_iflag_f32_e32 v4, v4
	v_mul_f32_e32 v4, 0x4f7ffffe, v4
	s_delay_alu instid0(VALU_DEP_1) | instskip(NEXT) | instid1(VALU_DEP_1)
	v_cvt_u32_f32_e32 v4, v4
	v_readfirstlane_b32 s6, v4
	s_wait_alu 0xfffe
	s_mul_i32 s7, s7, s6
	s_wait_alu 0xfffe
	s_mul_hi_u32 s7, s6, s7
	s_wait_alu 0xfffe
	s_add_co_i32 s6, s6, s7
	s_wait_alu 0xfffe
	s_mul_hi_u32 s6, s58, s6
	s_wait_alu 0xfffe
	s_mul_i32 s6, s6, s46
	s_wait_alu 0xfffe
	s_sub_co_i32 s6, s58, s6
	s_wait_alu 0xfffe
	s_sub_co_i32 s7, s6, s46
	s_cmp_ge_u32 s6, s46
	s_wait_alu 0xfffe
	s_cselect_b32 s6, s7, s6
	s_wait_alu 0xfffe
	s_sub_co_i32 s7, s6, s46
	s_cmp_ge_u32 s6, s46
	s_wait_alu 0xfffe
	s_cselect_b32 s54, s7, s6
	s_wait_alu 0xfffe
	s_mov_b64 s[6:7], s[54:55]
.LBB79_266:                             ;   in Loop: Header=BB79_36 Depth=1
	s_wait_alu 0xfffe
	s_sub_nc_u64 s[10:11], s[58:59], s[6:7]
	s_mov_b32 s7, exec_lo
                                        ; implicit-def: $vgpr42
	s_wait_alu 0xfffe
	v_cmpx_gt_u64_e64 s[10:11], v[0:1]
	s_cbranch_execz .LBB79_275
; %bb.267:                              ;   in Loop: Header=BB79_36 Depth=1
	v_dual_mov_b32 v4, v12 :: v_dual_mov_b32 v5, v13
	v_dual_mov_b32 v9, v1 :: v_dual_mov_b32 v8, v0
	s_mov_b32 s13, 0
                                        ; implicit-def: $sgpr54
	s_branch .LBB79_270
.LBB79_268:                             ;   in Loop: Header=BB79_270 Depth=2
	s_wait_alu 0xfffe
	s_or_b32 exec_lo, exec_lo, s6
	s_wait_loadcnt_dscnt 0x0
	s_barrier_signal -1
	s_barrier_wait -1
	global_inv scope:SCOPE_SE
	ds_load_u16 v10, v3 offset:3072
	s_mov_b32 s6, -1
	s_mov_b32 s68, -1
	s_wait_loadcnt_dscnt 0x0
	s_barrier_signal -1
	s_barrier_wait -1
	global_inv scope:SCOPE_SE
	v_and_b32_e32 v11, 0xff, v10
	s_delay_alu instid0(VALU_DEP_1)
	v_cmp_eq_u32_e32 vcc_lo, 0, v11
	s_cbranch_vccnz .LBB79_273
.LBB79_269:                             ;   in Loop: Header=BB79_270 Depth=2
	s_wait_alu 0xfffe
	s_and_b32 s6, exec_lo, s6
	s_wait_alu 0xfffe
	s_or_b32 s13, s6, s13
	s_and_not1_b32 s6, s54, exec_lo
	s_and_b32 s54, s68, exec_lo
	s_wait_alu 0xfffe
	s_or_b32 s54, s6, s54
	s_and_not1_b32 exec_lo, exec_lo, s13
	s_cbranch_execz .LBB79_274
.LBB79_270:                             ;   Parent Loop BB79_36 Depth=1
                                        ; =>  This Inner Loop Header: Depth=2
	s_mov_b32 s6, exec_lo
	s_delay_alu instid0(VALU_DEP_1)
	v_cmpx_gt_u64_e64 s[28:29], v[8:9]
	s_cbranch_execz .LBB79_268
; %bb.271:                              ;   in Loop: Header=BB79_270 Depth=2
	global_load_u8 v10, v[4:5], off
	s_wait_loadcnt 0x0
	v_and_b32_e32 v11, v10, v41
	s_delay_alu instid0(VALU_DEP_1) | instskip(NEXT) | instid1(VALU_DEP_1)
	v_and_b32_e32 v11, 0xff, v11
	v_cmp_eq_u32_e32 vcc_lo, v11, v22
	s_and_b32 exec_lo, exec_lo, vcc_lo
	s_cbranch_execz .LBB79_268
; %bb.272:                              ;   in Loop: Header=BB79_270 Depth=2
	v_lshlrev_b16 v10, 8, v10
	s_delay_alu instid0(VALU_DEP_1)
	v_or_b32_e32 v10, 1, v10
	ds_store_b16 v3, v10 offset:3072
	s_branch .LBB79_268
.LBB79_273:                             ;   in Loop: Header=BB79_270 Depth=2
	v_add_co_u32 v8, vcc_lo, v8, s46
	s_wait_alu 0xfffd
	v_add_co_ci_u32_e64 v9, null, 0, v9, vcc_lo
	v_add_co_u32 v4, s6, v4, s52
	s_wait_alu 0xf1fe
	v_add_co_ci_u32_e64 v5, null, s53, v5, s6
	s_delay_alu instid0(VALU_DEP_3)
	v_cmp_le_u64_e32 vcc_lo, s[10:11], v[8:9]
	s_mov_b32 s68, 0
	s_or_not1_b32 s6, vcc_lo, exec_lo
	s_branch .LBB79_269
.LBB79_274:                             ;   in Loop: Header=BB79_36 Depth=1
	s_or_b32 exec_lo, exec_lo, s13
	v_and_b32_e32 v4, 0xffff, v10
	s_and_not1_b32 s6, s12, exec_lo
	s_wait_alu 0xfffe
	s_and_b32 s10, s54, exec_lo
	s_wait_alu 0xfffe
	s_or_b32 s12, s6, s10
	v_lshrrev_b32_e32 v42, 8, v4
.LBB79_275:                             ;   in Loop: Header=BB79_36 Depth=1
	s_or_b32 exec_lo, exec_lo, s7
	s_mov_b32 s68, 0
	s_mov_b32 s69, -1
.LBB79_276:                             ;   in Loop: Header=BB79_36 Depth=1
	s_wait_alu 0xfffe
	s_or_not1_b32 s7, s12, exec_lo
.LBB79_277:                             ;   in Loop: Header=BB79_36 Depth=1
	s_wait_alu 0xfffe
	s_or_b32 exec_lo, exec_lo, s67
	s_mov_b32 s10, 0
	s_and_saveexec_b32 s6, s7
	s_cbranch_execz .LBB79_288
; %bb.278:                              ;   in Loop: Header=BB79_36 Depth=1
	v_mov_b32_e32 v4, 1
	v_dual_mov_b32 v5, 0 :: v_dual_mov_b32 v2, 1
	s_xor_b32 s10, s20, -1
	s_wait_alu 0xfffe
	s_and_saveexec_b32 s7, s10
	s_cbranch_execz .LBB79_287
; %bb.279:                              ;   in Loop: Header=BB79_36 Depth=1
	s_mov_b32 s10, exec_lo
	v_cmpx_ge_u64_e64 s[8:9], v[6:7]
	s_wait_alu 0xfffe
	s_xor_b32 s10, exec_lo, s10
	s_cbranch_execz .LBB79_284
; %bb.280:                              ;   in Loop: Header=BB79_36 Depth=1
	ds_load_b64 v[4:5], v3 offset:5120
	v_or_b32_e32 v22, s16, v22
	v_or_b32_e32 v41, s16, v41
	s_wait_dscnt 0x0
	v_cmp_ne_u64_e32 vcc_lo, 0, v[4:5]
	s_cbranch_vccnz .LBB79_284
; %bb.281:                              ;   in Loop: Header=BB79_36 Depth=1
	s_and_saveexec_b32 s11, s2
; %bb.282:                              ;   in Loop: Header=BB79_36 Depth=1
	v_dual_mov_b32 v4, s8 :: v_dual_mov_b32 v5, s9
	ds_store_b64 v3, v[4:5] offset:5128
; %bb.283:                              ;   in Loop: Header=BB79_36 Depth=1
	s_wait_alu 0xfffe
	s_or_b32 exec_lo, exec_lo, s11
	s_wait_loadcnt_dscnt 0x0
	s_barrier_signal -1
	s_barrier_wait -1
	global_inv scope:SCOPE_SE
.LBB79_284:                             ;   in Loop: Header=BB79_36 Depth=1
	s_wait_alu 0xfffe
	s_and_not1_saveexec_b32 s10, s10
; %bb.285:                              ;   in Loop: Header=BB79_36 Depth=1
	v_sub_co_u32 v6, vcc_lo, v6, s8
	s_wait_alu 0xfffd
	v_subrev_co_ci_u32_e64 v7, null, s9, v7, vcc_lo
; %bb.286:                              ;   in Loop: Header=BB79_36 Depth=1
	s_wait_alu 0xfffe
	s_or_b32 exec_lo, exec_lo, s10
	v_mov_b32_e32 v4, v6
	s_delay_alu instid0(VALU_DEP_2)
	v_dual_mov_b32 v2, 8 :: v_dual_mov_b32 v5, v7
.LBB79_287:                             ;   in Loop: Header=BB79_36 Depth=1
	s_wait_alu 0xfffe
	s_or_b32 exec_lo, exec_lo, s7
	s_delay_alu instid0(VALU_DEP_1)
	v_dual_mov_b32 v7, v5 :: v_dual_mov_b32 v6, v4
	s_mov_b32 s10, exec_lo
.LBB79_288:                             ;   in Loop: Header=BB79_36 Depth=1
	s_wait_alu 0xfffe
	s_or_b32 exec_lo, exec_lo, s6
	s_delay_alu instid0(SALU_CYCLE_1)
	s_or_not1_b32 s6, s10, exec_lo
.LBB79_289:                             ;   in Loop: Header=BB79_36 Depth=1
	s_wait_alu 0xfffe
	s_or_b32 exec_lo, exec_lo, s15
	v_dual_mov_b32 v4, v6 :: v_dual_mov_b32 v5, v7
	s_and_not1_b32 s7, s66, exec_lo
	s_and_b32 s8, s69, exec_lo
	s_and_not1_b32 s9, s25, exec_lo
	s_and_b32 s10, s68, exec_lo
	s_wait_alu 0xfffe
	s_or_b32 s66, s7, s8
	s_or_b32 s25, s9, s10
	s_and_b32 s7, s6, exec_lo
.LBB79_290:                             ;   in Loop: Header=BB79_36 Depth=1
	s_wait_alu 0xfffe
	s_or_b32 exec_lo, exec_lo, s14
	s_delay_alu instid0(SALU_CYCLE_1)
	s_or_not1_b32 s6, s7, exec_lo
.LBB79_291:                             ;   in Loop: Header=BB79_36 Depth=1
	s_or_b32 exec_lo, exec_lo, s24
	v_dual_mov_b32 v9, v5 :: v_dual_mov_b32 v8, v4
	s_and_not1_b32 s7, s22, exec_lo
	s_and_b32 s8, s66, exec_lo
	s_and_not1_b32 s9, s21, exec_lo
	s_and_b32 s10, s25, exec_lo
	s_wait_alu 0xfffe
	s_or_b32 s22, s7, s8
	s_or_b32 s21, s9, s10
	s_and_b32 s7, s6, exec_lo
.LBB79_292:                             ;   in Loop: Header=BB79_36 Depth=1
	s_or_b32 exec_lo, exec_lo, s23
	s_wait_alu 0xfffe
	s_or_not1_b32 s6, s7, exec_lo
.LBB79_293:                             ;   in Loop: Header=BB79_36 Depth=1
	s_or_b32 exec_lo, exec_lo, s19
	s_mov_b32 s7, 0
	s_wait_alu 0xfffe
	s_and_saveexec_b32 s8, s6
	s_wait_alu 0xfffe
	s_xor_b32 s6, exec_lo, s8
	s_cbranch_execz .LBB79_34
; %bb.294:                              ;   in Loop: Header=BB79_36 Depth=1
	v_and_b32_e32 v2, 7, v2
	s_mov_b32 s8, -1
	s_mov_b32 s7, -1
	s_mov_b32 s9, exec_lo
	s_delay_alu instid0(VALU_DEP_1)
	v_cmpx_eq_u32_e32 0, v2
	s_cbranch_execz .LBB79_33
; %bb.295:                              ;   in Loop: Header=BB79_36 Depth=1
	s_xor_b32 s95, s95, 1
	s_add_co_i32 s10, s91, -2
	s_cmp_eq_u32 s91, 0
	s_wait_alu 0xfffe
	s_mov_b32 s91, s10
	s_cselect_b32 s8, -1, 0
	s_xor_b32 s7, exec_lo, -1
	s_wait_alu 0xfffe
	s_or_not1_b32 s8, s8, exec_lo
	s_branch .LBB79_33
.LBB79_296:                             ;   in Loop: Header=BB79_36 Depth=1
                                        ; implicit-def: $sgpr12_sgpr13
	s_branch .LBB79_249
.LBB79_297:                             ;   in Loop: Header=BB79_36 Depth=1
                                        ; implicit-def: $sgpr6_sgpr7
	s_branch .LBB79_265
.LBB79_298:
	s_or_b32 exec_lo, exec_lo, s94
	s_xor_b32 s4, s101, -1
	s_xor_b32 s1, s99, -1
	;; [unrolled: 1-line block ×3, first 2 shown]
	s_mov_b32 s2, 0
	s_and_saveexec_b32 s5, s1
	s_wait_alu 0xfffe
	s_xor_b32 s1, exec_lo, s5
	s_cbranch_execnz .LBB79_303
; %bb.299:
	s_and_not1_saveexec_b32 s0, s1
	s_cbranch_execnz .LBB79_316
.LBB79_300:
	s_wait_alu 0xfffe
	s_or_b32 exec_lo, exec_lo, s0
	s_and_saveexec_b32 s0, s2
.LBB79_301:
	; divergent unreachable
.LBB79_302:
	s_endpgm
.LBB79_303:
	s_and_saveexec_b32 s2, s4
	s_wait_alu 0xfffe
	s_xor_b32 s2, exec_lo, s2
	s_cbranch_execz .LBB79_314
; %bb.304:
	s_and_saveexec_b32 s4, s3
	s_wait_alu 0xfffe
	s_xor_b32 s3, exec_lo, s4
; %bb.305:
	v_mov_b32_e32 v42, v22
; %bb.306:
	s_wait_alu 0xfffe
	s_or_b32 exec_lo, exec_lo, s3
	s_mul_u64 s[4:5], s[40:41], s[36:37]
	v_mov_b32_e32 v2, 0
	s_wait_alu 0xfffe
	s_add_nc_u64 s[4:5], s[48:49], s[4:5]
	s_wait_alu 0xfffe
	s_add_nc_u64 s[4:5], s[4:5], s[26:27]
	global_store_b8 v2, v42, s[4:5]
	s_and_saveexec_b32 s3, s0
	s_cbranch_execz .LBB79_313
; %bb.307:
	v_and_b32_e32 v4, 0xff, v42
	s_mov_b32 s4, 0
                                        ; implicit-def: $sgpr5
                                        ; implicit-def: $sgpr7
                                        ; implicit-def: $sgpr6
	s_branch .LBB79_309
.LBB79_308:                             ;   in Loop: Header=BB79_309 Depth=1
	s_wait_alu 0xfffe
	s_or_b32 exec_lo, exec_lo, s8
	s_delay_alu instid0(SALU_CYCLE_1)
	s_and_b32 s0, exec_lo, s7
	s_wait_alu 0xfffe
	s_or_b32 s4, s0, s4
	s_and_not1_b32 s0, s5, exec_lo
	s_and_b32 s5, s6, exec_lo
	s_wait_alu 0xfffe
	s_or_b32 s5, s0, s5
	s_and_not1_b32 exec_lo, exec_lo, s4
	s_cbranch_execz .LBB79_311
.LBB79_309:                             ; =>This Inner Loop Header: Depth=1
	global_load_u8 v5, v[12:13], off
	v_dual_mov_b32 v3, v1 :: v_dual_mov_b32 v2, v0
	s_or_b32 s6, s6, exec_lo
	s_or_b32 s7, s7, exec_lo
	s_mov_b32 s8, exec_lo
                                        ; implicit-def: $vgpr0_vgpr1
	s_wait_loadcnt 0x0
	v_cmpx_ne_u16_e64 v5, v4
	s_cbranch_execz .LBB79_308
; %bb.310:                              ;   in Loop: Header=BB79_309 Depth=1
	v_add_co_u32 v0, vcc_lo, v2, s46
	s_wait_alu 0xfffd
	v_add_co_ci_u32_e64 v1, null, 0, v3, vcc_lo
	v_add_co_u32 v12, s0, v12, s52
	s_wait_alu 0xf1ff
	v_add_co_ci_u32_e64 v13, null, s53, v13, s0
	s_delay_alu instid0(VALU_DEP_3)
	v_cmp_le_u64_e32 vcc_lo, s[28:29], v[0:1]
	s_wait_alu 0xfffe
	s_and_not1_b32 s0, s7, exec_lo
	s_and_not1_b32 s6, s6, exec_lo
	s_and_b32 s7, vcc_lo, exec_lo
	s_wait_alu 0xfffe
	s_or_b32 s7, s0, s7
	s_branch .LBB79_308
.LBB79_311:
	s_or_b32 exec_lo, exec_lo, s4
	s_wait_alu 0xfffe
	s_and_saveexec_b32 s0, s5
	s_wait_alu 0xfffe
	s_xor_b32 s0, exec_lo, s0
	s_cbranch_execz .LBB79_313
; %bb.312:
	s_mul_u64 s[4:5], s[42:43], s[38:39]
	v_mov_b32_e32 v0, 0
	s_wait_alu 0xfffe
	s_lshl_b64 s[4:5], s[4:5], 3
	s_lshl_b64 s[6:7], s[34:35], 3
	s_wait_alu 0xfffe
	s_add_nc_u64 s[4:5], s[44:45], s[4:5]
	s_wait_alu 0xfffe
	s_add_nc_u64 s[4:5], s[4:5], s[6:7]
	global_store_b64 v0, v[2:3], s[4:5]
.LBB79_313:
	s_wait_alu 0xfffe
	s_or_b32 exec_lo, exec_lo, s3
.LBB79_314:
	s_wait_alu 0xfffe
	s_or_saveexec_b32 s0, s2
	s_mov_b32 s2, 0
	s_wait_alu 0xfffe
	s_xor_b32 exec_lo, exec_lo, s0
	s_cbranch_execnz .LBB79_317
.LBB79_315:
	s_or_b32 exec_lo, exec_lo, s0
	s_wait_alu 0xfffe
	s_and_b32 s2, s2, exec_lo
	s_and_not1_saveexec_b32 s0, s1
	s_cbranch_execz .LBB79_300
.LBB79_316:
	s_wait_alu 0xfffe
	s_or_b32 s2, s2, exec_lo
	s_trap 2
	s_or_b32 exec_lo, exec_lo, s0
	s_wait_alu 0xfffe
	s_and_saveexec_b32 s0, s2
	s_cbranch_execnz .LBB79_301
	s_branch .LBB79_302
.LBB79_317:
	s_mov_b32 s2, exec_lo
	s_trap 2
	s_branch .LBB79_315
	.section	.rodata,"a",@progbits
	.p2align	6, 0x0
	.amdhsa_kernel _ZN2at6native12_GLOBAL__N_112gatherMedianIhmLin1EEEvNS_4cuda6detail10TensorInfoIT_T0_EENS5_IlS7_EENS5_IKS6_S7_EES7_S7_S7_b
		.amdhsa_group_segment_fixed_size 5152
		.amdhsa_private_segment_fixed_size 0
		.amdhsa_kernarg_size 1536
		.amdhsa_user_sgpr_count 2
		.amdhsa_user_sgpr_dispatch_ptr 0
		.amdhsa_user_sgpr_queue_ptr 0
		.amdhsa_user_sgpr_kernarg_segment_ptr 1
		.amdhsa_user_sgpr_dispatch_id 0
		.amdhsa_user_sgpr_private_segment_size 0
		.amdhsa_wavefront_size32 1
		.amdhsa_uses_dynamic_stack 0
		.amdhsa_enable_private_segment 0
		.amdhsa_system_sgpr_workgroup_id_x 1
		.amdhsa_system_sgpr_workgroup_id_y 1
		.amdhsa_system_sgpr_workgroup_id_z 1
		.amdhsa_system_sgpr_workgroup_info 0
		.amdhsa_system_vgpr_workitem_id 0
		.amdhsa_next_free_vgpr 59
		.amdhsa_next_free_sgpr 102
		.amdhsa_reserve_vcc 1
		.amdhsa_float_round_mode_32 0
		.amdhsa_float_round_mode_16_64 0
		.amdhsa_float_denorm_mode_32 3
		.amdhsa_float_denorm_mode_16_64 3
		.amdhsa_fp16_overflow 0
		.amdhsa_workgroup_processor_mode 1
		.amdhsa_memory_ordered 1
		.amdhsa_forward_progress 1
		.amdhsa_inst_pref_size 162
		.amdhsa_round_robin_scheduling 0
		.amdhsa_exception_fp_ieee_invalid_op 0
		.amdhsa_exception_fp_denorm_src 0
		.amdhsa_exception_fp_ieee_div_zero 0
		.amdhsa_exception_fp_ieee_overflow 0
		.amdhsa_exception_fp_ieee_underflow 0
		.amdhsa_exception_fp_ieee_inexact 0
		.amdhsa_exception_int_div_zero 0
	.end_amdhsa_kernel
	.section	.text._ZN2at6native12_GLOBAL__N_112gatherMedianIhmLin1EEEvNS_4cuda6detail10TensorInfoIT_T0_EENS5_IlS7_EENS5_IKS6_S7_EES7_S7_S7_b,"axG",@progbits,_ZN2at6native12_GLOBAL__N_112gatherMedianIhmLin1EEEvNS_4cuda6detail10TensorInfoIT_T0_EENS5_IlS7_EENS5_IKS6_S7_EES7_S7_S7_b,comdat
.Lfunc_end79:
	.size	_ZN2at6native12_GLOBAL__N_112gatherMedianIhmLin1EEEvNS_4cuda6detail10TensorInfoIT_T0_EENS5_IlS7_EENS5_IKS6_S7_EES7_S7_S7_b, .Lfunc_end79-_ZN2at6native12_GLOBAL__N_112gatherMedianIhmLin1EEEvNS_4cuda6detail10TensorInfoIT_T0_EENS5_IlS7_EENS5_IKS6_S7_EES7_S7_S7_b
                                        ; -- End function
	.set _ZN2at6native12_GLOBAL__N_112gatherMedianIhmLin1EEEvNS_4cuda6detail10TensorInfoIT_T0_EENS5_IlS7_EENS5_IKS6_S7_EES7_S7_S7_b.num_vgpr, 59
	.set _ZN2at6native12_GLOBAL__N_112gatherMedianIhmLin1EEEvNS_4cuda6detail10TensorInfoIT_T0_EENS5_IlS7_EENS5_IKS6_S7_EES7_S7_S7_b.num_agpr, 0
	.set _ZN2at6native12_GLOBAL__N_112gatherMedianIhmLin1EEEvNS_4cuda6detail10TensorInfoIT_T0_EENS5_IlS7_EENS5_IKS6_S7_EES7_S7_S7_b.numbered_sgpr, 102
	.set _ZN2at6native12_GLOBAL__N_112gatherMedianIhmLin1EEEvNS_4cuda6detail10TensorInfoIT_T0_EENS5_IlS7_EENS5_IKS6_S7_EES7_S7_S7_b.num_named_barrier, 0
	.set _ZN2at6native12_GLOBAL__N_112gatherMedianIhmLin1EEEvNS_4cuda6detail10TensorInfoIT_T0_EENS5_IlS7_EENS5_IKS6_S7_EES7_S7_S7_b.private_seg_size, 0
	.set _ZN2at6native12_GLOBAL__N_112gatherMedianIhmLin1EEEvNS_4cuda6detail10TensorInfoIT_T0_EENS5_IlS7_EENS5_IKS6_S7_EES7_S7_S7_b.uses_vcc, 1
	.set _ZN2at6native12_GLOBAL__N_112gatherMedianIhmLin1EEEvNS_4cuda6detail10TensorInfoIT_T0_EENS5_IlS7_EENS5_IKS6_S7_EES7_S7_S7_b.uses_flat_scratch, 0
	.set _ZN2at6native12_GLOBAL__N_112gatherMedianIhmLin1EEEvNS_4cuda6detail10TensorInfoIT_T0_EENS5_IlS7_EENS5_IKS6_S7_EES7_S7_S7_b.has_dyn_sized_stack, 0
	.set _ZN2at6native12_GLOBAL__N_112gatherMedianIhmLin1EEEvNS_4cuda6detail10TensorInfoIT_T0_EENS5_IlS7_EENS5_IKS6_S7_EES7_S7_S7_b.has_recursion, 0
	.set _ZN2at6native12_GLOBAL__N_112gatherMedianIhmLin1EEEvNS_4cuda6detail10TensorInfoIT_T0_EENS5_IlS7_EENS5_IKS6_S7_EES7_S7_S7_b.has_indirect_call, 0
	.section	.AMDGPU.csdata,"",@progbits
; Kernel info:
; codeLenInByte = 20656
; TotalNumSgprs: 104
; NumVgprs: 59
; ScratchSize: 0
; MemoryBound: 0
; FloatMode: 240
; IeeeMode: 1
; LDSByteSize: 5152 bytes/workgroup (compile time only)
; SGPRBlocks: 0
; VGPRBlocks: 7
; NumSGPRsForWavesPerEU: 104
; NumVGPRsForWavesPerEU: 59
; Occupancy: 16
; WaveLimiterHint : 1
; COMPUTE_PGM_RSRC2:SCRATCH_EN: 0
; COMPUTE_PGM_RSRC2:USER_SGPR: 2
; COMPUTE_PGM_RSRC2:TRAP_HANDLER: 0
; COMPUTE_PGM_RSRC2:TGID_X_EN: 1
; COMPUTE_PGM_RSRC2:TGID_Y_EN: 1
; COMPUTE_PGM_RSRC2:TGID_Z_EN: 1
; COMPUTE_PGM_RSRC2:TIDIG_COMP_CNT: 0
	.section	.text._ZN2at6native12_GLOBAL__N_112gatherMedianIajLi1EEEvNS_4cuda6detail10TensorInfoIT_T0_EENS5_IlS7_EENS5_IKS6_S7_EES7_S7_S7_b,"axG",@progbits,_ZN2at6native12_GLOBAL__N_112gatherMedianIajLi1EEEvNS_4cuda6detail10TensorInfoIT_T0_EENS5_IlS7_EENS5_IKS6_S7_EES7_S7_S7_b,comdat
	.globl	_ZN2at6native12_GLOBAL__N_112gatherMedianIajLi1EEEvNS_4cuda6detail10TensorInfoIT_T0_EENS5_IlS7_EENS5_IKS6_S7_EES7_S7_S7_b ; -- Begin function _ZN2at6native12_GLOBAL__N_112gatherMedianIajLi1EEEvNS_4cuda6detail10TensorInfoIT_T0_EENS5_IlS7_EENS5_IKS6_S7_EES7_S7_S7_b
	.p2align	8
	.type	_ZN2at6native12_GLOBAL__N_112gatherMedianIajLi1EEEvNS_4cuda6detail10TensorInfoIT_T0_EENS5_IlS7_EENS5_IKS6_S7_EES7_S7_S7_b,@function
_ZN2at6native12_GLOBAL__N_112gatherMedianIajLi1EEEvNS_4cuda6detail10TensorInfoIT_T0_EENS5_IlS7_EENS5_IKS6_S7_EES7_S7_S7_b: ; @_ZN2at6native12_GLOBAL__N_112gatherMedianIajLi1EEEvNS_4cuda6detail10TensorInfoIT_T0_EENS5_IlS7_EENS5_IKS6_S7_EES7_S7_S7_b
; %bb.0:
	s_clause 0x1
	s_load_b64 s[4:5], s[0:1], 0x298
	s_load_b128 s[36:39], s[0:1], 0x288
	s_lshr_b32 s2, ttmp7, 16
	s_and_b32 s3, ttmp7, 0xffff
	s_wait_kmcnt 0x0
	s_mul_i32 s2, s5, s2
	s_delay_alu instid0(SALU_CYCLE_1) | instskip(NEXT) | instid1(SALU_CYCLE_1)
	s_add_co_i32 s2, s2, s3
	s_mul_i32 s31, s2, s4
	s_delay_alu instid0(SALU_CYCLE_1) | instskip(NEXT) | instid1(SALU_CYCLE_1)
	s_add_co_i32 s31, s31, ttmp9
	s_cmp_ge_u32 s31, s37
	s_cbranch_scc1 .LBB80_250
; %bb.1:
	v_cmp_eq_u32_e64 s2, 0, v0
	s_and_saveexec_b32 s3, s2
; %bb.2:
	v_mov_b32_e32 v1, 0
	s_delay_alu instid0(VALU_DEP_1)
	v_mov_b32_e32 v2, v1
	ds_store_b64 v1, v[1:2] offset:4096
; %bb.3:
	s_or_b32 exec_lo, exec_lo, s3
	v_mov_b32_e32 v1, 0
	s_wait_dscnt 0x0
	s_barrier_signal -1
	s_barrier_wait -1
	global_inv scope:SCOPE_SE
	s_wait_loadcnt 0x0
	s_barrier_signal -1
	s_barrier_wait -1
	global_inv scope:SCOPE_SE
	ds_load_b64 v[1:2], v1 offset:4096
	s_bitcmp1_b32 s39, 0
	s_mov_b32 s11, s36
	s_cselect_b32 s5, -1, 0
	s_wait_dscnt 0x0
	v_readfirstlane_b32 s6, v1
	v_readfirstlane_b32 s7, v2
	s_delay_alu instid0(VALU_DEP_1) | instskip(SKIP_1) | instid1(SALU_CYCLE_1)
	v_cmp_lt_i64_e64 s3, s[6:7], 1
	s_or_b32 s3, s5, s3
	s_and_not1_b32 vcc_lo, exec_lo, s3
	s_cbranch_vccnz .LBB80_5
; %bb.4:
	s_not_b64 s[6:7], s[6:7]
	s_mov_b32 s37, 0
	s_wait_alu 0xfffe
	s_add_nc_u64 s[6:7], s[6:7], s[36:37]
	s_mov_b32 s9, s37
	s_wait_alu 0xfffe
	s_lshr_b32 s8, s7, 31
	s_delay_alu instid0(SALU_CYCLE_1)
	s_add_nc_u64 s[6:7], s[6:7], s[8:9]
	s_wait_alu 0xfffe
	s_lshr_b64 s[6:7], s[6:7], 1
	s_wait_alu 0xfffe
	s_add_co_i32 s11, s6, 1
.LBB80_5:
	s_clause 0x2
	s_load_b64 s[40:41], s[0:1], 0x0
	s_load_b32 s3, s[0:1], 0x21c
	s_load_b64 s[6:7], s[0:1], 0x1b0
	s_add_nc_u64 s[12:13], s[0:1], 0x298
	s_and_saveexec_b32 s5, s2
	s_cbranch_execz .LBB80_7
; %bb.6:
	v_dual_mov_b32 v1, 0 :: v_dual_mov_b32 v2, s36
	ds_store_b32 v1, v1 offset:4112
	ds_store_b64 v1, v[1:2] offset:4104
.LBB80_7:
	s_or_b32 exec_lo, exec_lo, s5
	s_wait_loadcnt_dscnt 0x0
	s_barrier_signal -1
	s_barrier_wait -1
	global_inv scope:SCOPE_SE
	s_load_b32 s5, s[12:13], 0xc
	s_clause 0x2
	s_load_b32 s33, s[0:1], 0x144
	s_load_b64 s[34:35], s[0:1], 0xd8
	s_load_b32 s39, s[0:1], 0x6c
	v_mul_lo_u32 v15, s38, v0
	s_wait_kmcnt 0x0
	s_mul_i32 s44, s3, s31
	s_mov_b32 s45, 0
	v_mbcnt_lo_u32_b32 v16, -1, 0
	s_add_nc_u64 s[42:43], s[6:7], s[44:45]
	v_dual_mov_b32 v34, s11 :: v_dual_add_nc_u32 v1, 2, v0
	v_cmp_gt_u32_e32 vcc_lo, 32, v0
	v_add_co_u32 v9, s6, s42, v15
	s_wait_alu 0xf1ff
	v_add_co_ci_u32_e64 v10, null, s43, 0, s6
	v_cmp_gt_i32_e64 s3, 4, v16
	v_max_u32_e32 v3, s36, v1
	v_lshlrev_b64_e64 v[1:2], v16, -1
	v_dual_mov_b32 v18, 0 :: v_dual_lshlrev_b32 v17, 2, v0
	s_and_b32 s37, s5, 0xffff
	s_and_b32 s52, vcc_lo, s3
	s_wait_alu 0xfffe
	s_lshl_b32 s54, s37, 2
	s_add_co_i32 s53, s37, -1
	s_cvt_f32_u32 s6, s54
	s_bfe_u32 s5, s5, 0xb0005
	s_add_co_i32 s10, s53, s36
	s_cmp_gt_u32 s36, 0xc00
	s_wait_alu 0xfffe
	v_rcp_iflag_f32_e32 v4, s6
	s_cselect_b32 s55, -1, 0
	s_cmp_gt_u32 s37, 31
	v_not_b32_e32 v19, v1
	v_lshrrev_b32_e32 v1, 1, v0
	s_cselect_b32 s56, -1, 0
	s_cmp_lt_u32 ttmp9, s4
	s_movk_i32 s6, 0x1f0
	s_cselect_b32 s44, 12, 18
	s_add_co_i32 s4, s5, -1
	s_wait_alu 0xfffe
	v_and_or_b32 v20, v1, s6, 0xc00
	v_readfirstlane_b32 s6, v4
	s_and_b32 s4, s4, 0xffff
	s_bfe_u32 s58, s37, 0x30005
	s_cmp_gt_u32 s4, 6
	v_xad_u32 v2, v0, -1, v3
	s_cselect_b32 s59, -1, 0
	s_and_b32 s60, s5, 0x7f8
	s_mul_f32 s5, s6, 0x4f7ffffe
	s_cvt_f32_u32 s6, s37
	s_cmp_lg_u32 s58, 0
	v_add_nc_u32_e32 v3, -4, v2
	s_cvt_u32_f32 s5, s5
	s_cselect_b32 s61, -1, 0
	s_sub_co_i32 s7, 0, s54
	s_wait_alu 0xfffe
	v_rcp_iflag_f32_e32 v4, s6
	s_mul_i32 s7, s7, s5
	v_mad_co_u64_u32 v[13:14], null, s38, v17, s[38:39]
	s_wait_alu 0xfffe
	s_mul_hi_u32 s6, s5, s7
	v_mov_b32_e32 v14, 0
	s_wait_alu 0xfffe
	s_add_co_i32 s46, s5, s6
	v_lshrrev_b32_e32 v5, 2, v3
	s_mul_hi_u32 s5, s36, s46
	v_mov_b32_e32 v32, 0
	s_mul_i32 s5, s5, s54
	v_readfirstlane_b32 s6, v4
	s_sub_co_i32 s5, s36, s5
	v_add_nc_u32_e32 v1, 1, v5
	s_sub_co_i32 s7, s5, s54
	s_cmp_ge_u32 s5, s54
	s_mul_f32 s6, s6, 0x4f7ffffe
	s_wait_alu 0xfffe
	s_cselect_b32 s7, s7, s5
	v_dual_mov_b32 v31, 0 :: v_dual_and_b32 v4, 3, v1
	s_wait_alu 0xfffe
	s_sub_co_i32 s8, s7, s54
	s_cmp_ge_u32 s7, s54
	s_cvt_u32_f32 s9, s6
	s_cselect_b32 s14, s8, s7
	s_sub_co_i32 s6, 0, s37
	s_sub_co_i32 s66, s36, s14
	s_wait_alu 0xfffe
	s_mul_i32 s7, s6, s9
	v_add_nc_u32_e32 v24, s66, v0
	s_wait_alu 0xfffe
	s_mul_hi_u32 s8, s9, s7
	v_and_b32_e32 v23, 0x7ffffffc, v1
	s_add_co_i32 s48, s9, s8
	v_and_b32_e32 v21, -4, v2
	s_mul_hi_u32 s8, s10, s48
	v_mul_lo_u32 v1, v24, s38
	s_mul_i32 s8, s8, s37
	v_cmp_lt_u32_e64 s4, 31, v2
	s_sub_co_i32 s8, s10, s8
	v_cmp_lt_u32_e64 s5, 11, v3
	s_sub_co_i32 s9, s8, s37
	s_cmp_ge_u32 s8, s37
	v_cmp_ne_u32_e64 s7, v2, v21
	s_cselect_b32 s15, s9, s8
	v_or_b32_e32 v2, 2, v17
	s_sub_co_i32 s16, s15, s37
	s_cmp_ge_u32 s15, s37
	v_or_b32_e32 v3, 3, v17
	s_cselect_b32 s15, s16, s15
	v_add_co_u32 v11, s16, s42, v1
	v_add3_u32 v1, s37, s36, v0
	v_mul_lo_u32 v26, s38, v2
	v_mul_lo_u32 v27, s38, v3
	s_sub_co_i32 s67, s10, s15
	v_cmp_gt_u32_e64 s0, s36, v0
	v_subrev_nc_u32_e32 v1, s14, v1
	v_cmp_eq_u32_e64 s1, 0, v16
	v_cmp_gt_u32_e64 s3, 2, v0
	v_dual_mov_b32 v33, 0 :: v_dual_add_nc_u32 v22, v0, v21
	s_delay_alu instid0(VALU_DEP_4)
	v_mul_lo_u32 v29, s38, v1
	v_cmp_ne_u32_e64 s6, 0, v4
	v_cmp_gt_u32_e64 s8, s66, v17
	v_cmp_gt_u32_e64 s9, s36, v24
	v_add_co_ci_u32_e64 v12, null, s43, 0, s16
	s_wait_alu 0xfffe
	v_cmp_gt_u32_e64 s10, s67, v0
	v_lshlrev_b32_e32 v25, 2, v4
	v_lshlrev_b32_e32 v28, 2, v15
	v_lshl_or_b32 v30, v16, 2, 0xc00
	s_mul_i32 s57, s38, s37
	s_mov_b32 s62, s38
	s_mov_b32 s63, s38
	s_mov_b32 s64, s38
	s_mov_b32 s65, s38
	s_mov_b32 s76, 6
	s_mov_b32 s47, s45
	s_mov_b32 s49, s45
	s_lshl_b32 s68, s57, 2
	s_add_nc_u64 s[50:51], s[12:13], s[44:45]
	s_mov_b32 s69, 0
                                        ; implicit-def: $sgpr73
                                        ; implicit-def: $sgpr75
                                        ; implicit-def: $sgpr70
                                        ; implicit-def: $sgpr72
                                        ; implicit-def: $sgpr74
                                        ; implicit-def: $sgpr71
	s_branch .LBB80_11
.LBB80_8:                               ;   in Loop: Header=BB80_11 Depth=1
	s_wait_alu 0xfffe
	s_or_b32 exec_lo, exec_lo, s15
	s_delay_alu instid0(SALU_CYCLE_1)
	s_and_b32 s12, s12, exec_lo
	s_and_not1_b32 s17, s17, exec_lo
	s_and_not1_b32 s16, s16, exec_lo
	s_or_not1_b32 s14, s14, exec_lo
.LBB80_9:                               ;   in Loop: Header=BB80_11 Depth=1
	s_wait_alu 0xfffe
	s_or_b32 exec_lo, exec_lo, s11
	s_delay_alu instid0(SALU_CYCLE_1)
	s_and_not1_b32 s11, s71, exec_lo
	s_and_b32 s12, s12, exec_lo
	s_and_not1_b32 s15, s72, exec_lo
	s_wait_alu 0xfffe
	s_or_b32 s71, s11, s12
	s_and_not1_b32 s11, s74, exec_lo
	s_and_b32 s12, s17, exec_lo
	s_and_b32 s16, s16, exec_lo
	s_wait_alu 0xfffe
	s_or_b32 s74, s11, s12
	s_or_b32 s72, s15, s16
	s_or_not1_b32 s15, s14, exec_lo
.LBB80_10:                              ;   in Loop: Header=BB80_11 Depth=1
	s_wait_alu 0xfffe
	s_or_b32 exec_lo, exec_lo, s13
	s_delay_alu instid0(SALU_CYCLE_1)
	s_and_b32 s11, exec_lo, s15
	v_mov_b32_e32 v34, v2
	s_wait_alu 0xfffe
	s_or_b32 s69, s11, s69
	s_and_not1_b32 s11, s70, exec_lo
	s_and_b32 s12, s71, exec_lo
	s_and_not1_b32 s13, s75, exec_lo
	s_wait_alu 0xfffe
	s_or_b32 s70, s11, s12
	s_and_b32 s11, s74, exec_lo
	s_and_not1_b32 s12, s73, exec_lo
	s_and_b32 s14, s72, exec_lo
	s_wait_alu 0xfffe
	s_or_b32 s75, s13, s11
	s_or_b32 s73, s12, s14
	s_mov_b32 s76, s22
	s_and_not1_b32 exec_lo, exec_lo, s69
	s_cbranch_execz .LBB80_246
.LBB80_11:                              ; =>This Loop Header: Depth=1
                                        ;     Child Loop BB80_16 Depth 2
                                        ;     Child Loop BB80_37 Depth 2
	;; [unrolled: 1-line block ×18, first 2 shown]
	ds_load_b64 v[1:2], v18 offset:4104
	s_wait_dscnt 0x0
	v_readfirstlane_b32 s44, v1
	s_cmp_lg_u32 s44, 0
	s_cbranch_scc1 .LBB80_56
; %bb.12:                               ;   in Loop: Header=BB80_11 Depth=1
	s_and_b32 vcc_lo, exec_lo, s55
	s_wait_alu 0xfffe
	s_cbranch_vccz .LBB80_24
; %bb.13:                               ;   in Loop: Header=BB80_11 Depth=1
	v_cmp_gt_u32_e32 vcc_lo, 0xc01, v2
	s_mov_b32 s13, 0
	s_mov_b32 s11, 0
	s_cbranch_vccz .LBB80_25
; %bb.14:                               ;   in Loop: Header=BB80_11 Depth=1
	global_load_u8 v2, v[9:10], off
	s_load_u16 s14, s[50:51], 0x0
	v_mov_b32_e32 v3, v0
	s_mov_b32 s15, 0
	s_wait_kmcnt 0x0
	v_add_nc_u32_e32 v1, s14, v0
	s_mul_i32 s16, s38, s14
	s_delay_alu instid0(VALU_DEP_1)
	v_mul_lo_u32 v1, s38, v1
	s_branch .LBB80_16
.LBB80_15:                              ;   in Loop: Header=BB80_16 Depth=2
	s_wait_alu 0xfffe
	s_or_b32 exec_lo, exec_lo, s12
	v_dual_mov_b32 v2, v4 :: v_dual_add_nc_u32 v1, s16, v1
	s_and_not1_b32 exec_lo, exec_lo, s15
	s_cbranch_execz .LBB80_31
.LBB80_16:                              ;   Parent Loop BB80_11 Depth=1
                                        ; =>  This Inner Loop Header: Depth=2
	v_dual_mov_b32 v4, 0 :: v_dual_add_nc_u32 v3, s14, v3
	s_wait_dscnt 0x0
	v_mov_b32_e32 v5, 0
	s_mov_b32 s12, exec_lo
	s_delay_alu instid0(VALU_DEP_2)
	v_cmp_le_u32_e32 vcc_lo, s36, v3
	v_cmpx_gt_u32_e64 s36, v3
	s_cbranch_execz .LBB80_18
; %bb.17:                               ;   in Loop: Header=BB80_16 Depth=2
	global_load_u8 v4, v1, s[42:43]
.LBB80_18:                              ;   in Loop: Header=BB80_16 Depth=2
	s_wait_alu 0xfffe
	s_or_b32 exec_lo, exec_lo, s12
	s_wait_loadcnt 0x0
	v_bfe_i32 v6, v2, 0, 8
	s_delay_alu instid0(VALU_DEP_1) | instskip(NEXT) | instid1(VALU_DEP_1)
	v_add_nc_u32_e32 v6, 0x80, v6
	v_and_b32_e32 v6, v6, v32
	s_delay_alu instid0(VALU_DEP_1)
	v_cmp_eq_u32_e64 s11, v6, v14
	s_cmp_lg_u32 s11, 0
	s_cselect_b32 s12, -1, 0
	s_wait_alu 0xfffe
	s_and_b32 s12, s1, s12
	s_wait_alu 0xfffe
	s_and_saveexec_b32 s17, s12
	s_cbranch_execz .LBB80_22
; %bb.19:                               ;   in Loop: Header=BB80_16 Depth=2
	s_mov_b32 s20, exec_lo
	s_bcnt1_i32_b32 s18, s11
	s_wait_alu 0xfffe
	v_mbcnt_lo_u32_b32 v5, s20, 0
	s_mov_b32 s19, exec_lo
                                        ; implicit-def: $vgpr6
	s_delay_alu instid0(VALU_DEP_1)
	v_cmpx_eq_u32_e32 0, v5
; %bb.20:                               ;   in Loop: Header=BB80_16 Depth=2
	s_bcnt1_i32_b32 s12, s20
	s_wait_alu 0xfffe
	s_mul_i32 s12, s18, s12
	s_wait_alu 0xfffe
	v_mov_b32_e32 v6, s12
	ds_add_rtn_u32 v6, v18, v6 offset:4112
; %bb.21:                               ;   in Loop: Header=BB80_16 Depth=2
	s_or_b32 exec_lo, exec_lo, s19
	s_wait_dscnt 0x0
	v_readfirstlane_b32 s12, v6
	s_wait_alu 0xf1ff
	s_delay_alu instid0(VALU_DEP_1)
	v_mad_u32_u24 v5, s18, v5, s12
.LBB80_22:                              ;   in Loop: Header=BB80_16 Depth=2
	s_wait_alu 0xfffe
	s_or_b32 exec_lo, exec_lo, s17
	ds_bpermute_b32 v5, v18, v5
	s_and_b32 s12, exec_lo, vcc_lo
	s_wait_alu 0xfffe
	s_or_b32 s15, s12, s15
	s_and_saveexec_b32 s12, s11
	s_cbranch_execz .LBB80_15
; %bb.23:                               ;   in Loop: Header=BB80_16 Depth=2
	v_and_b32_e32 v6, s11, v19
	s_wait_dscnt 0x0
	s_delay_alu instid0(VALU_DEP_1)
	v_bcnt_u32_b32 v5, v6, v5
	ds_store_b8 v5, v2
	s_branch .LBB80_15
.LBB80_24:                              ;   in Loop: Header=BB80_11 Depth=1
	s_mov_b32 s13, -1
	s_mov_b32 s11, 0
.LBB80_25:                              ;   in Loop: Header=BB80_11 Depth=1
	s_wait_alu 0xfffe
	s_and_b32 vcc_lo, exec_lo, s13
	s_wait_alu 0xfffe
	s_cbranch_vccz .LBB80_54
.LBB80_26:                              ;   in Loop: Header=BB80_11 Depth=1
	s_and_saveexec_b32 s12, s0
	s_cbranch_execz .LBB80_51
; %bb.27:                               ;   in Loop: Header=BB80_11 Depth=1
	global_load_u8 v35, v[9:10], off
	s_load_u16 s14, s[50:51], 0x0
	s_mov_b32 s13, exec_lo
	s_wait_kmcnt 0x0
	v_dual_mov_b32 v2, v0 :: v_dual_add_nc_u32 v1, s14, v0
	s_delay_alu instid0(VALU_DEP_1)
	v_cmpx_gt_u32_e64 s36, v1
	s_cbranch_execz .LBB80_50
; %bb.28:                               ;   in Loop: Header=BB80_11 Depth=1
	s_mov_b32 s11, 0
	s_mul_i32 s15, s38, s14
                                        ; implicit-def: $vgpr2
                                        ; implicit-def: $vgpr5
                                        ; implicit-def: $vgpr3
                                        ; implicit-def: $vgpr4
	s_and_saveexec_b32 s16, s4
	s_wait_alu 0xfffe
	s_xor_b32 s16, exec_lo, s16
	s_cbranch_execnz .LBB80_34
; %bb.29:                               ;   in Loop: Header=BB80_11 Depth=1
	s_wait_alu 0xfffe
	s_and_not1_saveexec_b32 s16, s16
	s_cbranch_execnz .LBB80_45
.LBB80_30:                              ;   in Loop: Header=BB80_11 Depth=1
	s_wait_alu 0xfffe
	s_or_b32 exec_lo, exec_lo, s16
	s_and_saveexec_b32 s15, s11
	s_cbranch_execnz .LBB80_46
	s_branch .LBB80_49
.LBB80_31:                              ;   in Loop: Header=BB80_11 Depth=1
	s_or_b32 exec_lo, exec_lo, s15
	s_wait_dscnt 0x0
	s_barrier_signal -1
	s_barrier_wait -1
	global_inv scope:SCOPE_SE
	s_and_saveexec_b32 s11, s2
	s_cbranch_execz .LBB80_33
; %bb.32:                               ;   in Loop: Header=BB80_11 Depth=1
	ds_load_b32 v1, v18 offset:4112
	s_wait_dscnt 0x0
	ds_store_b32 v18, v1 offset:4104
.LBB80_33:                              ;   in Loop: Header=BB80_11 Depth=1
	s_wait_alu 0xfffe
	s_or_b32 exec_lo, exec_lo, s11
	s_wait_loadcnt_dscnt 0x0
	s_barrier_signal -1
	s_mov_b32 s11, -1
	s_barrier_wait -1
	s_and_b32 vcc_lo, exec_lo, s13
	s_wait_alu 0xfffe
	s_cbranch_vccnz .LBB80_26
	s_branch .LBB80_54
.LBB80_34:                              ;   in Loop: Header=BB80_11 Depth=1
	v_add_nc_u32_e32 v2, s14, v1
	s_cvt_f32_u32 s11, s14
	s_wait_alu 0xfffe
	s_delay_alu instid0(SALU_CYCLE_2) | instskip(NEXT) | instid1(VALU_DEP_1)
	v_rcp_iflag_f32_e32 v3, s11
	v_max_u32_e32 v2, s36, v2
	s_lshl_b32 s11, s14, 1
	s_delay_alu instid0(VALU_DEP_1) | instskip(NEXT) | instid1(TRANS32_DEP_1)
	v_sub_nc_u32_e32 v2, v2, v0
	v_readfirstlane_b32 s17, v3
	s_wait_alu 0xfffe
	s_delay_alu instid0(VALU_DEP_2) | instskip(SKIP_3) | instid1(VALU_DEP_1)
	v_cmp_ne_u32_e32 vcc_lo, s11, v2
	s_mul_f32 s17, s17, 0x4f7ffffe
	s_wait_alu 0xfffd
	v_cndmask_b32_e64 v3, 0, 1, vcc_lo
	v_or_b32_e32 v3, s11, v3
	s_wait_alu 0xfffe
	s_cvt_u32_f32 s11, s17
	s_sub_co_i32 s17, 0, s14
	s_wait_alu 0xfffe
	s_delay_alu instid0(SALU_CYCLE_1)
	s_mul_i32 s17, s17, s11
	v_sub_nc_u32_e32 v2, v2, v3
	s_wait_alu 0xfffe
	s_mul_hi_u32 s17, s11, s17
	s_wait_alu 0xfffe
	s_add_co_i32 s11, s11, s17
	s_not_b32 s17, s15
	s_wait_alu 0xfffe
	v_mul_hi_u32 v3, v2, s11
	s_delay_alu instid0(VALU_DEP_1) | instskip(NEXT) | instid1(VALU_DEP_1)
	v_mul_lo_u32 v4, v3, s14
	v_sub_nc_u32_e32 v2, v2, v4
	v_add_nc_u32_e32 v4, 1, v3
	s_delay_alu instid0(VALU_DEP_2) | instskip(SKIP_2) | instid1(VALU_DEP_1)
	v_subrev_nc_u32_e32 v5, s14, v2
	v_cmp_le_u32_e64 s11, s14, v2
	s_wait_alu 0xf1ff
	v_cndmask_b32_e64 v3, v3, v4, s11
	s_delay_alu instid0(VALU_DEP_3) | instskip(NEXT) | instid1(VALU_DEP_2)
	v_cndmask_b32_e64 v2, v2, v5, s11
	v_add_nc_u32_e32 v4, 1, v3
	s_delay_alu instid0(VALU_DEP_2) | instskip(SKIP_1) | instid1(VALU_DEP_1)
	v_cmp_le_u32_e64 s11, s14, v2
	s_wait_alu 0xf1ff
	v_cndmask_b32_e64 v2, v3, v4, s11
	v_mul_lo_u32 v3, s38, v1
	s_abs_i32 s11, s15
	s_delay_alu instid0(VALU_DEP_2) | instskip(SKIP_1) | instid1(VALU_DEP_1)
	v_add_co_ci_u32_e64 v2, null, 0, v2, vcc_lo
	s_wait_alu 0xfffe
	v_mul_hi_u32 v4, s11, v2
	v_mul_lo_u32 v2, s11, v2
	s_ashr_i32 s11, s17, 31
	s_cmp_eq_u32 s14, 1
	s_wait_alu 0xfffe
	v_xor_b32_e32 v3, s11, v3
	s_cselect_b32 s17, -1, 0
	s_delay_alu instid0(VALU_DEP_3) | instskip(NEXT) | instid1(VALU_DEP_2)
	v_cmp_eq_u32_e32 vcc_lo, 0, v4
	v_cmp_le_u32_e64 s11, v2, v3
	v_mov_b32_e32 v3, v0
                                        ; implicit-def: $vgpr2
	s_wait_alu 0xfffe
	s_and_b32 s17, vcc_lo, s17
	s_wait_alu 0xfffe
	s_and_b32 s18, s17, s11
	s_mov_b32 s17, -1
	s_wait_alu 0xfffe
	s_and_saveexec_b32 s11, s18
	s_cbranch_execz .LBB80_44
; %bb.35:                               ;   in Loop: Header=BB80_11 Depth=1
	v_add_nc_u32_e32 v4, 3, v1
	v_dual_mov_b32 v38, 0 :: v_dual_add_nc_u32 v3, 2, v1
	v_add_nc_u32_e32 v2, 1, v1
	s_wait_loadcnt 0x0
	v_lshlrev_b32_e32 v36, 24, v35
	v_dual_mov_b32 v8, v4 :: v_dual_mov_b32 v5, v1
	s_delay_alu instid0(VALU_DEP_3)
	v_dual_mov_b32 v7, v3 :: v_dual_mov_b32 v6, v2
                                        ; implicit-def: $vgpr35
	s_and_saveexec_b32 s17, s5
	s_cbranch_execz .LBB80_39
; %bb.36:                               ;   in Loop: Header=BB80_11 Depth=1
	v_dual_mov_b32 v37, v23 :: v_dual_mov_b32 v8, v4
	v_dual_mov_b32 v7, v3 :: v_dual_mov_b32 v6, v2
	v_mov_b32_e32 v5, v1
	s_mov_b32 s18, 0
	s_mov_b32 s19, 0
.LBB80_37:                              ;   Parent Loop BB80_11 Depth=1
                                        ; =>  This Inner Loop Header: Depth=2
	s_delay_alu instid0(VALU_DEP_1)
	v_mul_lo_u32 v2, v5, s62
	v_mul_lo_u32 v38, v6, s63
	v_add_nc_u32_e32 v3, 4, v5
	v_mul_lo_u32 v35, v7, s64
	v_add_nc_u32_e32 v39, 4, v6
	;; [unrolled: 2-line block ×3, first 2 shown]
	v_mul_lo_u32 v53, v3, s62
	v_add_co_u32 v2, s20, s42, v2
	v_add_nc_u32_e32 v41, 4, v8
	v_add_nc_u32_e32 v42, 8, v5
	v_mul_lo_u32 v52, v39, s63
	s_wait_alu 0xf1ff
	v_add_co_ci_u32_e64 v3, null, s43, 0, s20
	v_add_co_u32 v38, s20, s42, v38
	v_add_nc_u32_e32 v43, 8, v6
	v_add_nc_u32_e32 v44, 8, v7
	v_mul_lo_u32 v51, v40, s64
	s_wait_alu 0xf1ff
	v_add_co_ci_u32_e64 v39, null, s43, 0, s20
	v_add_co_u32 v40, s20, s42, v35
	v_add_nc_u32_e32 v45, 8, v8
	v_add_nc_u32_e32 v46, 12, v5
	v_mul_lo_u32 v50, v41, s65
	v_mul_lo_u32 v55, v42, s62
	s_wait_alu 0xf1ff
	v_add_co_ci_u32_e64 v41, null, s43, 0, s20
	v_add_co_u32 v42, s20, s42, v4
	v_add_nc_u32_e32 v47, 12, v6
	v_add_nc_u32_e32 v48, 12, v7
	v_mul_lo_u32 v56, v44, s64
	v_mul_lo_u32 v54, v43, s63
	s_wait_alu 0xf1ff
	v_add_co_ci_u32_e64 v43, null, s43, 0, s20
	v_add_co_u32 v44, s20, s42, v53
	v_add_nc_u32_e32 v49, 12, v8
	v_mul_lo_u32 v58, v45, s65
	v_mul_lo_u32 v60, v46, s62
	s_wait_alu 0xf1ff
	v_add_co_ci_u32_e64 v45, null, s43, 0, s20
	v_add_co_u32 v46, s20, s42, v52
	v_mul_lo_u32 v64, v48, s64
	v_mul_lo_u32 v62, v47, s63
	s_wait_alu 0xf1ff
	v_add_co_ci_u32_e64 v47, null, s43, 0, s20
	v_add_co_u32 v48, s20, s42, v51
	v_mul_lo_u32 v66, v49, s65
	s_wait_alu 0xf1ff
	v_add_co_ci_u32_e64 v49, null, s43, 0, s20
	v_add_co_u32 v50, s20, s42, v50
	s_wait_alu 0xf1ff
	v_add_co_ci_u32_e64 v51, null, s43, 0, s20
	v_add_co_u32 v52, s20, s42, v55
	;; [unrolled: 3-line block ×9, first 2 shown]
	s_wait_alu 0xf1ff
	v_add_co_ci_u32_e64 v67, null, s43, 0, s20
	s_clause 0xf
	global_load_u8 v4, v[40:41], off
	global_load_u8 v40, v[42:43], off
	;; [unrolled: 1-line block ×16, first 2 shown]
	v_add_nc_u32_e32 v37, -4, v37
	s_wait_alu 0xfffe
	v_add_nc_u32_e32 v51, s19, v0
	s_add_co_i32 s19, s19, 16
	v_add_nc_u32_e32 v8, 16, v8
	v_add_nc_u32_e32 v7, 16, v7
	v_cmp_eq_u32_e32 vcc_lo, 0, v37
	v_add_nc_u32_e32 v6, 16, v6
	s_wait_alu 0xfffe
	v_dual_mov_b32 v38, s19 :: v_dual_add_nc_u32 v5, 16, v5
	s_or_b32 s18, vcc_lo, s18
	s_wait_loadcnt 0x9
	v_perm_b32 v4, v39, v4, 0xc0c0004
	s_wait_loadcnt 0x8
	v_perm_b32 v2, v36, v2, 0xc0c0007
	v_perm_b32 v36, v40, v41, 0xc0c0004
	v_perm_b32 v40, v44, v42, 0xc0c0004
	s_wait_loadcnt 0x7
	v_perm_b32 v3, v43, v3, 0xc0c0004
	s_wait_loadcnt 0x4
	v_perm_b32 v41, v47, v45, 0xc0c0004
	v_lshl_or_b32 v39, v4, 16, v2
	s_wait_loadcnt 0x2
	v_perm_b32 v44, v48, v49, 0xc0c0004
	s_wait_loadcnt 0x1
	v_perm_b32 v43, v50, v48, 0xc0c0004
	v_perm_b32 v42, v46, v50, 0xc0c0004
	s_wait_loadcnt 0x0
	v_perm_b32 v45, v49, v35, 0xc0c0004
	v_lshl_or_b32 v40, v40, 16, v36
	v_lshl_or_b32 v41, v41, 16, v3
	;; [unrolled: 1-line block ×3, first 2 shown]
	s_delay_alu instid0(VALU_DEP_4)
	v_lshl_or_b32 v36, v45, 16, v43
	ds_store_b128 v51, v[39:42]
	s_wait_alu 0xfffe
	s_and_not1_b32 exec_lo, exec_lo, s18
	s_cbranch_execnz .LBB80_37
; %bb.38:                               ;   in Loop: Header=BB80_11 Depth=1
	s_or_b32 exec_lo, exec_lo, s18
.LBB80_39:                              ;   in Loop: Header=BB80_11 Depth=1
	s_wait_alu 0xfffe
	s_or_b32 exec_lo, exec_lo, s17
	s_and_saveexec_b32 s17, s6
	s_cbranch_execz .LBB80_43
; %bb.40:                               ;   in Loop: Header=BB80_11 Depth=1
	v_dual_mov_b32 v3, v25 :: v_dual_add_nc_u32 v2, v0, v38
	s_mov_b32 s18, 0
.LBB80_41:                              ;   Parent Loop BB80_11 Depth=1
                                        ; =>  This Inner Loop Header: Depth=2
	v_mul_lo_u32 v4, v5, s62
	v_mul_lo_u32 v35, v6, s63
	;; [unrolled: 1-line block ×4, first 2 shown]
	v_add_nc_u32_e32 v3, -4, v3
	v_add_nc_u32_e32 v8, 4, v8
	v_add_nc_u32_e32 v6, 4, v6
	;; [unrolled: 1-line block ×3, first 2 shown]
	v_add_co_u32 v37, s19, s42, v4
	s_wait_alu 0xf1ff
	v_add_co_ci_u32_e64 v38, null, s43, 0, s19
	v_add_co_u32 v39, s19, s42, v35
	s_wait_alu 0xf1ff
	v_add_co_ci_u32_e64 v40, null, s43, 0, s19
	;; [unrolled: 3-line block ×4, first 2 shown]
	s_clause 0x3
	global_load_u8 v4, v[39:40], off
	global_load_u8 v39, v[41:42], off
	;; [unrolled: 1-line block ×4, first 2 shown]
	v_cmp_eq_u32_e32 vcc_lo, 0, v3
	s_wait_alu 0xfffe
	s_or_b32 s18, vcc_lo, s18
	s_wait_loadcnt 0x2
	v_perm_b32 v38, v4, v39, 0xc0c0004
	s_wait_loadcnt 0x1
	v_perm_b32 v36, v36, v37, 0xc0c0007
	v_perm_b32 v4, v37, v4, 0xc0c0004
	s_wait_loadcnt 0x0
	v_perm_b32 v37, v39, v35, 0xc0c0004
	s_delay_alu instid0(VALU_DEP_3) | instskip(NEXT) | instid1(VALU_DEP_2)
	v_lshl_or_b32 v36, v38, 16, v36
	v_lshl_or_b32 v4, v37, 16, v4
	v_add_nc_u32_e32 v7, 4, v7
	ds_store_b32 v2, v36
	v_add_nc_u32_e32 v2, 4, v2
	v_mov_b32_e32 v36, v4
	s_wait_alu 0xfffe
	s_and_not1_b32 exec_lo, exec_lo, s18
	s_cbranch_execnz .LBB80_41
; %bb.42:                               ;   in Loop: Header=BB80_11 Depth=1
	s_or_b32 exec_lo, exec_lo, s18
.LBB80_43:                              ;   in Loop: Header=BB80_11 Depth=1
	s_wait_alu 0xfffe
	s_or_b32 exec_lo, exec_lo, s17
	v_add_nc_u32_e32 v1, v1, v21
	s_or_not1_b32 s17, s7, exec_lo
	s_delay_alu instid0(VALU_DEP_1)
	v_dual_mov_b32 v3, v22 :: v_dual_add_nc_u32 v2, -1, v1
.LBB80_44:                              ;   in Loop: Header=BB80_11 Depth=1
	s_wait_alu 0xfffe
	s_or_b32 exec_lo, exec_lo, s11
	s_wait_loadcnt 0x0
	v_dual_mov_b32 v4, s15 :: v_dual_mov_b32 v5, v35
	s_and_b32 s11, s17, exec_lo
	s_and_not1_saveexec_b32 s16, s16
	s_cbranch_execz .LBB80_30
.LBB80_45:                              ;   in Loop: Header=BB80_11 Depth=1
	s_wait_loadcnt 0x0
	v_dual_mov_b32 v4, s15 :: v_dual_mov_b32 v5, v35
	v_mov_b32_e32 v3, v0
	s_wait_alu 0xfffe
	s_or_b32 s11, s11, exec_lo
	s_or_b32 exec_lo, exec_lo, s16
	s_wait_alu 0xfffe
	s_and_saveexec_b32 s15, s11
	s_cbranch_execz .LBB80_49
.LBB80_46:                              ;   in Loop: Header=BB80_11 Depth=1
	v_mul_lo_u32 v2, s38, v1
	s_mov_b32 s16, 0
	s_sub_co_i32 s11, 0, s14
.LBB80_47:                              ;   Parent Loop BB80_11 Depth=1
                                        ; =>  This Inner Loop Header: Depth=2
	s_wait_loadcnt 0x0
	global_load_u8 v35, v2, s[42:43]
	v_mov_b32_e32 v6, v1
	ds_store_b8 v3, v5
	s_wait_loadcnt 0x0
	v_dual_mov_b32 v5, v35 :: v_dual_add_nc_u32 v2, v2, v4
	v_add_nc_u32_e32 v1, s14, v6
	v_mov_b32_e32 v3, v6
	s_delay_alu instid0(VALU_DEP_2)
	v_cmp_le_u32_e32 vcc_lo, s36, v1
	s_wait_alu 0xfffe
	s_or_b32 s16, vcc_lo, s16
	s_wait_alu 0xfffe
	s_and_not1_b32 exec_lo, exec_lo, s16
	s_cbranch_execnz .LBB80_47
; %bb.48:                               ;   in Loop: Header=BB80_11 Depth=1
	s_or_b32 exec_lo, exec_lo, s16
	v_add_nc_u32_e32 v2, s11, v1
.LBB80_49:                              ;   in Loop: Header=BB80_11 Depth=1
	s_wait_alu 0xfffe
	s_or_b32 exec_lo, exec_lo, s15
.LBB80_50:                              ;   in Loop: Header=BB80_11 Depth=1
	s_wait_alu 0xfffe
	s_or_b32 exec_lo, exec_lo, s13
	s_wait_loadcnt 0x0
	ds_store_b8 v2, v35
.LBB80_51:                              ;   in Loop: Header=BB80_11 Depth=1
	s_wait_alu 0xfffe
	s_or_b32 exec_lo, exec_lo, s12
	s_wait_loadcnt_dscnt 0x0
	s_barrier_signal -1
	s_barrier_wait -1
	global_inv scope:SCOPE_SE
	s_and_saveexec_b32 s11, s2
; %bb.52:                               ;   in Loop: Header=BB80_11 Depth=1
	v_mov_b32_e32 v1, s36
	ds_store_b32 v18, v1 offset:4104
; %bb.53:                               ;   in Loop: Header=BB80_11 Depth=1
	s_wait_alu 0xfffe
	s_or_b32 exec_lo, exec_lo, s11
	s_mov_b32 s11, -1
	s_wait_loadcnt_dscnt 0x0
	s_barrier_signal -1
	s_barrier_wait -1
.LBB80_54:                              ;   in Loop: Header=BB80_11 Depth=1
	s_wait_alu 0xfffe
	s_and_b32 vcc_lo, exec_lo, s11
	s_mov_b32 s44, 0
	s_wait_alu 0xfffe
	s_cbranch_vccz .LBB80_56
; %bb.55:                               ;   in Loop: Header=BB80_11 Depth=1
	s_wait_loadcnt 0x0
	global_inv scope:SCOPE_SE
	ds_load_b32 v1, v18 offset:4104
	s_wait_dscnt 0x0
	v_readfirstlane_b32 s44, v1
.LBB80_56:                              ;   in Loop: Header=BB80_11 Depth=1
	s_delay_alu instid0(VALU_DEP_1)
	s_cmp_lt_i32 s44, 1
	s_mov_b32 s11, -1
                                        ; implicit-def: $vgpr4
	s_cbranch_scc1 .LBB80_66
; %bb.57:                               ;   in Loop: Header=BB80_11 Depth=1
	s_wait_alu 0xfffe
	s_and_b32 vcc_lo, exec_lo, s11
	s_wait_alu 0xfffe
	s_cbranch_vccnz .LBB80_77
.LBB80_58:                              ;   in Loop: Header=BB80_11 Depth=1
	v_lshlrev_b32_e32 v5, 7, v31
	s_and_saveexec_b32 s11, s1
.LBB80_59:                              ;   in Loop: Header=BB80_11 Depth=1
	s_delay_alu instid0(VALU_DEP_1)
	v_lshl_add_u32 v6, v5, 2, v20
	ds_store_b128 v6, v[1:4]
.LBB80_60:                              ;   in Loop: Header=BB80_11 Depth=1
	s_wait_alu 0xfffe
	s_or_b32 exec_lo, exec_lo, s11
	s_wait_loadcnt_dscnt 0x0
	s_barrier_signal -1
	s_barrier_wait -1
	global_inv scope:SCOPE_SE
	s_and_saveexec_b32 s11, s52
	s_cbranch_execz .LBB80_90
; %bb.61:                               ;   in Loop: Header=BB80_11 Depth=1
	v_mov_b32_e32 v1, 0
	s_and_not1_b32 vcc_lo, exec_lo, s56
	s_wait_alu 0xfffe
	s_cbranch_vccnz .LBB80_89
; %bb.62:                               ;   in Loop: Header=BB80_11 Depth=1
	s_and_not1_b32 vcc_lo, exec_lo, s59
	s_wait_alu 0xfffe
	s_cbranch_vccnz .LBB80_86
; %bb.63:                               ;   in Loop: Header=BB80_11 Depth=1
	v_lshl_add_u32 v2, v31, 9, v30
	v_mov_b32_e32 v1, 0
	s_mov_b32 s12, 0
.LBB80_64:                              ;   Parent Loop BB80_11 Depth=1
                                        ; =>  This Inner Loop Header: Depth=2
	ds_load_2addr_b32 v[3:4], v2 offset1:4
	ds_load_2addr_b32 v[6:7], v2 offset0:8 offset1:12
	ds_load_2addr_b32 v[35:36], v2 offset0:16 offset1:20
	;; [unrolled: 1-line block ×3, first 2 shown]
	v_add_nc_u32_e32 v2, 0x80, v2
	s_wait_alu 0xfffe
	s_add_co_i32 s12, s12, 8
	s_wait_alu 0xfffe
	s_cmp_eq_u32 s60, s12
	s_wait_dscnt 0x3
	v_add3_u32 v1, v3, v1, v4
	s_wait_dscnt 0x2
	s_delay_alu instid0(VALU_DEP_1) | instskip(SKIP_1) | instid1(VALU_DEP_1)
	v_add3_u32 v1, v6, v1, v7
	s_wait_dscnt 0x1
	v_add3_u32 v1, v35, v1, v36
	s_wait_dscnt 0x0
	s_delay_alu instid0(VALU_DEP_1)
	v_add3_u32 v1, v37, v1, v38
	s_cbranch_scc0 .LBB80_64
; %bb.65:                               ;   in Loop: Header=BB80_11 Depth=1
	s_mov_b32 s12, s60
	s_and_not1_b32 vcc_lo, exec_lo, s61
	s_wait_alu 0xfffe
	s_cbranch_vccz .LBB80_87
	s_branch .LBB80_89
.LBB80_66:                              ;   in Loop: Header=BB80_11 Depth=1
	v_dual_mov_b32 v1, 0 :: v_dual_mov_b32 v2, 0
	v_dual_mov_b32 v3, 0 :: v_dual_mov_b32 v4, 0
	s_and_saveexec_b32 s77, s8
	s_cbranch_execz .LBB80_70
; %bb.67:                               ;   in Loop: Header=BB80_11 Depth=1
	v_mov_b32_e32 v5, v17
	s_mov_b32 s78, 0
	s_mov_b32 s79, 0
	;; [unrolled: 1-line block ×6, first 2 shown]
.LBB80_68:                              ;   Parent Loop BB80_11 Depth=1
                                        ; =>  This Inner Loop Header: Depth=2
	s_wait_alu 0xfffe
	v_add_nc_u32_e32 v1, s79, v28
	v_add_nc_u32_e32 v2, s79, v13
	;; [unrolled: 1-line block ×5, first 2 shown]
	s_clause 0x3
	global_load_i8 v1, v1, s[42:43]
	global_load_i8 v2, v2, s[42:43]
	;; [unrolled: 1-line block ×4, first 2 shown]
	s_add_co_i32 s79, s79, s68
	v_cmp_le_u32_e32 vcc_lo, s66, v5
	s_wait_loadcnt 0x3
	v_add_nc_u32_e32 v1, 0x80, v1
	s_wait_loadcnt 0x2
	v_add_nc_u32_e32 v2, 0x80, v2
	;; [unrolled: 2-line block ×4, first 2 shown]
	v_and_b32_e32 v6, v1, v32
	v_bfe_u32 v1, v1, s76, 2
	v_and_b32_e32 v7, v2, v32
	v_bfe_u32 v2, v2, s76, 2
	;; [unrolled: 2-line block ×3, first 2 shown]
	v_cmp_eq_u32_e64 s11, v6, v14
	v_cmp_eq_u32_e64 s15, 0, v1
	v_and_b32_e32 v35, v4, v32
	v_bfe_u32 v4, v4, s76, 2
	v_cmp_eq_u32_e64 s12, v7, v14
	v_cmp_eq_u32_e64 s16, 0, v2
	;; [unrolled: 1-line block ×4, first 2 shown]
	s_and_b32 s15, s11, s15
	v_cmp_eq_u32_e64 s14, v35, v14
	v_cmp_eq_u32_e64 s18, 0, v4
	;; [unrolled: 1-line block ×5, first 2 shown]
	s_wait_alu 0xfffe
	v_cndmask_b32_e64 v1, 0, 1, s15
	s_and_b32 s15, s12, s16
	v_cmp_eq_u32_e64 s20, 1, v2
	v_cmp_eq_u32_e64 s24, 2, v2
	v_cmp_eq_u32_e64 s28, 3, v2
	s_wait_alu 0xfffe
	v_cndmask_b32_e64 v2, 0, 1, s15
	s_and_b32 s15, s13, s17
	v_cmp_eq_u32_e64 s21, 1, v3
	v_cmp_eq_u32_e64 s25, 2, v3
	v_cmp_eq_u32_e64 s29, 3, v3
	;; [unrolled: 6-line block ×3, first 2 shown]
	s_wait_alu 0xfffe
	v_cndmask_b32_e64 v4, 0, 1, s15
	s_and_b32 s15, s11, s19
	s_wait_alu 0xfffe
	v_cndmask_b32_e64 v6, 0, 1, s15
	s_and_b32 s15, s12, s20
	;; [unrolled: 3-line block ×4, first 2 shown]
	v_cmp_ne_u32_e64 s16, 0, v7
	s_wait_alu 0xfffe
	v_cndmask_b32_e64 v35, 0, 1, s15
	s_and_b32 s15, s11, s23
	s_and_b32 s11, s11, s27
	s_wait_alu 0xfffe
	v_cndmask_b32_e64 v36, 0, 1, s15
	s_and_b32 s15, s12, s24
	v_cndmask_b32_e64 v40, 0, 1, s11
	s_and_b32 s11, s12, s28
	s_wait_alu 0xfffe
	v_cndmask_b32_e64 v37, 0, 1, s15
	s_and_b32 s15, s13, s25
	v_cndmask_b32_e64 v41, 0, 1, s11
	s_and_b32 s11, s13, s29
	s_wait_alu 0xfffe
	v_cndmask_b32_e64 v38, 0, 1, s15
	s_and_b32 s15, s14, s26
	v_cndmask_b32_e64 v42, 0, 1, s11
	s_and_b32 s11, s14, s30
	s_wait_alu 0xfffe
	v_cndmask_b32_e64 v39, 0, 1, s15
	v_cndmask_b32_e64 v43, 0, 1, s11
	v_cmp_ne_u32_e64 s11, 0, v1
	v_cmp_ne_u32_e64 s15, 0, v6
	;; [unrolled: 1-line block ×11, first 2 shown]
	s_bcnt1_i32_b32 s11, s11
	s_bcnt1_i32_b32 s15, s15
	s_bcnt1_i32_b32 s19, s19
	s_bcnt1_i32_b32 s23, s23
	v_cmp_ne_u32_e64 s14, 0, v4
	v_cmp_ne_u32_e64 s18, 0, v35
	;; [unrolled: 1-line block ×4, first 2 shown]
	s_bcnt1_i32_b32 s12, s12
	s_bcnt1_i32_b32 s16, s16
	s_bcnt1_i32_b32 s20, s20
	s_bcnt1_i32_b32 s24, s24
	s_wait_alu 0xfffe
	s_add_co_i32 s11, s11, s83
	s_add_co_i32 s15, s15, s82
	s_add_co_i32 s19, s19, s81
	s_add_co_i32 s23, s23, s80
	s_bcnt1_i32_b32 s13, s13
	s_bcnt1_i32_b32 s17, s17
	s_bcnt1_i32_b32 s21, s21
	s_bcnt1_i32_b32 s25, s25
	s_wait_alu 0xfffe
	s_add_co_i32 s11, s11, s12
	s_add_co_i32 s12, s15, s16
	s_add_co_i32 s15, s19, s20
	s_add_co_i32 s16, s23, s24
	;; [unrolled: 9-line block ×3, first 2 shown]
	s_wait_alu 0xfffe
	s_add_co_i32 s83, s11, s14
	s_add_co_i32 s82, s12, s18
	;; [unrolled: 1-line block ×4, first 2 shown]
	s_wait_alu 0xfffe
	v_dual_mov_b32 v1, s83 :: v_dual_mov_b32 v2, s82
	v_dual_mov_b32 v3, s81 :: v_dual_mov_b32 v4, s80
	s_or_b32 s78, vcc_lo, s78
	s_wait_alu 0xfffe
	s_and_not1_b32 exec_lo, exec_lo, s78
	s_cbranch_execnz .LBB80_68
; %bb.69:                               ;   in Loop: Header=BB80_11 Depth=1
	s_or_b32 exec_lo, exec_lo, s78
.LBB80_70:                              ;   in Loop: Header=BB80_11 Depth=1
	s_wait_alu 0xfffe
	s_or_b32 exec_lo, exec_lo, s77
	s_and_saveexec_b32 s15, s9
	s_cbranch_execz .LBB80_76
; %bb.71:                               ;   in Loop: Header=BB80_11 Depth=1
	global_load_u8 v8, v[11:12], off
	v_dual_mov_b32 v5, v29 :: v_dual_mov_b32 v6, v24
	s_mov_b32 s16, 0
	s_branch .LBB80_73
.LBB80_72:                              ;   in Loop: Header=BB80_73 Depth=2
	s_wait_alu 0xfffe
	s_or_b32 exec_lo, exec_lo, s12
	s_wait_loadcnt 0x0
	v_bfe_i32 v8, v8, 0, 8
	s_and_b32 s12, exec_lo, vcc_lo
	v_add_nc_u32_e32 v5, s57, v5
	s_wait_alu 0xfffe
	s_or_b32 s16, s12, s16
	v_add_nc_u32_e32 v8, 0x80, v8
	s_delay_alu instid0(VALU_DEP_1) | instskip(SKIP_1) | instid1(VALU_DEP_2)
	v_and_b32_e32 v35, v8, v32
	v_bfe_u32 v8, v8, s76, 2
	v_cmp_eq_u32_e32 vcc_lo, v35, v14
	s_delay_alu instid0(VALU_DEP_2)
	v_cmp_eq_u32_e64 s11, 0, v8
	v_cmp_eq_u32_e64 s12, 1, v8
	;; [unrolled: 1-line block ×4, first 2 shown]
	s_and_b32 s11, vcc_lo, s11
	s_wait_alu 0xfffe
	v_cndmask_b32_e64 v8, 0, 1, s11
	s_and_b32 s11, vcc_lo, s12
	s_wait_alu 0xfffe
	v_cndmask_b32_e64 v35, 0, 1, s11
	s_and_b32 s11, vcc_lo, s13
	s_wait_alu 0xfffe
	v_cndmask_b32_e64 v36, 0, 1, s11
	s_and_b32 s11, vcc_lo, s14
	v_cmp_ne_u32_e32 vcc_lo, 0, v8
	s_wait_alu 0xfffe
	v_cndmask_b32_e64 v37, 0, 1, s11
	v_cmp_ne_u32_e64 s11, 0, v35
	v_cmp_ne_u32_e64 s12, 0, v36
	v_mov_b32_e32 v8, v7
	s_bcnt1_i32_b32 s14, vcc_lo
	v_cmp_ne_u32_e64 s13, 0, v37
	s_bcnt1_i32_b32 s11, s11
	s_bcnt1_i32_b32 s12, s12
	s_wait_alu 0xfffe
	v_add_nc_u32_e32 v1, s14, v1
	v_add_nc_u32_e32 v2, s11, v2
	s_bcnt1_i32_b32 s13, s13
	v_add_nc_u32_e32 v3, s12, v3
	s_wait_alu 0xfffe
	v_add_nc_u32_e32 v4, s13, v4
	s_and_not1_b32 exec_lo, exec_lo, s16
	s_cbranch_execz .LBB80_75
.LBB80_73:                              ;   Parent Loop BB80_11 Depth=1
                                        ; =>  This Inner Loop Header: Depth=2
	s_delay_alu instid0(VALU_DEP_1) | instskip(SKIP_1) | instid1(VALU_DEP_1)
	v_dual_mov_b32 v7, 0 :: v_dual_add_nc_u32 v6, s37, v6
	s_mov_b32 s12, exec_lo
	v_cmp_le_u32_e32 vcc_lo, s36, v6
	v_cmpx_gt_u32_e64 s36, v6
	s_cbranch_execz .LBB80_72
; %bb.74:                               ;   in Loop: Header=BB80_73 Depth=2
	global_load_u8 v7, v5, s[42:43]
	s_branch .LBB80_72
.LBB80_75:                              ;   in Loop: Header=BB80_11 Depth=1
	s_or_b32 exec_lo, exec_lo, s16
.LBB80_76:                              ;   in Loop: Header=BB80_11 Depth=1
	s_wait_alu 0xfffe
	s_or_b32 exec_lo, exec_lo, s15
	s_branch .LBB80_58
.LBB80_77:                              ;   in Loop: Header=BB80_11 Depth=1
	s_mul_u64 s[12:13], s[44:45], s[46:47]
	v_dual_mov_b32 v1, 0 :: v_dual_mov_b32 v2, 0
	s_wait_alu 0xfffe
	s_mul_i32 s11, s13, s54
	v_dual_mov_b32 v3, 0 :: v_dual_mov_b32 v4, 0
	s_wait_alu 0xfffe
	s_sub_co_i32 s11, s44, s11
	s_mov_b32 s78, exec_lo
	s_wait_alu 0xfffe
	s_sub_co_i32 s12, s11, s54
	s_cmp_ge_u32 s11, s54
	s_wait_alu 0xfffe
	s_cselect_b32 s11, s12, s11
	s_wait_alu 0xfffe
	s_sub_co_i32 s12, s11, s54
	s_cmp_ge_u32 s11, s54
	s_wait_alu 0xfffe
	s_cselect_b32 s11, s12, s11
	s_wait_alu 0xfffe
	s_sub_co_i32 s77, s44, s11
	s_wait_alu 0xfffe
	v_cmpx_gt_u32_e64 s77, v17
	s_cbranch_execz .LBB80_81
; %bb.78:                               ;   in Loop: Header=BB80_11 Depth=1
	v_mov_b32_e32 v5, v17
	s_mov_b32 s79, 0
	s_mov_b32 s80, 0
	;; [unrolled: 1-line block ×5, first 2 shown]
.LBB80_79:                              ;   Parent Loop BB80_11 Depth=1
                                        ; =>  This Inner Loop Header: Depth=2
	ds_load_b32 v1, v5
	s_wait_dscnt 0x0
	v_bfe_i32 v2, v1, 0, 8
	v_bfe_i32 v3, v1, 8, 8
	;; [unrolled: 1-line block ×3, first 2 shown]
	v_ashrrev_i32_e32 v1, 24, v1
	s_delay_alu instid0(VALU_DEP_4) | instskip(NEXT) | instid1(VALU_DEP_4)
	v_add_nc_u32_e32 v2, 0x80, v2
	v_add_nc_u32_e32 v3, 0x80, v3
	s_delay_alu instid0(VALU_DEP_4) | instskip(NEXT) | instid1(VALU_DEP_4)
	v_add_nc_u32_e32 v4, 0x80, v4
	v_add_nc_u32_e32 v1, 0x80, v1
	s_delay_alu instid0(VALU_DEP_4)
	v_and_b32_e32 v6, v2, v32
	v_bfe_u32 v2, v2, s76, 2
	v_and_b32_e32 v7, v3, v32
	v_bfe_u32 v3, v3, s76, 2
	;; [unrolled: 2-line block ×3, first 2 shown]
	v_cmp_eq_u32_e64 s11, v6, v14
	v_cmp_eq_u32_e64 s15, 0, v2
	v_and_b32_e32 v35, v1, v32
	v_bfe_u32 v1, v1, s76, 2
	v_cmp_eq_u32_e64 s12, v7, v14
	v_cmp_eq_u32_e64 s16, 0, v3
	;; [unrolled: 1-line block ×4, first 2 shown]
	s_and_b32 s15, s11, s15
	v_cmp_eq_u32_e64 s14, v35, v14
	v_cmp_eq_u32_e64 s18, 0, v1
	;; [unrolled: 1-line block ×5, first 2 shown]
	s_wait_alu 0xfffe
	v_cndmask_b32_e64 v1, 0, 1, s15
	s_and_b32 s15, s12, s16
	v_cmp_eq_u32_e64 s19, 1, v2
	v_cmp_eq_u32_e64 s23, 2, v2
	v_cmp_eq_u32_e64 s27, 3, v2
	s_wait_alu 0xfffe
	v_cndmask_b32_e64 v2, 0, 1, s15
	s_and_b32 s15, s13, s17
	v_cmp_eq_u32_e64 s20, 1, v3
	v_cmp_eq_u32_e64 s24, 2, v3
	v_cmp_eq_u32_e64 s28, 3, v3
	;; [unrolled: 6-line block ×3, first 2 shown]
	s_wait_alu 0xfffe
	v_cndmask_b32_e64 v4, 0, 1, s15
	s_and_b32 s15, s11, s19
	s_wait_alu 0xfffe
	v_cndmask_b32_e64 v6, 0, 1, s15
	s_and_b32 s15, s12, s20
	;; [unrolled: 3-line block ×4, first 2 shown]
	v_cmp_ne_u32_e64 s16, 0, v7
	s_wait_alu 0xfffe
	v_cndmask_b32_e64 v35, 0, 1, s15
	s_and_b32 s15, s11, s23
	s_and_b32 s11, s11, s27
	s_wait_alu 0xfffe
	v_cndmask_b32_e64 v36, 0, 1, s15
	s_and_b32 s15, s12, s24
	v_cndmask_b32_e64 v40, 0, 1, s11
	s_and_b32 s11, s12, s28
	s_wait_alu 0xfffe
	v_cndmask_b32_e64 v37, 0, 1, s15
	s_and_b32 s15, s13, s25
	v_cndmask_b32_e64 v41, 0, 1, s11
	;; [unrolled: 5-line block ×3, first 2 shown]
	s_and_b32 s11, s14, s30
	s_wait_alu 0xfffe
	v_cndmask_b32_e64 v39, 0, 1, s15
	v_cndmask_b32_e64 v43, 0, 1, s11
	v_cmp_ne_u32_e64 s11, 0, v1
	v_cmp_ne_u32_e64 s15, 0, v6
	;; [unrolled: 1-line block ×6, first 2 shown]
	s_bcnt1_i32_b32 s11, s11
	s_bcnt1_i32_b32 s15, s15
	v_cmp_ne_u32_e64 s18, 0, v35
	v_cmp_ne_u32_e64 s20, 0, v37
	;; [unrolled: 1-line block ×3, first 2 shown]
	s_bcnt1_i32_b32 s12, s12
	s_bcnt1_i32_b32 s16, s16
	s_wait_alu 0xfffe
	s_add_co_i32 s11, s11, s83
	s_add_co_i32 s15, s15, s82
	v_cmp_ne_u32_e64 s13, 0, v3
	v_cmp_ne_u32_e64 s21, 0, v38
	v_cmp_ne_u32_e64 s25, 0, v42
	s_bcnt1_i32_b32 s17, s17
	s_wait_alu 0xfffe
	s_add_co_i32 s11, s11, s12
	s_add_co_i32 s12, s15, s16
	s_bcnt1_i32_b32 s19, s19
	s_bcnt1_i32_b32 s23, s23
	v_cmp_ne_u32_e64 s14, 0, v4
	v_cmp_ne_u32_e64 s22, 0, v39
	;; [unrolled: 1-line block ×3, first 2 shown]
	s_bcnt1_i32_b32 s18, s18
	s_wait_alu 0xfffe
	s_add_co_i32 s12, s12, s17
	s_bcnt1_i32_b32 s20, s20
	s_bcnt1_i32_b32 s24, s24
	s_add_co_i32 s19, s19, s81
	s_add_co_i32 s23, s23, s80
	s_wait_alu 0xfffe
	s_add_co_i32 s82, s12, s18
	s_wait_alu 0xfffe
	v_dual_mov_b32 v2, s82 :: v_dual_add_nc_u32 v5, s54, v5
	s_bcnt1_i32_b32 s13, s13
	s_bcnt1_i32_b32 s21, s21
	;; [unrolled: 1-line block ×3, first 2 shown]
	s_add_co_i32 s15, s19, s20
	s_add_co_i32 s16, s23, s24
	s_bcnt1_i32_b32 s14, s14
	s_bcnt1_i32_b32 s22, s22
	;; [unrolled: 1-line block ×3, first 2 shown]
	s_wait_alu 0xfffe
	s_add_co_i32 s11, s11, s13
	s_add_co_i32 s13, s15, s21
	;; [unrolled: 1-line block ×3, first 2 shown]
	v_cmp_le_u32_e32 vcc_lo, s77, v5
	s_wait_alu 0xfffe
	s_add_co_i32 s83, s11, s14
	s_add_co_i32 s81, s13, s22
	;; [unrolled: 1-line block ×3, first 2 shown]
	s_wait_alu 0xfffe
	v_mov_b32_e32 v1, s83
	v_dual_mov_b32 v3, s81 :: v_dual_mov_b32 v4, s80
	s_or_b32 s79, vcc_lo, s79
	s_wait_alu 0xfffe
	s_and_not1_b32 exec_lo, exec_lo, s79
	s_cbranch_execnz .LBB80_79
; %bb.80:                               ;   in Loop: Header=BB80_11 Depth=1
	s_or_b32 exec_lo, exec_lo, s79
.LBB80_81:                              ;   in Loop: Header=BB80_11 Depth=1
	s_delay_alu instid0(SALU_CYCLE_1) | instskip(SKIP_2) | instid1(VALU_DEP_1)
	s_or_b32 exec_lo, exec_lo, s78
	v_add_nc_u32_e32 v5, s77, v0
	s_mov_b32 s16, exec_lo
	v_cmpx_gt_u32_e64 s44, v5
	s_cbranch_execz .LBB80_85
; %bb.82:                               ;   in Loop: Header=BB80_11 Depth=1
	s_mov_b32 s17, 0
.LBB80_83:                              ;   Parent Loop BB80_11 Depth=1
                                        ; =>  This Inner Loop Header: Depth=2
	ds_load_i8 v6, v5
	v_add_nc_u32_e32 v5, s37, v5
	s_delay_alu instid0(VALU_DEP_1) | instskip(SKIP_2) | instid1(VALU_DEP_1)
	v_cmp_le_u32_e32 vcc_lo, s44, v5
	s_wait_dscnt 0x0
	v_add_nc_u32_e32 v6, 0x80, v6
	v_and_b32_e32 v7, v6, v32
	v_bfe_u32 v6, v6, s76, 2
	s_delay_alu instid0(VALU_DEP_2) | instskip(NEXT) | instid1(VALU_DEP_2)
	v_cmp_eq_u32_e64 s11, v7, v14
	v_cmp_eq_u32_e64 s12, 0, v6
	;; [unrolled: 1-line block ×5, first 2 shown]
	s_and_b32 s12, s11, s12
	s_wait_alu 0xfffe
	v_cndmask_b32_e64 v6, 0, 1, s12
	s_and_b32 s12, s11, s13
	s_wait_alu 0xfffe
	v_cndmask_b32_e64 v7, 0, 1, s12
	s_and_b32 s12, s11, s14
	s_and_b32 s11, s11, s15
	s_wait_alu 0xfffe
	v_cndmask_b32_e64 v8, 0, 1, s12
	v_cndmask_b32_e64 v35, 0, 1, s11
	v_cmp_ne_u32_e64 s11, 0, v6
	v_cmp_ne_u32_e64 s12, 0, v7
	s_delay_alu instid0(VALU_DEP_4) | instskip(NEXT) | instid1(VALU_DEP_4)
	v_cmp_ne_u32_e64 s13, 0, v8
	v_cmp_ne_u32_e64 s14, 0, v35
	s_bcnt1_i32_b32 s11, s11
	s_bcnt1_i32_b32 s12, s12
	s_wait_alu 0xfffe
	v_add_nc_u32_e32 v1, s11, v1
	s_bcnt1_i32_b32 s13, s13
	s_bcnt1_i32_b32 s14, s14
	v_add_nc_u32_e32 v2, s12, v2
	s_wait_alu 0xfffe
	v_add_nc_u32_e32 v3, s13, v3
	v_add_nc_u32_e32 v4, s14, v4
	s_or_b32 s17, vcc_lo, s17
	s_wait_alu 0xfffe
	s_and_not1_b32 exec_lo, exec_lo, s17
	s_cbranch_execnz .LBB80_83
; %bb.84:                               ;   in Loop: Header=BB80_11 Depth=1
	s_or_b32 exec_lo, exec_lo, s17
.LBB80_85:                              ;   in Loop: Header=BB80_11 Depth=1
	s_wait_alu 0xfffe
	s_or_b32 exec_lo, exec_lo, s16
	v_lshlrev_b32_e32 v5, 7, v31
	s_and_saveexec_b32 s11, s1
	s_cbranch_execnz .LBB80_59
	s_branch .LBB80_60
.LBB80_86:                              ;   in Loop: Header=BB80_11 Depth=1
	v_mov_b32_e32 v1, 0
	s_mov_b32 s12, 0
	s_and_not1_b32 vcc_lo, exec_lo, s61
	s_wait_alu 0xfffe
	s_cbranch_vccnz .LBB80_89
.LBB80_87:                              ;   in Loop: Header=BB80_11 Depth=1
	v_lshlrev_b32_e32 v2, 9, v31
	s_lshl_b32 s12, s12, 4
	s_wait_alu 0xfffe
	s_delay_alu instid0(VALU_DEP_1)
	v_add3_u32 v2, v2, s12, v30
	s_mov_b32 s12, s58
.LBB80_88:                              ;   Parent Loop BB80_11 Depth=1
                                        ; =>  This Inner Loop Header: Depth=2
	ds_load_b32 v3, v2
	v_add_nc_u32_e32 v2, 16, v2
	s_wait_alu 0xfffe
	s_add_co_i32 s12, s12, -1
	s_wait_alu 0xfffe
	s_cmp_lg_u32 s12, 0
	s_wait_dscnt 0x0
	v_add_nc_u32_e32 v1, v3, v1
	s_cbranch_scc1 .LBB80_88
.LBB80_89:                              ;   in Loop: Header=BB80_11 Depth=1
	v_add_lshl_u32 v2, v5, v16, 2
	ds_store_b32 v2, v1 offset:3072
.LBB80_90:                              ;   in Loop: Header=BB80_11 Depth=1
	s_wait_alu 0xfffe
	s_or_b32 exec_lo, exec_lo, s11
	v_lshlrev_b32_e32 v1, 2, v5
	s_wait_loadcnt_dscnt 0x0
	s_barrier_signal -1
	s_barrier_wait -1
	global_inv scope:SCOPE_SE
	ds_load_b128 v[1:4], v1 offset:3072
	s_lshl_b32 s12, 3, s76
	v_cmp_eq_u32_e32 vcc_lo, 1, v34
	s_wait_alu 0xfffe
	s_not_b32 s19, s12
	s_mov_b32 s15, -1
	s_mov_b32 s23, -1
                                        ; implicit-def: $sgpr20
                                        ; implicit-def: $sgpr17
	s_wait_dscnt 0x0
	v_readfirstlane_b32 s14, v1
	v_readfirstlane_b32 s21, v2
	;; [unrolled: 1-line block ×4, first 2 shown]
	s_cmp_eq_u32 s14, 1
	s_cselect_b32 s13, -1, 0
	s_wait_alu 0xfffe
	s_and_b32 s16, s13, vcc_lo
	s_wait_alu 0xfffe
	s_and_saveexec_b32 s13, s16
	s_cbranch_execz .LBB80_116
; %bb.91:                               ;   in Loop: Header=BB80_11 Depth=1
	ds_load_b32 v1, v18 offset:4104
	s_wait_loadcnt_dscnt 0x0
	s_barrier_signal -1
	s_barrier_wait -1
	global_inv scope:SCOPE_SE
	v_readfirstlane_b32 s23, v1
	s_and_saveexec_b32 s17, s3
; %bb.92:                               ;   in Loop: Header=BB80_11 Depth=1
	ds_store_b8 v0, v18 offset:3072
; %bb.93:                               ;   in Loop: Header=BB80_11 Depth=1
	s_wait_alu 0xfffe
	s_or_b32 exec_lo, exec_lo, s17
	v_and_b32_e32 v14, s19, v14
	v_or_b32_e32 v32, s12, v32
	s_mov_b32 s17, -1
	s_mov_b32 s20, 0
	s_cmp_eq_u32 s23, 0
	s_mov_b32 s22, 0
	s_mov_b32 s24, -1
	s_wait_loadcnt_dscnt 0x0
	s_barrier_signal -1
	s_barrier_wait -1
	global_inv scope:SCOPE_SE
                                        ; implicit-def: $vgpr33
	s_cbranch_scc1 .LBB80_104
; %bb.94:                               ;   in Loop: Header=BB80_11 Depth=1
	s_add_co_i32 s44, s23, s53
                                        ; implicit-def: $vgpr33
	s_wait_alu 0xfffe
	s_mul_u64 s[24:25], s[44:45], s[48:49]
	s_wait_alu 0xfffe
	s_mul_i32 s22, s25, s37
	s_mov_b32 s25, exec_lo
	s_wait_alu 0xfffe
	s_sub_co_i32 s22, s44, s22
	s_wait_alu 0xfffe
	s_sub_co_i32 s24, s22, s37
	s_cmp_ge_u32 s22, s37
	s_wait_alu 0xfffe
	s_cselect_b32 s22, s24, s22
	s_wait_alu 0xfffe
	s_sub_co_i32 s24, s22, s37
	s_cmp_ge_u32 s22, s37
	s_wait_alu 0xfffe
	s_cselect_b32 s22, s24, s22
	s_mov_b32 s24, 0
	s_wait_alu 0xfffe
	s_sub_co_i32 s26, s44, s22
	s_mov_b32 s22, 0
	s_wait_alu 0xfffe
	v_cmpx_gt_u32_e64 s26, v0
	s_cbranch_execz .LBB80_103
; %bb.95:                               ;   in Loop: Header=BB80_11 Depth=1
	v_mov_b32_e32 v1, v0
                                        ; implicit-def: $sgpr27
	s_branch .LBB80_98
.LBB80_96:                              ;   in Loop: Header=BB80_98 Depth=2
	s_wait_alu 0xfffe
	s_or_b32 exec_lo, exec_lo, s28
	s_wait_loadcnt_dscnt 0x0
	s_barrier_signal -1
	s_barrier_wait -1
	global_inv scope:SCOPE_SE
	ds_load_u16 v2, v18 offset:3072
	s_mov_b32 s29, -1
	s_mov_b32 s28, -1
	s_wait_loadcnt_dscnt 0x0
	s_barrier_signal -1
	s_barrier_wait -1
	global_inv scope:SCOPE_SE
	v_and_b32_e32 v3, 0xff, v2
	s_delay_alu instid0(VALU_DEP_1)
	v_cmp_ne_u32_e32 vcc_lo, 0, v3
	s_cbranch_vccz .LBB80_101
.LBB80_97:                              ;   in Loop: Header=BB80_98 Depth=2
	s_wait_alu 0xfffe
	s_and_b32 s29, exec_lo, s29
	s_wait_alu 0xfffe
	s_or_b32 s22, s29, s22
	s_and_not1_b32 s27, s27, exec_lo
	s_and_b32 s28, s28, exec_lo
	s_wait_alu 0xfffe
	s_or_b32 s27, s27, s28
	s_and_not1_b32 exec_lo, exec_lo, s22
	s_cbranch_execz .LBB80_102
.LBB80_98:                              ;   Parent Loop BB80_11 Depth=1
                                        ; =>  This Inner Loop Header: Depth=2
	s_mov_b32 s28, exec_lo
	s_delay_alu instid0(VALU_DEP_1)
	v_cmpx_gt_u32_e64 s23, v1
	s_cbranch_execz .LBB80_96
; %bb.99:                               ;   in Loop: Header=BB80_98 Depth=2
	ds_load_u8 v2, v1
	s_wait_dscnt 0x0
	v_bfe_i32 v3, v2, 0, 8
	s_delay_alu instid0(VALU_DEP_1) | instskip(NEXT) | instid1(VALU_DEP_1)
	v_add_nc_u32_e32 v3, 0x80, v3
	v_and_b32_e32 v3, v3, v32
	s_delay_alu instid0(VALU_DEP_1)
	v_cmp_eq_u32_e32 vcc_lo, v3, v14
	s_and_b32 exec_lo, exec_lo, vcc_lo
	s_cbranch_execz .LBB80_96
; %bb.100:                              ;   in Loop: Header=BB80_98 Depth=2
	v_lshlrev_b16 v2, 8, v2
	s_delay_alu instid0(VALU_DEP_1)
	v_or_b32_e32 v2, 1, v2
	ds_store_b16 v18, v2 offset:3072
	s_branch .LBB80_96
.LBB80_101:                             ;   in Loop: Header=BB80_98 Depth=2
	v_add_nc_u32_e32 v1, s37, v1
	s_mov_b32 s28, 0
	s_delay_alu instid0(VALU_DEP_1)
	v_cmp_le_u32_e32 vcc_lo, s26, v1
	s_or_not1_b32 s29, vcc_lo, exec_lo
	s_branch .LBB80_97
.LBB80_102:                             ;   in Loop: Header=BB80_11 Depth=1
	s_or_b32 exec_lo, exec_lo, s22
	v_and_b32_e32 v1, 0xffff, v2
	s_wait_alu 0xfffe
	s_and_b32 s22, s27, exec_lo
	s_delay_alu instid0(VALU_DEP_1)
	v_lshrrev_b32_e32 v33, 8, v1
.LBB80_103:                             ;   in Loop: Header=BB80_11 Depth=1
	s_or_b32 exec_lo, exec_lo, s25
.LBB80_104:                             ;   in Loop: Header=BB80_11 Depth=1
	s_wait_alu 0xfffe
	s_and_b32 vcc_lo, exec_lo, s24
	s_wait_alu 0xfffe
	s_cbranch_vccz .LBB80_115
; %bb.105:                              ;   in Loop: Header=BB80_11 Depth=1
                                        ; implicit-def: $vgpr33
	s_and_saveexec_b32 s17, s10
	s_cbranch_execz .LBB80_114
; %bb.106:                              ;   in Loop: Header=BB80_11 Depth=1
	v_dual_mov_b32 v1, v15 :: v_dual_mov_b32 v2, v0
	s_mov_b32 s23, 0
                                        ; implicit-def: $sgpr20
	s_branch .LBB80_109
.LBB80_107:                             ;   in Loop: Header=BB80_109 Depth=2
	s_wait_alu 0xfffe
	s_or_b32 exec_lo, exec_lo, s24
	s_wait_loadcnt_dscnt 0x0
	s_barrier_signal -1
	s_barrier_wait -1
	global_inv scope:SCOPE_SE
	ds_load_u16 v3, v18 offset:3072
	s_mov_b32 s24, -1
	s_mov_b32 s25, -1
	s_wait_loadcnt_dscnt 0x0
	s_barrier_signal -1
	s_barrier_wait -1
	global_inv scope:SCOPE_SE
	v_and_b32_e32 v4, 0xff, v3
	s_delay_alu instid0(VALU_DEP_1)
	v_cmp_ne_u32_e32 vcc_lo, 0, v4
	s_cbranch_vccz .LBB80_112
.LBB80_108:                             ;   in Loop: Header=BB80_109 Depth=2
	s_wait_alu 0xfffe
	s_and_b32 s24, exec_lo, s24
	s_wait_alu 0xfffe
	s_or_b32 s23, s24, s23
	s_and_not1_b32 s20, s20, exec_lo
	s_and_b32 s24, s25, exec_lo
	s_wait_alu 0xfffe
	s_or_b32 s20, s20, s24
	s_and_not1_b32 exec_lo, exec_lo, s23
	s_cbranch_execz .LBB80_113
.LBB80_109:                             ;   Parent Loop BB80_11 Depth=1
                                        ; =>  This Inner Loop Header: Depth=2
	s_mov_b32 s24, exec_lo
	s_delay_alu instid0(VALU_DEP_1)
	v_cmpx_gt_u32_e64 s36, v2
	s_cbranch_execz .LBB80_107
; %bb.110:                              ;   in Loop: Header=BB80_109 Depth=2
	global_load_u8 v3, v1, s[42:43]
	s_wait_loadcnt 0x0
	v_bfe_i32 v4, v3, 0, 8
	s_delay_alu instid0(VALU_DEP_1) | instskip(NEXT) | instid1(VALU_DEP_1)
	v_add_nc_u32_e32 v4, 0x80, v4
	v_and_b32_e32 v4, v4, v32
	s_delay_alu instid0(VALU_DEP_1)
	v_cmp_eq_u32_e32 vcc_lo, v4, v14
	s_and_b32 exec_lo, exec_lo, vcc_lo
	s_cbranch_execz .LBB80_107
; %bb.111:                              ;   in Loop: Header=BB80_109 Depth=2
	v_lshlrev_b16 v3, 8, v3
	s_delay_alu instid0(VALU_DEP_1)
	v_or_b32_e32 v3, 1, v3
	ds_store_b16 v18, v3 offset:3072
	s_branch .LBB80_107
.LBB80_112:                             ;   in Loop: Header=BB80_109 Depth=2
	v_add_nc_u32_e32 v2, s37, v2
	v_add_nc_u32_e32 v1, s57, v1
	s_mov_b32 s25, 0
	s_delay_alu instid0(VALU_DEP_2)
	v_cmp_le_u32_e32 vcc_lo, s67, v2
	s_or_not1_b32 s24, vcc_lo, exec_lo
	s_branch .LBB80_108
.LBB80_113:                             ;   in Loop: Header=BB80_11 Depth=1
	s_or_b32 exec_lo, exec_lo, s23
	v_and_b32_e32 v1, 0xffff, v3
	s_and_not1_b32 s22, s22, exec_lo
	s_wait_alu 0xfffe
	s_and_b32 s20, s20, exec_lo
	s_wait_alu 0xfffe
	s_or_b32 s22, s22, s20
	v_lshrrev_b32_e32 v33, 8, v1
.LBB80_114:                             ;   in Loop: Header=BB80_11 Depth=1
	s_wait_alu 0xfffe
	s_or_b32 exec_lo, exec_lo, s17
	s_mov_b32 s17, 0
	s_mov_b32 s20, -1
.LBB80_115:                             ;   in Loop: Header=BB80_11 Depth=1
	s_or_not1_b32 s23, s22, exec_lo
.LBB80_116:                             ;   in Loop: Header=BB80_11 Depth=1
	s_wait_alu 0xfffe
	s_or_b32 exec_lo, exec_lo, s13
	v_readfirstlane_b32 s22, v0
	s_and_not1_b32 s13, s74, exec_lo
	s_and_b32 s20, s20, exec_lo
	s_and_not1_b32 s24, s72, exec_lo
	s_and_b32 s17, s17, exec_lo
	s_and_not1_b32 s71, s71, exec_lo
	s_wait_alu 0xfffe
	s_or_b32 s74, s13, s20
	s_or_b32 s72, s24, s17
                                        ; implicit-def: $vgpr2
	s_and_saveexec_b32 s13, s23
	s_cbranch_execz .LBB80_10
; %bb.117:                              ;   in Loop: Header=BB80_11 Depth=1
	v_dual_mov_b32 v2, 1 :: v_dual_mov_b32 v1, 1
	s_xor_b32 s16, s16, -1
	s_mov_b32 s22, 0
	s_wait_alu 0xfffe
	s_and_saveexec_b32 s15, s16
	s_cbranch_execz .LBB80_126
; %bb.118:                              ;   in Loop: Header=BB80_11 Depth=1
	s_mov_b32 s16, exec_lo
	v_cmpx_ge_u32_e64 s14, v34
	s_wait_alu 0xfffe
	s_xor_b32 s16, exec_lo, s16
	s_cbranch_execz .LBB80_123
; %bb.119:                              ;   in Loop: Header=BB80_11 Depth=1
	ds_load_b32 v1, v18 offset:4104
	v_and_b32_e32 v14, s19, v14
	v_or_b32_e32 v32, s12, v32
	s_wait_dscnt 0x0
	v_cmp_ne_u32_e32 vcc_lo, 0, v1
	s_cbranch_vccnz .LBB80_123
; %bb.120:                              ;   in Loop: Header=BB80_11 Depth=1
	s_and_saveexec_b32 s17, s2
; %bb.121:                              ;   in Loop: Header=BB80_11 Depth=1
	v_mov_b32_e32 v1, s14
	ds_store_b32 v18, v1 offset:4108
; %bb.122:                              ;   in Loop: Header=BB80_11 Depth=1
	s_wait_alu 0xfffe
	s_or_b32 exec_lo, exec_lo, s17
	s_wait_loadcnt_dscnt 0x0
	s_barrier_signal -1
	s_barrier_wait -1
	global_inv scope:SCOPE_SE
.LBB80_123:                             ;   in Loop: Header=BB80_11 Depth=1
	s_wait_alu 0xfffe
	s_or_saveexec_b32 s16, s16
	v_mov_b32_e32 v1, 8
	s_mov_b32 s17, 0
	s_wait_alu 0xfffe
	s_xor_b32 exec_lo, exec_lo, s16
; %bb.124:                              ;   in Loop: Header=BB80_11 Depth=1
	v_subrev_nc_u32_e32 v34, s14, v34
	v_mov_b32_e32 v1, 0
	s_mov_b32 s17, exec_lo
; %bb.125:                              ;   in Loop: Header=BB80_11 Depth=1
	s_or_b32 exec_lo, exec_lo, s16
	s_delay_alu instid0(VALU_DEP_2)
	v_mov_b32_e32 v2, v34
	s_wait_alu 0xfffe
	s_and_b32 s22, s17, exec_lo
.LBB80_126:                             ;   in Loop: Header=BB80_11 Depth=1
	s_wait_alu 0xfffe
	s_or_b32 exec_lo, exec_lo, s15
	s_mov_b32 s14, -1
	s_mov_b32 s20, -1
                                        ; implicit-def: $sgpr16
                                        ; implicit-def: $sgpr17
	s_and_saveexec_b32 s15, s22
	s_wait_alu 0xfffe
	s_xor_b32 s15, exec_lo, s15
	s_cbranch_execz .LBB80_243
; %bb.127:                              ;   in Loop: Header=BB80_11 Depth=1
	v_cmp_eq_u32_e32 vcc_lo, 1, v2
	s_cmp_eq_u32 s21, 1
	s_mov_b32 s23, -1
	s_cselect_b32 s16, -1, 0
                                        ; implicit-def: $sgpr17
	s_wait_alu 0xfffe
	s_and_b32 s22, s16, vcc_lo
                                        ; implicit-def: $sgpr16
	s_wait_alu 0xfffe
	s_and_saveexec_b32 s20, s22
	s_cbranch_execz .LBB80_153
; %bb.128:                              ;   in Loop: Header=BB80_11 Depth=1
	ds_load_b32 v3, v18 offset:4104
	s_wait_loadcnt_dscnt 0x0
	s_barrier_signal -1
	s_barrier_wait -1
	global_inv scope:SCOPE_SE
	v_readfirstlane_b32 s24, v3
	s_and_saveexec_b32 s16, s3
; %bb.129:                              ;   in Loop: Header=BB80_11 Depth=1
	ds_store_b8 v0, v18 offset:3072
; %bb.130:                              ;   in Loop: Header=BB80_11 Depth=1
	s_wait_alu 0xfffe
	s_or_b32 exec_lo, exec_lo, s16
	s_lshl_b32 s16, 1, s76
	v_or_b32_e32 v32, s12, v32
	s_wait_alu 0xfffe
	v_and_or_b32 v14, v14, s19, s16
	s_mov_b32 s16, -1
	s_mov_b32 s17, 0
	s_cmp_eq_u32 s24, 0
	s_mov_b32 s23, 0
	s_mov_b32 s25, -1
	s_wait_loadcnt_dscnt 0x0
	s_barrier_signal -1
	s_barrier_wait -1
	global_inv scope:SCOPE_SE
                                        ; implicit-def: $vgpr33
	s_cbranch_scc1 .LBB80_141
; %bb.131:                              ;   in Loop: Header=BB80_11 Depth=1
	s_add_co_i32 s44, s24, s53
                                        ; implicit-def: $vgpr33
	s_wait_alu 0xfffe
	s_mul_u64 s[26:27], s[44:45], s[48:49]
	s_mov_b32 s26, exec_lo
	s_wait_alu 0xfffe
	s_mul_i32 s23, s27, s37
	s_wait_alu 0xfffe
	s_sub_co_i32 s23, s44, s23
	s_wait_alu 0xfffe
	s_sub_co_i32 s25, s23, s37
	s_cmp_ge_u32 s23, s37
	s_wait_alu 0xfffe
	s_cselect_b32 s23, s25, s23
	s_wait_alu 0xfffe
	s_sub_co_i32 s25, s23, s37
	s_cmp_ge_u32 s23, s37
	s_wait_alu 0xfffe
	s_cselect_b32 s23, s25, s23
	s_mov_b32 s25, 0
	s_wait_alu 0xfffe
	s_sub_co_i32 s27, s44, s23
	s_mov_b32 s23, 0
	s_wait_alu 0xfffe
	v_cmpx_gt_u32_e64 s27, v0
	s_cbranch_execz .LBB80_140
; %bb.132:                              ;   in Loop: Header=BB80_11 Depth=1
	v_mov_b32_e32 v3, v0
                                        ; implicit-def: $sgpr28
	s_branch .LBB80_135
.LBB80_133:                             ;   in Loop: Header=BB80_135 Depth=2
	s_wait_alu 0xfffe
	s_or_b32 exec_lo, exec_lo, s29
	s_wait_loadcnt_dscnt 0x0
	s_barrier_signal -1
	s_barrier_wait -1
	global_inv scope:SCOPE_SE
	ds_load_u16 v4, v18 offset:3072
	s_mov_b32 s30, -1
	s_mov_b32 s29, -1
	s_wait_loadcnt_dscnt 0x0
	s_barrier_signal -1
	s_barrier_wait -1
	global_inv scope:SCOPE_SE
	v_and_b32_e32 v5, 0xff, v4
	s_delay_alu instid0(VALU_DEP_1)
	v_cmp_ne_u32_e32 vcc_lo, 0, v5
	s_cbranch_vccz .LBB80_138
.LBB80_134:                             ;   in Loop: Header=BB80_135 Depth=2
	s_wait_alu 0xfffe
	s_and_b32 s30, exec_lo, s30
	s_wait_alu 0xfffe
	s_or_b32 s23, s30, s23
	s_and_not1_b32 s28, s28, exec_lo
	s_and_b32 s29, s29, exec_lo
	s_wait_alu 0xfffe
	s_or_b32 s28, s28, s29
	s_and_not1_b32 exec_lo, exec_lo, s23
	s_cbranch_execz .LBB80_139
.LBB80_135:                             ;   Parent Loop BB80_11 Depth=1
                                        ; =>  This Inner Loop Header: Depth=2
	s_mov_b32 s29, exec_lo
	s_delay_alu instid0(VALU_DEP_1)
	v_cmpx_gt_u32_e64 s24, v3
	s_cbranch_execz .LBB80_133
; %bb.136:                              ;   in Loop: Header=BB80_135 Depth=2
	ds_load_u8 v4, v3
	s_wait_dscnt 0x0
	v_bfe_i32 v5, v4, 0, 8
	s_delay_alu instid0(VALU_DEP_1) | instskip(NEXT) | instid1(VALU_DEP_1)
	v_add_nc_u32_e32 v5, 0x80, v5
	v_and_b32_e32 v5, v5, v32
	s_delay_alu instid0(VALU_DEP_1)
	v_cmp_eq_u32_e32 vcc_lo, v5, v14
	s_and_b32 exec_lo, exec_lo, vcc_lo
	s_cbranch_execz .LBB80_133
; %bb.137:                              ;   in Loop: Header=BB80_135 Depth=2
	v_lshlrev_b16 v4, 8, v4
	s_delay_alu instid0(VALU_DEP_1)
	v_or_b32_e32 v4, 1, v4
	ds_store_b16 v18, v4 offset:3072
	s_branch .LBB80_133
.LBB80_138:                             ;   in Loop: Header=BB80_135 Depth=2
	v_add_nc_u32_e32 v3, s37, v3
	s_mov_b32 s29, 0
	s_delay_alu instid0(VALU_DEP_1)
	v_cmp_le_u32_e32 vcc_lo, s27, v3
	s_or_not1_b32 s30, vcc_lo, exec_lo
	s_branch .LBB80_134
.LBB80_139:                             ;   in Loop: Header=BB80_11 Depth=1
	s_or_b32 exec_lo, exec_lo, s23
	v_and_b32_e32 v3, 0xffff, v4
	s_wait_alu 0xfffe
	s_and_b32 s23, s28, exec_lo
	s_delay_alu instid0(VALU_DEP_1)
	v_lshrrev_b32_e32 v33, 8, v3
.LBB80_140:                             ;   in Loop: Header=BB80_11 Depth=1
	s_or_b32 exec_lo, exec_lo, s26
.LBB80_141:                             ;   in Loop: Header=BB80_11 Depth=1
	s_wait_alu 0xfffe
	s_and_b32 vcc_lo, exec_lo, s25
	s_wait_alu 0xfffe
	s_cbranch_vccz .LBB80_152
; %bb.142:                              ;   in Loop: Header=BB80_11 Depth=1
                                        ; implicit-def: $vgpr33
	s_and_saveexec_b32 s16, s10
	s_cbranch_execz .LBB80_151
; %bb.143:                              ;   in Loop: Header=BB80_11 Depth=1
	v_dual_mov_b32 v3, v15 :: v_dual_mov_b32 v4, v0
	s_mov_b32 s17, 0
                                        ; implicit-def: $sgpr24
	s_branch .LBB80_146
.LBB80_144:                             ;   in Loop: Header=BB80_146 Depth=2
	s_wait_alu 0xfffe
	s_or_b32 exec_lo, exec_lo, s25
	s_wait_loadcnt_dscnt 0x0
	s_barrier_signal -1
	s_barrier_wait -1
	global_inv scope:SCOPE_SE
	ds_load_u16 v5, v18 offset:3072
	s_mov_b32 s25, -1
	s_mov_b32 s26, -1
	s_wait_loadcnt_dscnt 0x0
	s_barrier_signal -1
	s_barrier_wait -1
	global_inv scope:SCOPE_SE
	v_and_b32_e32 v6, 0xff, v5
	s_delay_alu instid0(VALU_DEP_1)
	v_cmp_eq_u32_e32 vcc_lo, 0, v6
	s_cbranch_vccnz .LBB80_149
.LBB80_145:                             ;   in Loop: Header=BB80_146 Depth=2
	s_wait_alu 0xfffe
	s_and_b32 s25, exec_lo, s25
	s_wait_alu 0xfffe
	s_or_b32 s17, s25, s17
	s_and_not1_b32 s24, s24, exec_lo
	s_and_b32 s25, s26, exec_lo
	s_wait_alu 0xfffe
	s_or_b32 s24, s24, s25
	s_and_not1_b32 exec_lo, exec_lo, s17
	s_cbranch_execz .LBB80_150
.LBB80_146:                             ;   Parent Loop BB80_11 Depth=1
                                        ; =>  This Inner Loop Header: Depth=2
	s_mov_b32 s25, exec_lo
	s_delay_alu instid0(VALU_DEP_1)
	v_cmpx_gt_u32_e64 s36, v4
	s_cbranch_execz .LBB80_144
; %bb.147:                              ;   in Loop: Header=BB80_146 Depth=2
	global_load_u8 v5, v3, s[42:43]
	s_wait_loadcnt 0x0
	v_bfe_i32 v6, v5, 0, 8
	s_delay_alu instid0(VALU_DEP_1) | instskip(NEXT) | instid1(VALU_DEP_1)
	v_add_nc_u32_e32 v6, 0x80, v6
	v_and_b32_e32 v6, v6, v32
	s_delay_alu instid0(VALU_DEP_1)
	v_cmp_eq_u32_e32 vcc_lo, v6, v14
	s_and_b32 exec_lo, exec_lo, vcc_lo
	s_cbranch_execz .LBB80_144
; %bb.148:                              ;   in Loop: Header=BB80_146 Depth=2
	v_lshlrev_b16 v5, 8, v5
	s_delay_alu instid0(VALU_DEP_1)
	v_or_b32_e32 v5, 1, v5
	ds_store_b16 v18, v5 offset:3072
	s_branch .LBB80_144
.LBB80_149:                             ;   in Loop: Header=BB80_146 Depth=2
	v_add_nc_u32_e32 v4, s37, v4
	v_add_nc_u32_e32 v3, s57, v3
	s_mov_b32 s26, 0
	s_delay_alu instid0(VALU_DEP_2)
	v_cmp_le_u32_e32 vcc_lo, s67, v4
	s_or_not1_b32 s25, vcc_lo, exec_lo
	s_branch .LBB80_145
.LBB80_150:                             ;   in Loop: Header=BB80_11 Depth=1
	s_or_b32 exec_lo, exec_lo, s17
	v_and_b32_e32 v3, 0xffff, v5
	s_and_not1_b32 s17, s23, exec_lo
	s_wait_alu 0xfffe
	s_and_b32 s23, s24, exec_lo
	s_wait_alu 0xfffe
	s_or_b32 s23, s17, s23
	v_lshrrev_b32_e32 v33, 8, v3
.LBB80_151:                             ;   in Loop: Header=BB80_11 Depth=1
	s_wait_alu 0xfffe
	s_or_b32 exec_lo, exec_lo, s16
	s_mov_b32 s16, 0
	s_mov_b32 s17, -1
.LBB80_152:                             ;   in Loop: Header=BB80_11 Depth=1
	s_or_not1_b32 s23, s23, exec_lo
.LBB80_153:                             ;   in Loop: Header=BB80_11 Depth=1
	s_wait_alu 0xfffe
	s_or_b32 exec_lo, exec_lo, s20
	s_mov_b32 s24, 0
	s_and_saveexec_b32 s20, s23
	s_cbranch_execz .LBB80_242
; %bb.154:                              ;   in Loop: Header=BB80_11 Depth=1
	v_mov_b32_e32 v3, 1
	v_mov_b32_e32 v1, 1
	s_xor_b32 s23, s22, -1
	s_mov_b32 s25, 0
	s_wait_alu 0xfffe
	s_and_saveexec_b32 s22, s23
	s_cbranch_execz .LBB80_163
; %bb.155:                              ;   in Loop: Header=BB80_11 Depth=1
	s_mov_b32 s23, exec_lo
	v_cmpx_ge_u32_e64 s21, v2
	s_wait_alu 0xfffe
	s_xor_b32 s23, exec_lo, s23
	s_cbranch_execz .LBB80_160
; %bb.156:                              ;   in Loop: Header=BB80_11 Depth=1
	ds_load_b32 v1, v18 offset:4104
	s_lshl_b32 s24, 1, s76
	v_or_b32_e32 v32, s12, v32
	s_wait_alu 0xfffe
	v_and_or_b32 v14, v14, s19, s24
	s_wait_dscnt 0x0
	v_cmp_ne_u32_e32 vcc_lo, 0, v1
	s_cbranch_vccnz .LBB80_160
; %bb.157:                              ;   in Loop: Header=BB80_11 Depth=1
	s_and_saveexec_b32 s24, s2
; %bb.158:                              ;   in Loop: Header=BB80_11 Depth=1
	v_mov_b32_e32 v1, s21
	ds_store_b32 v18, v1 offset:4108
; %bb.159:                              ;   in Loop: Header=BB80_11 Depth=1
	s_wait_alu 0xfffe
	s_or_b32 exec_lo, exec_lo, s24
	s_wait_loadcnt_dscnt 0x0
	s_barrier_signal -1
	s_barrier_wait -1
	global_inv scope:SCOPE_SE
.LBB80_160:                             ;   in Loop: Header=BB80_11 Depth=1
	s_wait_alu 0xfffe
	s_or_saveexec_b32 s23, s23
	v_mov_b32_e32 v1, 8
	s_mov_b32 s24, 0
	s_wait_alu 0xfffe
	s_xor_b32 exec_lo, exec_lo, s23
; %bb.161:                              ;   in Loop: Header=BB80_11 Depth=1
	v_subrev_nc_u32_e32 v2, s21, v2
	v_mov_b32_e32 v1, 0
	s_mov_b32 s24, exec_lo
; %bb.162:                              ;   in Loop: Header=BB80_11 Depth=1
	s_or_b32 exec_lo, exec_lo, s23
	s_delay_alu instid0(VALU_DEP_2)
	v_mov_b32_e32 v3, v2
	s_wait_alu 0xfffe
	s_and_b32 s25, s24, exec_lo
.LBB80_163:                             ;   in Loop: Header=BB80_11 Depth=1
	s_wait_alu 0xfffe
	s_or_b32 exec_lo, exec_lo, s22
	s_mov_b32 s24, -1
                                        ; implicit-def: $sgpr22
                                        ; implicit-def: $sgpr23
	s_and_saveexec_b32 s21, s25
	s_cbranch_execz .LBB80_241
; %bb.164:                              ;   in Loop: Header=BB80_11 Depth=1
	v_cmp_eq_u32_e32 vcc_lo, 1, v3
	s_cmp_eq_u32 s18, 1
	s_mov_b32 s26, -1
	s_cselect_b32 s22, -1, 0
                                        ; implicit-def: $sgpr23
	s_wait_alu 0xfffe
	s_and_b32 s25, s22, vcc_lo
                                        ; implicit-def: $sgpr22
	s_wait_alu 0xfffe
	s_and_saveexec_b32 s24, s25
	s_cbranch_execz .LBB80_190
; %bb.165:                              ;   in Loop: Header=BB80_11 Depth=1
	ds_load_b32 v2, v18 offset:4104
	s_wait_loadcnt_dscnt 0x0
	s_barrier_signal -1
	s_barrier_wait -1
	global_inv scope:SCOPE_SE
	v_readfirstlane_b32 s27, v2
	s_and_saveexec_b32 s22, s3
; %bb.166:                              ;   in Loop: Header=BB80_11 Depth=1
	ds_store_b8 v0, v18 offset:3072
; %bb.167:                              ;   in Loop: Header=BB80_11 Depth=1
	s_wait_alu 0xfffe
	s_or_b32 exec_lo, exec_lo, s22
	s_lshl_b32 s22, 2, s76
	v_or_b32_e32 v32, s12, v32
	s_wait_alu 0xfffe
	v_and_or_b32 v14, v14, s19, s22
	s_mov_b32 s22, -1
	s_mov_b32 s23, 0
	s_cmp_eq_u32 s27, 0
	s_mov_b32 s26, 0
	s_mov_b32 s28, -1
	s_wait_loadcnt_dscnt 0x0
	s_barrier_signal -1
	s_barrier_wait -1
	global_inv scope:SCOPE_SE
                                        ; implicit-def: $vgpr33
	s_cbranch_scc1 .LBB80_178
; %bb.168:                              ;   in Loop: Header=BB80_11 Depth=1
	s_add_co_i32 s44, s27, s53
                                        ; implicit-def: $vgpr33
	s_wait_alu 0xfffe
	s_mul_u64 s[28:29], s[44:45], s[48:49]
	s_wait_alu 0xfffe
	s_mul_i32 s26, s29, s37
	s_mov_b32 s29, exec_lo
	s_wait_alu 0xfffe
	s_sub_co_i32 s26, s44, s26
	s_wait_alu 0xfffe
	s_sub_co_i32 s28, s26, s37
	s_cmp_ge_u32 s26, s37
	s_wait_alu 0xfffe
	s_cselect_b32 s26, s28, s26
	s_wait_alu 0xfffe
	s_sub_co_i32 s28, s26, s37
	s_cmp_ge_u32 s26, s37
	s_wait_alu 0xfffe
	s_cselect_b32 s26, s28, s26
	s_mov_b32 s28, 0
	s_wait_alu 0xfffe
	s_sub_co_i32 s30, s44, s26
	s_mov_b32 s26, 0
	s_wait_alu 0xfffe
	v_cmpx_gt_u32_e64 s30, v0
	s_cbranch_execz .LBB80_177
; %bb.169:                              ;   in Loop: Header=BB80_11 Depth=1
	v_mov_b32_e32 v2, v0
                                        ; implicit-def: $sgpr44
	s_branch .LBB80_172
.LBB80_170:                             ;   in Loop: Header=BB80_172 Depth=2
	s_wait_alu 0xfffe
	s_or_b32 exec_lo, exec_lo, s77
	s_wait_loadcnt_dscnt 0x0
	s_barrier_signal -1
	s_barrier_wait -1
	global_inv scope:SCOPE_SE
	ds_load_u16 v4, v18 offset:3072
	s_mov_b32 s78, -1
	s_mov_b32 s77, -1
	s_wait_loadcnt_dscnt 0x0
	s_barrier_signal -1
	s_barrier_wait -1
	global_inv scope:SCOPE_SE
	v_and_b32_e32 v5, 0xff, v4
	s_delay_alu instid0(VALU_DEP_1)
	v_cmp_ne_u32_e32 vcc_lo, 0, v5
	s_cbranch_vccz .LBB80_175
.LBB80_171:                             ;   in Loop: Header=BB80_172 Depth=2
	s_wait_alu 0xfffe
	s_and_b32 s78, exec_lo, s78
	s_wait_alu 0xfffe
	s_or_b32 s26, s78, s26
	s_and_not1_b32 s44, s44, exec_lo
	s_and_b32 s77, s77, exec_lo
	s_wait_alu 0xfffe
	s_or_b32 s44, s44, s77
	s_and_not1_b32 exec_lo, exec_lo, s26
	s_cbranch_execz .LBB80_176
.LBB80_172:                             ;   Parent Loop BB80_11 Depth=1
                                        ; =>  This Inner Loop Header: Depth=2
	s_mov_b32 s77, exec_lo
	s_delay_alu instid0(VALU_DEP_1)
	v_cmpx_gt_u32_e64 s27, v2
	s_cbranch_execz .LBB80_170
; %bb.173:                              ;   in Loop: Header=BB80_172 Depth=2
	ds_load_u8 v4, v2
	s_wait_dscnt 0x0
	v_bfe_i32 v5, v4, 0, 8
	s_delay_alu instid0(VALU_DEP_1) | instskip(NEXT) | instid1(VALU_DEP_1)
	v_add_nc_u32_e32 v5, 0x80, v5
	v_and_b32_e32 v5, v5, v32
	s_delay_alu instid0(VALU_DEP_1)
	v_cmp_eq_u32_e32 vcc_lo, v5, v14
	s_and_b32 exec_lo, exec_lo, vcc_lo
	s_cbranch_execz .LBB80_170
; %bb.174:                              ;   in Loop: Header=BB80_172 Depth=2
	v_lshlrev_b16 v4, 8, v4
	s_delay_alu instid0(VALU_DEP_1)
	v_or_b32_e32 v4, 1, v4
	ds_store_b16 v18, v4 offset:3072
	s_branch .LBB80_170
.LBB80_175:                             ;   in Loop: Header=BB80_172 Depth=2
	v_add_nc_u32_e32 v2, s37, v2
	s_mov_b32 s77, 0
	s_delay_alu instid0(VALU_DEP_1)
	v_cmp_le_u32_e32 vcc_lo, s30, v2
	s_or_not1_b32 s78, vcc_lo, exec_lo
	s_branch .LBB80_171
.LBB80_176:                             ;   in Loop: Header=BB80_11 Depth=1
	s_or_b32 exec_lo, exec_lo, s26
	v_and_b32_e32 v2, 0xffff, v4
	s_wait_alu 0xfffe
	s_and_b32 s26, s44, exec_lo
	s_delay_alu instid0(VALU_DEP_1)
	v_lshrrev_b32_e32 v33, 8, v2
.LBB80_177:                             ;   in Loop: Header=BB80_11 Depth=1
	s_or_b32 exec_lo, exec_lo, s29
.LBB80_178:                             ;   in Loop: Header=BB80_11 Depth=1
	s_wait_alu 0xfffe
	s_and_b32 vcc_lo, exec_lo, s28
	s_wait_alu 0xfffe
	s_cbranch_vccz .LBB80_189
; %bb.179:                              ;   in Loop: Header=BB80_11 Depth=1
                                        ; implicit-def: $vgpr33
	s_and_saveexec_b32 s22, s10
	s_cbranch_execz .LBB80_188
; %bb.180:                              ;   in Loop: Header=BB80_11 Depth=1
	v_mov_b32_e32 v2, v15
	v_mov_b32_e32 v4, v0
	s_mov_b32 s23, 0
                                        ; implicit-def: $sgpr27
	s_branch .LBB80_183
.LBB80_181:                             ;   in Loop: Header=BB80_183 Depth=2
	s_wait_alu 0xfffe
	s_or_b32 exec_lo, exec_lo, s28
	s_wait_loadcnt_dscnt 0x0
	s_barrier_signal -1
	s_barrier_wait -1
	global_inv scope:SCOPE_SE
	ds_load_u16 v5, v18 offset:3072
	s_mov_b32 s28, -1
	s_mov_b32 s29, -1
	s_wait_loadcnt_dscnt 0x0
	s_barrier_signal -1
	s_barrier_wait -1
	global_inv scope:SCOPE_SE
	v_and_b32_e32 v6, 0xff, v5
	s_delay_alu instid0(VALU_DEP_1)
	v_cmp_eq_u32_e32 vcc_lo, 0, v6
	s_cbranch_vccnz .LBB80_186
.LBB80_182:                             ;   in Loop: Header=BB80_183 Depth=2
	s_wait_alu 0xfffe
	s_and_b32 s28, exec_lo, s28
	s_wait_alu 0xfffe
	s_or_b32 s23, s28, s23
	s_and_not1_b32 s27, s27, exec_lo
	s_and_b32 s28, s29, exec_lo
	s_wait_alu 0xfffe
	s_or_b32 s27, s27, s28
	s_and_not1_b32 exec_lo, exec_lo, s23
	s_cbranch_execz .LBB80_187
.LBB80_183:                             ;   Parent Loop BB80_11 Depth=1
                                        ; =>  This Inner Loop Header: Depth=2
	s_mov_b32 s28, exec_lo
	s_delay_alu instid0(VALU_DEP_1)
	v_cmpx_gt_u32_e64 s36, v4
	s_cbranch_execz .LBB80_181
; %bb.184:                              ;   in Loop: Header=BB80_183 Depth=2
	global_load_u8 v5, v2, s[42:43]
	s_wait_loadcnt 0x0
	v_bfe_i32 v6, v5, 0, 8
	s_delay_alu instid0(VALU_DEP_1) | instskip(NEXT) | instid1(VALU_DEP_1)
	v_add_nc_u32_e32 v6, 0x80, v6
	v_and_b32_e32 v6, v6, v32
	s_delay_alu instid0(VALU_DEP_1)
	v_cmp_eq_u32_e32 vcc_lo, v6, v14
	s_and_b32 exec_lo, exec_lo, vcc_lo
	s_cbranch_execz .LBB80_181
; %bb.185:                              ;   in Loop: Header=BB80_183 Depth=2
	v_lshlrev_b16 v5, 8, v5
	s_delay_alu instid0(VALU_DEP_1)
	v_or_b32_e32 v5, 1, v5
	ds_store_b16 v18, v5 offset:3072
	s_branch .LBB80_181
.LBB80_186:                             ;   in Loop: Header=BB80_183 Depth=2
	v_add_nc_u32_e32 v4, s37, v4
	v_add_nc_u32_e32 v2, s57, v2
	s_mov_b32 s29, 0
	s_delay_alu instid0(VALU_DEP_2)
	v_cmp_le_u32_e32 vcc_lo, s67, v4
	s_or_not1_b32 s28, vcc_lo, exec_lo
	s_branch .LBB80_182
.LBB80_187:                             ;   in Loop: Header=BB80_11 Depth=1
	s_or_b32 exec_lo, exec_lo, s23
	v_and_b32_e32 v2, 0xffff, v5
	s_and_not1_b32 s23, s26, exec_lo
	s_wait_alu 0xfffe
	s_and_b32 s26, s27, exec_lo
	s_wait_alu 0xfffe
	s_or_b32 s26, s23, s26
	v_lshrrev_b32_e32 v33, 8, v2
.LBB80_188:                             ;   in Loop: Header=BB80_11 Depth=1
	s_wait_alu 0xfffe
	s_or_b32 exec_lo, exec_lo, s22
	s_mov_b32 s22, 0
	s_mov_b32 s23, -1
.LBB80_189:                             ;   in Loop: Header=BB80_11 Depth=1
	s_or_not1_b32 s26, s26, exec_lo
.LBB80_190:                             ;   in Loop: Header=BB80_11 Depth=1
	s_wait_alu 0xfffe
	s_or_b32 exec_lo, exec_lo, s24
	s_mov_b32 s27, 0
	s_and_saveexec_b32 s24, s26
	s_cbranch_execz .LBB80_240
; %bb.191:                              ;   in Loop: Header=BB80_11 Depth=1
	v_dual_mov_b32 v2, 1 :: v_dual_mov_b32 v1, 1
	s_xor_b32 s26, s25, -1
	s_wait_alu 0xfffe
	s_and_saveexec_b32 s25, s26
	s_cbranch_execz .LBB80_200
; %bb.192:                              ;   in Loop: Header=BB80_11 Depth=1
	s_mov_b32 s26, exec_lo
	v_cmpx_ge_u32_e64 s18, v3
	s_wait_alu 0xfffe
	s_xor_b32 s26, exec_lo, s26
	s_cbranch_execz .LBB80_197
; %bb.193:                              ;   in Loop: Header=BB80_11 Depth=1
	ds_load_b32 v1, v18 offset:4104
	s_lshl_b32 s27, 2, s76
	v_or_b32_e32 v32, s12, v32
	s_wait_alu 0xfffe
	v_and_or_b32 v14, v14, s19, s27
	s_wait_dscnt 0x0
	v_cmp_ne_u32_e32 vcc_lo, 0, v1
	s_cbranch_vccnz .LBB80_197
; %bb.194:                              ;   in Loop: Header=BB80_11 Depth=1
	s_and_saveexec_b32 s19, s2
; %bb.195:                              ;   in Loop: Header=BB80_11 Depth=1
	v_mov_b32_e32 v1, s18
	ds_store_b32 v18, v1 offset:4108
; %bb.196:                              ;   in Loop: Header=BB80_11 Depth=1
	s_wait_alu 0xfffe
	s_or_b32 exec_lo, exec_lo, s19
	s_wait_loadcnt_dscnt 0x0
	s_barrier_signal -1
	s_barrier_wait -1
	global_inv scope:SCOPE_SE
.LBB80_197:                             ;   in Loop: Header=BB80_11 Depth=1
	s_wait_alu 0xfffe
	s_or_saveexec_b32 s19, s26
	v_mov_b32_e32 v1, 8
	s_mov_b32 s26, 0
	s_wait_alu 0xfffe
	s_xor_b32 exec_lo, exec_lo, s19
; %bb.198:                              ;   in Loop: Header=BB80_11 Depth=1
	v_subrev_nc_u32_e32 v3, s18, v3
	v_mov_b32_e32 v1, 0
	s_mov_b32 s26, exec_lo
; %bb.199:                              ;   in Loop: Header=BB80_11 Depth=1
	s_or_b32 exec_lo, exec_lo, s19
	s_delay_alu instid0(VALU_DEP_2)
	v_mov_b32_e32 v2, v3
	s_wait_alu 0xfffe
	s_and_b32 s27, s26, exec_lo
.LBB80_200:                             ;   in Loop: Header=BB80_11 Depth=1
	s_wait_alu 0xfffe
	s_or_b32 exec_lo, exec_lo, s25
	s_mov_b32 s19, -1
                                        ; implicit-def: $sgpr26
                                        ; implicit-def: $sgpr25
	s_and_saveexec_b32 s18, s27
	s_cbranch_execz .LBB80_239
; %bb.201:                              ;   in Loop: Header=BB80_11 Depth=1
	v_cmp_eq_u32_e32 vcc_lo, 1, v2
	s_cmp_eq_u32 s11, 1
	s_mov_b32 s28, -1
	s_cselect_b32 s19, -1, 0
                                        ; implicit-def: $sgpr26
                                        ; implicit-def: $sgpr25
	s_wait_alu 0xfffe
	s_and_b32 s19, s19, vcc_lo
	s_wait_alu 0xfffe
	s_and_saveexec_b32 s27, s19
	s_cbranch_execz .LBB80_227
; %bb.202:                              ;   in Loop: Header=BB80_11 Depth=1
	ds_load_b32 v3, v18 offset:4104
	s_wait_loadcnt_dscnt 0x0
	s_barrier_signal -1
	s_barrier_wait -1
	global_inv scope:SCOPE_SE
	v_readfirstlane_b32 s29, v3
	s_and_saveexec_b32 s25, s3
; %bb.203:                              ;   in Loop: Header=BB80_11 Depth=1
	ds_store_b8 v0, v18 offset:3072
; %bb.204:                              ;   in Loop: Header=BB80_11 Depth=1
	s_wait_alu 0xfffe
	s_or_b32 exec_lo, exec_lo, s25
	v_or_b32_e32 v14, s12, v14
	v_or_b32_e32 v32, s12, v32
	s_mov_b32 s25, -1
	s_mov_b32 s26, 0
	s_cmp_eq_u32 s29, 0
	s_mov_b32 s28, 0
	s_mov_b32 s30, -1
	s_wait_loadcnt_dscnt 0x0
	s_barrier_signal -1
	s_barrier_wait -1
	global_inv scope:SCOPE_SE
                                        ; implicit-def: $vgpr33
	s_cbranch_scc1 .LBB80_215
; %bb.205:                              ;   in Loop: Header=BB80_11 Depth=1
	s_add_co_i32 s44, s29, s53
                                        ; implicit-def: $vgpr33
	s_wait_alu 0xfffe
	s_mul_u64 s[78:79], s[44:45], s[48:49]
	s_wait_alu 0xfffe
	s_mul_i32 s28, s79, s37
	s_wait_alu 0xfffe
	s_sub_co_i32 s28, s44, s28
	s_wait_alu 0xfffe
	s_sub_co_i32 s30, s28, s37
	s_cmp_ge_u32 s28, s37
	s_wait_alu 0xfffe
	s_cselect_b32 s28, s30, s28
	s_wait_alu 0xfffe
	s_sub_co_i32 s30, s28, s37
	s_cmp_ge_u32 s28, s37
	s_wait_alu 0xfffe
	s_cselect_b32 s28, s30, s28
	s_mov_b32 s30, 0
	s_wait_alu 0xfffe
	s_sub_co_i32 s77, s44, s28
	s_mov_b32 s28, 0
	s_mov_b32 s44, exec_lo
	s_wait_alu 0xfffe
	v_cmpx_gt_u32_e64 s77, v0
	s_cbranch_execz .LBB80_214
; %bb.206:                              ;   in Loop: Header=BB80_11 Depth=1
	v_mov_b32_e32 v3, v0
                                        ; implicit-def: $sgpr78
	s_branch .LBB80_209
.LBB80_207:                             ;   in Loop: Header=BB80_209 Depth=2
	s_wait_alu 0xfffe
	s_or_b32 exec_lo, exec_lo, s79
	s_wait_loadcnt_dscnt 0x0
	s_barrier_signal -1
	s_barrier_wait -1
	global_inv scope:SCOPE_SE
	ds_load_u16 v4, v18 offset:3072
	s_mov_b32 s80, -1
	s_mov_b32 s79, -1
	s_wait_loadcnt_dscnt 0x0
	s_barrier_signal -1
	s_barrier_wait -1
	global_inv scope:SCOPE_SE
	v_and_b32_e32 v5, 0xff, v4
	s_delay_alu instid0(VALU_DEP_1)
	v_cmp_ne_u32_e32 vcc_lo, 0, v5
	s_cbranch_vccz .LBB80_212
.LBB80_208:                             ;   in Loop: Header=BB80_209 Depth=2
	s_wait_alu 0xfffe
	s_and_b32 s80, exec_lo, s80
	s_wait_alu 0xfffe
	s_or_b32 s28, s80, s28
	s_and_not1_b32 s78, s78, exec_lo
	s_and_b32 s79, s79, exec_lo
	s_wait_alu 0xfffe
	s_or_b32 s78, s78, s79
	s_and_not1_b32 exec_lo, exec_lo, s28
	s_cbranch_execz .LBB80_213
.LBB80_209:                             ;   Parent Loop BB80_11 Depth=1
                                        ; =>  This Inner Loop Header: Depth=2
	s_mov_b32 s79, exec_lo
	s_delay_alu instid0(VALU_DEP_1)
	v_cmpx_gt_u32_e64 s29, v3
	s_cbranch_execz .LBB80_207
; %bb.210:                              ;   in Loop: Header=BB80_209 Depth=2
	ds_load_u8 v4, v3
	s_wait_dscnt 0x0
	v_bfe_i32 v5, v4, 0, 8
	s_delay_alu instid0(VALU_DEP_1) | instskip(NEXT) | instid1(VALU_DEP_1)
	v_add_nc_u32_e32 v5, 0x80, v5
	v_and_b32_e32 v5, v5, v32
	s_delay_alu instid0(VALU_DEP_1)
	v_cmp_eq_u32_e32 vcc_lo, v5, v14
	s_and_b32 exec_lo, exec_lo, vcc_lo
	s_cbranch_execz .LBB80_207
; %bb.211:                              ;   in Loop: Header=BB80_209 Depth=2
	v_lshlrev_b16 v4, 8, v4
	s_delay_alu instid0(VALU_DEP_1)
	v_or_b32_e32 v4, 1, v4
	ds_store_b16 v18, v4 offset:3072
	s_branch .LBB80_207
.LBB80_212:                             ;   in Loop: Header=BB80_209 Depth=2
	v_add_nc_u32_e32 v3, s37, v3
	s_mov_b32 s79, 0
	s_delay_alu instid0(VALU_DEP_1)
	v_cmp_le_u32_e32 vcc_lo, s77, v3
	s_or_not1_b32 s80, vcc_lo, exec_lo
	s_branch .LBB80_208
.LBB80_213:                             ;   in Loop: Header=BB80_11 Depth=1
	s_or_b32 exec_lo, exec_lo, s28
	v_and_b32_e32 v3, 0xffff, v4
	s_wait_alu 0xfffe
	s_and_b32 s28, s78, exec_lo
	s_delay_alu instid0(VALU_DEP_1)
	v_lshrrev_b32_e32 v33, 8, v3
.LBB80_214:                             ;   in Loop: Header=BB80_11 Depth=1
	s_or_b32 exec_lo, exec_lo, s44
.LBB80_215:                             ;   in Loop: Header=BB80_11 Depth=1
	s_wait_alu 0xfffe
	s_and_b32 vcc_lo, exec_lo, s30
	s_wait_alu 0xfffe
	s_cbranch_vccz .LBB80_226
; %bb.216:                              ;   in Loop: Header=BB80_11 Depth=1
                                        ; implicit-def: $vgpr33
	s_and_saveexec_b32 s25, s10
	s_cbranch_execz .LBB80_225
; %bb.217:                              ;   in Loop: Header=BB80_11 Depth=1
	v_dual_mov_b32 v3, v15 :: v_dual_mov_b32 v4, v0
	s_mov_b32 s26, 0
                                        ; implicit-def: $sgpr29
	s_branch .LBB80_220
.LBB80_218:                             ;   in Loop: Header=BB80_220 Depth=2
	s_wait_alu 0xfffe
	s_or_b32 exec_lo, exec_lo, s30
	s_wait_loadcnt_dscnt 0x0
	s_barrier_signal -1
	s_barrier_wait -1
	global_inv scope:SCOPE_SE
	ds_load_u16 v5, v18 offset:3072
	s_mov_b32 s30, -1
	s_mov_b32 s44, -1
	s_wait_loadcnt_dscnt 0x0
	s_barrier_signal -1
	s_barrier_wait -1
	global_inv scope:SCOPE_SE
	v_and_b32_e32 v6, 0xff, v5
	s_delay_alu instid0(VALU_DEP_1)
	v_cmp_eq_u32_e32 vcc_lo, 0, v6
	s_cbranch_vccnz .LBB80_223
.LBB80_219:                             ;   in Loop: Header=BB80_220 Depth=2
	s_wait_alu 0xfffe
	s_and_b32 s30, exec_lo, s30
	s_wait_alu 0xfffe
	s_or_b32 s26, s30, s26
	s_and_not1_b32 s29, s29, exec_lo
	s_and_b32 s30, s44, exec_lo
	s_wait_alu 0xfffe
	s_or_b32 s29, s29, s30
	s_and_not1_b32 exec_lo, exec_lo, s26
	s_cbranch_execz .LBB80_224
.LBB80_220:                             ;   Parent Loop BB80_11 Depth=1
                                        ; =>  This Inner Loop Header: Depth=2
	s_mov_b32 s30, exec_lo
	s_delay_alu instid0(VALU_DEP_1)
	v_cmpx_gt_u32_e64 s36, v4
	s_cbranch_execz .LBB80_218
; %bb.221:                              ;   in Loop: Header=BB80_220 Depth=2
	global_load_u8 v5, v3, s[42:43]
	s_wait_loadcnt 0x0
	v_bfe_i32 v6, v5, 0, 8
	s_delay_alu instid0(VALU_DEP_1) | instskip(NEXT) | instid1(VALU_DEP_1)
	v_add_nc_u32_e32 v6, 0x80, v6
	v_and_b32_e32 v6, v6, v32
	s_delay_alu instid0(VALU_DEP_1)
	v_cmp_eq_u32_e32 vcc_lo, v6, v14
	s_and_b32 exec_lo, exec_lo, vcc_lo
	s_cbranch_execz .LBB80_218
; %bb.222:                              ;   in Loop: Header=BB80_220 Depth=2
	v_lshlrev_b16 v5, 8, v5
	s_delay_alu instid0(VALU_DEP_1)
	v_or_b32_e32 v5, 1, v5
	ds_store_b16 v18, v5 offset:3072
	s_branch .LBB80_218
.LBB80_223:                             ;   in Loop: Header=BB80_220 Depth=2
	v_add_nc_u32_e32 v4, s37, v4
	v_add_nc_u32_e32 v3, s57, v3
	s_mov_b32 s44, 0
	s_delay_alu instid0(VALU_DEP_2)
	v_cmp_le_u32_e32 vcc_lo, s67, v4
	s_or_not1_b32 s30, vcc_lo, exec_lo
	s_branch .LBB80_219
.LBB80_224:                             ;   in Loop: Header=BB80_11 Depth=1
	s_or_b32 exec_lo, exec_lo, s26
	v_and_b32_e32 v3, 0xffff, v5
	s_and_not1_b32 s26, s28, exec_lo
	s_wait_alu 0xfffe
	s_and_b32 s28, s29, exec_lo
	s_wait_alu 0xfffe
	s_or_b32 s28, s26, s28
	v_lshrrev_b32_e32 v33, 8, v3
.LBB80_225:                             ;   in Loop: Header=BB80_11 Depth=1
	s_wait_alu 0xfffe
	s_or_b32 exec_lo, exec_lo, s25
	s_mov_b32 s25, 0
	s_mov_b32 s26, -1
.LBB80_226:                             ;   in Loop: Header=BB80_11 Depth=1
	s_or_not1_b32 s28, s28, exec_lo
.LBB80_227:                             ;   in Loop: Header=BB80_11 Depth=1
	s_wait_alu 0xfffe
	s_or_b32 exec_lo, exec_lo, s27
	s_mov_b32 s29, 0
	s_and_saveexec_b32 s27, s28
	s_cbranch_execz .LBB80_238
; %bb.228:                              ;   in Loop: Header=BB80_11 Depth=1
	v_mov_b32_e32 v1, 1
	v_mov_b32_e32 v3, 1
	s_xor_b32 s28, s19, -1
	s_wait_alu 0xfffe
	s_and_saveexec_b32 s19, s28
	s_cbranch_execz .LBB80_237
; %bb.229:                              ;   in Loop: Header=BB80_11 Depth=1
	s_mov_b32 s28, exec_lo
	v_cmpx_ge_u32_e64 s11, v2
	s_wait_alu 0xfffe
	s_xor_b32 s28, exec_lo, s28
	s_cbranch_execz .LBB80_234
; %bb.230:                              ;   in Loop: Header=BB80_11 Depth=1
	ds_load_b32 v1, v18 offset:4104
	v_or_b32_e32 v14, s12, v14
	v_or_b32_e32 v32, s12, v32
	s_wait_dscnt 0x0
	v_cmp_ne_u32_e32 vcc_lo, 0, v1
	s_cbranch_vccnz .LBB80_234
; %bb.231:                              ;   in Loop: Header=BB80_11 Depth=1
	s_and_saveexec_b32 s12, s2
; %bb.232:                              ;   in Loop: Header=BB80_11 Depth=1
	v_mov_b32_e32 v1, s11
	ds_store_b32 v18, v1 offset:4108
; %bb.233:                              ;   in Loop: Header=BB80_11 Depth=1
	s_wait_alu 0xfffe
	s_or_b32 exec_lo, exec_lo, s12
	s_wait_loadcnt_dscnt 0x0
	s_barrier_signal -1
	s_barrier_wait -1
	global_inv scope:SCOPE_SE
.LBB80_234:                             ;   in Loop: Header=BB80_11 Depth=1
	s_wait_alu 0xfffe
	s_and_not1_saveexec_b32 s12, s28
; %bb.235:                              ;   in Loop: Header=BB80_11 Depth=1
	v_subrev_nc_u32_e32 v2, s11, v2
; %bb.236:                              ;   in Loop: Header=BB80_11 Depth=1
	s_wait_alu 0xfffe
	s_or_b32 exec_lo, exec_lo, s12
	v_mov_b32_e32 v1, 8
	s_delay_alu instid0(VALU_DEP_2)
	v_mov_b32_e32 v3, v2
.LBB80_237:                             ;   in Loop: Header=BB80_11 Depth=1
	s_wait_alu 0xfffe
	s_or_b32 exec_lo, exec_lo, s19
	s_delay_alu instid0(VALU_DEP_1)
	v_mov_b32_e32 v2, v3
	s_mov_b32 s29, exec_lo
.LBB80_238:                             ;   in Loop: Header=BB80_11 Depth=1
	s_wait_alu 0xfffe
	s_or_b32 exec_lo, exec_lo, s27
	s_delay_alu instid0(SALU_CYCLE_1)
	s_or_not1_b32 s19, s29, exec_lo
.LBB80_239:                             ;   in Loop: Header=BB80_11 Depth=1
	s_wait_alu 0xfffe
	s_or_b32 exec_lo, exec_lo, s18
	v_mov_b32_e32 v3, v2
	s_and_not1_b32 s11, s23, exec_lo
	s_and_b32 s12, s26, exec_lo
	s_and_not1_b32 s18, s22, exec_lo
	s_and_b32 s22, s25, exec_lo
	s_wait_alu 0xfffe
	s_or_b32 s23, s11, s12
	s_or_b32 s22, s18, s22
	s_and_b32 s27, s19, exec_lo
.LBB80_240:                             ;   in Loop: Header=BB80_11 Depth=1
	s_wait_alu 0xfffe
	s_or_b32 exec_lo, exec_lo, s24
	s_delay_alu instid0(SALU_CYCLE_1)
	s_or_not1_b32 s24, s27, exec_lo
.LBB80_241:                             ;   in Loop: Header=BB80_11 Depth=1
	s_wait_alu 0xfffe
	s_or_b32 exec_lo, exec_lo, s21
	v_mov_b32_e32 v2, v3
	s_and_not1_b32 s11, s17, exec_lo
	s_and_b32 s12, s23, exec_lo
	s_and_not1_b32 s16, s16, exec_lo
	s_and_b32 s18, s22, exec_lo
	s_wait_alu 0xfffe
	s_or_b32 s17, s11, s12
	s_or_b32 s16, s16, s18
	s_and_b32 s24, s24, exec_lo
.LBB80_242:                             ;   in Loop: Header=BB80_11 Depth=1
	s_wait_alu 0xfffe
	s_or_b32 exec_lo, exec_lo, s20
	s_delay_alu instid0(SALU_CYCLE_1)
	s_or_not1_b32 s20, s24, exec_lo
.LBB80_243:                             ;   in Loop: Header=BB80_11 Depth=1
	s_wait_alu 0xfffe
	s_or_b32 exec_lo, exec_lo, s15
	s_mov_b32 s12, 0
                                        ; implicit-def: $sgpr22
	s_and_saveexec_b32 s11, s20
	s_wait_alu 0xfffe
	s_xor_b32 s11, exec_lo, s11
	s_cbranch_execz .LBB80_9
; %bb.244:                              ;   in Loop: Header=BB80_11 Depth=1
	v_and_b32_e32 v1, 7, v1
	s_mov_b32 s14, -1
	s_mov_b32 s12, -1
	s_mov_b32 s15, exec_lo
                                        ; implicit-def: $sgpr22
	s_delay_alu instid0(VALU_DEP_1)
	v_cmpx_eq_u32_e32 0, v1
	s_cbranch_execz .LBB80_8
; %bb.245:                              ;   in Loop: Header=BB80_11 Depth=1
	s_add_co_i32 s22, s76, -2
	s_cmp_eq_u32 s76, 0
	v_xor_b32_e32 v31, 1, v31
	s_cselect_b32 s14, -1, 0
	s_xor_b32 s12, exec_lo, -1
	s_wait_alu 0xfffe
	s_or_not1_b32 s14, s14, exec_lo
	s_branch .LBB80_8
.LBB80_246:
	s_or_b32 exec_lo, exec_lo, s69
	s_xor_b32 s4, s75, -1
	s_xor_b32 s1, s73, -1
	;; [unrolled: 1-line block ×3, first 2 shown]
	s_mov_b32 s2, 0
	s_and_saveexec_b32 s5, s1
	s_delay_alu instid0(SALU_CYCLE_1)
	s_xor_b32 s1, exec_lo, s5
	s_cbranch_execnz .LBB80_251
; %bb.247:
	s_and_not1_saveexec_b32 s0, s1
	s_cbranch_execnz .LBB80_264
.LBB80_248:
	s_or_b32 exec_lo, exec_lo, s0
	s_wait_alu 0xfffe
	s_and_saveexec_b32 s0, s2
.LBB80_249:
	; divergent unreachable
.LBB80_250:
	s_endpgm
.LBB80_251:
	s_and_saveexec_b32 s2, s4
	s_delay_alu instid0(SALU_CYCLE_1)
	s_xor_b32 s2, exec_lo, s2
	s_cbranch_execz .LBB80_262
; %bb.252:
	s_and_saveexec_b32 s4, s3
	s_delay_alu instid0(SALU_CYCLE_1)
	s_xor_b32 s3, exec_lo, s4
; %bb.253:
	v_xor_b32_e32 v33, 0xffffff80, v14
; %bb.254:
	s_or_b32 exec_lo, exec_lo, s3
	s_mul_i32 s3, s39, s31
	s_delay_alu instid0(SALU_CYCLE_1)
	v_mov_b32_e32 v1, s3
	global_store_b8 v1, v33, s[40:41]
	s_and_saveexec_b32 s3, s0
	s_cbranch_execz .LBB80_261
; %bb.255:
	v_and_b32_e32 v2, 0xff, v33
	s_mov_b32 s0, 0
                                        ; implicit-def: $sgpr4
                                        ; implicit-def: $sgpr6
                                        ; implicit-def: $sgpr5
	s_branch .LBB80_257
.LBB80_256:                             ;   in Loop: Header=BB80_257 Depth=1
	s_wait_alu 0xfffe
	s_or_b32 exec_lo, exec_lo, s7
	s_delay_alu instid0(SALU_CYCLE_1)
	s_and_b32 s7, exec_lo, s6
	s_wait_alu 0xfffe
	s_or_b32 s0, s7, s0
	s_and_not1_b32 s4, s4, exec_lo
	s_and_b32 s7, s5, exec_lo
	s_wait_alu 0xfffe
	s_or_b32 s4, s4, s7
	s_and_not1_b32 exec_lo, exec_lo, s0
	s_cbranch_execz .LBB80_259
.LBB80_257:                             ; =>This Inner Loop Header: Depth=1
	global_load_u8 v3, v15, s[42:43]
	v_mov_b32_e32 v1, v0
	s_or_b32 s5, s5, exec_lo
	s_or_b32 s6, s6, exec_lo
	s_mov_b32 s7, exec_lo
                                        ; implicit-def: $vgpr0
	s_wait_loadcnt 0x0
	v_cmpx_ne_u16_e64 v3, v2
	s_cbranch_execz .LBB80_256
; %bb.258:                              ;   in Loop: Header=BB80_257 Depth=1
	v_add_nc_u32_e32 v0, s37, v1
	v_add_nc_u32_e32 v15, s57, v15
	s_wait_alu 0xfffe
	s_and_not1_b32 s6, s6, exec_lo
	s_and_not1_b32 s5, s5, exec_lo
	v_cmp_le_u32_e32 vcc_lo, s36, v0
	s_and_b32 s8, vcc_lo, exec_lo
	s_wait_alu 0xfffe
	s_or_b32 s6, s6, s8
	s_branch .LBB80_256
.LBB80_259:
	s_or_b32 exec_lo, exec_lo, s0
	s_and_saveexec_b32 s0, s4
	s_delay_alu instid0(SALU_CYCLE_1)
	s_xor_b32 s0, exec_lo, s0
	s_cbranch_execz .LBB80_261
; %bb.260:
	s_mul_i32 s4, s33, s31
	s_mov_b32 s5, 0
	v_mov_b32_e32 v2, 0
	s_lshl_b64 s[4:5], s[4:5], 3
	s_delay_alu instid0(SALU_CYCLE_1)
	s_add_nc_u64 s[4:5], s[34:35], s[4:5]
	global_store_b64 v2, v[1:2], s[4:5]
.LBB80_261:
	s_wait_alu 0xfffe
	s_or_b32 exec_lo, exec_lo, s3
.LBB80_262:
	s_or_saveexec_b32 s0, s2
	s_mov_b32 s2, 0
	s_xor_b32 exec_lo, exec_lo, s0
	s_cbranch_execnz .LBB80_265
.LBB80_263:
	s_or_b32 exec_lo, exec_lo, s0
	s_wait_alu 0xfffe
	s_and_b32 s2, s2, exec_lo
	s_and_not1_saveexec_b32 s0, s1
	s_cbranch_execz .LBB80_248
.LBB80_264:
	s_wait_alu 0xfffe
	s_or_b32 s2, s2, exec_lo
	s_trap 2
	s_or_b32 exec_lo, exec_lo, s0
	s_wait_alu 0xfffe
	s_and_saveexec_b32 s0, s2
	s_cbranch_execnz .LBB80_249
	s_branch .LBB80_250
.LBB80_265:
	s_mov_b32 s2, exec_lo
	s_trap 2
	s_branch .LBB80_263
	.section	.rodata,"a",@progbits
	.p2align	6, 0x0
	.amdhsa_kernel _ZN2at6native12_GLOBAL__N_112gatherMedianIajLi1EEEvNS_4cuda6detail10TensorInfoIT_T0_EENS5_IlS7_EENS5_IKS6_S7_EES7_S7_S7_b
		.amdhsa_group_segment_fixed_size 4120
		.amdhsa_private_segment_fixed_size 0
		.amdhsa_kernarg_size 920
		.amdhsa_user_sgpr_count 2
		.amdhsa_user_sgpr_dispatch_ptr 0
		.amdhsa_user_sgpr_queue_ptr 0
		.amdhsa_user_sgpr_kernarg_segment_ptr 1
		.amdhsa_user_sgpr_dispatch_id 0
		.amdhsa_user_sgpr_private_segment_size 0
		.amdhsa_wavefront_size32 1
		.amdhsa_uses_dynamic_stack 0
		.amdhsa_enable_private_segment 0
		.amdhsa_system_sgpr_workgroup_id_x 1
		.amdhsa_system_sgpr_workgroup_id_y 1
		.amdhsa_system_sgpr_workgroup_id_z 1
		.amdhsa_system_sgpr_workgroup_info 0
		.amdhsa_system_vgpr_workitem_id 0
		.amdhsa_next_free_vgpr 68
		.amdhsa_next_free_sgpr 84
		.amdhsa_reserve_vcc 1
		.amdhsa_float_round_mode_32 0
		.amdhsa_float_round_mode_16_64 0
		.amdhsa_float_denorm_mode_32 3
		.amdhsa_float_denorm_mode_16_64 3
		.amdhsa_fp16_overflow 0
		.amdhsa_workgroup_processor_mode 1
		.amdhsa_memory_ordered 1
		.amdhsa_forward_progress 1
		.amdhsa_inst_pref_size 97
		.amdhsa_round_robin_scheduling 0
		.amdhsa_exception_fp_ieee_invalid_op 0
		.amdhsa_exception_fp_denorm_src 0
		.amdhsa_exception_fp_ieee_div_zero 0
		.amdhsa_exception_fp_ieee_overflow 0
		.amdhsa_exception_fp_ieee_underflow 0
		.amdhsa_exception_fp_ieee_inexact 0
		.amdhsa_exception_int_div_zero 0
	.end_amdhsa_kernel
	.section	.text._ZN2at6native12_GLOBAL__N_112gatherMedianIajLi1EEEvNS_4cuda6detail10TensorInfoIT_T0_EENS5_IlS7_EENS5_IKS6_S7_EES7_S7_S7_b,"axG",@progbits,_ZN2at6native12_GLOBAL__N_112gatherMedianIajLi1EEEvNS_4cuda6detail10TensorInfoIT_T0_EENS5_IlS7_EENS5_IKS6_S7_EES7_S7_S7_b,comdat
.Lfunc_end80:
	.size	_ZN2at6native12_GLOBAL__N_112gatherMedianIajLi1EEEvNS_4cuda6detail10TensorInfoIT_T0_EENS5_IlS7_EENS5_IKS6_S7_EES7_S7_S7_b, .Lfunc_end80-_ZN2at6native12_GLOBAL__N_112gatherMedianIajLi1EEEvNS_4cuda6detail10TensorInfoIT_T0_EENS5_IlS7_EENS5_IKS6_S7_EES7_S7_S7_b
                                        ; -- End function
	.set _ZN2at6native12_GLOBAL__N_112gatherMedianIajLi1EEEvNS_4cuda6detail10TensorInfoIT_T0_EENS5_IlS7_EENS5_IKS6_S7_EES7_S7_S7_b.num_vgpr, 68
	.set _ZN2at6native12_GLOBAL__N_112gatherMedianIajLi1EEEvNS_4cuda6detail10TensorInfoIT_T0_EENS5_IlS7_EENS5_IKS6_S7_EES7_S7_S7_b.num_agpr, 0
	.set _ZN2at6native12_GLOBAL__N_112gatherMedianIajLi1EEEvNS_4cuda6detail10TensorInfoIT_T0_EENS5_IlS7_EENS5_IKS6_S7_EES7_S7_S7_b.numbered_sgpr, 84
	.set _ZN2at6native12_GLOBAL__N_112gatherMedianIajLi1EEEvNS_4cuda6detail10TensorInfoIT_T0_EENS5_IlS7_EENS5_IKS6_S7_EES7_S7_S7_b.num_named_barrier, 0
	.set _ZN2at6native12_GLOBAL__N_112gatherMedianIajLi1EEEvNS_4cuda6detail10TensorInfoIT_T0_EENS5_IlS7_EENS5_IKS6_S7_EES7_S7_S7_b.private_seg_size, 0
	.set _ZN2at6native12_GLOBAL__N_112gatherMedianIajLi1EEEvNS_4cuda6detail10TensorInfoIT_T0_EENS5_IlS7_EENS5_IKS6_S7_EES7_S7_S7_b.uses_vcc, 1
	.set _ZN2at6native12_GLOBAL__N_112gatherMedianIajLi1EEEvNS_4cuda6detail10TensorInfoIT_T0_EENS5_IlS7_EENS5_IKS6_S7_EES7_S7_S7_b.uses_flat_scratch, 0
	.set _ZN2at6native12_GLOBAL__N_112gatherMedianIajLi1EEEvNS_4cuda6detail10TensorInfoIT_T0_EENS5_IlS7_EENS5_IKS6_S7_EES7_S7_S7_b.has_dyn_sized_stack, 0
	.set _ZN2at6native12_GLOBAL__N_112gatherMedianIajLi1EEEvNS_4cuda6detail10TensorInfoIT_T0_EENS5_IlS7_EENS5_IKS6_S7_EES7_S7_S7_b.has_recursion, 0
	.set _ZN2at6native12_GLOBAL__N_112gatherMedianIajLi1EEEvNS_4cuda6detail10TensorInfoIT_T0_EENS5_IlS7_EENS5_IKS6_S7_EES7_S7_S7_b.has_indirect_call, 0
	.section	.AMDGPU.csdata,"",@progbits
; Kernel info:
; codeLenInByte = 12292
; TotalNumSgprs: 86
; NumVgprs: 68
; ScratchSize: 0
; MemoryBound: 0
; FloatMode: 240
; IeeeMode: 1
; LDSByteSize: 4120 bytes/workgroup (compile time only)
; SGPRBlocks: 0
; VGPRBlocks: 8
; NumSGPRsForWavesPerEU: 86
; NumVGPRsForWavesPerEU: 68
; Occupancy: 16
; WaveLimiterHint : 1
; COMPUTE_PGM_RSRC2:SCRATCH_EN: 0
; COMPUTE_PGM_RSRC2:USER_SGPR: 2
; COMPUTE_PGM_RSRC2:TRAP_HANDLER: 0
; COMPUTE_PGM_RSRC2:TGID_X_EN: 1
; COMPUTE_PGM_RSRC2:TGID_Y_EN: 1
; COMPUTE_PGM_RSRC2:TGID_Z_EN: 1
; COMPUTE_PGM_RSRC2:TIDIG_COMP_CNT: 0
	.section	.text._ZN2at6native12_GLOBAL__N_112gatherMedianIajLi2EEEvNS_4cuda6detail10TensorInfoIT_T0_EENS5_IlS7_EENS5_IKS6_S7_EES7_S7_S7_b,"axG",@progbits,_ZN2at6native12_GLOBAL__N_112gatherMedianIajLi2EEEvNS_4cuda6detail10TensorInfoIT_T0_EENS5_IlS7_EENS5_IKS6_S7_EES7_S7_S7_b,comdat
	.globl	_ZN2at6native12_GLOBAL__N_112gatherMedianIajLi2EEEvNS_4cuda6detail10TensorInfoIT_T0_EENS5_IlS7_EENS5_IKS6_S7_EES7_S7_S7_b ; -- Begin function _ZN2at6native12_GLOBAL__N_112gatherMedianIajLi2EEEvNS_4cuda6detail10TensorInfoIT_T0_EENS5_IlS7_EENS5_IKS6_S7_EES7_S7_S7_b
	.p2align	8
	.type	_ZN2at6native12_GLOBAL__N_112gatherMedianIajLi2EEEvNS_4cuda6detail10TensorInfoIT_T0_EENS5_IlS7_EENS5_IKS6_S7_EES7_S7_S7_b,@function
_ZN2at6native12_GLOBAL__N_112gatherMedianIajLi2EEEvNS_4cuda6detail10TensorInfoIT_T0_EENS5_IlS7_EENS5_IKS6_S7_EES7_S7_S7_b: ; @_ZN2at6native12_GLOBAL__N_112gatherMedianIajLi2EEEvNS_4cuda6detail10TensorInfoIT_T0_EENS5_IlS7_EENS5_IKS6_S7_EES7_S7_S7_b
; %bb.0:
	s_clause 0x1
	s_load_b64 s[4:5], s[0:1], 0x298
	s_load_b128 s[36:39], s[0:1], 0x288
	s_lshr_b32 s2, ttmp7, 16
	s_and_b32 s3, ttmp7, 0xffff
	s_wait_kmcnt 0x0
	s_mul_i32 s2, s5, s2
	s_delay_alu instid0(SALU_CYCLE_1) | instskip(NEXT) | instid1(SALU_CYCLE_1)
	s_add_co_i32 s2, s2, s3
	s_mul_i32 s2, s2, s4
	s_delay_alu instid0(SALU_CYCLE_1) | instskip(NEXT) | instid1(SALU_CYCLE_1)
	s_add_co_i32 s34, s2, ttmp9
	s_cmp_ge_u32 s34, s37
	s_cbranch_scc1 .LBB81_250
; %bb.1:
	s_clause 0x2
	s_load_b32 s60, s[0:1], 0xc
	s_load_b32 s33, s[0:1], 0xe4
	;; [unrolled: 1-line block ×3, first 2 shown]
	s_mov_b32 s35, 0
	s_wait_kmcnt 0x0
	s_cvt_f32_u32 s2, s60
	s_cvt_f32_u32 s5, s33
	;; [unrolled: 1-line block ×3, first 2 shown]
	s_sub_co_i32 s8, 0, s60
	v_rcp_iflag_f32_e32 v1, s2
	v_rcp_iflag_f32_e32 v2, s5
	;; [unrolled: 1-line block ×3, first 2 shown]
	s_sub_co_i32 s10, 0, s33
	v_cmp_eq_u32_e64 s2, 0, v0
	s_delay_alu instid0(TRANS32_DEP_3) | instskip(NEXT) | instid1(TRANS32_DEP_2)
	v_readfirstlane_b32 s5, v1
	v_readfirstlane_b32 s6, v2
	s_delay_alu instid0(TRANS32_DEP_1)
	v_readfirstlane_b32 s7, v3
	s_mul_f32 s5, s5, 0x4f7ffffe
	s_mul_f32 s9, s6, 0x4f7ffffe
	;; [unrolled: 1-line block ×3, first 2 shown]
	s_wait_alu 0xfffe
	s_cvt_u32_f32 s6, s5
	s_cvt_u32_f32 s5, s9
	s_cvt_u32_f32 s9, s7
	s_sub_co_i32 s7, 0, s3
	s_wait_alu 0xfffe
	s_mul_i32 s8, s8, s6
	s_mul_i32 s10, s10, s5
	;; [unrolled: 1-line block ×3, first 2 shown]
	s_mul_hi_u32 s8, s6, s8
	s_wait_alu 0xfffe
	s_mul_hi_u32 s11, s9, s7
	s_mul_hi_u32 s7, s5, s10
	s_add_co_i32 s12, s9, s11
	s_and_saveexec_b32 s9, s2
; %bb.2:
	v_mov_b32_e32 v1, 0
	s_delay_alu instid0(VALU_DEP_1)
	v_mov_b32_e32 v2, v1
	ds_store_b64 v1, v[1:2] offset:4096
; %bb.3:
	s_or_b32 exec_lo, exec_lo, s9
	v_mov_b32_e32 v1, 0
	s_wait_dscnt 0x0
	s_barrier_signal -1
	s_barrier_wait -1
	global_inv scope:SCOPE_SE
	s_wait_loadcnt 0x0
	s_barrier_signal -1
	s_barrier_wait -1
	global_inv scope:SCOPE_SE
	ds_load_b64 v[1:2], v1 offset:4096
	s_add_co_i32 s6, s6, s8
	s_load_b64 s[8:9], s[0:1], 0x21c
	s_add_co_i32 s10, s5, s7
	s_bitcmp1_b32 s39, 0
	s_mov_b32 s13, s35
	s_cselect_b32 s5, -1, 0
	s_mov_b32 s18, s36
	s_wait_dscnt 0x0
	v_readfirstlane_b32 s14, v1
	v_readfirstlane_b32 s15, v2
	s_delay_alu instid0(VALU_DEP_1)
	v_cmp_lt_i64_e64 s11, s[14:15], 1
	s_wait_alu 0xfffe
	s_or_b32 s5, s5, s11
	s_wait_alu 0xfffe
	s_and_not1_b32 vcc_lo, exec_lo, s5
	s_cbranch_vccnz .LBB81_5
; %bb.4:
	s_not_b64 s[14:15], s[14:15]
	s_mov_b32 s37, 0
	s_wait_alu 0xfffe
	s_add_nc_u64 s[14:15], s[14:15], s[36:37]
	s_mov_b32 s17, s37
	s_wait_alu 0xfffe
	s_lshr_b32 s16, s15, 31
	s_delay_alu instid0(SALU_CYCLE_1)
	s_add_nc_u64 s[14:15], s[14:15], s[16:17]
	s_wait_alu 0xfffe
	s_lshr_b64 s[14:15], s[14:15], 1
	s_wait_alu 0xfffe
	s_add_co_i32 s18, s14, 1
.LBB81_5:
	s_clause 0x3
	s_load_b64 s[40:41], s[0:1], 0x144
	s_load_b64 s[14:15], s[0:1], 0x1b0
	;; [unrolled: 1-line block ×4, first 2 shown]
	s_mul_u64 s[16:17], s[34:35], s[12:13]
	s_mov_b32 s7, s35
	s_mov_b32 s11, s35
	s_add_nc_u64 s[12:13], s[0:1], 0x298
	s_and_saveexec_b32 s5, s2
	s_cbranch_execz .LBB81_7
; %bb.6:
	v_dual_mov_b32 v1, 0 :: v_dual_mov_b32 v2, s36
	ds_store_b32 v1, v1 offset:4112
	ds_store_b64 v1, v[1:2] offset:4104
.LBB81_7:
	s_wait_alu 0xfffe
	s_or_b32 exec_lo, exec_lo, s5
	s_mul_i32 s5, s17, s3
	s_wait_loadcnt_dscnt 0x0
	s_wait_alu 0xfffe
	s_sub_co_i32 s5, s34, s5
	s_barrier_signal -1
	s_barrier_wait -1
	global_inv scope:SCOPE_SE
	s_load_b32 s20, s[12:13], 0xc
	s_add_co_i32 s16, s17, 1
	s_sub_co_i32 s19, s5, s3
	s_cmp_ge_u32 s5, s3
	v_mul_lo_u32 v15, s38, v0
	s_cselect_b32 s16, s16, s17
	s_cselect_b32 s5, s19, s5
	s_add_co_i32 s17, s16, 1
	s_wait_alu 0xfffe
	s_cmp_ge_u32 s5, s3
	s_load_b64 s[42:43], s[0:1], 0xd8
	s_cselect_b32 s5, s17, s16
	s_mov_b32 s53, 0
	s_wait_alu 0xfffe
	s_mul_i32 s3, s5, s3
	s_wait_kmcnt 0x0
	s_mul_i32 s0, s5, s8
	s_wait_alu 0xfffe
	s_sub_co_i32 s3, s34, s3
	s_mul_u64 s[50:51], s[34:35], s[6:7]
	s_wait_alu 0xfffe
	s_mul_i32 s3, s3, s9
	s_mul_u64 s[30:31], s[34:35], s[10:11]
	s_wait_alu 0xfffe
	s_add_co_i32 s52, s0, s3
	v_mbcnt_lo_u32_b32 v16, -1, 0
	s_add_nc_u64 s[44:45], s[14:15], s[52:53]
	s_and_b32 s35, s20, 0xffff
	v_dual_mov_b32 v34, s18 :: v_dual_add_nc_u32 v1, 2, v0
	s_lshl_b32 s37, s35, 2
	v_add_co_u32 v9, s6, s44, v15
	s_wait_alu 0xf1ff
	v_add_co_ci_u32_e64 v10, null, s45, 0, s6
	s_wait_alu 0xfffe
	s_cvt_f32_u32 s6, s37
	v_cmp_gt_u32_e32 vcc_lo, 32, v0
	v_cmp_gt_i32_e64 s3, 4, v16
	v_max_u32_e32 v3, s36, v1
	v_lshlrev_b64_e64 v[1:2], v16, -1
	s_add_co_i32 s39, s35, -1
	s_wait_alu 0xfffe
	v_rcp_iflag_f32_e32 v4, s6
	s_bfe_u32 s5, s20, 0xb0005
	s_and_b32 s50, vcc_lo, s3
	s_add_co_i32 s10, s39, s36
	s_cmp_gt_u32 s36, 0xc00
	v_not_b32_e32 v19, v1
	s_cselect_b32 s61, -1, 0
	s_cmp_gt_u32 s35, 31
	v_lshrrev_b32_e32 v1, 1, v0
	s_cselect_b32 s63, -1, 0
	s_cmp_lt_u32 ttmp9, s4
	s_movk_i32 s6, 0x1f0
	s_cselect_b32 s52, 12, 18
	s_wait_alu 0xfffe
	s_add_co_i32 s4, s5, -1
	v_and_or_b32 v20, v1, s6, 0xc00
	v_readfirstlane_b32 s6, v4
	s_wait_alu 0xfffe
	s_and_b32 s4, s4, 0xffff
	s_bfe_u32 s64, s35, 0x30005
	s_wait_alu 0xfffe
	s_cmp_gt_u32 s4, 6
	v_xad_u32 v2, v0, -1, v3
	s_cselect_b32 s65, -1, 0
	s_and_b32 s66, s5, 0x7f8
	s_mul_f32 s5, s6, 0x4f7ffffe
	s_cvt_f32_u32 s6, s35
	s_cmp_lg_u32 s64, 0
	v_dual_mov_b32 v18, 0 :: v_dual_lshlrev_b32 v17, 2, v0
	s_wait_alu 0xfffe
	s_cvt_u32_f32 s5, s5
	s_cselect_b32 s67, -1, 0
	s_sub_co_i32 s7, 0, s37
	v_rcp_iflag_f32_e32 v4, s6
	s_wait_alu 0xfffe
	s_mul_i32 s7, s7, s5
	v_add_nc_u32_e32 v3, -4, v2
	s_wait_alu 0xfffe
	s_mul_hi_u32 s6, s5, s7
	v_mad_co_u64_u32 v[13:14], null, s38, v17, s[38:39]
	s_wait_alu 0xfffe
	s_add_co_i32 s54, s5, s6
	v_mov_b32_e32 v14, 0
	s_mul_hi_u32 s5, s36, s54
	v_lshrrev_b32_e32 v5, 2, v3
	s_wait_alu 0xfffe
	s_mul_i32 s5, s5, s37
	v_readfirstlane_b32 s6, v4
	s_wait_alu 0xfffe
	s_sub_co_i32 s5, s36, s5
	v_dual_mov_b32 v32, 0 :: v_dual_add_nc_u32 v1, 1, v5
	s_wait_alu 0xfffe
	s_sub_co_i32 s7, s5, s37
	s_cmp_ge_u32 s5, s37
	s_mul_f32 s6, s6, 0x4f7ffffe
	s_wait_alu 0xfffe
	s_cselect_b32 s7, s7, s5
	v_dual_mov_b32 v31, 0 :: v_dual_and_b32 v4, 3, v1
	s_wait_alu 0xfffe
	s_sub_co_i32 s8, s7, s37
	s_cmp_ge_u32 s7, s37
	s_cvt_u32_f32 s9, s6
	s_cselect_b32 s11, s8, s7
	s_sub_co_i32 s6, 0, s35
	s_sub_co_i32 s72, s36, s11
	s_wait_alu 0xfffe
	s_mul_i32 s7, s6, s9
	v_add_nc_u32_e32 v24, s72, v0
	s_wait_alu 0xfffe
	s_mul_hi_u32 s8, s9, s7
	v_and_b32_e32 v23, 0x7ffffffc, v1
	s_add_co_i32 s56, s9, s8
	v_and_b32_e32 v21, -4, v2
	s_mul_hi_u32 s8, s10, s56
	v_mul_lo_u32 v1, v24, s38
	s_mul_i32 s8, s8, s35
	v_cmp_lt_u32_e64 s4, 31, v2
	s_sub_co_i32 s8, s10, s8
	v_cmp_lt_u32_e64 s5, 11, v3
	s_sub_co_i32 s9, s8, s35
	s_cmp_ge_u32 s8, s35
	v_cmp_ne_u32_e64 s7, v2, v21
	s_cselect_b32 s14, s9, s8
	v_or_b32_e32 v2, 2, v17
	s_wait_alu 0xfffe
	s_sub_co_i32 s15, s14, s35
	s_cmp_ge_u32 s14, s35
	v_or_b32_e32 v3, 3, v17
	s_wait_alu 0xfffe
	s_cselect_b32 s14, s15, s14
	v_add_co_u32 v11, s15, s44, v1
	v_add3_u32 v1, s35, s36, v0
	v_mul_lo_u32 v26, s38, v2
	v_mul_lo_u32 v27, s38, v3
	s_wait_alu 0xfffe
	s_sub_co_i32 s73, s10, s14
	v_cmp_gt_u32_e64 s0, s36, v0
	v_subrev_nc_u32_e32 v1, s11, v1
	v_cmp_eq_u32_e64 s1, 0, v16
	v_cmp_gt_u32_e64 s3, 2, v0
	v_dual_mov_b32 v33, 0 :: v_dual_add_nc_u32 v22, v0, v21
	s_delay_alu instid0(VALU_DEP_4)
	v_mul_lo_u32 v29, s38, v1
	v_cmp_ne_u32_e64 s6, 0, v4
	v_cmp_gt_u32_e64 s8, s72, v17
	v_cmp_gt_u32_e64 s9, s36, v24
	v_add_co_ci_u32_e64 v12, null, s45, 0, s15
	s_wait_alu 0xfffe
	v_cmp_gt_u32_e64 s10, s73, v0
	v_lshlrev_b32_e32 v25, 2, v4
	v_lshlrev_b32_e32 v28, 2, v15
	v_lshl_or_b32 v30, v16, 2, 0xc00
	s_mul_i32 s62, s38, s35
	s_mov_b32 s68, s38
	s_mov_b32 s69, s38
	;; [unrolled: 1-line block ×7, first 2 shown]
	s_lshl_b32 s74, s62, 2
	s_add_nc_u64 s[58:59], s[12:13], s[52:53]
	s_mov_b32 s75, 0
                                        ; implicit-def: $sgpr79
                                        ; implicit-def: $sgpr81
                                        ; implicit-def: $sgpr76
                                        ; implicit-def: $sgpr78
                                        ; implicit-def: $sgpr80
                                        ; implicit-def: $sgpr77
	s_branch .LBB81_11
.LBB81_8:                               ;   in Loop: Header=BB81_11 Depth=1
	s_wait_alu 0xfffe
	s_or_b32 exec_lo, exec_lo, s15
	s_delay_alu instid0(SALU_CYCLE_1)
	s_and_b32 s12, s12, exec_lo
	s_and_not1_b32 s17, s17, exec_lo
	s_and_not1_b32 s16, s16, exec_lo
	s_or_not1_b32 s14, s14, exec_lo
.LBB81_9:                               ;   in Loop: Header=BB81_11 Depth=1
	s_wait_alu 0xfffe
	s_or_b32 exec_lo, exec_lo, s11
	s_delay_alu instid0(SALU_CYCLE_1)
	s_and_not1_b32 s11, s77, exec_lo
	s_and_b32 s12, s12, exec_lo
	s_and_not1_b32 s15, s78, exec_lo
	s_wait_alu 0xfffe
	s_or_b32 s77, s11, s12
	s_and_not1_b32 s11, s80, exec_lo
	s_and_b32 s12, s17, exec_lo
	s_and_b32 s16, s16, exec_lo
	s_wait_alu 0xfffe
	s_or_b32 s80, s11, s12
	s_or_b32 s78, s15, s16
	s_or_not1_b32 s15, s14, exec_lo
.LBB81_10:                              ;   in Loop: Header=BB81_11 Depth=1
	s_wait_alu 0xfffe
	s_or_b32 exec_lo, exec_lo, s13
	s_delay_alu instid0(SALU_CYCLE_1)
	s_and_b32 s11, exec_lo, s15
	v_mov_b32_e32 v34, v2
	s_wait_alu 0xfffe
	s_or_b32 s75, s11, s75
	s_and_not1_b32 s11, s76, exec_lo
	s_and_b32 s12, s77, exec_lo
	s_and_not1_b32 s13, s81, exec_lo
	s_wait_alu 0xfffe
	s_or_b32 s76, s11, s12
	s_and_b32 s11, s80, exec_lo
	s_and_not1_b32 s12, s79, exec_lo
	s_and_b32 s14, s78, exec_lo
	s_wait_alu 0xfffe
	s_or_b32 s81, s13, s11
	s_or_b32 s79, s12, s14
	s_mov_b32 s82, s22
	s_and_not1_b32 exec_lo, exec_lo, s75
	s_cbranch_execz .LBB81_246
.LBB81_11:                              ; =>This Loop Header: Depth=1
                                        ;     Child Loop BB81_16 Depth 2
                                        ;     Child Loop BB81_37 Depth 2
	;; [unrolled: 1-line block ×18, first 2 shown]
	ds_load_b64 v[1:2], v18 offset:4104
	s_wait_dscnt 0x0
	v_readfirstlane_b32 s52, v1
	s_cmp_lg_u32 s52, 0
	s_cbranch_scc1 .LBB81_56
; %bb.12:                               ;   in Loop: Header=BB81_11 Depth=1
	s_and_b32 vcc_lo, exec_lo, s61
	s_wait_alu 0xfffe
	s_cbranch_vccz .LBB81_24
; %bb.13:                               ;   in Loop: Header=BB81_11 Depth=1
	v_cmp_gt_u32_e32 vcc_lo, 0xc01, v2
	s_mov_b32 s13, 0
	s_mov_b32 s11, 0
	s_cbranch_vccz .LBB81_25
; %bb.14:                               ;   in Loop: Header=BB81_11 Depth=1
	global_load_u8 v2, v[9:10], off
	s_load_u16 s14, s[58:59], 0x0
	v_mov_b32_e32 v3, v0
	s_mov_b32 s15, 0
	s_wait_kmcnt 0x0
	v_add_nc_u32_e32 v1, s14, v0
	s_mul_i32 s16, s38, s14
	s_delay_alu instid0(VALU_DEP_1)
	v_mul_lo_u32 v1, s38, v1
	s_branch .LBB81_16
.LBB81_15:                              ;   in Loop: Header=BB81_16 Depth=2
	s_wait_alu 0xfffe
	s_or_b32 exec_lo, exec_lo, s12
	v_dual_mov_b32 v2, v4 :: v_dual_add_nc_u32 v1, s16, v1
	s_and_not1_b32 exec_lo, exec_lo, s15
	s_cbranch_execz .LBB81_31
.LBB81_16:                              ;   Parent Loop BB81_11 Depth=1
                                        ; =>  This Inner Loop Header: Depth=2
	v_dual_mov_b32 v4, 0 :: v_dual_add_nc_u32 v3, s14, v3
	s_wait_dscnt 0x0
	v_mov_b32_e32 v5, 0
	s_mov_b32 s12, exec_lo
	s_delay_alu instid0(VALU_DEP_2)
	v_cmp_le_u32_e32 vcc_lo, s36, v3
	v_cmpx_gt_u32_e64 s36, v3
	s_cbranch_execz .LBB81_18
; %bb.17:                               ;   in Loop: Header=BB81_16 Depth=2
	global_load_u8 v4, v1, s[44:45]
.LBB81_18:                              ;   in Loop: Header=BB81_16 Depth=2
	s_wait_alu 0xfffe
	s_or_b32 exec_lo, exec_lo, s12
	s_wait_loadcnt 0x0
	v_bfe_i32 v6, v2, 0, 8
	s_delay_alu instid0(VALU_DEP_1) | instskip(NEXT) | instid1(VALU_DEP_1)
	v_add_nc_u32_e32 v6, 0x80, v6
	v_and_b32_e32 v6, v6, v32
	s_delay_alu instid0(VALU_DEP_1)
	v_cmp_eq_u32_e64 s11, v6, v14
	s_cmp_lg_u32 s11, 0
	s_cselect_b32 s12, -1, 0
	s_wait_alu 0xfffe
	s_and_b32 s12, s1, s12
	s_wait_alu 0xfffe
	s_and_saveexec_b32 s17, s12
	s_cbranch_execz .LBB81_22
; %bb.19:                               ;   in Loop: Header=BB81_16 Depth=2
	s_mov_b32 s20, exec_lo
	s_bcnt1_i32_b32 s18, s11
	s_wait_alu 0xfffe
	v_mbcnt_lo_u32_b32 v5, s20, 0
	s_mov_b32 s19, exec_lo
                                        ; implicit-def: $vgpr6
	s_delay_alu instid0(VALU_DEP_1)
	v_cmpx_eq_u32_e32 0, v5
; %bb.20:                               ;   in Loop: Header=BB81_16 Depth=2
	s_bcnt1_i32_b32 s12, s20
	s_wait_alu 0xfffe
	s_mul_i32 s12, s18, s12
	s_wait_alu 0xfffe
	v_mov_b32_e32 v6, s12
	ds_add_rtn_u32 v6, v18, v6 offset:4112
; %bb.21:                               ;   in Loop: Header=BB81_16 Depth=2
	s_or_b32 exec_lo, exec_lo, s19
	s_wait_dscnt 0x0
	v_readfirstlane_b32 s12, v6
	s_wait_alu 0xf1ff
	s_delay_alu instid0(VALU_DEP_1)
	v_mad_u32_u24 v5, s18, v5, s12
.LBB81_22:                              ;   in Loop: Header=BB81_16 Depth=2
	s_wait_alu 0xfffe
	s_or_b32 exec_lo, exec_lo, s17
	ds_bpermute_b32 v5, v18, v5
	s_and_b32 s12, exec_lo, vcc_lo
	s_wait_alu 0xfffe
	s_or_b32 s15, s12, s15
	s_and_saveexec_b32 s12, s11
	s_cbranch_execz .LBB81_15
; %bb.23:                               ;   in Loop: Header=BB81_16 Depth=2
	v_and_b32_e32 v6, s11, v19
	s_wait_dscnt 0x0
	s_delay_alu instid0(VALU_DEP_1)
	v_bcnt_u32_b32 v5, v6, v5
	ds_store_b8 v5, v2
	s_branch .LBB81_15
.LBB81_24:                              ;   in Loop: Header=BB81_11 Depth=1
	s_mov_b32 s13, -1
	s_mov_b32 s11, 0
.LBB81_25:                              ;   in Loop: Header=BB81_11 Depth=1
	s_wait_alu 0xfffe
	s_and_b32 vcc_lo, exec_lo, s13
	s_wait_alu 0xfffe
	s_cbranch_vccz .LBB81_54
.LBB81_26:                              ;   in Loop: Header=BB81_11 Depth=1
	s_and_saveexec_b32 s12, s0
	s_cbranch_execz .LBB81_51
; %bb.27:                               ;   in Loop: Header=BB81_11 Depth=1
	global_load_u8 v35, v[9:10], off
	s_load_u16 s14, s[58:59], 0x0
	s_mov_b32 s13, exec_lo
	s_wait_kmcnt 0x0
	v_dual_mov_b32 v2, v0 :: v_dual_add_nc_u32 v1, s14, v0
	s_delay_alu instid0(VALU_DEP_1)
	v_cmpx_gt_u32_e64 s36, v1
	s_cbranch_execz .LBB81_50
; %bb.28:                               ;   in Loop: Header=BB81_11 Depth=1
	s_mov_b32 s11, 0
	s_mul_i32 s15, s38, s14
                                        ; implicit-def: $vgpr2
                                        ; implicit-def: $vgpr5
                                        ; implicit-def: $vgpr3
                                        ; implicit-def: $vgpr4
	s_and_saveexec_b32 s16, s4
	s_wait_alu 0xfffe
	s_xor_b32 s16, exec_lo, s16
	s_cbranch_execnz .LBB81_34
; %bb.29:                               ;   in Loop: Header=BB81_11 Depth=1
	s_wait_alu 0xfffe
	s_and_not1_saveexec_b32 s16, s16
	s_cbranch_execnz .LBB81_45
.LBB81_30:                              ;   in Loop: Header=BB81_11 Depth=1
	s_wait_alu 0xfffe
	s_or_b32 exec_lo, exec_lo, s16
	s_and_saveexec_b32 s15, s11
	s_cbranch_execnz .LBB81_46
	s_branch .LBB81_49
.LBB81_31:                              ;   in Loop: Header=BB81_11 Depth=1
	s_or_b32 exec_lo, exec_lo, s15
	s_wait_dscnt 0x0
	s_barrier_signal -1
	s_barrier_wait -1
	global_inv scope:SCOPE_SE
	s_and_saveexec_b32 s11, s2
	s_cbranch_execz .LBB81_33
; %bb.32:                               ;   in Loop: Header=BB81_11 Depth=1
	ds_load_b32 v1, v18 offset:4112
	s_wait_dscnt 0x0
	ds_store_b32 v18, v1 offset:4104
.LBB81_33:                              ;   in Loop: Header=BB81_11 Depth=1
	s_wait_alu 0xfffe
	s_or_b32 exec_lo, exec_lo, s11
	s_wait_loadcnt_dscnt 0x0
	s_barrier_signal -1
	s_mov_b32 s11, -1
	s_barrier_wait -1
	s_and_b32 vcc_lo, exec_lo, s13
	s_wait_alu 0xfffe
	s_cbranch_vccnz .LBB81_26
	s_branch .LBB81_54
.LBB81_34:                              ;   in Loop: Header=BB81_11 Depth=1
	v_add_nc_u32_e32 v2, s14, v1
	s_cvt_f32_u32 s11, s14
	s_wait_alu 0xfffe
	s_delay_alu instid0(SALU_CYCLE_2) | instskip(NEXT) | instid1(VALU_DEP_1)
	v_rcp_iflag_f32_e32 v3, s11
	v_max_u32_e32 v2, s36, v2
	s_lshl_b32 s11, s14, 1
	s_delay_alu instid0(VALU_DEP_1) | instskip(NEXT) | instid1(TRANS32_DEP_1)
	v_sub_nc_u32_e32 v2, v2, v0
	v_readfirstlane_b32 s17, v3
	s_wait_alu 0xfffe
	s_delay_alu instid0(VALU_DEP_2) | instskip(SKIP_3) | instid1(VALU_DEP_1)
	v_cmp_ne_u32_e32 vcc_lo, s11, v2
	s_mul_f32 s17, s17, 0x4f7ffffe
	s_wait_alu 0xfffd
	v_cndmask_b32_e64 v3, 0, 1, vcc_lo
	v_or_b32_e32 v3, s11, v3
	s_wait_alu 0xfffe
	s_cvt_u32_f32 s11, s17
	s_sub_co_i32 s17, 0, s14
	s_wait_alu 0xfffe
	s_delay_alu instid0(SALU_CYCLE_1)
	s_mul_i32 s17, s17, s11
	v_sub_nc_u32_e32 v2, v2, v3
	s_wait_alu 0xfffe
	s_mul_hi_u32 s17, s11, s17
	s_wait_alu 0xfffe
	s_add_co_i32 s11, s11, s17
	s_not_b32 s17, s15
	s_wait_alu 0xfffe
	v_mul_hi_u32 v3, v2, s11
	s_delay_alu instid0(VALU_DEP_1) | instskip(NEXT) | instid1(VALU_DEP_1)
	v_mul_lo_u32 v4, v3, s14
	v_sub_nc_u32_e32 v2, v2, v4
	v_add_nc_u32_e32 v4, 1, v3
	s_delay_alu instid0(VALU_DEP_2) | instskip(SKIP_2) | instid1(VALU_DEP_1)
	v_subrev_nc_u32_e32 v5, s14, v2
	v_cmp_le_u32_e64 s11, s14, v2
	s_wait_alu 0xf1ff
	v_cndmask_b32_e64 v3, v3, v4, s11
	s_delay_alu instid0(VALU_DEP_3) | instskip(NEXT) | instid1(VALU_DEP_2)
	v_cndmask_b32_e64 v2, v2, v5, s11
	v_add_nc_u32_e32 v4, 1, v3
	s_delay_alu instid0(VALU_DEP_2) | instskip(SKIP_1) | instid1(VALU_DEP_1)
	v_cmp_le_u32_e64 s11, s14, v2
	s_wait_alu 0xf1ff
	v_cndmask_b32_e64 v2, v3, v4, s11
	v_mul_lo_u32 v3, s38, v1
	s_abs_i32 s11, s15
	s_delay_alu instid0(VALU_DEP_2) | instskip(SKIP_1) | instid1(VALU_DEP_1)
	v_add_co_ci_u32_e64 v2, null, 0, v2, vcc_lo
	s_wait_alu 0xfffe
	v_mul_hi_u32 v4, s11, v2
	v_mul_lo_u32 v2, s11, v2
	s_ashr_i32 s11, s17, 31
	s_cmp_eq_u32 s14, 1
	s_wait_alu 0xfffe
	v_xor_b32_e32 v3, s11, v3
	s_cselect_b32 s17, -1, 0
	s_delay_alu instid0(VALU_DEP_3) | instskip(NEXT) | instid1(VALU_DEP_2)
	v_cmp_eq_u32_e32 vcc_lo, 0, v4
	v_cmp_le_u32_e64 s11, v2, v3
	v_mov_b32_e32 v3, v0
                                        ; implicit-def: $vgpr2
	s_wait_alu 0xfffe
	s_and_b32 s17, vcc_lo, s17
	s_wait_alu 0xfffe
	s_and_b32 s18, s17, s11
	s_mov_b32 s17, -1
	s_wait_alu 0xfffe
	s_and_saveexec_b32 s11, s18
	s_cbranch_execz .LBB81_44
; %bb.35:                               ;   in Loop: Header=BB81_11 Depth=1
	v_add_nc_u32_e32 v4, 3, v1
	v_dual_mov_b32 v38, 0 :: v_dual_add_nc_u32 v3, 2, v1
	v_add_nc_u32_e32 v2, 1, v1
	s_wait_loadcnt 0x0
	v_lshlrev_b32_e32 v36, 24, v35
	v_dual_mov_b32 v8, v4 :: v_dual_mov_b32 v5, v1
	s_delay_alu instid0(VALU_DEP_3)
	v_dual_mov_b32 v7, v3 :: v_dual_mov_b32 v6, v2
                                        ; implicit-def: $vgpr35
	s_and_saveexec_b32 s17, s5
	s_cbranch_execz .LBB81_39
; %bb.36:                               ;   in Loop: Header=BB81_11 Depth=1
	v_dual_mov_b32 v37, v23 :: v_dual_mov_b32 v8, v4
	v_dual_mov_b32 v7, v3 :: v_dual_mov_b32 v6, v2
	v_mov_b32_e32 v5, v1
	s_mov_b32 s18, 0
	s_mov_b32 s19, 0
.LBB81_37:                              ;   Parent Loop BB81_11 Depth=1
                                        ; =>  This Inner Loop Header: Depth=2
	s_delay_alu instid0(VALU_DEP_1)
	v_mul_lo_u32 v2, v5, s68
	v_mul_lo_u32 v38, v6, s69
	v_add_nc_u32_e32 v3, 4, v5
	v_mul_lo_u32 v35, v7, s70
	v_add_nc_u32_e32 v39, 4, v6
	;; [unrolled: 2-line block ×3, first 2 shown]
	v_mul_lo_u32 v53, v3, s68
	v_add_co_u32 v2, s20, s44, v2
	v_add_nc_u32_e32 v41, 4, v8
	v_add_nc_u32_e32 v42, 8, v5
	v_mul_lo_u32 v52, v39, s69
	s_wait_alu 0xf1ff
	v_add_co_ci_u32_e64 v3, null, s45, 0, s20
	v_add_co_u32 v38, s20, s44, v38
	v_add_nc_u32_e32 v43, 8, v6
	v_add_nc_u32_e32 v44, 8, v7
	v_mul_lo_u32 v51, v40, s70
	s_wait_alu 0xf1ff
	v_add_co_ci_u32_e64 v39, null, s45, 0, s20
	v_add_co_u32 v40, s20, s44, v35
	v_add_nc_u32_e32 v45, 8, v8
	v_add_nc_u32_e32 v46, 12, v5
	v_mul_lo_u32 v50, v41, s71
	v_mul_lo_u32 v55, v42, s68
	s_wait_alu 0xf1ff
	v_add_co_ci_u32_e64 v41, null, s45, 0, s20
	v_add_co_u32 v42, s20, s44, v4
	v_add_nc_u32_e32 v47, 12, v6
	v_add_nc_u32_e32 v48, 12, v7
	v_mul_lo_u32 v56, v44, s70
	v_mul_lo_u32 v54, v43, s69
	s_wait_alu 0xf1ff
	v_add_co_ci_u32_e64 v43, null, s45, 0, s20
	v_add_co_u32 v44, s20, s44, v53
	v_add_nc_u32_e32 v49, 12, v8
	v_mul_lo_u32 v58, v45, s71
	v_mul_lo_u32 v60, v46, s68
	s_wait_alu 0xf1ff
	v_add_co_ci_u32_e64 v45, null, s45, 0, s20
	v_add_co_u32 v46, s20, s44, v52
	v_mul_lo_u32 v64, v48, s70
	v_mul_lo_u32 v62, v47, s69
	s_wait_alu 0xf1ff
	v_add_co_ci_u32_e64 v47, null, s45, 0, s20
	v_add_co_u32 v48, s20, s44, v51
	v_mul_lo_u32 v66, v49, s71
	s_wait_alu 0xf1ff
	v_add_co_ci_u32_e64 v49, null, s45, 0, s20
	v_add_co_u32 v50, s20, s44, v50
	s_wait_alu 0xf1ff
	v_add_co_ci_u32_e64 v51, null, s45, 0, s20
	v_add_co_u32 v52, s20, s44, v55
	s_wait_alu 0xf1ff
	v_add_co_ci_u32_e64 v53, null, s45, 0, s20
	v_add_co_u32 v54, s20, s44, v54
	s_wait_alu 0xf1ff
	v_add_co_ci_u32_e64 v55, null, s45, 0, s20
	v_add_co_u32 v56, s20, s44, v56
	s_wait_alu 0xf1ff
	v_add_co_ci_u32_e64 v57, null, s45, 0, s20
	v_add_co_u32 v58, s20, s44, v58
	s_wait_alu 0xf1ff
	v_add_co_ci_u32_e64 v59, null, s45, 0, s20
	v_add_co_u32 v60, s20, s44, v60
	s_wait_alu 0xf1ff
	v_add_co_ci_u32_e64 v61, null, s45, 0, s20
	v_add_co_u32 v62, s20, s44, v62
	s_wait_alu 0xf1ff
	v_add_co_ci_u32_e64 v63, null, s45, 0, s20
	v_add_co_u32 v64, s20, s44, v64
	s_wait_alu 0xf1ff
	v_add_co_ci_u32_e64 v65, null, s45, 0, s20
	v_add_co_u32 v66, s20, s44, v66
	s_wait_alu 0xf1ff
	v_add_co_ci_u32_e64 v67, null, s45, 0, s20
	s_clause 0xf
	global_load_u8 v4, v[40:41], off
	global_load_u8 v40, v[42:43], off
	;; [unrolled: 1-line block ×16, first 2 shown]
	v_add_nc_u32_e32 v37, -4, v37
	s_wait_alu 0xfffe
	v_add_nc_u32_e32 v51, s19, v0
	s_add_co_i32 s19, s19, 16
	v_add_nc_u32_e32 v8, 16, v8
	v_add_nc_u32_e32 v7, 16, v7
	v_cmp_eq_u32_e32 vcc_lo, 0, v37
	v_add_nc_u32_e32 v6, 16, v6
	s_wait_alu 0xfffe
	v_dual_mov_b32 v38, s19 :: v_dual_add_nc_u32 v5, 16, v5
	s_or_b32 s18, vcc_lo, s18
	s_wait_loadcnt 0x9
	v_perm_b32 v4, v39, v4, 0xc0c0004
	s_wait_loadcnt 0x8
	v_perm_b32 v2, v36, v2, 0xc0c0007
	v_perm_b32 v36, v40, v41, 0xc0c0004
	;; [unrolled: 1-line block ×3, first 2 shown]
	s_wait_loadcnt 0x7
	v_perm_b32 v3, v43, v3, 0xc0c0004
	s_wait_loadcnt 0x4
	v_perm_b32 v41, v47, v45, 0xc0c0004
	v_lshl_or_b32 v39, v4, 16, v2
	s_wait_loadcnt 0x2
	v_perm_b32 v44, v48, v49, 0xc0c0004
	s_wait_loadcnt 0x1
	v_perm_b32 v43, v50, v48, 0xc0c0004
	v_perm_b32 v42, v46, v50, 0xc0c0004
	s_wait_loadcnt 0x0
	v_perm_b32 v45, v49, v35, 0xc0c0004
	v_lshl_or_b32 v40, v40, 16, v36
	v_lshl_or_b32 v41, v41, 16, v3
	;; [unrolled: 1-line block ×3, first 2 shown]
	s_delay_alu instid0(VALU_DEP_4)
	v_lshl_or_b32 v36, v45, 16, v43
	ds_store_b128 v51, v[39:42]
	s_wait_alu 0xfffe
	s_and_not1_b32 exec_lo, exec_lo, s18
	s_cbranch_execnz .LBB81_37
; %bb.38:                               ;   in Loop: Header=BB81_11 Depth=1
	s_or_b32 exec_lo, exec_lo, s18
.LBB81_39:                              ;   in Loop: Header=BB81_11 Depth=1
	s_wait_alu 0xfffe
	s_or_b32 exec_lo, exec_lo, s17
	s_and_saveexec_b32 s17, s6
	s_cbranch_execz .LBB81_43
; %bb.40:                               ;   in Loop: Header=BB81_11 Depth=1
	v_dual_mov_b32 v3, v25 :: v_dual_add_nc_u32 v2, v0, v38
	s_mov_b32 s18, 0
.LBB81_41:                              ;   Parent Loop BB81_11 Depth=1
                                        ; =>  This Inner Loop Header: Depth=2
	v_mul_lo_u32 v4, v5, s68
	v_mul_lo_u32 v35, v6, s69
	;; [unrolled: 1-line block ×4, first 2 shown]
	v_add_nc_u32_e32 v3, -4, v3
	v_add_nc_u32_e32 v8, 4, v8
	v_add_nc_u32_e32 v6, 4, v6
	;; [unrolled: 1-line block ×3, first 2 shown]
	v_add_co_u32 v37, s19, s44, v4
	s_wait_alu 0xf1ff
	v_add_co_ci_u32_e64 v38, null, s45, 0, s19
	v_add_co_u32 v39, s19, s44, v35
	s_wait_alu 0xf1ff
	v_add_co_ci_u32_e64 v40, null, s45, 0, s19
	v_add_co_u32 v41, s19, s44, v41
	s_wait_alu 0xf1ff
	v_add_co_ci_u32_e64 v42, null, s45, 0, s19
	v_add_co_u32 v43, s19, s44, v43
	s_wait_alu 0xf1ff
	v_add_co_ci_u32_e64 v44, null, s45, 0, s19
	s_clause 0x3
	global_load_u8 v4, v[39:40], off
	global_load_u8 v39, v[41:42], off
	;; [unrolled: 1-line block ×4, first 2 shown]
	v_cmp_eq_u32_e32 vcc_lo, 0, v3
	s_wait_alu 0xfffe
	s_or_b32 s18, vcc_lo, s18
	s_wait_loadcnt 0x2
	v_perm_b32 v38, v4, v39, 0xc0c0004
	s_wait_loadcnt 0x1
	v_perm_b32 v36, v36, v37, 0xc0c0007
	v_perm_b32 v4, v37, v4, 0xc0c0004
	s_wait_loadcnt 0x0
	v_perm_b32 v37, v39, v35, 0xc0c0004
	s_delay_alu instid0(VALU_DEP_3) | instskip(NEXT) | instid1(VALU_DEP_2)
	v_lshl_or_b32 v36, v38, 16, v36
	v_lshl_or_b32 v4, v37, 16, v4
	v_add_nc_u32_e32 v7, 4, v7
	ds_store_b32 v2, v36
	v_add_nc_u32_e32 v2, 4, v2
	v_mov_b32_e32 v36, v4
	s_wait_alu 0xfffe
	s_and_not1_b32 exec_lo, exec_lo, s18
	s_cbranch_execnz .LBB81_41
; %bb.42:                               ;   in Loop: Header=BB81_11 Depth=1
	s_or_b32 exec_lo, exec_lo, s18
.LBB81_43:                              ;   in Loop: Header=BB81_11 Depth=1
	s_wait_alu 0xfffe
	s_or_b32 exec_lo, exec_lo, s17
	v_add_nc_u32_e32 v1, v1, v21
	s_or_not1_b32 s17, s7, exec_lo
	s_delay_alu instid0(VALU_DEP_1)
	v_dual_mov_b32 v3, v22 :: v_dual_add_nc_u32 v2, -1, v1
.LBB81_44:                              ;   in Loop: Header=BB81_11 Depth=1
	s_wait_alu 0xfffe
	s_or_b32 exec_lo, exec_lo, s11
	s_wait_loadcnt 0x0
	v_dual_mov_b32 v4, s15 :: v_dual_mov_b32 v5, v35
	s_and_b32 s11, s17, exec_lo
	s_and_not1_saveexec_b32 s16, s16
	s_cbranch_execz .LBB81_30
.LBB81_45:                              ;   in Loop: Header=BB81_11 Depth=1
	s_wait_loadcnt 0x0
	s_wait_alu 0xfffe
	v_dual_mov_b32 v4, s15 :: v_dual_mov_b32 v5, v35
	v_mov_b32_e32 v3, v0
	s_or_b32 s11, s11, exec_lo
	s_or_b32 exec_lo, exec_lo, s16
	s_wait_alu 0xfffe
	s_and_saveexec_b32 s15, s11
	s_cbranch_execz .LBB81_49
.LBB81_46:                              ;   in Loop: Header=BB81_11 Depth=1
	v_mul_lo_u32 v2, s38, v1
	s_mov_b32 s16, 0
	s_sub_co_i32 s11, 0, s14
.LBB81_47:                              ;   Parent Loop BB81_11 Depth=1
                                        ; =>  This Inner Loop Header: Depth=2
	s_wait_loadcnt 0x0
	global_load_u8 v35, v2, s[44:45]
	v_mov_b32_e32 v6, v1
	ds_store_b8 v3, v5
	s_wait_loadcnt 0x0
	v_dual_mov_b32 v5, v35 :: v_dual_add_nc_u32 v2, v2, v4
	v_add_nc_u32_e32 v1, s14, v6
	v_mov_b32_e32 v3, v6
	s_delay_alu instid0(VALU_DEP_2)
	v_cmp_le_u32_e32 vcc_lo, s36, v1
	s_wait_alu 0xfffe
	s_or_b32 s16, vcc_lo, s16
	s_wait_alu 0xfffe
	s_and_not1_b32 exec_lo, exec_lo, s16
	s_cbranch_execnz .LBB81_47
; %bb.48:                               ;   in Loop: Header=BB81_11 Depth=1
	s_or_b32 exec_lo, exec_lo, s16
	v_add_nc_u32_e32 v2, s11, v1
.LBB81_49:                              ;   in Loop: Header=BB81_11 Depth=1
	s_wait_alu 0xfffe
	s_or_b32 exec_lo, exec_lo, s15
.LBB81_50:                              ;   in Loop: Header=BB81_11 Depth=1
	s_wait_alu 0xfffe
	s_or_b32 exec_lo, exec_lo, s13
	s_wait_loadcnt 0x0
	ds_store_b8 v2, v35
.LBB81_51:                              ;   in Loop: Header=BB81_11 Depth=1
	s_wait_alu 0xfffe
	s_or_b32 exec_lo, exec_lo, s12
	s_wait_loadcnt_dscnt 0x0
	s_barrier_signal -1
	s_barrier_wait -1
	global_inv scope:SCOPE_SE
	s_and_saveexec_b32 s11, s2
; %bb.52:                               ;   in Loop: Header=BB81_11 Depth=1
	v_mov_b32_e32 v1, s36
	ds_store_b32 v18, v1 offset:4104
; %bb.53:                               ;   in Loop: Header=BB81_11 Depth=1
	s_wait_alu 0xfffe
	s_or_b32 exec_lo, exec_lo, s11
	s_mov_b32 s11, -1
	s_wait_loadcnt_dscnt 0x0
	s_barrier_signal -1
	s_barrier_wait -1
.LBB81_54:                              ;   in Loop: Header=BB81_11 Depth=1
	s_wait_alu 0xfffe
	s_and_b32 vcc_lo, exec_lo, s11
	s_mov_b32 s52, 0
	s_wait_alu 0xfffe
	s_cbranch_vccz .LBB81_56
; %bb.55:                               ;   in Loop: Header=BB81_11 Depth=1
	s_wait_loadcnt 0x0
	global_inv scope:SCOPE_SE
	ds_load_b32 v1, v18 offset:4104
	s_wait_dscnt 0x0
	v_readfirstlane_b32 s52, v1
.LBB81_56:                              ;   in Loop: Header=BB81_11 Depth=1
	s_delay_alu instid0(VALU_DEP_1)
	s_cmp_lt_i32 s52, 1
	s_mov_b32 s11, -1
                                        ; implicit-def: $vgpr4
	s_cbranch_scc1 .LBB81_66
; %bb.57:                               ;   in Loop: Header=BB81_11 Depth=1
	s_wait_alu 0xfffe
	s_and_b32 vcc_lo, exec_lo, s11
	s_wait_alu 0xfffe
	s_cbranch_vccnz .LBB81_77
.LBB81_58:                              ;   in Loop: Header=BB81_11 Depth=1
	v_lshlrev_b32_e32 v5, 7, v31
	s_and_saveexec_b32 s11, s1
.LBB81_59:                              ;   in Loop: Header=BB81_11 Depth=1
	s_delay_alu instid0(VALU_DEP_1)
	v_lshl_add_u32 v6, v5, 2, v20
	ds_store_b128 v6, v[1:4]
.LBB81_60:                              ;   in Loop: Header=BB81_11 Depth=1
	s_wait_alu 0xfffe
	s_or_b32 exec_lo, exec_lo, s11
	s_wait_loadcnt_dscnt 0x0
	s_barrier_signal -1
	s_barrier_wait -1
	global_inv scope:SCOPE_SE
	s_and_saveexec_b32 s11, s50
	s_cbranch_execz .LBB81_90
; %bb.61:                               ;   in Loop: Header=BB81_11 Depth=1
	v_mov_b32_e32 v1, 0
	s_and_not1_b32 vcc_lo, exec_lo, s63
	s_wait_alu 0xfffe
	s_cbranch_vccnz .LBB81_89
; %bb.62:                               ;   in Loop: Header=BB81_11 Depth=1
	s_and_not1_b32 vcc_lo, exec_lo, s65
	s_wait_alu 0xfffe
	s_cbranch_vccnz .LBB81_86
; %bb.63:                               ;   in Loop: Header=BB81_11 Depth=1
	v_lshl_add_u32 v2, v31, 9, v30
	v_mov_b32_e32 v1, 0
	s_mov_b32 s12, 0
.LBB81_64:                              ;   Parent Loop BB81_11 Depth=1
                                        ; =>  This Inner Loop Header: Depth=2
	ds_load_2addr_b32 v[3:4], v2 offset1:4
	ds_load_2addr_b32 v[6:7], v2 offset0:8 offset1:12
	ds_load_2addr_b32 v[35:36], v2 offset0:16 offset1:20
	;; [unrolled: 1-line block ×3, first 2 shown]
	v_add_nc_u32_e32 v2, 0x80, v2
	s_wait_alu 0xfffe
	s_add_co_i32 s12, s12, 8
	s_wait_alu 0xfffe
	s_cmp_eq_u32 s66, s12
	s_wait_dscnt 0x3
	v_add3_u32 v1, v3, v1, v4
	s_wait_dscnt 0x2
	s_delay_alu instid0(VALU_DEP_1) | instskip(SKIP_1) | instid1(VALU_DEP_1)
	v_add3_u32 v1, v6, v1, v7
	s_wait_dscnt 0x1
	v_add3_u32 v1, v35, v1, v36
	s_wait_dscnt 0x0
	s_delay_alu instid0(VALU_DEP_1)
	v_add3_u32 v1, v37, v1, v38
	s_cbranch_scc0 .LBB81_64
; %bb.65:                               ;   in Loop: Header=BB81_11 Depth=1
	s_mov_b32 s12, s66
	s_and_not1_b32 vcc_lo, exec_lo, s67
	s_wait_alu 0xfffe
	s_cbranch_vccz .LBB81_87
	s_branch .LBB81_89
.LBB81_66:                              ;   in Loop: Header=BB81_11 Depth=1
	v_dual_mov_b32 v1, 0 :: v_dual_mov_b32 v2, 0
	v_dual_mov_b32 v3, 0 :: v_dual_mov_b32 v4, 0
	s_and_saveexec_b32 s83, s8
	s_cbranch_execz .LBB81_70
; %bb.67:                               ;   in Loop: Header=BB81_11 Depth=1
	v_mov_b32_e32 v5, v17
	s_mov_b32 s84, 0
	s_mov_b32 s85, 0
	;; [unrolled: 1-line block ×6, first 2 shown]
.LBB81_68:                              ;   Parent Loop BB81_11 Depth=1
                                        ; =>  This Inner Loop Header: Depth=2
	s_wait_alu 0xfffe
	v_add_nc_u32_e32 v1, s85, v28
	v_add_nc_u32_e32 v2, s85, v13
	;; [unrolled: 1-line block ×5, first 2 shown]
	s_clause 0x3
	global_load_i8 v1, v1, s[44:45]
	global_load_i8 v2, v2, s[44:45]
	;; [unrolled: 1-line block ×4, first 2 shown]
	s_add_co_i32 s85, s85, s74
	v_cmp_le_u32_e32 vcc_lo, s72, v5
	s_wait_loadcnt 0x3
	v_add_nc_u32_e32 v1, 0x80, v1
	s_wait_loadcnt 0x2
	v_add_nc_u32_e32 v2, 0x80, v2
	s_wait_loadcnt 0x1
	v_add_nc_u32_e32 v3, 0x80, v3
	s_wait_loadcnt 0x0
	v_add_nc_u32_e32 v4, 0x80, v4
	v_and_b32_e32 v6, v1, v32
	v_bfe_u32 v1, v1, s82, 2
	v_and_b32_e32 v7, v2, v32
	v_bfe_u32 v2, v2, s82, 2
	;; [unrolled: 2-line block ×3, first 2 shown]
	v_cmp_eq_u32_e64 s11, v6, v14
	v_cmp_eq_u32_e64 s15, 0, v1
	v_and_b32_e32 v35, v4, v32
	v_bfe_u32 v4, v4, s82, 2
	v_cmp_eq_u32_e64 s12, v7, v14
	v_cmp_eq_u32_e64 s16, 0, v2
	;; [unrolled: 1-line block ×4, first 2 shown]
	s_and_b32 s15, s11, s15
	v_cmp_eq_u32_e64 s14, v35, v14
	v_cmp_eq_u32_e64 s18, 0, v4
	;; [unrolled: 1-line block ×5, first 2 shown]
	s_wait_alu 0xfffe
	v_cndmask_b32_e64 v1, 0, 1, s15
	s_and_b32 s15, s12, s16
	v_cmp_eq_u32_e64 s20, 1, v2
	v_cmp_eq_u32_e64 s24, 2, v2
	v_cmp_eq_u32_e64 s28, 3, v2
	s_wait_alu 0xfffe
	v_cndmask_b32_e64 v2, 0, 1, s15
	s_and_b32 s15, s13, s17
	v_cmp_eq_u32_e64 s21, 1, v3
	v_cmp_eq_u32_e64 s25, 2, v3
	v_cmp_eq_u32_e64 s29, 3, v3
	;; [unrolled: 6-line block ×3, first 2 shown]
	s_wait_alu 0xfffe
	v_cndmask_b32_e64 v4, 0, 1, s15
	s_and_b32 s15, s11, s19
	s_wait_alu 0xfffe
	v_cndmask_b32_e64 v6, 0, 1, s15
	s_and_b32 s15, s12, s20
	;; [unrolled: 3-line block ×4, first 2 shown]
	v_cmp_ne_u32_e64 s16, 0, v7
	s_wait_alu 0xfffe
	v_cndmask_b32_e64 v35, 0, 1, s15
	s_and_b32 s15, s11, s23
	s_and_b32 s11, s11, s27
	s_wait_alu 0xfffe
	v_cndmask_b32_e64 v36, 0, 1, s15
	s_and_b32 s15, s12, s24
	v_cndmask_b32_e64 v40, 0, 1, s11
	s_and_b32 s11, s12, s28
	s_wait_alu 0xfffe
	v_cndmask_b32_e64 v37, 0, 1, s15
	s_and_b32 s15, s13, s25
	v_cndmask_b32_e64 v41, 0, 1, s11
	;; [unrolled: 5-line block ×3, first 2 shown]
	s_and_b32 s11, s14, s30
	s_wait_alu 0xfffe
	v_cndmask_b32_e64 v39, 0, 1, s15
	v_cndmask_b32_e64 v43, 0, 1, s11
	v_cmp_ne_u32_e64 s11, 0, v1
	v_cmp_ne_u32_e64 s15, 0, v6
	;; [unrolled: 1-line block ×11, first 2 shown]
	s_bcnt1_i32_b32 s11, s11
	s_bcnt1_i32_b32 s15, s15
	;; [unrolled: 1-line block ×4, first 2 shown]
	v_cmp_ne_u32_e64 s14, 0, v4
	v_cmp_ne_u32_e64 s18, 0, v35
	v_cmp_ne_u32_e64 s22, 0, v39
	v_cmp_ne_u32_e64 s26, 0, v43
	s_bcnt1_i32_b32 s12, s12
	s_bcnt1_i32_b32 s16, s16
	s_bcnt1_i32_b32 s20, s20
	s_bcnt1_i32_b32 s24, s24
	s_wait_alu 0xfffe
	s_add_co_i32 s11, s11, s89
	s_add_co_i32 s15, s15, s88
	s_add_co_i32 s19, s19, s87
	s_add_co_i32 s23, s23, s86
	s_bcnt1_i32_b32 s13, s13
	s_bcnt1_i32_b32 s17, s17
	s_bcnt1_i32_b32 s21, s21
	s_bcnt1_i32_b32 s25, s25
	s_wait_alu 0xfffe
	s_add_co_i32 s11, s11, s12
	s_add_co_i32 s12, s15, s16
	s_add_co_i32 s15, s19, s20
	s_add_co_i32 s16, s23, s24
	s_bcnt1_i32_b32 s14, s14
	s_bcnt1_i32_b32 s18, s18
	s_bcnt1_i32_b32 s22, s22
	s_bcnt1_i32_b32 s26, s26
	s_wait_alu 0xfffe
	s_add_co_i32 s11, s11, s13
	s_add_co_i32 s12, s12, s17
	s_add_co_i32 s13, s15, s21
	s_add_co_i32 s15, s16, s25
	s_wait_alu 0xfffe
	s_add_co_i32 s89, s11, s14
	s_add_co_i32 s88, s12, s18
	;; [unrolled: 1-line block ×4, first 2 shown]
	s_wait_alu 0xfffe
	v_dual_mov_b32 v1, s89 :: v_dual_mov_b32 v2, s88
	v_dual_mov_b32 v3, s87 :: v_dual_mov_b32 v4, s86
	s_or_b32 s84, vcc_lo, s84
	s_wait_alu 0xfffe
	s_and_not1_b32 exec_lo, exec_lo, s84
	s_cbranch_execnz .LBB81_68
; %bb.69:                               ;   in Loop: Header=BB81_11 Depth=1
	s_or_b32 exec_lo, exec_lo, s84
.LBB81_70:                              ;   in Loop: Header=BB81_11 Depth=1
	s_wait_alu 0xfffe
	s_or_b32 exec_lo, exec_lo, s83
	s_and_saveexec_b32 s15, s9
	s_cbranch_execz .LBB81_76
; %bb.71:                               ;   in Loop: Header=BB81_11 Depth=1
	global_load_u8 v8, v[11:12], off
	v_dual_mov_b32 v5, v29 :: v_dual_mov_b32 v6, v24
	s_mov_b32 s16, 0
	s_branch .LBB81_73
.LBB81_72:                              ;   in Loop: Header=BB81_73 Depth=2
	s_wait_alu 0xfffe
	s_or_b32 exec_lo, exec_lo, s12
	s_wait_loadcnt 0x0
	v_bfe_i32 v8, v8, 0, 8
	s_and_b32 s12, exec_lo, vcc_lo
	v_add_nc_u32_e32 v5, s62, v5
	s_wait_alu 0xfffe
	s_or_b32 s16, s12, s16
	v_add_nc_u32_e32 v8, 0x80, v8
	s_delay_alu instid0(VALU_DEP_1) | instskip(SKIP_1) | instid1(VALU_DEP_2)
	v_and_b32_e32 v35, v8, v32
	v_bfe_u32 v8, v8, s82, 2
	v_cmp_eq_u32_e32 vcc_lo, v35, v14
	s_delay_alu instid0(VALU_DEP_2)
	v_cmp_eq_u32_e64 s11, 0, v8
	v_cmp_eq_u32_e64 s12, 1, v8
	;; [unrolled: 1-line block ×4, first 2 shown]
	s_and_b32 s11, vcc_lo, s11
	s_wait_alu 0xfffe
	v_cndmask_b32_e64 v8, 0, 1, s11
	s_and_b32 s11, vcc_lo, s12
	s_wait_alu 0xfffe
	v_cndmask_b32_e64 v35, 0, 1, s11
	;; [unrolled: 3-line block ×3, first 2 shown]
	s_and_b32 s11, vcc_lo, s14
	v_cmp_ne_u32_e32 vcc_lo, 0, v8
	s_wait_alu 0xfffe
	v_cndmask_b32_e64 v37, 0, 1, s11
	v_cmp_ne_u32_e64 s11, 0, v35
	v_cmp_ne_u32_e64 s12, 0, v36
	v_mov_b32_e32 v8, v7
	s_bcnt1_i32_b32 s14, vcc_lo
	v_cmp_ne_u32_e64 s13, 0, v37
	s_bcnt1_i32_b32 s11, s11
	s_bcnt1_i32_b32 s12, s12
	s_wait_alu 0xfffe
	v_add_nc_u32_e32 v1, s14, v1
	v_add_nc_u32_e32 v2, s11, v2
	s_bcnt1_i32_b32 s13, s13
	v_add_nc_u32_e32 v3, s12, v3
	s_wait_alu 0xfffe
	v_add_nc_u32_e32 v4, s13, v4
	s_and_not1_b32 exec_lo, exec_lo, s16
	s_cbranch_execz .LBB81_75
.LBB81_73:                              ;   Parent Loop BB81_11 Depth=1
                                        ; =>  This Inner Loop Header: Depth=2
	s_delay_alu instid0(VALU_DEP_1) | instskip(SKIP_1) | instid1(VALU_DEP_1)
	v_dual_mov_b32 v7, 0 :: v_dual_add_nc_u32 v6, s35, v6
	s_mov_b32 s12, exec_lo
	v_cmp_le_u32_e32 vcc_lo, s36, v6
	v_cmpx_gt_u32_e64 s36, v6
	s_cbranch_execz .LBB81_72
; %bb.74:                               ;   in Loop: Header=BB81_73 Depth=2
	global_load_u8 v7, v5, s[44:45]
	s_branch .LBB81_72
.LBB81_75:                              ;   in Loop: Header=BB81_11 Depth=1
	s_or_b32 exec_lo, exec_lo, s16
.LBB81_76:                              ;   in Loop: Header=BB81_11 Depth=1
	s_wait_alu 0xfffe
	s_or_b32 exec_lo, exec_lo, s15
	s_branch .LBB81_58
.LBB81_77:                              ;   in Loop: Header=BB81_11 Depth=1
	s_mul_u64 s[12:13], s[52:53], s[54:55]
	v_dual_mov_b32 v1, 0 :: v_dual_mov_b32 v2, 0
	s_wait_alu 0xfffe
	s_mul_i32 s11, s13, s37
	v_dual_mov_b32 v3, 0 :: v_dual_mov_b32 v4, 0
	s_wait_alu 0xfffe
	s_sub_co_i32 s11, s52, s11
	s_mov_b32 s84, exec_lo
	s_wait_alu 0xfffe
	s_sub_co_i32 s12, s11, s37
	s_cmp_ge_u32 s11, s37
	s_wait_alu 0xfffe
	s_cselect_b32 s11, s12, s11
	s_wait_alu 0xfffe
	s_sub_co_i32 s12, s11, s37
	s_cmp_ge_u32 s11, s37
	s_wait_alu 0xfffe
	s_cselect_b32 s11, s12, s11
	s_wait_alu 0xfffe
	s_sub_co_i32 s83, s52, s11
	s_wait_alu 0xfffe
	v_cmpx_gt_u32_e64 s83, v17
	s_cbranch_execz .LBB81_81
; %bb.78:                               ;   in Loop: Header=BB81_11 Depth=1
	v_mov_b32_e32 v5, v17
	s_mov_b32 s85, 0
	s_mov_b32 s86, 0
	;; [unrolled: 1-line block ×5, first 2 shown]
.LBB81_79:                              ;   Parent Loop BB81_11 Depth=1
                                        ; =>  This Inner Loop Header: Depth=2
	ds_load_b32 v1, v5
	s_wait_dscnt 0x0
	v_bfe_i32 v2, v1, 0, 8
	v_bfe_i32 v3, v1, 8, 8
	;; [unrolled: 1-line block ×3, first 2 shown]
	v_ashrrev_i32_e32 v1, 24, v1
	s_delay_alu instid0(VALU_DEP_4) | instskip(NEXT) | instid1(VALU_DEP_4)
	v_add_nc_u32_e32 v2, 0x80, v2
	v_add_nc_u32_e32 v3, 0x80, v3
	s_delay_alu instid0(VALU_DEP_4) | instskip(NEXT) | instid1(VALU_DEP_4)
	v_add_nc_u32_e32 v4, 0x80, v4
	v_add_nc_u32_e32 v1, 0x80, v1
	s_delay_alu instid0(VALU_DEP_4)
	v_and_b32_e32 v6, v2, v32
	v_bfe_u32 v2, v2, s82, 2
	v_and_b32_e32 v7, v3, v32
	v_bfe_u32 v3, v3, s82, 2
	v_and_b32_e32 v8, v4, v32
	v_bfe_u32 v4, v4, s82, 2
	v_cmp_eq_u32_e64 s11, v6, v14
	v_cmp_eq_u32_e64 s15, 0, v2
	v_and_b32_e32 v35, v1, v32
	v_bfe_u32 v1, v1, s82, 2
	v_cmp_eq_u32_e64 s12, v7, v14
	v_cmp_eq_u32_e64 s16, 0, v3
	;; [unrolled: 1-line block ×4, first 2 shown]
	s_and_b32 s15, s11, s15
	v_cmp_eq_u32_e64 s14, v35, v14
	v_cmp_eq_u32_e64 s18, 0, v1
	;; [unrolled: 1-line block ×5, first 2 shown]
	s_wait_alu 0xfffe
	v_cndmask_b32_e64 v1, 0, 1, s15
	s_and_b32 s15, s12, s16
	v_cmp_eq_u32_e64 s19, 1, v2
	v_cmp_eq_u32_e64 s23, 2, v2
	v_cmp_eq_u32_e64 s27, 3, v2
	s_wait_alu 0xfffe
	v_cndmask_b32_e64 v2, 0, 1, s15
	s_and_b32 s15, s13, s17
	v_cmp_eq_u32_e64 s20, 1, v3
	v_cmp_eq_u32_e64 s24, 2, v3
	v_cmp_eq_u32_e64 s28, 3, v3
	s_wait_alu 0xfffe
	v_cndmask_b32_e64 v3, 0, 1, s15
	s_and_b32 s15, s14, s18
	v_cmp_eq_u32_e64 s21, 1, v4
	v_cmp_eq_u32_e64 s25, 2, v4
	v_cmp_eq_u32_e64 s29, 3, v4
	s_wait_alu 0xfffe
	v_cndmask_b32_e64 v4, 0, 1, s15
	s_and_b32 s15, s11, s19
	s_wait_alu 0xfffe
	v_cndmask_b32_e64 v6, 0, 1, s15
	s_and_b32 s15, s12, s20
	;; [unrolled: 3-line block ×4, first 2 shown]
	v_cmp_ne_u32_e64 s16, 0, v7
	s_wait_alu 0xfffe
	v_cndmask_b32_e64 v35, 0, 1, s15
	s_and_b32 s15, s11, s23
	s_and_b32 s11, s11, s27
	s_wait_alu 0xfffe
	v_cndmask_b32_e64 v36, 0, 1, s15
	s_and_b32 s15, s12, s24
	v_cndmask_b32_e64 v40, 0, 1, s11
	s_and_b32 s11, s12, s28
	s_wait_alu 0xfffe
	v_cndmask_b32_e64 v37, 0, 1, s15
	s_and_b32 s15, s13, s25
	v_cndmask_b32_e64 v41, 0, 1, s11
	;; [unrolled: 5-line block ×3, first 2 shown]
	s_and_b32 s11, s14, s30
	s_wait_alu 0xfffe
	v_cndmask_b32_e64 v39, 0, 1, s15
	v_cndmask_b32_e64 v43, 0, 1, s11
	v_cmp_ne_u32_e64 s11, 0, v1
	v_cmp_ne_u32_e64 s15, 0, v6
	;; [unrolled: 1-line block ×6, first 2 shown]
	s_bcnt1_i32_b32 s11, s11
	s_bcnt1_i32_b32 s15, s15
	v_cmp_ne_u32_e64 s18, 0, v35
	v_cmp_ne_u32_e64 s20, 0, v37
	;; [unrolled: 1-line block ×3, first 2 shown]
	s_bcnt1_i32_b32 s12, s12
	s_bcnt1_i32_b32 s16, s16
	s_wait_alu 0xfffe
	s_add_co_i32 s11, s11, s89
	s_add_co_i32 s15, s15, s88
	v_cmp_ne_u32_e64 s13, 0, v3
	v_cmp_ne_u32_e64 s21, 0, v38
	;; [unrolled: 1-line block ×3, first 2 shown]
	s_bcnt1_i32_b32 s17, s17
	s_wait_alu 0xfffe
	s_add_co_i32 s11, s11, s12
	s_add_co_i32 s12, s15, s16
	s_bcnt1_i32_b32 s19, s19
	s_bcnt1_i32_b32 s23, s23
	v_cmp_ne_u32_e64 s14, 0, v4
	v_cmp_ne_u32_e64 s22, 0, v39
	;; [unrolled: 1-line block ×3, first 2 shown]
	s_bcnt1_i32_b32 s18, s18
	s_wait_alu 0xfffe
	s_add_co_i32 s12, s12, s17
	s_bcnt1_i32_b32 s20, s20
	s_bcnt1_i32_b32 s24, s24
	s_add_co_i32 s19, s19, s87
	s_add_co_i32 s23, s23, s86
	s_wait_alu 0xfffe
	s_add_co_i32 s88, s12, s18
	s_wait_alu 0xfffe
	v_dual_mov_b32 v2, s88 :: v_dual_add_nc_u32 v5, s37, v5
	s_bcnt1_i32_b32 s13, s13
	s_bcnt1_i32_b32 s21, s21
	;; [unrolled: 1-line block ×3, first 2 shown]
	s_add_co_i32 s15, s19, s20
	s_add_co_i32 s16, s23, s24
	s_bcnt1_i32_b32 s14, s14
	s_bcnt1_i32_b32 s22, s22
	;; [unrolled: 1-line block ×3, first 2 shown]
	s_wait_alu 0xfffe
	s_add_co_i32 s11, s11, s13
	s_add_co_i32 s13, s15, s21
	;; [unrolled: 1-line block ×3, first 2 shown]
	v_cmp_le_u32_e32 vcc_lo, s83, v5
	s_wait_alu 0xfffe
	s_add_co_i32 s89, s11, s14
	s_add_co_i32 s87, s13, s22
	s_add_co_i32 s86, s15, s26
	s_wait_alu 0xfffe
	v_mov_b32_e32 v1, s89
	v_dual_mov_b32 v3, s87 :: v_dual_mov_b32 v4, s86
	s_or_b32 s85, vcc_lo, s85
	s_wait_alu 0xfffe
	s_and_not1_b32 exec_lo, exec_lo, s85
	s_cbranch_execnz .LBB81_79
; %bb.80:                               ;   in Loop: Header=BB81_11 Depth=1
	s_or_b32 exec_lo, exec_lo, s85
.LBB81_81:                              ;   in Loop: Header=BB81_11 Depth=1
	s_delay_alu instid0(SALU_CYCLE_1) | instskip(SKIP_2) | instid1(VALU_DEP_1)
	s_or_b32 exec_lo, exec_lo, s84
	v_add_nc_u32_e32 v5, s83, v0
	s_mov_b32 s16, exec_lo
	v_cmpx_gt_u32_e64 s52, v5
	s_cbranch_execz .LBB81_85
; %bb.82:                               ;   in Loop: Header=BB81_11 Depth=1
	s_mov_b32 s17, 0
.LBB81_83:                              ;   Parent Loop BB81_11 Depth=1
                                        ; =>  This Inner Loop Header: Depth=2
	ds_load_i8 v6, v5
	v_add_nc_u32_e32 v5, s35, v5
	s_delay_alu instid0(VALU_DEP_1) | instskip(SKIP_2) | instid1(VALU_DEP_1)
	v_cmp_le_u32_e32 vcc_lo, s52, v5
	s_wait_dscnt 0x0
	v_add_nc_u32_e32 v6, 0x80, v6
	v_and_b32_e32 v7, v6, v32
	v_bfe_u32 v6, v6, s82, 2
	s_delay_alu instid0(VALU_DEP_2) | instskip(NEXT) | instid1(VALU_DEP_2)
	v_cmp_eq_u32_e64 s11, v7, v14
	v_cmp_eq_u32_e64 s12, 0, v6
	;; [unrolled: 1-line block ×5, first 2 shown]
	s_and_b32 s12, s11, s12
	s_wait_alu 0xfffe
	v_cndmask_b32_e64 v6, 0, 1, s12
	s_and_b32 s12, s11, s13
	s_wait_alu 0xfffe
	v_cndmask_b32_e64 v7, 0, 1, s12
	s_and_b32 s12, s11, s14
	s_and_b32 s11, s11, s15
	s_wait_alu 0xfffe
	v_cndmask_b32_e64 v8, 0, 1, s12
	v_cndmask_b32_e64 v35, 0, 1, s11
	v_cmp_ne_u32_e64 s11, 0, v6
	v_cmp_ne_u32_e64 s12, 0, v7
	s_delay_alu instid0(VALU_DEP_4) | instskip(NEXT) | instid1(VALU_DEP_4)
	v_cmp_ne_u32_e64 s13, 0, v8
	v_cmp_ne_u32_e64 s14, 0, v35
	s_bcnt1_i32_b32 s11, s11
	s_bcnt1_i32_b32 s12, s12
	s_wait_alu 0xfffe
	v_add_nc_u32_e32 v1, s11, v1
	s_bcnt1_i32_b32 s13, s13
	s_bcnt1_i32_b32 s14, s14
	v_add_nc_u32_e32 v2, s12, v2
	s_wait_alu 0xfffe
	v_add_nc_u32_e32 v3, s13, v3
	v_add_nc_u32_e32 v4, s14, v4
	s_or_b32 s17, vcc_lo, s17
	s_wait_alu 0xfffe
	s_and_not1_b32 exec_lo, exec_lo, s17
	s_cbranch_execnz .LBB81_83
; %bb.84:                               ;   in Loop: Header=BB81_11 Depth=1
	s_or_b32 exec_lo, exec_lo, s17
.LBB81_85:                              ;   in Loop: Header=BB81_11 Depth=1
	s_wait_alu 0xfffe
	s_or_b32 exec_lo, exec_lo, s16
	v_lshlrev_b32_e32 v5, 7, v31
	s_and_saveexec_b32 s11, s1
	s_cbranch_execnz .LBB81_59
	s_branch .LBB81_60
.LBB81_86:                              ;   in Loop: Header=BB81_11 Depth=1
	v_mov_b32_e32 v1, 0
	s_mov_b32 s12, 0
	s_and_not1_b32 vcc_lo, exec_lo, s67
	s_wait_alu 0xfffe
	s_cbranch_vccnz .LBB81_89
.LBB81_87:                              ;   in Loop: Header=BB81_11 Depth=1
	v_lshlrev_b32_e32 v2, 9, v31
	s_lshl_b32 s12, s12, 4
	s_wait_alu 0xfffe
	s_delay_alu instid0(VALU_DEP_1)
	v_add3_u32 v2, v2, s12, v30
	s_mov_b32 s12, s64
.LBB81_88:                              ;   Parent Loop BB81_11 Depth=1
                                        ; =>  This Inner Loop Header: Depth=2
	ds_load_b32 v3, v2
	v_add_nc_u32_e32 v2, 16, v2
	s_wait_alu 0xfffe
	s_add_co_i32 s12, s12, -1
	s_wait_alu 0xfffe
	s_cmp_lg_u32 s12, 0
	s_wait_dscnt 0x0
	v_add_nc_u32_e32 v1, v3, v1
	s_cbranch_scc1 .LBB81_88
.LBB81_89:                              ;   in Loop: Header=BB81_11 Depth=1
	v_add_lshl_u32 v2, v5, v16, 2
	ds_store_b32 v2, v1 offset:3072
.LBB81_90:                              ;   in Loop: Header=BB81_11 Depth=1
	s_wait_alu 0xfffe
	s_or_b32 exec_lo, exec_lo, s11
	v_lshlrev_b32_e32 v1, 2, v5
	s_wait_loadcnt_dscnt 0x0
	s_barrier_signal -1
	s_barrier_wait -1
	global_inv scope:SCOPE_SE
	ds_load_b128 v[1:4], v1 offset:3072
	s_lshl_b32 s12, 3, s82
	v_cmp_eq_u32_e32 vcc_lo, 1, v34
	s_wait_alu 0xfffe
	s_not_b32 s19, s12
	s_mov_b32 s15, -1
	s_mov_b32 s23, -1
                                        ; implicit-def: $sgpr20
                                        ; implicit-def: $sgpr17
	s_wait_dscnt 0x0
	v_readfirstlane_b32 s14, v1
	v_readfirstlane_b32 s21, v2
	;; [unrolled: 1-line block ×4, first 2 shown]
	s_cmp_eq_u32 s14, 1
	s_cselect_b32 s13, -1, 0
	s_wait_alu 0xfffe
	s_and_b32 s16, s13, vcc_lo
	s_wait_alu 0xfffe
	s_and_saveexec_b32 s13, s16
	s_cbranch_execz .LBB81_116
; %bb.91:                               ;   in Loop: Header=BB81_11 Depth=1
	ds_load_b32 v1, v18 offset:4104
	s_wait_loadcnt_dscnt 0x0
	s_barrier_signal -1
	s_barrier_wait -1
	global_inv scope:SCOPE_SE
	v_readfirstlane_b32 s23, v1
	s_and_saveexec_b32 s17, s3
; %bb.92:                               ;   in Loop: Header=BB81_11 Depth=1
	ds_store_b8 v0, v18 offset:3072
; %bb.93:                               ;   in Loop: Header=BB81_11 Depth=1
	s_wait_alu 0xfffe
	s_or_b32 exec_lo, exec_lo, s17
	v_and_b32_e32 v14, s19, v14
	v_or_b32_e32 v32, s12, v32
	s_mov_b32 s17, -1
	s_mov_b32 s20, 0
	s_cmp_eq_u32 s23, 0
	s_mov_b32 s22, 0
	s_mov_b32 s24, -1
	s_wait_loadcnt_dscnt 0x0
	s_barrier_signal -1
	s_barrier_wait -1
	global_inv scope:SCOPE_SE
                                        ; implicit-def: $vgpr33
	s_cbranch_scc1 .LBB81_104
; %bb.94:                               ;   in Loop: Header=BB81_11 Depth=1
	s_add_co_i32 s52, s23, s39
                                        ; implicit-def: $vgpr33
	s_wait_alu 0xfffe
	s_mul_u64 s[24:25], s[52:53], s[56:57]
	s_wait_alu 0xfffe
	s_mul_i32 s22, s25, s35
	s_mov_b32 s25, exec_lo
	s_wait_alu 0xfffe
	s_sub_co_i32 s22, s52, s22
	s_wait_alu 0xfffe
	s_sub_co_i32 s24, s22, s35
	s_cmp_ge_u32 s22, s35
	s_wait_alu 0xfffe
	s_cselect_b32 s22, s24, s22
	s_wait_alu 0xfffe
	s_sub_co_i32 s24, s22, s35
	s_cmp_ge_u32 s22, s35
	s_wait_alu 0xfffe
	s_cselect_b32 s22, s24, s22
	s_mov_b32 s24, 0
	s_wait_alu 0xfffe
	s_sub_co_i32 s26, s52, s22
	s_mov_b32 s22, 0
	s_wait_alu 0xfffe
	v_cmpx_gt_u32_e64 s26, v0
	s_cbranch_execz .LBB81_103
; %bb.95:                               ;   in Loop: Header=BB81_11 Depth=1
	v_mov_b32_e32 v1, v0
                                        ; implicit-def: $sgpr27
	s_branch .LBB81_98
.LBB81_96:                              ;   in Loop: Header=BB81_98 Depth=2
	s_wait_alu 0xfffe
	s_or_b32 exec_lo, exec_lo, s28
	s_wait_loadcnt_dscnt 0x0
	s_barrier_signal -1
	s_barrier_wait -1
	global_inv scope:SCOPE_SE
	ds_load_u16 v2, v18 offset:3072
	s_mov_b32 s29, -1
	s_mov_b32 s28, -1
	s_wait_loadcnt_dscnt 0x0
	s_barrier_signal -1
	s_barrier_wait -1
	global_inv scope:SCOPE_SE
	v_and_b32_e32 v3, 0xff, v2
	s_delay_alu instid0(VALU_DEP_1)
	v_cmp_ne_u32_e32 vcc_lo, 0, v3
	s_cbranch_vccz .LBB81_101
.LBB81_97:                              ;   in Loop: Header=BB81_98 Depth=2
	s_wait_alu 0xfffe
	s_and_b32 s29, exec_lo, s29
	s_wait_alu 0xfffe
	s_or_b32 s22, s29, s22
	s_and_not1_b32 s27, s27, exec_lo
	s_and_b32 s28, s28, exec_lo
	s_wait_alu 0xfffe
	s_or_b32 s27, s27, s28
	s_and_not1_b32 exec_lo, exec_lo, s22
	s_cbranch_execz .LBB81_102
.LBB81_98:                              ;   Parent Loop BB81_11 Depth=1
                                        ; =>  This Inner Loop Header: Depth=2
	s_mov_b32 s28, exec_lo
	s_delay_alu instid0(VALU_DEP_1)
	v_cmpx_gt_u32_e64 s23, v1
	s_cbranch_execz .LBB81_96
; %bb.99:                               ;   in Loop: Header=BB81_98 Depth=2
	ds_load_u8 v2, v1
	s_wait_dscnt 0x0
	v_bfe_i32 v3, v2, 0, 8
	s_delay_alu instid0(VALU_DEP_1) | instskip(NEXT) | instid1(VALU_DEP_1)
	v_add_nc_u32_e32 v3, 0x80, v3
	v_and_b32_e32 v3, v3, v32
	s_delay_alu instid0(VALU_DEP_1)
	v_cmp_eq_u32_e32 vcc_lo, v3, v14
	s_and_b32 exec_lo, exec_lo, vcc_lo
	s_cbranch_execz .LBB81_96
; %bb.100:                              ;   in Loop: Header=BB81_98 Depth=2
	v_lshlrev_b16 v2, 8, v2
	s_delay_alu instid0(VALU_DEP_1)
	v_or_b32_e32 v2, 1, v2
	ds_store_b16 v18, v2 offset:3072
	s_branch .LBB81_96
.LBB81_101:                             ;   in Loop: Header=BB81_98 Depth=2
	v_add_nc_u32_e32 v1, s35, v1
	s_mov_b32 s28, 0
	s_delay_alu instid0(VALU_DEP_1)
	v_cmp_le_u32_e32 vcc_lo, s26, v1
	s_or_not1_b32 s29, vcc_lo, exec_lo
	s_branch .LBB81_97
.LBB81_102:                             ;   in Loop: Header=BB81_11 Depth=1
	s_or_b32 exec_lo, exec_lo, s22
	v_and_b32_e32 v1, 0xffff, v2
	s_wait_alu 0xfffe
	s_and_b32 s22, s27, exec_lo
	s_delay_alu instid0(VALU_DEP_1)
	v_lshrrev_b32_e32 v33, 8, v1
.LBB81_103:                             ;   in Loop: Header=BB81_11 Depth=1
	s_or_b32 exec_lo, exec_lo, s25
.LBB81_104:                             ;   in Loop: Header=BB81_11 Depth=1
	s_wait_alu 0xfffe
	s_and_b32 vcc_lo, exec_lo, s24
	s_wait_alu 0xfffe
	s_cbranch_vccz .LBB81_115
; %bb.105:                              ;   in Loop: Header=BB81_11 Depth=1
                                        ; implicit-def: $vgpr33
	s_and_saveexec_b32 s17, s10
	s_cbranch_execz .LBB81_114
; %bb.106:                              ;   in Loop: Header=BB81_11 Depth=1
	v_dual_mov_b32 v1, v15 :: v_dual_mov_b32 v2, v0
	s_mov_b32 s23, 0
                                        ; implicit-def: $sgpr20
	s_branch .LBB81_109
.LBB81_107:                             ;   in Loop: Header=BB81_109 Depth=2
	s_wait_alu 0xfffe
	s_or_b32 exec_lo, exec_lo, s24
	s_wait_loadcnt_dscnt 0x0
	s_barrier_signal -1
	s_barrier_wait -1
	global_inv scope:SCOPE_SE
	ds_load_u16 v3, v18 offset:3072
	s_mov_b32 s24, -1
	s_mov_b32 s25, -1
	s_wait_loadcnt_dscnt 0x0
	s_barrier_signal -1
	s_barrier_wait -1
	global_inv scope:SCOPE_SE
	v_and_b32_e32 v4, 0xff, v3
	s_delay_alu instid0(VALU_DEP_1)
	v_cmp_ne_u32_e32 vcc_lo, 0, v4
	s_cbranch_vccz .LBB81_112
.LBB81_108:                             ;   in Loop: Header=BB81_109 Depth=2
	s_wait_alu 0xfffe
	s_and_b32 s24, exec_lo, s24
	s_wait_alu 0xfffe
	s_or_b32 s23, s24, s23
	s_and_not1_b32 s20, s20, exec_lo
	s_and_b32 s24, s25, exec_lo
	s_wait_alu 0xfffe
	s_or_b32 s20, s20, s24
	s_and_not1_b32 exec_lo, exec_lo, s23
	s_cbranch_execz .LBB81_113
.LBB81_109:                             ;   Parent Loop BB81_11 Depth=1
                                        ; =>  This Inner Loop Header: Depth=2
	s_mov_b32 s24, exec_lo
	s_delay_alu instid0(VALU_DEP_1)
	v_cmpx_gt_u32_e64 s36, v2
	s_cbranch_execz .LBB81_107
; %bb.110:                              ;   in Loop: Header=BB81_109 Depth=2
	global_load_u8 v3, v1, s[44:45]
	s_wait_loadcnt 0x0
	v_bfe_i32 v4, v3, 0, 8
	s_delay_alu instid0(VALU_DEP_1) | instskip(NEXT) | instid1(VALU_DEP_1)
	v_add_nc_u32_e32 v4, 0x80, v4
	v_and_b32_e32 v4, v4, v32
	s_delay_alu instid0(VALU_DEP_1)
	v_cmp_eq_u32_e32 vcc_lo, v4, v14
	s_and_b32 exec_lo, exec_lo, vcc_lo
	s_cbranch_execz .LBB81_107
; %bb.111:                              ;   in Loop: Header=BB81_109 Depth=2
	v_lshlrev_b16 v3, 8, v3
	s_delay_alu instid0(VALU_DEP_1)
	v_or_b32_e32 v3, 1, v3
	ds_store_b16 v18, v3 offset:3072
	s_branch .LBB81_107
.LBB81_112:                             ;   in Loop: Header=BB81_109 Depth=2
	v_add_nc_u32_e32 v2, s35, v2
	v_add_nc_u32_e32 v1, s62, v1
	s_mov_b32 s25, 0
	s_delay_alu instid0(VALU_DEP_2)
	v_cmp_le_u32_e32 vcc_lo, s73, v2
	s_or_not1_b32 s24, vcc_lo, exec_lo
	s_branch .LBB81_108
.LBB81_113:                             ;   in Loop: Header=BB81_11 Depth=1
	s_or_b32 exec_lo, exec_lo, s23
	v_and_b32_e32 v1, 0xffff, v3
	s_and_not1_b32 s22, s22, exec_lo
	s_wait_alu 0xfffe
	s_and_b32 s20, s20, exec_lo
	s_wait_alu 0xfffe
	s_or_b32 s22, s22, s20
	v_lshrrev_b32_e32 v33, 8, v1
.LBB81_114:                             ;   in Loop: Header=BB81_11 Depth=1
	s_wait_alu 0xfffe
	s_or_b32 exec_lo, exec_lo, s17
	s_mov_b32 s17, 0
	s_mov_b32 s20, -1
.LBB81_115:                             ;   in Loop: Header=BB81_11 Depth=1
	s_or_not1_b32 s23, s22, exec_lo
.LBB81_116:                             ;   in Loop: Header=BB81_11 Depth=1
	s_wait_alu 0xfffe
	s_or_b32 exec_lo, exec_lo, s13
	v_readfirstlane_b32 s22, v0
	s_and_not1_b32 s13, s80, exec_lo
	s_and_b32 s20, s20, exec_lo
	s_and_not1_b32 s24, s78, exec_lo
	s_and_b32 s17, s17, exec_lo
	s_and_not1_b32 s77, s77, exec_lo
	s_wait_alu 0xfffe
	s_or_b32 s80, s13, s20
	s_or_b32 s78, s24, s17
                                        ; implicit-def: $vgpr2
	s_and_saveexec_b32 s13, s23
	s_cbranch_execz .LBB81_10
; %bb.117:                              ;   in Loop: Header=BB81_11 Depth=1
	v_dual_mov_b32 v2, 1 :: v_dual_mov_b32 v1, 1
	s_xor_b32 s16, s16, -1
	s_mov_b32 s22, 0
	s_wait_alu 0xfffe
	s_and_saveexec_b32 s15, s16
	s_cbranch_execz .LBB81_126
; %bb.118:                              ;   in Loop: Header=BB81_11 Depth=1
	s_mov_b32 s16, exec_lo
	v_cmpx_ge_u32_e64 s14, v34
	s_wait_alu 0xfffe
	s_xor_b32 s16, exec_lo, s16
	s_cbranch_execz .LBB81_123
; %bb.119:                              ;   in Loop: Header=BB81_11 Depth=1
	ds_load_b32 v1, v18 offset:4104
	v_and_b32_e32 v14, s19, v14
	v_or_b32_e32 v32, s12, v32
	s_wait_dscnt 0x0
	v_cmp_ne_u32_e32 vcc_lo, 0, v1
	s_cbranch_vccnz .LBB81_123
; %bb.120:                              ;   in Loop: Header=BB81_11 Depth=1
	s_and_saveexec_b32 s17, s2
; %bb.121:                              ;   in Loop: Header=BB81_11 Depth=1
	v_mov_b32_e32 v1, s14
	ds_store_b32 v18, v1 offset:4108
; %bb.122:                              ;   in Loop: Header=BB81_11 Depth=1
	s_wait_alu 0xfffe
	s_or_b32 exec_lo, exec_lo, s17
	s_wait_loadcnt_dscnt 0x0
	s_barrier_signal -1
	s_barrier_wait -1
	global_inv scope:SCOPE_SE
.LBB81_123:                             ;   in Loop: Header=BB81_11 Depth=1
	s_wait_alu 0xfffe
	s_or_saveexec_b32 s16, s16
	v_mov_b32_e32 v1, 8
	s_mov_b32 s17, 0
	s_wait_alu 0xfffe
	s_xor_b32 exec_lo, exec_lo, s16
; %bb.124:                              ;   in Loop: Header=BB81_11 Depth=1
	v_subrev_nc_u32_e32 v34, s14, v34
	v_mov_b32_e32 v1, 0
	s_mov_b32 s17, exec_lo
; %bb.125:                              ;   in Loop: Header=BB81_11 Depth=1
	s_or_b32 exec_lo, exec_lo, s16
	s_delay_alu instid0(VALU_DEP_2)
	v_mov_b32_e32 v2, v34
	s_wait_alu 0xfffe
	s_and_b32 s22, s17, exec_lo
.LBB81_126:                             ;   in Loop: Header=BB81_11 Depth=1
	s_wait_alu 0xfffe
	s_or_b32 exec_lo, exec_lo, s15
	s_mov_b32 s14, -1
	s_mov_b32 s20, -1
                                        ; implicit-def: $sgpr16
                                        ; implicit-def: $sgpr17
	s_and_saveexec_b32 s15, s22
	s_wait_alu 0xfffe
	s_xor_b32 s15, exec_lo, s15
	s_cbranch_execz .LBB81_243
; %bb.127:                              ;   in Loop: Header=BB81_11 Depth=1
	v_cmp_eq_u32_e32 vcc_lo, 1, v2
	s_cmp_eq_u32 s21, 1
	s_mov_b32 s23, -1
	s_cselect_b32 s16, -1, 0
                                        ; implicit-def: $sgpr17
	s_wait_alu 0xfffe
	s_and_b32 s22, s16, vcc_lo
                                        ; implicit-def: $sgpr16
	s_wait_alu 0xfffe
	s_and_saveexec_b32 s20, s22
	s_cbranch_execz .LBB81_153
; %bb.128:                              ;   in Loop: Header=BB81_11 Depth=1
	ds_load_b32 v3, v18 offset:4104
	s_wait_loadcnt_dscnt 0x0
	s_barrier_signal -1
	s_barrier_wait -1
	global_inv scope:SCOPE_SE
	v_readfirstlane_b32 s24, v3
	s_and_saveexec_b32 s16, s3
; %bb.129:                              ;   in Loop: Header=BB81_11 Depth=1
	ds_store_b8 v0, v18 offset:3072
; %bb.130:                              ;   in Loop: Header=BB81_11 Depth=1
	s_wait_alu 0xfffe
	s_or_b32 exec_lo, exec_lo, s16
	s_lshl_b32 s16, 1, s82
	v_or_b32_e32 v32, s12, v32
	s_wait_alu 0xfffe
	v_and_or_b32 v14, v14, s19, s16
	s_mov_b32 s16, -1
	s_mov_b32 s17, 0
	s_cmp_eq_u32 s24, 0
	s_mov_b32 s23, 0
	s_mov_b32 s25, -1
	s_wait_loadcnt_dscnt 0x0
	s_barrier_signal -1
	s_barrier_wait -1
	global_inv scope:SCOPE_SE
                                        ; implicit-def: $vgpr33
	s_cbranch_scc1 .LBB81_141
; %bb.131:                              ;   in Loop: Header=BB81_11 Depth=1
	s_add_co_i32 s52, s24, s39
                                        ; implicit-def: $vgpr33
	s_wait_alu 0xfffe
	s_mul_u64 s[26:27], s[52:53], s[56:57]
	s_mov_b32 s26, exec_lo
	s_wait_alu 0xfffe
	s_mul_i32 s23, s27, s35
	s_wait_alu 0xfffe
	s_sub_co_i32 s23, s52, s23
	s_wait_alu 0xfffe
	s_sub_co_i32 s25, s23, s35
	s_cmp_ge_u32 s23, s35
	s_wait_alu 0xfffe
	s_cselect_b32 s23, s25, s23
	s_wait_alu 0xfffe
	s_sub_co_i32 s25, s23, s35
	s_cmp_ge_u32 s23, s35
	s_wait_alu 0xfffe
	s_cselect_b32 s23, s25, s23
	s_mov_b32 s25, 0
	s_wait_alu 0xfffe
	s_sub_co_i32 s27, s52, s23
	s_mov_b32 s23, 0
	s_wait_alu 0xfffe
	v_cmpx_gt_u32_e64 s27, v0
	s_cbranch_execz .LBB81_140
; %bb.132:                              ;   in Loop: Header=BB81_11 Depth=1
	v_mov_b32_e32 v3, v0
                                        ; implicit-def: $sgpr28
	s_branch .LBB81_135
.LBB81_133:                             ;   in Loop: Header=BB81_135 Depth=2
	s_wait_alu 0xfffe
	s_or_b32 exec_lo, exec_lo, s29
	s_wait_loadcnt_dscnt 0x0
	s_barrier_signal -1
	s_barrier_wait -1
	global_inv scope:SCOPE_SE
	ds_load_u16 v4, v18 offset:3072
	s_mov_b32 s30, -1
	s_mov_b32 s29, -1
	s_wait_loadcnt_dscnt 0x0
	s_barrier_signal -1
	s_barrier_wait -1
	global_inv scope:SCOPE_SE
	v_and_b32_e32 v5, 0xff, v4
	s_delay_alu instid0(VALU_DEP_1)
	v_cmp_ne_u32_e32 vcc_lo, 0, v5
	s_cbranch_vccz .LBB81_138
.LBB81_134:                             ;   in Loop: Header=BB81_135 Depth=2
	s_wait_alu 0xfffe
	s_and_b32 s30, exec_lo, s30
	s_wait_alu 0xfffe
	s_or_b32 s23, s30, s23
	s_and_not1_b32 s28, s28, exec_lo
	s_and_b32 s29, s29, exec_lo
	s_wait_alu 0xfffe
	s_or_b32 s28, s28, s29
	s_and_not1_b32 exec_lo, exec_lo, s23
	s_cbranch_execz .LBB81_139
.LBB81_135:                             ;   Parent Loop BB81_11 Depth=1
                                        ; =>  This Inner Loop Header: Depth=2
	s_mov_b32 s29, exec_lo
	s_delay_alu instid0(VALU_DEP_1)
	v_cmpx_gt_u32_e64 s24, v3
	s_cbranch_execz .LBB81_133
; %bb.136:                              ;   in Loop: Header=BB81_135 Depth=2
	ds_load_u8 v4, v3
	s_wait_dscnt 0x0
	v_bfe_i32 v5, v4, 0, 8
	s_delay_alu instid0(VALU_DEP_1) | instskip(NEXT) | instid1(VALU_DEP_1)
	v_add_nc_u32_e32 v5, 0x80, v5
	v_and_b32_e32 v5, v5, v32
	s_delay_alu instid0(VALU_DEP_1)
	v_cmp_eq_u32_e32 vcc_lo, v5, v14
	s_and_b32 exec_lo, exec_lo, vcc_lo
	s_cbranch_execz .LBB81_133
; %bb.137:                              ;   in Loop: Header=BB81_135 Depth=2
	v_lshlrev_b16 v4, 8, v4
	s_delay_alu instid0(VALU_DEP_1)
	v_or_b32_e32 v4, 1, v4
	ds_store_b16 v18, v4 offset:3072
	s_branch .LBB81_133
.LBB81_138:                             ;   in Loop: Header=BB81_135 Depth=2
	v_add_nc_u32_e32 v3, s35, v3
	s_mov_b32 s29, 0
	s_delay_alu instid0(VALU_DEP_1)
	v_cmp_le_u32_e32 vcc_lo, s27, v3
	s_or_not1_b32 s30, vcc_lo, exec_lo
	s_branch .LBB81_134
.LBB81_139:                             ;   in Loop: Header=BB81_11 Depth=1
	s_or_b32 exec_lo, exec_lo, s23
	v_and_b32_e32 v3, 0xffff, v4
	s_wait_alu 0xfffe
	s_and_b32 s23, s28, exec_lo
	s_delay_alu instid0(VALU_DEP_1)
	v_lshrrev_b32_e32 v33, 8, v3
.LBB81_140:                             ;   in Loop: Header=BB81_11 Depth=1
	s_or_b32 exec_lo, exec_lo, s26
.LBB81_141:                             ;   in Loop: Header=BB81_11 Depth=1
	s_wait_alu 0xfffe
	s_and_b32 vcc_lo, exec_lo, s25
	s_wait_alu 0xfffe
	s_cbranch_vccz .LBB81_152
; %bb.142:                              ;   in Loop: Header=BB81_11 Depth=1
                                        ; implicit-def: $vgpr33
	s_and_saveexec_b32 s16, s10
	s_cbranch_execz .LBB81_151
; %bb.143:                              ;   in Loop: Header=BB81_11 Depth=1
	v_dual_mov_b32 v3, v15 :: v_dual_mov_b32 v4, v0
	s_mov_b32 s17, 0
                                        ; implicit-def: $sgpr24
	s_branch .LBB81_146
.LBB81_144:                             ;   in Loop: Header=BB81_146 Depth=2
	s_wait_alu 0xfffe
	s_or_b32 exec_lo, exec_lo, s25
	s_wait_loadcnt_dscnt 0x0
	s_barrier_signal -1
	s_barrier_wait -1
	global_inv scope:SCOPE_SE
	ds_load_u16 v5, v18 offset:3072
	s_mov_b32 s25, -1
	s_mov_b32 s26, -1
	s_wait_loadcnt_dscnt 0x0
	s_barrier_signal -1
	s_barrier_wait -1
	global_inv scope:SCOPE_SE
	v_and_b32_e32 v6, 0xff, v5
	s_delay_alu instid0(VALU_DEP_1)
	v_cmp_eq_u32_e32 vcc_lo, 0, v6
	s_cbranch_vccnz .LBB81_149
.LBB81_145:                             ;   in Loop: Header=BB81_146 Depth=2
	s_wait_alu 0xfffe
	s_and_b32 s25, exec_lo, s25
	s_wait_alu 0xfffe
	s_or_b32 s17, s25, s17
	s_and_not1_b32 s24, s24, exec_lo
	s_and_b32 s25, s26, exec_lo
	s_wait_alu 0xfffe
	s_or_b32 s24, s24, s25
	s_and_not1_b32 exec_lo, exec_lo, s17
	s_cbranch_execz .LBB81_150
.LBB81_146:                             ;   Parent Loop BB81_11 Depth=1
                                        ; =>  This Inner Loop Header: Depth=2
	s_mov_b32 s25, exec_lo
	s_delay_alu instid0(VALU_DEP_1)
	v_cmpx_gt_u32_e64 s36, v4
	s_cbranch_execz .LBB81_144
; %bb.147:                              ;   in Loop: Header=BB81_146 Depth=2
	global_load_u8 v5, v3, s[44:45]
	s_wait_loadcnt 0x0
	v_bfe_i32 v6, v5, 0, 8
	s_delay_alu instid0(VALU_DEP_1) | instskip(NEXT) | instid1(VALU_DEP_1)
	v_add_nc_u32_e32 v6, 0x80, v6
	v_and_b32_e32 v6, v6, v32
	s_delay_alu instid0(VALU_DEP_1)
	v_cmp_eq_u32_e32 vcc_lo, v6, v14
	s_and_b32 exec_lo, exec_lo, vcc_lo
	s_cbranch_execz .LBB81_144
; %bb.148:                              ;   in Loop: Header=BB81_146 Depth=2
	v_lshlrev_b16 v5, 8, v5
	s_delay_alu instid0(VALU_DEP_1)
	v_or_b32_e32 v5, 1, v5
	ds_store_b16 v18, v5 offset:3072
	s_branch .LBB81_144
.LBB81_149:                             ;   in Loop: Header=BB81_146 Depth=2
	v_add_nc_u32_e32 v4, s35, v4
	v_add_nc_u32_e32 v3, s62, v3
	s_mov_b32 s26, 0
	s_delay_alu instid0(VALU_DEP_2)
	v_cmp_le_u32_e32 vcc_lo, s73, v4
	s_or_not1_b32 s25, vcc_lo, exec_lo
	s_branch .LBB81_145
.LBB81_150:                             ;   in Loop: Header=BB81_11 Depth=1
	s_or_b32 exec_lo, exec_lo, s17
	v_and_b32_e32 v3, 0xffff, v5
	s_and_not1_b32 s17, s23, exec_lo
	s_wait_alu 0xfffe
	s_and_b32 s23, s24, exec_lo
	s_wait_alu 0xfffe
	s_or_b32 s23, s17, s23
	v_lshrrev_b32_e32 v33, 8, v3
.LBB81_151:                             ;   in Loop: Header=BB81_11 Depth=1
	s_wait_alu 0xfffe
	s_or_b32 exec_lo, exec_lo, s16
	s_mov_b32 s16, 0
	s_mov_b32 s17, -1
.LBB81_152:                             ;   in Loop: Header=BB81_11 Depth=1
	s_or_not1_b32 s23, s23, exec_lo
.LBB81_153:                             ;   in Loop: Header=BB81_11 Depth=1
	s_wait_alu 0xfffe
	s_or_b32 exec_lo, exec_lo, s20
	s_mov_b32 s24, 0
	s_and_saveexec_b32 s20, s23
	s_cbranch_execz .LBB81_242
; %bb.154:                              ;   in Loop: Header=BB81_11 Depth=1
	v_mov_b32_e32 v3, 1
	v_mov_b32_e32 v1, 1
	s_xor_b32 s23, s22, -1
	s_mov_b32 s25, 0
	s_wait_alu 0xfffe
	s_and_saveexec_b32 s22, s23
	s_cbranch_execz .LBB81_163
; %bb.155:                              ;   in Loop: Header=BB81_11 Depth=1
	s_mov_b32 s23, exec_lo
	v_cmpx_ge_u32_e64 s21, v2
	s_wait_alu 0xfffe
	s_xor_b32 s23, exec_lo, s23
	s_cbranch_execz .LBB81_160
; %bb.156:                              ;   in Loop: Header=BB81_11 Depth=1
	ds_load_b32 v1, v18 offset:4104
	s_lshl_b32 s24, 1, s82
	v_or_b32_e32 v32, s12, v32
	s_wait_alu 0xfffe
	v_and_or_b32 v14, v14, s19, s24
	s_wait_dscnt 0x0
	v_cmp_ne_u32_e32 vcc_lo, 0, v1
	s_cbranch_vccnz .LBB81_160
; %bb.157:                              ;   in Loop: Header=BB81_11 Depth=1
	s_and_saveexec_b32 s24, s2
; %bb.158:                              ;   in Loop: Header=BB81_11 Depth=1
	v_mov_b32_e32 v1, s21
	ds_store_b32 v18, v1 offset:4108
; %bb.159:                              ;   in Loop: Header=BB81_11 Depth=1
	s_wait_alu 0xfffe
	s_or_b32 exec_lo, exec_lo, s24
	s_wait_loadcnt_dscnt 0x0
	s_barrier_signal -1
	s_barrier_wait -1
	global_inv scope:SCOPE_SE
.LBB81_160:                             ;   in Loop: Header=BB81_11 Depth=1
	s_wait_alu 0xfffe
	s_or_saveexec_b32 s23, s23
	v_mov_b32_e32 v1, 8
	s_mov_b32 s24, 0
	s_wait_alu 0xfffe
	s_xor_b32 exec_lo, exec_lo, s23
; %bb.161:                              ;   in Loop: Header=BB81_11 Depth=1
	v_subrev_nc_u32_e32 v2, s21, v2
	v_mov_b32_e32 v1, 0
	s_mov_b32 s24, exec_lo
; %bb.162:                              ;   in Loop: Header=BB81_11 Depth=1
	s_or_b32 exec_lo, exec_lo, s23
	s_delay_alu instid0(VALU_DEP_2)
	v_mov_b32_e32 v3, v2
	s_wait_alu 0xfffe
	s_and_b32 s25, s24, exec_lo
.LBB81_163:                             ;   in Loop: Header=BB81_11 Depth=1
	s_wait_alu 0xfffe
	s_or_b32 exec_lo, exec_lo, s22
	s_mov_b32 s24, -1
                                        ; implicit-def: $sgpr22
                                        ; implicit-def: $sgpr23
	s_and_saveexec_b32 s21, s25
	s_cbranch_execz .LBB81_241
; %bb.164:                              ;   in Loop: Header=BB81_11 Depth=1
	v_cmp_eq_u32_e32 vcc_lo, 1, v3
	s_cmp_eq_u32 s18, 1
	s_mov_b32 s26, -1
	s_cselect_b32 s22, -1, 0
                                        ; implicit-def: $sgpr23
	s_wait_alu 0xfffe
	s_and_b32 s25, s22, vcc_lo
                                        ; implicit-def: $sgpr22
	s_wait_alu 0xfffe
	s_and_saveexec_b32 s24, s25
	s_cbranch_execz .LBB81_190
; %bb.165:                              ;   in Loop: Header=BB81_11 Depth=1
	ds_load_b32 v2, v18 offset:4104
	s_wait_loadcnt_dscnt 0x0
	s_barrier_signal -1
	s_barrier_wait -1
	global_inv scope:SCOPE_SE
	v_readfirstlane_b32 s27, v2
	s_and_saveexec_b32 s22, s3
; %bb.166:                              ;   in Loop: Header=BB81_11 Depth=1
	ds_store_b8 v0, v18 offset:3072
; %bb.167:                              ;   in Loop: Header=BB81_11 Depth=1
	s_wait_alu 0xfffe
	s_or_b32 exec_lo, exec_lo, s22
	s_lshl_b32 s22, 2, s82
	v_or_b32_e32 v32, s12, v32
	s_wait_alu 0xfffe
	v_and_or_b32 v14, v14, s19, s22
	s_mov_b32 s22, -1
	s_mov_b32 s23, 0
	s_cmp_eq_u32 s27, 0
	s_mov_b32 s26, 0
	s_mov_b32 s28, -1
	s_wait_loadcnt_dscnt 0x0
	s_barrier_signal -1
	s_barrier_wait -1
	global_inv scope:SCOPE_SE
                                        ; implicit-def: $vgpr33
	s_cbranch_scc1 .LBB81_178
; %bb.168:                              ;   in Loop: Header=BB81_11 Depth=1
	s_add_co_i32 s52, s27, s39
                                        ; implicit-def: $vgpr33
	s_wait_alu 0xfffe
	s_mul_u64 s[28:29], s[52:53], s[56:57]
	s_wait_alu 0xfffe
	s_mul_i32 s26, s29, s35
	s_mov_b32 s29, exec_lo
	s_wait_alu 0xfffe
	s_sub_co_i32 s26, s52, s26
	s_wait_alu 0xfffe
	s_sub_co_i32 s28, s26, s35
	s_cmp_ge_u32 s26, s35
	s_wait_alu 0xfffe
	s_cselect_b32 s26, s28, s26
	s_wait_alu 0xfffe
	s_sub_co_i32 s28, s26, s35
	s_cmp_ge_u32 s26, s35
	s_wait_alu 0xfffe
	s_cselect_b32 s26, s28, s26
	s_mov_b32 s28, 0
	s_wait_alu 0xfffe
	s_sub_co_i32 s30, s52, s26
	s_mov_b32 s26, 0
	s_wait_alu 0xfffe
	v_cmpx_gt_u32_e64 s30, v0
	s_cbranch_execz .LBB81_177
; %bb.169:                              ;   in Loop: Header=BB81_11 Depth=1
	v_mov_b32_e32 v2, v0
                                        ; implicit-def: $sgpr52
	s_branch .LBB81_172
.LBB81_170:                             ;   in Loop: Header=BB81_172 Depth=2
	s_wait_alu 0xfffe
	s_or_b32 exec_lo, exec_lo, s83
	s_wait_loadcnt_dscnt 0x0
	s_barrier_signal -1
	s_barrier_wait -1
	global_inv scope:SCOPE_SE
	ds_load_u16 v4, v18 offset:3072
	s_mov_b32 s84, -1
	s_mov_b32 s83, -1
	s_wait_loadcnt_dscnt 0x0
	s_barrier_signal -1
	s_barrier_wait -1
	global_inv scope:SCOPE_SE
	v_and_b32_e32 v5, 0xff, v4
	s_delay_alu instid0(VALU_DEP_1)
	v_cmp_ne_u32_e32 vcc_lo, 0, v5
	s_cbranch_vccz .LBB81_175
.LBB81_171:                             ;   in Loop: Header=BB81_172 Depth=2
	s_wait_alu 0xfffe
	s_and_b32 s84, exec_lo, s84
	s_wait_alu 0xfffe
	s_or_b32 s26, s84, s26
	s_and_not1_b32 s52, s52, exec_lo
	s_and_b32 s83, s83, exec_lo
	s_wait_alu 0xfffe
	s_or_b32 s52, s52, s83
	s_and_not1_b32 exec_lo, exec_lo, s26
	s_cbranch_execz .LBB81_176
.LBB81_172:                             ;   Parent Loop BB81_11 Depth=1
                                        ; =>  This Inner Loop Header: Depth=2
	s_mov_b32 s83, exec_lo
	s_delay_alu instid0(VALU_DEP_1)
	v_cmpx_gt_u32_e64 s27, v2
	s_cbranch_execz .LBB81_170
; %bb.173:                              ;   in Loop: Header=BB81_172 Depth=2
	ds_load_u8 v4, v2
	s_wait_dscnt 0x0
	v_bfe_i32 v5, v4, 0, 8
	s_delay_alu instid0(VALU_DEP_1) | instskip(NEXT) | instid1(VALU_DEP_1)
	v_add_nc_u32_e32 v5, 0x80, v5
	v_and_b32_e32 v5, v5, v32
	s_delay_alu instid0(VALU_DEP_1)
	v_cmp_eq_u32_e32 vcc_lo, v5, v14
	s_and_b32 exec_lo, exec_lo, vcc_lo
	s_cbranch_execz .LBB81_170
; %bb.174:                              ;   in Loop: Header=BB81_172 Depth=2
	v_lshlrev_b16 v4, 8, v4
	s_delay_alu instid0(VALU_DEP_1)
	v_or_b32_e32 v4, 1, v4
	ds_store_b16 v18, v4 offset:3072
	s_branch .LBB81_170
.LBB81_175:                             ;   in Loop: Header=BB81_172 Depth=2
	v_add_nc_u32_e32 v2, s35, v2
	s_mov_b32 s83, 0
	s_delay_alu instid0(VALU_DEP_1)
	v_cmp_le_u32_e32 vcc_lo, s30, v2
	s_or_not1_b32 s84, vcc_lo, exec_lo
	s_branch .LBB81_171
.LBB81_176:                             ;   in Loop: Header=BB81_11 Depth=1
	s_or_b32 exec_lo, exec_lo, s26
	v_and_b32_e32 v2, 0xffff, v4
	s_wait_alu 0xfffe
	s_and_b32 s26, s52, exec_lo
	s_delay_alu instid0(VALU_DEP_1)
	v_lshrrev_b32_e32 v33, 8, v2
.LBB81_177:                             ;   in Loop: Header=BB81_11 Depth=1
	s_or_b32 exec_lo, exec_lo, s29
.LBB81_178:                             ;   in Loop: Header=BB81_11 Depth=1
	s_wait_alu 0xfffe
	s_and_b32 vcc_lo, exec_lo, s28
	s_wait_alu 0xfffe
	s_cbranch_vccz .LBB81_189
; %bb.179:                              ;   in Loop: Header=BB81_11 Depth=1
                                        ; implicit-def: $vgpr33
	s_and_saveexec_b32 s22, s10
	s_cbranch_execz .LBB81_188
; %bb.180:                              ;   in Loop: Header=BB81_11 Depth=1
	v_mov_b32_e32 v2, v15
	v_mov_b32_e32 v4, v0
	s_mov_b32 s23, 0
                                        ; implicit-def: $sgpr27
	s_branch .LBB81_183
.LBB81_181:                             ;   in Loop: Header=BB81_183 Depth=2
	s_wait_alu 0xfffe
	s_or_b32 exec_lo, exec_lo, s28
	s_wait_loadcnt_dscnt 0x0
	s_barrier_signal -1
	s_barrier_wait -1
	global_inv scope:SCOPE_SE
	ds_load_u16 v5, v18 offset:3072
	s_mov_b32 s28, -1
	s_mov_b32 s29, -1
	s_wait_loadcnt_dscnt 0x0
	s_barrier_signal -1
	s_barrier_wait -1
	global_inv scope:SCOPE_SE
	v_and_b32_e32 v6, 0xff, v5
	s_delay_alu instid0(VALU_DEP_1)
	v_cmp_eq_u32_e32 vcc_lo, 0, v6
	s_cbranch_vccnz .LBB81_186
.LBB81_182:                             ;   in Loop: Header=BB81_183 Depth=2
	s_wait_alu 0xfffe
	s_and_b32 s28, exec_lo, s28
	s_wait_alu 0xfffe
	s_or_b32 s23, s28, s23
	s_and_not1_b32 s27, s27, exec_lo
	s_and_b32 s28, s29, exec_lo
	s_wait_alu 0xfffe
	s_or_b32 s27, s27, s28
	s_and_not1_b32 exec_lo, exec_lo, s23
	s_cbranch_execz .LBB81_187
.LBB81_183:                             ;   Parent Loop BB81_11 Depth=1
                                        ; =>  This Inner Loop Header: Depth=2
	s_mov_b32 s28, exec_lo
	s_delay_alu instid0(VALU_DEP_1)
	v_cmpx_gt_u32_e64 s36, v4
	s_cbranch_execz .LBB81_181
; %bb.184:                              ;   in Loop: Header=BB81_183 Depth=2
	global_load_u8 v5, v2, s[44:45]
	s_wait_loadcnt 0x0
	v_bfe_i32 v6, v5, 0, 8
	s_delay_alu instid0(VALU_DEP_1) | instskip(NEXT) | instid1(VALU_DEP_1)
	v_add_nc_u32_e32 v6, 0x80, v6
	v_and_b32_e32 v6, v6, v32
	s_delay_alu instid0(VALU_DEP_1)
	v_cmp_eq_u32_e32 vcc_lo, v6, v14
	s_and_b32 exec_lo, exec_lo, vcc_lo
	s_cbranch_execz .LBB81_181
; %bb.185:                              ;   in Loop: Header=BB81_183 Depth=2
	v_lshlrev_b16 v5, 8, v5
	s_delay_alu instid0(VALU_DEP_1)
	v_or_b32_e32 v5, 1, v5
	ds_store_b16 v18, v5 offset:3072
	s_branch .LBB81_181
.LBB81_186:                             ;   in Loop: Header=BB81_183 Depth=2
	v_add_nc_u32_e32 v4, s35, v4
	v_add_nc_u32_e32 v2, s62, v2
	s_mov_b32 s29, 0
	s_delay_alu instid0(VALU_DEP_2)
	v_cmp_le_u32_e32 vcc_lo, s73, v4
	s_or_not1_b32 s28, vcc_lo, exec_lo
	s_branch .LBB81_182
.LBB81_187:                             ;   in Loop: Header=BB81_11 Depth=1
	s_or_b32 exec_lo, exec_lo, s23
	v_and_b32_e32 v2, 0xffff, v5
	s_and_not1_b32 s23, s26, exec_lo
	s_wait_alu 0xfffe
	s_and_b32 s26, s27, exec_lo
	s_wait_alu 0xfffe
	s_or_b32 s26, s23, s26
	v_lshrrev_b32_e32 v33, 8, v2
.LBB81_188:                             ;   in Loop: Header=BB81_11 Depth=1
	s_wait_alu 0xfffe
	s_or_b32 exec_lo, exec_lo, s22
	s_mov_b32 s22, 0
	s_mov_b32 s23, -1
.LBB81_189:                             ;   in Loop: Header=BB81_11 Depth=1
	s_or_not1_b32 s26, s26, exec_lo
.LBB81_190:                             ;   in Loop: Header=BB81_11 Depth=1
	s_wait_alu 0xfffe
	s_or_b32 exec_lo, exec_lo, s24
	s_mov_b32 s27, 0
	s_and_saveexec_b32 s24, s26
	s_cbranch_execz .LBB81_240
; %bb.191:                              ;   in Loop: Header=BB81_11 Depth=1
	v_dual_mov_b32 v2, 1 :: v_dual_mov_b32 v1, 1
	s_xor_b32 s26, s25, -1
	s_wait_alu 0xfffe
	s_and_saveexec_b32 s25, s26
	s_cbranch_execz .LBB81_200
; %bb.192:                              ;   in Loop: Header=BB81_11 Depth=1
	s_mov_b32 s26, exec_lo
	v_cmpx_ge_u32_e64 s18, v3
	s_wait_alu 0xfffe
	s_xor_b32 s26, exec_lo, s26
	s_cbranch_execz .LBB81_197
; %bb.193:                              ;   in Loop: Header=BB81_11 Depth=1
	ds_load_b32 v1, v18 offset:4104
	s_lshl_b32 s27, 2, s82
	v_or_b32_e32 v32, s12, v32
	s_wait_alu 0xfffe
	v_and_or_b32 v14, v14, s19, s27
	s_wait_dscnt 0x0
	v_cmp_ne_u32_e32 vcc_lo, 0, v1
	s_cbranch_vccnz .LBB81_197
; %bb.194:                              ;   in Loop: Header=BB81_11 Depth=1
	s_and_saveexec_b32 s19, s2
; %bb.195:                              ;   in Loop: Header=BB81_11 Depth=1
	v_mov_b32_e32 v1, s18
	ds_store_b32 v18, v1 offset:4108
; %bb.196:                              ;   in Loop: Header=BB81_11 Depth=1
	s_wait_alu 0xfffe
	s_or_b32 exec_lo, exec_lo, s19
	s_wait_loadcnt_dscnt 0x0
	s_barrier_signal -1
	s_barrier_wait -1
	global_inv scope:SCOPE_SE
.LBB81_197:                             ;   in Loop: Header=BB81_11 Depth=1
	s_wait_alu 0xfffe
	s_or_saveexec_b32 s19, s26
	v_mov_b32_e32 v1, 8
	s_mov_b32 s26, 0
	s_wait_alu 0xfffe
	s_xor_b32 exec_lo, exec_lo, s19
; %bb.198:                              ;   in Loop: Header=BB81_11 Depth=1
	v_subrev_nc_u32_e32 v3, s18, v3
	v_mov_b32_e32 v1, 0
	s_mov_b32 s26, exec_lo
; %bb.199:                              ;   in Loop: Header=BB81_11 Depth=1
	s_or_b32 exec_lo, exec_lo, s19
	s_delay_alu instid0(VALU_DEP_2)
	v_mov_b32_e32 v2, v3
	s_wait_alu 0xfffe
	s_and_b32 s27, s26, exec_lo
.LBB81_200:                             ;   in Loop: Header=BB81_11 Depth=1
	s_wait_alu 0xfffe
	s_or_b32 exec_lo, exec_lo, s25
	s_mov_b32 s19, -1
                                        ; implicit-def: $sgpr26
                                        ; implicit-def: $sgpr25
	s_and_saveexec_b32 s18, s27
	s_cbranch_execz .LBB81_239
; %bb.201:                              ;   in Loop: Header=BB81_11 Depth=1
	v_cmp_eq_u32_e32 vcc_lo, 1, v2
	s_cmp_eq_u32 s11, 1
	s_mov_b32 s28, -1
	s_cselect_b32 s19, -1, 0
                                        ; implicit-def: $sgpr26
                                        ; implicit-def: $sgpr25
	s_wait_alu 0xfffe
	s_and_b32 s19, s19, vcc_lo
	s_wait_alu 0xfffe
	s_and_saveexec_b32 s27, s19
	s_cbranch_execz .LBB81_227
; %bb.202:                              ;   in Loop: Header=BB81_11 Depth=1
	ds_load_b32 v3, v18 offset:4104
	s_wait_loadcnt_dscnt 0x0
	s_barrier_signal -1
	s_barrier_wait -1
	global_inv scope:SCOPE_SE
	v_readfirstlane_b32 s29, v3
	s_and_saveexec_b32 s25, s3
; %bb.203:                              ;   in Loop: Header=BB81_11 Depth=1
	ds_store_b8 v0, v18 offset:3072
; %bb.204:                              ;   in Loop: Header=BB81_11 Depth=1
	s_wait_alu 0xfffe
	s_or_b32 exec_lo, exec_lo, s25
	v_or_b32_e32 v14, s12, v14
	v_or_b32_e32 v32, s12, v32
	s_mov_b32 s25, -1
	s_mov_b32 s26, 0
	s_cmp_eq_u32 s29, 0
	s_mov_b32 s28, 0
	s_mov_b32 s30, -1
	s_wait_loadcnt_dscnt 0x0
	s_barrier_signal -1
	s_barrier_wait -1
	global_inv scope:SCOPE_SE
                                        ; implicit-def: $vgpr33
	s_cbranch_scc1 .LBB81_215
; %bb.205:                              ;   in Loop: Header=BB81_11 Depth=1
	s_add_co_i32 s52, s29, s39
                                        ; implicit-def: $vgpr33
	s_wait_alu 0xfffe
	s_mul_u64 s[84:85], s[52:53], s[56:57]
	s_wait_alu 0xfffe
	s_mul_i32 s28, s85, s35
	s_wait_alu 0xfffe
	s_sub_co_i32 s28, s52, s28
	s_wait_alu 0xfffe
	s_sub_co_i32 s30, s28, s35
	s_cmp_ge_u32 s28, s35
	s_wait_alu 0xfffe
	s_cselect_b32 s28, s30, s28
	s_wait_alu 0xfffe
	s_sub_co_i32 s30, s28, s35
	s_cmp_ge_u32 s28, s35
	s_wait_alu 0xfffe
	s_cselect_b32 s28, s30, s28
	s_mov_b32 s30, 0
	s_wait_alu 0xfffe
	s_sub_co_i32 s83, s52, s28
	s_mov_b32 s28, 0
	s_mov_b32 s52, exec_lo
	s_wait_alu 0xfffe
	v_cmpx_gt_u32_e64 s83, v0
	s_cbranch_execz .LBB81_214
; %bb.206:                              ;   in Loop: Header=BB81_11 Depth=1
	v_mov_b32_e32 v3, v0
                                        ; implicit-def: $sgpr84
	s_branch .LBB81_209
.LBB81_207:                             ;   in Loop: Header=BB81_209 Depth=2
	s_wait_alu 0xfffe
	s_or_b32 exec_lo, exec_lo, s85
	s_wait_loadcnt_dscnt 0x0
	s_barrier_signal -1
	s_barrier_wait -1
	global_inv scope:SCOPE_SE
	ds_load_u16 v4, v18 offset:3072
	s_mov_b32 s86, -1
	s_mov_b32 s85, -1
	s_wait_loadcnt_dscnt 0x0
	s_barrier_signal -1
	s_barrier_wait -1
	global_inv scope:SCOPE_SE
	v_and_b32_e32 v5, 0xff, v4
	s_delay_alu instid0(VALU_DEP_1)
	v_cmp_ne_u32_e32 vcc_lo, 0, v5
	s_cbranch_vccz .LBB81_212
.LBB81_208:                             ;   in Loop: Header=BB81_209 Depth=2
	s_wait_alu 0xfffe
	s_and_b32 s86, exec_lo, s86
	s_wait_alu 0xfffe
	s_or_b32 s28, s86, s28
	s_and_not1_b32 s84, s84, exec_lo
	s_and_b32 s85, s85, exec_lo
	s_wait_alu 0xfffe
	s_or_b32 s84, s84, s85
	s_and_not1_b32 exec_lo, exec_lo, s28
	s_cbranch_execz .LBB81_213
.LBB81_209:                             ;   Parent Loop BB81_11 Depth=1
                                        ; =>  This Inner Loop Header: Depth=2
	s_mov_b32 s85, exec_lo
	s_delay_alu instid0(VALU_DEP_1)
	v_cmpx_gt_u32_e64 s29, v3
	s_cbranch_execz .LBB81_207
; %bb.210:                              ;   in Loop: Header=BB81_209 Depth=2
	ds_load_u8 v4, v3
	s_wait_dscnt 0x0
	v_bfe_i32 v5, v4, 0, 8
	s_delay_alu instid0(VALU_DEP_1) | instskip(NEXT) | instid1(VALU_DEP_1)
	v_add_nc_u32_e32 v5, 0x80, v5
	v_and_b32_e32 v5, v5, v32
	s_delay_alu instid0(VALU_DEP_1)
	v_cmp_eq_u32_e32 vcc_lo, v5, v14
	s_and_b32 exec_lo, exec_lo, vcc_lo
	s_cbranch_execz .LBB81_207
; %bb.211:                              ;   in Loop: Header=BB81_209 Depth=2
	v_lshlrev_b16 v4, 8, v4
	s_delay_alu instid0(VALU_DEP_1)
	v_or_b32_e32 v4, 1, v4
	ds_store_b16 v18, v4 offset:3072
	s_branch .LBB81_207
.LBB81_212:                             ;   in Loop: Header=BB81_209 Depth=2
	v_add_nc_u32_e32 v3, s35, v3
	s_mov_b32 s85, 0
	s_delay_alu instid0(VALU_DEP_1)
	v_cmp_le_u32_e32 vcc_lo, s83, v3
	s_or_not1_b32 s86, vcc_lo, exec_lo
	s_branch .LBB81_208
.LBB81_213:                             ;   in Loop: Header=BB81_11 Depth=1
	s_or_b32 exec_lo, exec_lo, s28
	v_and_b32_e32 v3, 0xffff, v4
	s_wait_alu 0xfffe
	s_and_b32 s28, s84, exec_lo
	s_delay_alu instid0(VALU_DEP_1)
	v_lshrrev_b32_e32 v33, 8, v3
.LBB81_214:                             ;   in Loop: Header=BB81_11 Depth=1
	s_or_b32 exec_lo, exec_lo, s52
.LBB81_215:                             ;   in Loop: Header=BB81_11 Depth=1
	s_wait_alu 0xfffe
	s_and_b32 vcc_lo, exec_lo, s30
	s_wait_alu 0xfffe
	s_cbranch_vccz .LBB81_226
; %bb.216:                              ;   in Loop: Header=BB81_11 Depth=1
                                        ; implicit-def: $vgpr33
	s_and_saveexec_b32 s25, s10
	s_cbranch_execz .LBB81_225
; %bb.217:                              ;   in Loop: Header=BB81_11 Depth=1
	v_dual_mov_b32 v3, v15 :: v_dual_mov_b32 v4, v0
	s_mov_b32 s26, 0
                                        ; implicit-def: $sgpr29
	s_branch .LBB81_220
.LBB81_218:                             ;   in Loop: Header=BB81_220 Depth=2
	s_wait_alu 0xfffe
	s_or_b32 exec_lo, exec_lo, s30
	s_wait_loadcnt_dscnt 0x0
	s_barrier_signal -1
	s_barrier_wait -1
	global_inv scope:SCOPE_SE
	ds_load_u16 v5, v18 offset:3072
	s_mov_b32 s30, -1
	s_mov_b32 s52, -1
	s_wait_loadcnt_dscnt 0x0
	s_barrier_signal -1
	s_barrier_wait -1
	global_inv scope:SCOPE_SE
	v_and_b32_e32 v6, 0xff, v5
	s_delay_alu instid0(VALU_DEP_1)
	v_cmp_eq_u32_e32 vcc_lo, 0, v6
	s_cbranch_vccnz .LBB81_223
.LBB81_219:                             ;   in Loop: Header=BB81_220 Depth=2
	s_wait_alu 0xfffe
	s_and_b32 s30, exec_lo, s30
	s_wait_alu 0xfffe
	s_or_b32 s26, s30, s26
	s_and_not1_b32 s29, s29, exec_lo
	s_and_b32 s30, s52, exec_lo
	s_wait_alu 0xfffe
	s_or_b32 s29, s29, s30
	s_and_not1_b32 exec_lo, exec_lo, s26
	s_cbranch_execz .LBB81_224
.LBB81_220:                             ;   Parent Loop BB81_11 Depth=1
                                        ; =>  This Inner Loop Header: Depth=2
	s_mov_b32 s30, exec_lo
	s_delay_alu instid0(VALU_DEP_1)
	v_cmpx_gt_u32_e64 s36, v4
	s_cbranch_execz .LBB81_218
; %bb.221:                              ;   in Loop: Header=BB81_220 Depth=2
	global_load_u8 v5, v3, s[44:45]
	s_wait_loadcnt 0x0
	v_bfe_i32 v6, v5, 0, 8
	s_delay_alu instid0(VALU_DEP_1) | instskip(NEXT) | instid1(VALU_DEP_1)
	v_add_nc_u32_e32 v6, 0x80, v6
	v_and_b32_e32 v6, v6, v32
	s_delay_alu instid0(VALU_DEP_1)
	v_cmp_eq_u32_e32 vcc_lo, v6, v14
	s_and_b32 exec_lo, exec_lo, vcc_lo
	s_cbranch_execz .LBB81_218
; %bb.222:                              ;   in Loop: Header=BB81_220 Depth=2
	v_lshlrev_b16 v5, 8, v5
	s_delay_alu instid0(VALU_DEP_1)
	v_or_b32_e32 v5, 1, v5
	ds_store_b16 v18, v5 offset:3072
	s_branch .LBB81_218
.LBB81_223:                             ;   in Loop: Header=BB81_220 Depth=2
	v_add_nc_u32_e32 v4, s35, v4
	v_add_nc_u32_e32 v3, s62, v3
	s_mov_b32 s52, 0
	s_delay_alu instid0(VALU_DEP_2)
	v_cmp_le_u32_e32 vcc_lo, s73, v4
	s_or_not1_b32 s30, vcc_lo, exec_lo
	s_branch .LBB81_219
.LBB81_224:                             ;   in Loop: Header=BB81_11 Depth=1
	s_or_b32 exec_lo, exec_lo, s26
	v_and_b32_e32 v3, 0xffff, v5
	s_and_not1_b32 s26, s28, exec_lo
	s_wait_alu 0xfffe
	s_and_b32 s28, s29, exec_lo
	s_wait_alu 0xfffe
	s_or_b32 s28, s26, s28
	v_lshrrev_b32_e32 v33, 8, v3
.LBB81_225:                             ;   in Loop: Header=BB81_11 Depth=1
	s_wait_alu 0xfffe
	s_or_b32 exec_lo, exec_lo, s25
	s_mov_b32 s25, 0
	s_mov_b32 s26, -1
.LBB81_226:                             ;   in Loop: Header=BB81_11 Depth=1
	s_or_not1_b32 s28, s28, exec_lo
.LBB81_227:                             ;   in Loop: Header=BB81_11 Depth=1
	s_wait_alu 0xfffe
	s_or_b32 exec_lo, exec_lo, s27
	s_mov_b32 s29, 0
	s_and_saveexec_b32 s27, s28
	s_cbranch_execz .LBB81_238
; %bb.228:                              ;   in Loop: Header=BB81_11 Depth=1
	v_mov_b32_e32 v1, 1
	v_mov_b32_e32 v3, 1
	s_xor_b32 s28, s19, -1
	s_wait_alu 0xfffe
	s_and_saveexec_b32 s19, s28
	s_cbranch_execz .LBB81_237
; %bb.229:                              ;   in Loop: Header=BB81_11 Depth=1
	s_mov_b32 s28, exec_lo
	v_cmpx_ge_u32_e64 s11, v2
	s_wait_alu 0xfffe
	s_xor_b32 s28, exec_lo, s28
	s_cbranch_execz .LBB81_234
; %bb.230:                              ;   in Loop: Header=BB81_11 Depth=1
	ds_load_b32 v1, v18 offset:4104
	v_or_b32_e32 v14, s12, v14
	v_or_b32_e32 v32, s12, v32
	s_wait_dscnt 0x0
	v_cmp_ne_u32_e32 vcc_lo, 0, v1
	s_cbranch_vccnz .LBB81_234
; %bb.231:                              ;   in Loop: Header=BB81_11 Depth=1
	s_and_saveexec_b32 s12, s2
; %bb.232:                              ;   in Loop: Header=BB81_11 Depth=1
	v_mov_b32_e32 v1, s11
	ds_store_b32 v18, v1 offset:4108
; %bb.233:                              ;   in Loop: Header=BB81_11 Depth=1
	s_wait_alu 0xfffe
	s_or_b32 exec_lo, exec_lo, s12
	s_wait_loadcnt_dscnt 0x0
	s_barrier_signal -1
	s_barrier_wait -1
	global_inv scope:SCOPE_SE
.LBB81_234:                             ;   in Loop: Header=BB81_11 Depth=1
	s_wait_alu 0xfffe
	s_and_not1_saveexec_b32 s12, s28
; %bb.235:                              ;   in Loop: Header=BB81_11 Depth=1
	v_subrev_nc_u32_e32 v2, s11, v2
; %bb.236:                              ;   in Loop: Header=BB81_11 Depth=1
	s_wait_alu 0xfffe
	s_or_b32 exec_lo, exec_lo, s12
	v_mov_b32_e32 v1, 8
	s_delay_alu instid0(VALU_DEP_2)
	v_mov_b32_e32 v3, v2
.LBB81_237:                             ;   in Loop: Header=BB81_11 Depth=1
	s_wait_alu 0xfffe
	s_or_b32 exec_lo, exec_lo, s19
	s_delay_alu instid0(VALU_DEP_1)
	v_mov_b32_e32 v2, v3
	s_mov_b32 s29, exec_lo
.LBB81_238:                             ;   in Loop: Header=BB81_11 Depth=1
	s_wait_alu 0xfffe
	s_or_b32 exec_lo, exec_lo, s27
	s_delay_alu instid0(SALU_CYCLE_1)
	s_or_not1_b32 s19, s29, exec_lo
.LBB81_239:                             ;   in Loop: Header=BB81_11 Depth=1
	s_wait_alu 0xfffe
	s_or_b32 exec_lo, exec_lo, s18
	v_mov_b32_e32 v3, v2
	s_and_not1_b32 s11, s23, exec_lo
	s_and_b32 s12, s26, exec_lo
	s_and_not1_b32 s18, s22, exec_lo
	s_and_b32 s22, s25, exec_lo
	s_wait_alu 0xfffe
	s_or_b32 s23, s11, s12
	s_or_b32 s22, s18, s22
	s_and_b32 s27, s19, exec_lo
.LBB81_240:                             ;   in Loop: Header=BB81_11 Depth=1
	s_wait_alu 0xfffe
	s_or_b32 exec_lo, exec_lo, s24
	s_delay_alu instid0(SALU_CYCLE_1)
	s_or_not1_b32 s24, s27, exec_lo
.LBB81_241:                             ;   in Loop: Header=BB81_11 Depth=1
	s_wait_alu 0xfffe
	s_or_b32 exec_lo, exec_lo, s21
	v_mov_b32_e32 v2, v3
	s_and_not1_b32 s11, s17, exec_lo
	s_and_b32 s12, s23, exec_lo
	s_and_not1_b32 s16, s16, exec_lo
	s_and_b32 s18, s22, exec_lo
	s_wait_alu 0xfffe
	s_or_b32 s17, s11, s12
	s_or_b32 s16, s16, s18
	s_and_b32 s24, s24, exec_lo
.LBB81_242:                             ;   in Loop: Header=BB81_11 Depth=1
	s_wait_alu 0xfffe
	s_or_b32 exec_lo, exec_lo, s20
	s_delay_alu instid0(SALU_CYCLE_1)
	s_or_not1_b32 s20, s24, exec_lo
.LBB81_243:                             ;   in Loop: Header=BB81_11 Depth=1
	s_wait_alu 0xfffe
	s_or_b32 exec_lo, exec_lo, s15
	s_mov_b32 s12, 0
                                        ; implicit-def: $sgpr22
	s_and_saveexec_b32 s11, s20
	s_wait_alu 0xfffe
	s_xor_b32 s11, exec_lo, s11
	s_cbranch_execz .LBB81_9
; %bb.244:                              ;   in Loop: Header=BB81_11 Depth=1
	v_and_b32_e32 v1, 7, v1
	s_mov_b32 s14, -1
	s_mov_b32 s12, -1
	s_mov_b32 s15, exec_lo
                                        ; implicit-def: $sgpr22
	s_delay_alu instid0(VALU_DEP_1)
	v_cmpx_eq_u32_e32 0, v1
	s_cbranch_execz .LBB81_8
; %bb.245:                              ;   in Loop: Header=BB81_11 Depth=1
	s_add_co_i32 s22, s82, -2
	s_cmp_eq_u32 s82, 0
	v_xor_b32_e32 v31, 1, v31
	s_cselect_b32 s14, -1, 0
	s_xor_b32 s12, exec_lo, -1
	s_wait_alu 0xfffe
	s_or_not1_b32 s14, s14, exec_lo
	s_branch .LBB81_8
.LBB81_246:
	s_or_b32 exec_lo, exec_lo, s75
	s_xor_b32 s4, s81, -1
	s_xor_b32 s1, s79, -1
	;; [unrolled: 1-line block ×3, first 2 shown]
	s_mov_b32 s2, 0
	s_and_saveexec_b32 s5, s1
	s_wait_alu 0xfffe
	s_xor_b32 s1, exec_lo, s5
	s_cbranch_execnz .LBB81_251
; %bb.247:
	s_and_not1_saveexec_b32 s0, s1
	s_cbranch_execnz .LBB81_264
.LBB81_248:
	s_or_b32 exec_lo, exec_lo, s0
	s_wait_alu 0xfffe
	s_and_saveexec_b32 s0, s2
.LBB81_249:
	; divergent unreachable
.LBB81_250:
	s_endpgm
.LBB81_251:
	s_and_saveexec_b32 s2, s4
	s_wait_alu 0xfffe
	s_xor_b32 s2, exec_lo, s2
	s_cbranch_execz .LBB81_262
; %bb.252:
	s_and_saveexec_b32 s4, s3
	s_wait_alu 0xfffe
	s_xor_b32 s3, exec_lo, s4
; %bb.253:
	v_xor_b32_e32 v33, 0xffffff80, v14
; %bb.254:
	s_wait_alu 0xfffe
	s_or_b32 exec_lo, exec_lo, s3
	s_mul_i32 s3, s51, s60
	s_add_co_i32 s4, s51, 1
	s_wait_alu 0xfffe
	s_sub_co_i32 s3, s34, s3
	s_wait_alu 0xfffe
	s_sub_co_i32 s5, s3, s60
	s_cmp_ge_u32 s3, s60
	s_cselect_b32 s4, s4, s51
	s_wait_alu 0xfffe
	s_cselect_b32 s3, s5, s3
	s_add_co_i32 s5, s4, 1
	s_wait_alu 0xfffe
	s_cmp_ge_u32 s3, s60
	s_cselect_b32 s3, s5, s4
	s_wait_alu 0xfffe
	s_mul_i32 s4, s3, s60
	s_mul_i32 s3, s3, s48
	s_wait_alu 0xfffe
	s_sub_co_i32 s4, s34, s4
	s_wait_alu 0xfffe
	s_mul_i32 s4, s4, s49
	s_wait_alu 0xfffe
	s_add_co_i32 s3, s3, s4
	s_wait_alu 0xfffe
	v_mov_b32_e32 v1, s3
	global_store_b8 v1, v33, s[46:47]
	s_and_saveexec_b32 s3, s0
	s_cbranch_execz .LBB81_261
; %bb.255:
	v_and_b32_e32 v2, 0xff, v33
	s_mov_b32 s0, 0
                                        ; implicit-def: $sgpr4
                                        ; implicit-def: $sgpr6
                                        ; implicit-def: $sgpr5
	s_branch .LBB81_257
.LBB81_256:                             ;   in Loop: Header=BB81_257 Depth=1
	s_wait_alu 0xfffe
	s_or_b32 exec_lo, exec_lo, s7
	s_delay_alu instid0(SALU_CYCLE_1)
	s_and_b32 s7, exec_lo, s6
	s_wait_alu 0xfffe
	s_or_b32 s0, s7, s0
	s_and_not1_b32 s4, s4, exec_lo
	s_and_b32 s7, s5, exec_lo
	s_wait_alu 0xfffe
	s_or_b32 s4, s4, s7
	s_and_not1_b32 exec_lo, exec_lo, s0
	s_cbranch_execz .LBB81_259
.LBB81_257:                             ; =>This Inner Loop Header: Depth=1
	global_load_u8 v3, v15, s[44:45]
	v_mov_b32_e32 v1, v0
	s_or_b32 s5, s5, exec_lo
	s_or_b32 s6, s6, exec_lo
	s_mov_b32 s7, exec_lo
                                        ; implicit-def: $vgpr0
	s_wait_loadcnt 0x0
	v_cmpx_ne_u16_e64 v3, v2
	s_cbranch_execz .LBB81_256
; %bb.258:                              ;   in Loop: Header=BB81_257 Depth=1
	v_add_nc_u32_e32 v0, s35, v1
	v_add_nc_u32_e32 v15, s62, v15
	s_wait_alu 0xfffe
	s_and_not1_b32 s6, s6, exec_lo
	s_and_not1_b32 s5, s5, exec_lo
	v_cmp_le_u32_e32 vcc_lo, s36, v0
	s_and_b32 s8, vcc_lo, exec_lo
	s_wait_alu 0xfffe
	s_or_b32 s6, s6, s8
	s_branch .LBB81_256
.LBB81_259:
	s_or_b32 exec_lo, exec_lo, s0
	s_wait_alu 0xfffe
	s_and_saveexec_b32 s0, s4
	s_delay_alu instid0(SALU_CYCLE_1)
	s_xor_b32 s0, exec_lo, s0
	s_cbranch_execz .LBB81_261
; %bb.260:
	s_mul_i32 s0, s31, s33
	s_add_co_i32 s4, s31, 1
	s_sub_co_i32 s0, s34, s0
	v_mov_b32_e32 v2, 0
	s_sub_co_i32 s5, s0, s33
	s_cmp_ge_u32 s0, s33
	s_wait_alu 0xfffe
	s_cselect_b32 s4, s4, s31
	s_cselect_b32 s0, s5, s0
	s_wait_alu 0xfffe
	s_add_co_i32 s5, s4, 1
	s_cmp_ge_u32 s0, s33
	s_wait_alu 0xfffe
	s_cselect_b32 s0, s5, s4
	s_mov_b32 s5, 0
	s_mul_i32 s4, s0, s33
	s_mul_i32 s0, s0, s40
	s_wait_alu 0xfffe
	s_sub_co_i32 s4, s34, s4
	s_wait_alu 0xfffe
	s_mul_i32 s4, s4, s41
	s_wait_alu 0xfffe
	s_add_co_i32 s4, s0, s4
	s_wait_alu 0xfffe
	s_lshl_b64 s[4:5], s[4:5], 3
	s_wait_alu 0xfffe
	s_add_nc_u64 s[4:5], s[42:43], s[4:5]
	global_store_b64 v2, v[1:2], s[4:5]
.LBB81_261:
	s_wait_alu 0xfffe
	s_or_b32 exec_lo, exec_lo, s3
.LBB81_262:
	s_wait_alu 0xfffe
	s_or_saveexec_b32 s0, s2
	s_mov_b32 s2, 0
	s_xor_b32 exec_lo, exec_lo, s0
	s_cbranch_execnz .LBB81_265
.LBB81_263:
	s_or_b32 exec_lo, exec_lo, s0
	s_wait_alu 0xfffe
	s_and_b32 s2, s2, exec_lo
	s_and_not1_saveexec_b32 s0, s1
	s_cbranch_execz .LBB81_248
.LBB81_264:
	s_wait_alu 0xfffe
	s_or_b32 s2, s2, exec_lo
	s_trap 2
	s_or_b32 exec_lo, exec_lo, s0
	s_wait_alu 0xfffe
	s_and_saveexec_b32 s0, s2
	s_cbranch_execnz .LBB81_249
	s_branch .LBB81_250
.LBB81_265:
	s_mov_b32 s2, exec_lo
	s_trap 2
	s_branch .LBB81_263
	.section	.rodata,"a",@progbits
	.p2align	6, 0x0
	.amdhsa_kernel _ZN2at6native12_GLOBAL__N_112gatherMedianIajLi2EEEvNS_4cuda6detail10TensorInfoIT_T0_EENS5_IlS7_EENS5_IKS6_S7_EES7_S7_S7_b
		.amdhsa_group_segment_fixed_size 4120
		.amdhsa_private_segment_fixed_size 0
		.amdhsa_kernarg_size 920
		.amdhsa_user_sgpr_count 2
		.amdhsa_user_sgpr_dispatch_ptr 0
		.amdhsa_user_sgpr_queue_ptr 0
		.amdhsa_user_sgpr_kernarg_segment_ptr 1
		.amdhsa_user_sgpr_dispatch_id 0
		.amdhsa_user_sgpr_private_segment_size 0
		.amdhsa_wavefront_size32 1
		.amdhsa_uses_dynamic_stack 0
		.amdhsa_enable_private_segment 0
		.amdhsa_system_sgpr_workgroup_id_x 1
		.amdhsa_system_sgpr_workgroup_id_y 1
		.amdhsa_system_sgpr_workgroup_id_z 1
		.amdhsa_system_sgpr_workgroup_info 0
		.amdhsa_system_vgpr_workitem_id 0
		.amdhsa_next_free_vgpr 68
		.amdhsa_next_free_sgpr 90
		.amdhsa_reserve_vcc 1
		.amdhsa_float_round_mode_32 0
		.amdhsa_float_round_mode_16_64 0
		.amdhsa_float_denorm_mode_32 3
		.amdhsa_float_denorm_mode_16_64 3
		.amdhsa_fp16_overflow 0
		.amdhsa_workgroup_processor_mode 1
		.amdhsa_memory_ordered 1
		.amdhsa_forward_progress 1
		.amdhsa_inst_pref_size 100
		.amdhsa_round_robin_scheduling 0
		.amdhsa_exception_fp_ieee_invalid_op 0
		.amdhsa_exception_fp_denorm_src 0
		.amdhsa_exception_fp_ieee_div_zero 0
		.amdhsa_exception_fp_ieee_overflow 0
		.amdhsa_exception_fp_ieee_underflow 0
		.amdhsa_exception_fp_ieee_inexact 0
		.amdhsa_exception_int_div_zero 0
	.end_amdhsa_kernel
	.section	.text._ZN2at6native12_GLOBAL__N_112gatherMedianIajLi2EEEvNS_4cuda6detail10TensorInfoIT_T0_EENS5_IlS7_EENS5_IKS6_S7_EES7_S7_S7_b,"axG",@progbits,_ZN2at6native12_GLOBAL__N_112gatherMedianIajLi2EEEvNS_4cuda6detail10TensorInfoIT_T0_EENS5_IlS7_EENS5_IKS6_S7_EES7_S7_S7_b,comdat
.Lfunc_end81:
	.size	_ZN2at6native12_GLOBAL__N_112gatherMedianIajLi2EEEvNS_4cuda6detail10TensorInfoIT_T0_EENS5_IlS7_EENS5_IKS6_S7_EES7_S7_S7_b, .Lfunc_end81-_ZN2at6native12_GLOBAL__N_112gatherMedianIajLi2EEEvNS_4cuda6detail10TensorInfoIT_T0_EENS5_IlS7_EENS5_IKS6_S7_EES7_S7_S7_b
                                        ; -- End function
	.set _ZN2at6native12_GLOBAL__N_112gatherMedianIajLi2EEEvNS_4cuda6detail10TensorInfoIT_T0_EENS5_IlS7_EENS5_IKS6_S7_EES7_S7_S7_b.num_vgpr, 68
	.set _ZN2at6native12_GLOBAL__N_112gatherMedianIajLi2EEEvNS_4cuda6detail10TensorInfoIT_T0_EENS5_IlS7_EENS5_IKS6_S7_EES7_S7_S7_b.num_agpr, 0
	.set _ZN2at6native12_GLOBAL__N_112gatherMedianIajLi2EEEvNS_4cuda6detail10TensorInfoIT_T0_EENS5_IlS7_EENS5_IKS6_S7_EES7_S7_S7_b.numbered_sgpr, 90
	.set _ZN2at6native12_GLOBAL__N_112gatherMedianIajLi2EEEvNS_4cuda6detail10TensorInfoIT_T0_EENS5_IlS7_EENS5_IKS6_S7_EES7_S7_S7_b.num_named_barrier, 0
	.set _ZN2at6native12_GLOBAL__N_112gatherMedianIajLi2EEEvNS_4cuda6detail10TensorInfoIT_T0_EENS5_IlS7_EENS5_IKS6_S7_EES7_S7_S7_b.private_seg_size, 0
	.set _ZN2at6native12_GLOBAL__N_112gatherMedianIajLi2EEEvNS_4cuda6detail10TensorInfoIT_T0_EENS5_IlS7_EENS5_IKS6_S7_EES7_S7_S7_b.uses_vcc, 1
	.set _ZN2at6native12_GLOBAL__N_112gatherMedianIajLi2EEEvNS_4cuda6detail10TensorInfoIT_T0_EENS5_IlS7_EENS5_IKS6_S7_EES7_S7_S7_b.uses_flat_scratch, 0
	.set _ZN2at6native12_GLOBAL__N_112gatherMedianIajLi2EEEvNS_4cuda6detail10TensorInfoIT_T0_EENS5_IlS7_EENS5_IKS6_S7_EES7_S7_S7_b.has_dyn_sized_stack, 0
	.set _ZN2at6native12_GLOBAL__N_112gatherMedianIajLi2EEEvNS_4cuda6detail10TensorInfoIT_T0_EENS5_IlS7_EENS5_IKS6_S7_EES7_S7_S7_b.has_recursion, 0
	.set _ZN2at6native12_GLOBAL__N_112gatherMedianIajLi2EEEvNS_4cuda6detail10TensorInfoIT_T0_EENS5_IlS7_EENS5_IKS6_S7_EES7_S7_S7_b.has_indirect_call, 0
	.section	.AMDGPU.csdata,"",@progbits
; Kernel info:
; codeLenInByte = 12800
; TotalNumSgprs: 92
; NumVgprs: 68
; ScratchSize: 0
; MemoryBound: 0
; FloatMode: 240
; IeeeMode: 1
; LDSByteSize: 4120 bytes/workgroup (compile time only)
; SGPRBlocks: 0
; VGPRBlocks: 8
; NumSGPRsForWavesPerEU: 92
; NumVGPRsForWavesPerEU: 68
; Occupancy: 16
; WaveLimiterHint : 1
; COMPUTE_PGM_RSRC2:SCRATCH_EN: 0
; COMPUTE_PGM_RSRC2:USER_SGPR: 2
; COMPUTE_PGM_RSRC2:TRAP_HANDLER: 0
; COMPUTE_PGM_RSRC2:TGID_X_EN: 1
; COMPUTE_PGM_RSRC2:TGID_Y_EN: 1
; COMPUTE_PGM_RSRC2:TGID_Z_EN: 1
; COMPUTE_PGM_RSRC2:TIDIG_COMP_CNT: 0
	.section	.text._ZN2at6native12_GLOBAL__N_112gatherMedianIajLi3EEEvNS_4cuda6detail10TensorInfoIT_T0_EENS5_IlS7_EENS5_IKS6_S7_EES7_S7_S7_b,"axG",@progbits,_ZN2at6native12_GLOBAL__N_112gatherMedianIajLi3EEEvNS_4cuda6detail10TensorInfoIT_T0_EENS5_IlS7_EENS5_IKS6_S7_EES7_S7_S7_b,comdat
	.globl	_ZN2at6native12_GLOBAL__N_112gatherMedianIajLi3EEEvNS_4cuda6detail10TensorInfoIT_T0_EENS5_IlS7_EENS5_IKS6_S7_EES7_S7_S7_b ; -- Begin function _ZN2at6native12_GLOBAL__N_112gatherMedianIajLi3EEEvNS_4cuda6detail10TensorInfoIT_T0_EENS5_IlS7_EENS5_IKS6_S7_EES7_S7_S7_b
	.p2align	8
	.type	_ZN2at6native12_GLOBAL__N_112gatherMedianIajLi3EEEvNS_4cuda6detail10TensorInfoIT_T0_EENS5_IlS7_EENS5_IKS6_S7_EES7_S7_S7_b,@function
_ZN2at6native12_GLOBAL__N_112gatherMedianIajLi3EEEvNS_4cuda6detail10TensorInfoIT_T0_EENS5_IlS7_EENS5_IKS6_S7_EES7_S7_S7_b: ; @_ZN2at6native12_GLOBAL__N_112gatherMedianIajLi3EEEvNS_4cuda6detail10TensorInfoIT_T0_EENS5_IlS7_EENS5_IKS6_S7_EES7_S7_S7_b
; %bb.0:
	s_clause 0x1
	s_load_b64 s[8:9], s[0:1], 0x298
	s_load_b128 s[36:39], s[0:1], 0x288
	s_lshr_b32 s2, ttmp7, 16
	s_and_b32 s3, ttmp7, 0xffff
	s_wait_kmcnt 0x0
	s_mul_i32 s2, s9, s2
	s_delay_alu instid0(SALU_CYCLE_1) | instskip(NEXT) | instid1(SALU_CYCLE_1)
	s_add_co_i32 s2, s2, s3
	s_mul_i32 s33, s2, s8
	s_delay_alu instid0(SALU_CYCLE_1) | instskip(NEXT) | instid1(SALU_CYCLE_1)
	s_add_co_i32 s33, s33, ttmp9
	s_cmp_ge_u32 s33, s37
	s_cbranch_scc1 .LBB82_250
; %bb.1:
	s_clause 0x2
	s_load_b64 s[48:49], s[0:1], 0xc
	s_load_b64 s[34:35], s[0:1], 0xe4
	;; [unrolled: 1-line block ×3, first 2 shown]
	s_mov_b32 s13, 0
	s_wait_kmcnt 0x0
	s_cvt_f32_u32 s5, s35
	s_cvt_f32_u32 s2, s49
	s_sub_co_i32 s3, 0, s49
	s_cvt_f32_u32 s4, s48
	s_cvt_f32_u32 s6, s34
	v_rcp_iflag_f32_e32 v1, s2
	s_cvt_f32_u32 s7, s11
	v_rcp_iflag_f32_e32 v2, s4
	v_rcp_iflag_f32_e32 v3, s6
	s_cvt_f32_u32 s9, s10
	v_rcp_iflag_f32_e32 v4, s7
	s_delay_alu instid0(SALU_CYCLE_2) | instskip(SKIP_4) | instid1(SALU_CYCLE_2)
	v_rcp_iflag_f32_e32 v5, s9
	v_readfirstlane_b32 s2, v1
	v_rcp_iflag_f32_e32 v1, s5
	s_mul_f32 s2, s2, 0x4f7ffffe
	s_wait_alu 0xfffe
	s_cvt_u32_f32 s2, s2
	s_delay_alu instid0(TRANS32_DEP_1) | instskip(SKIP_1) | instid1(SALU_CYCLE_1)
	v_readfirstlane_b32 s4, v1
	s_wait_alu 0xfffe
	s_mul_i32 s3, s3, s2
	s_wait_alu 0xfffe
	s_mul_hi_u32 s3, s2, s3
	s_mul_f32 s4, s4, 0x4f7ffffe
	s_wait_alu 0xfffe
	s_add_co_i32 s2, s2, s3
	s_wait_alu 0xfffe
	s_mul_hi_u32 s2, s33, s2
	s_wait_alu 0xfffe
	s_mul_i32 s3, s2, s49
	s_add_co_i32 s5, s2, 1
	s_wait_alu 0xfffe
	s_sub_co_i32 s3, s33, s3
	s_wait_alu 0xfffe
	s_sub_co_i32 s6, s3, s49
	s_cmp_ge_u32 s3, s49
	s_cselect_b32 s2, s5, s2
	s_wait_alu 0xfffe
	s_cselect_b32 s3, s6, s3
	s_add_co_i32 s5, s2, 1
	s_wait_alu 0xfffe
	s_cmp_ge_u32 s3, s49
	s_cvt_u32_f32 s3, s4
	s_cselect_b32 s52, s5, s2
	s_sub_co_i32 s2, 0, s35
	v_readfirstlane_b32 s6, v4
	s_wait_alu 0xfffe
	s_mul_i32 s2, s2, s3
	s_sub_co_i32 s9, 0, s48
	s_wait_alu 0xfffe
	s_mul_hi_u32 s2, s3, s2
	v_readfirstlane_b32 s4, v2
	s_wait_alu 0xfffe
	s_add_co_i32 s3, s3, s2
	s_mul_f32 s6, s6, 0x4f7ffffe
	s_wait_alu 0xfffe
	s_mul_hi_u32 s3, s33, s3
	v_readfirstlane_b32 s5, v3
	s_wait_alu 0xfffe
	s_mul_i32 s7, s3, s35
	s_add_co_i32 s12, s3, 1
	s_wait_alu 0xfffe
	s_sub_co_i32 s7, s33, s7
	v_readfirstlane_b32 s2, v5
	s_wait_alu 0xfffe
	s_sub_co_i32 s14, s7, s35
	s_cmp_ge_u32 s7, s35
	s_mul_f32 s4, s4, 0x4f7ffffe
	s_cselect_b32 s3, s12, s3
	s_cselect_b32 s7, s14, s7
	s_wait_alu 0xfffe
	s_add_co_i32 s12, s3, 1
	s_cmp_ge_u32 s7, s35
	s_cvt_u32_f32 s7, s6
	s_cselect_b32 s50, s12, s3
	s_sub_co_i32 s3, 0, s11
	s_mul_f32 s5, s5, 0x4f7ffffe
	s_wait_alu 0xfffe
	s_mul_i32 s3, s3, s7
	s_mul_f32 s2, s2, 0x4f7ffffe
	s_wait_alu 0xfffe
	s_mul_hi_u32 s3, s7, s3
	s_cvt_u32_f32 s6, s4
	s_wait_alu 0xfffe
	s_add_co_i32 s7, s7, s3
	s_cvt_u32_f32 s3, s5
	s_wait_alu 0xfffe
	s_mul_hi_u32 s4, s33, s7
	s_cvt_u32_f32 s5, s2
	s_wait_alu 0xfffe
	s_mul_i32 s2, s4, s11
	s_sub_co_i32 s14, 0, s34
	s_wait_alu 0xfffe
	s_sub_co_i32 s2, s33, s2
	s_add_co_i32 s7, s4, 1
	s_wait_alu 0xfffe
	s_sub_co_i32 s12, s2, s11
	s_cmp_ge_u32 s2, s11
	s_mul_i32 s9, s9, s6
	s_cselect_b32 s4, s7, s4
	s_cselect_b32 s2, s12, s2
	s_wait_alu 0xfffe
	s_add_co_i32 s12, s4, 1
	s_cmp_ge_u32 s2, s11
	s_mul_i32 s14, s14, s3
	s_cselect_b32 s12, s12, s4
	s_sub_co_i32 s2, 0, s10
	s_mul_hi_u32 s7, s6, s9
	s_wait_alu 0xfffe
	s_mul_i32 s4, s2, s5
	v_cmp_eq_u32_e64 s2, 0, v0
	s_wait_alu 0xfffe
	s_mul_hi_u32 s4, s5, s4
	s_mul_hi_u32 s9, s3, s14
	s_wait_alu 0xfffe
	s_add_co_i32 s14, s5, s4
	s_and_saveexec_b32 s4, s2
; %bb.2:
	v_mov_b32_e32 v1, 0
	s_delay_alu instid0(VALU_DEP_1)
	v_mov_b32_e32 v2, v1
	ds_store_b64 v1, v[1:2] offset:4096
; %bb.3:
	s_wait_alu 0xfffe
	s_or_b32 exec_lo, exec_lo, s4
	v_mov_b32_e32 v1, 0
	s_wait_dscnt 0x0
	s_barrier_signal -1
	s_barrier_wait -1
	global_inv scope:SCOPE_SE
	s_wait_loadcnt 0x0
	s_barrier_signal -1
	s_barrier_wait -1
	global_inv scope:SCOPE_SE
	ds_load_b64 v[1:2], v1 offset:4096
	s_add_co_i32 s16, s6, s7
	s_add_co_i32 s18, s3, s9
	s_bitcmp1_b32 s39, 0
	s_mov_b32 s15, s13
	s_cselect_b32 s3, -1, 0
	s_mov_b32 s24, s36
	s_wait_dscnt 0x0
	v_readfirstlane_b32 s4, v1
	v_readfirstlane_b32 s5, v2
	s_wait_alu 0xf1ff
	s_delay_alu instid0(VALU_DEP_1)
	v_cmp_lt_i64_e64 s6, s[4:5], 1
	s_wait_alu 0xfffe
	s_or_b32 s3, s3, s6
	s_wait_alu 0xfffe
	s_and_not1_b32 vcc_lo, exec_lo, s3
	s_cbranch_vccnz .LBB82_5
; %bb.4:
	s_not_b64 s[4:5], s[4:5]
	s_mov_b32 s37, 0
	s_wait_alu 0xfffe
	s_add_nc_u64 s[4:5], s[4:5], s[36:37]
	s_mov_b32 s7, s37
	s_wait_alu 0xfffe
	s_lshr_b32 s6, s5, 31
	s_wait_alu 0xfffe
	s_add_nc_u64 s[4:5], s[4:5], s[6:7]
	s_wait_alu 0xfffe
	s_lshr_b64 s[4:5], s[4:5], 1
	s_wait_alu 0xfffe
	s_add_co_i32 s24, s4, 1
.LBB82_5:
	s_clause 0x2
	s_load_b96 s[4:6], s[0:1], 0x21c
	s_load_b64 s[56:57], s[0:1], 0x0
	s_load_b64 s[20:21], s[0:1], 0x1b0
	s_mov_b32 s53, s13
	s_mov_b32 s17, s13
	s_mul_u64 s[22:23], s[12:13], s[14:15]
	s_mov_b32 s51, s13
	s_mov_b32 s19, s13
	s_add_nc_u64 s[14:15], s[0:1], 0x298
	s_and_saveexec_b32 s3, s2
	s_cbranch_execz .LBB82_7
; %bb.6:
	v_dual_mov_b32 v1, 0 :: v_dual_mov_b32 v2, s36
	ds_store_b32 v1, v1 offset:4112
	ds_store_b64 v1, v[1:2] offset:4104
.LBB82_7:
	s_wait_alu 0xfffe
	s_or_b32 exec_lo, exec_lo, s3
	s_mul_i32 s7, s23, s10
	s_mul_i32 s3, s12, s11
	s_wait_alu 0xfffe
	s_sub_co_i32 s7, s12, s7
	s_sub_co_i32 s3, s33, s3
	s_add_co_i32 s9, s23, 1
	s_wait_alu 0xfffe
	s_sub_co_i32 s11, s7, s10
	s_cmp_ge_u32 s7, s10
	s_wait_loadcnt_dscnt 0x0
	s_cselect_b32 s7, s11, s7
	s_barrier_signal -1
	s_barrier_wait -1
	global_inv scope:SCOPE_SE
	s_load_b32 s11, s[14:15], 0xc
	s_cselect_b32 s9, s9, s23
	s_wait_kmcnt 0x0
	s_mul_i32 s3, s3, s6
	s_wait_alu 0xfffe
	s_add_co_i32 s13, s9, 1
	s_cmp_ge_u32 s7, s10
	v_mul_lo_u32 v15, s38, v0
	s_cselect_b32 s7, s13, s9
	s_load_b96 s[40:42], s[0:1], 0x144
	s_mul_i32 s9, s7, s10
	s_clause 0x1
	s_load_b64 s[54:55], s[0:1], 0xd8
	s_load_b96 s[44:46], s[0:1], 0x6c
	s_sub_co_i32 s9, s12, s9
	s_mul_i32 s7, s7, s4
	s_wait_alu 0xfffe
	s_mul_i32 s5, s9, s5
	s_mov_b32 s63, 0
	s_wait_alu 0xfffe
	s_add_co_i32 s0, s5, s3
	v_mbcnt_lo_u32_b32 v16, -1, 0
	s_add_co_i32 s62, s0, s7
	v_dual_mov_b32 v34, s24 :: v_dual_add_nc_u32 v1, 2, v0
	s_add_nc_u64 s[58:59], s[20:21], s[62:63]
	s_and_b32 s37, s11, 0xffff
	v_add_co_u32 v9, s4, s58, v15
	s_wait_alu 0xfffe
	s_lshl_b32 s39, s37, 2
	v_add_co_ci_u32_e64 v10, null, s59, 0, s4
	s_wait_alu 0xfffe
	s_cvt_f32_u32 s4, s39
	v_cmp_gt_u32_e32 vcc_lo, 32, v0
	v_cmp_gt_i32_e64 s3, 4, v16
	v_max_u32_e32 v3, s36, v1
	v_lshlrev_b64_e64 v[1:2], v16, -1
	s_add_co_i32 s43, s37, -1
	s_wait_alu 0xfffe
	v_rcp_iflag_f32_e32 v4, s4
	s_bfe_u32 s5, s11, 0xb0005
	s_and_b32 s47, vcc_lo, s3
	s_add_co_i32 s10, s43, s36
	s_cmp_gt_u32 s36, 0xc00
	v_not_b32_e32 v19, v1
	v_lshrrev_b32_e32 v1, 1, v0
	s_mul_u64 s[30:31], s[50:51], s[18:19]
	s_cselect_b32 s51, -1, 0
	s_cmp_gt_u32 s37, 31
	s_mul_u64 s[60:61], s[52:53], s[16:17]
	s_cselect_b32 s60, -1, 0
	s_movk_i32 s4, 0x1f0
	s_cmp_lt_u32 ttmp9, s8
	s_wait_alu 0xfffe
	v_and_or_b32 v20, v1, s4, 0xc00
	s_cselect_b32 s62, 12, 18
	s_add_co_i32 s4, s5, -1
	v_readfirstlane_b32 s6, v4
	s_wait_alu 0xfffe
	s_and_b32 s4, s4, 0xffff
	s_bfe_u32 s70, s37, 0x30005
	s_wait_alu 0xfffe
	s_cmp_gt_u32 s4, 6
	v_xad_u32 v2, v0, -1, v3
	s_cselect_b32 s71, -1, 0
	s_and_b32 s72, s5, 0x7f8
	s_mul_f32 s5, s6, 0x4f7ffffe
	s_cvt_f32_u32 s6, s37
	s_cmp_lg_u32 s70, 0
	v_dual_mov_b32 v18, 0 :: v_dual_lshlrev_b32 v17, 2, v0
	s_wait_alu 0xfffe
	s_cvt_u32_f32 s5, s5
	s_cselect_b32 s73, -1, 0
	s_sub_co_i32 s7, 0, s39
	v_rcp_iflag_f32_e32 v4, s6
	s_wait_alu 0xfffe
	s_mul_i32 s7, s7, s5
	v_add_nc_u32_e32 v3, -4, v2
	s_wait_alu 0xfffe
	s_mul_hi_u32 s6, s5, s7
	v_mad_co_u64_u32 v[13:14], null, s38, v17, s[38:39]
	s_wait_alu 0xfffe
	s_add_co_i32 s64, s5, s6
	v_mov_b32_e32 v14, 0
	s_mul_hi_u32 s5, s36, s64
	v_lshrrev_b32_e32 v5, 2, v3
	s_wait_alu 0xfffe
	s_mul_i32 s5, s5, s39
	v_readfirstlane_b32 s6, v4
	s_wait_alu 0xfffe
	s_sub_co_i32 s5, s36, s5
	v_dual_mov_b32 v32, 0 :: v_dual_add_nc_u32 v1, 1, v5
	s_wait_alu 0xfffe
	s_sub_co_i32 s7, s5, s39
	s_cmp_ge_u32 s5, s39
	s_mul_f32 s6, s6, 0x4f7ffffe
	s_wait_alu 0xfffe
	s_cselect_b32 s7, s7, s5
	v_dual_mov_b32 v31, 0 :: v_dual_and_b32 v4, 3, v1
	s_wait_alu 0xfffe
	s_sub_co_i32 s8, s7, s39
	s_cmp_ge_u32 s7, s39
	s_cvt_u32_f32 s9, s6
	s_wait_alu 0xfffe
	s_cselect_b32 s11, s8, s7
	s_sub_co_i32 s6, 0, s37
	s_sub_co_i32 s78, s36, s11
	s_wait_alu 0xfffe
	s_mul_i32 s7, s6, s9
	v_add_nc_u32_e32 v24, s78, v0
	s_wait_alu 0xfffe
	s_mul_hi_u32 s8, s9, s7
	v_and_b32_e32 v23, 0x7ffffffc, v1
	s_wait_alu 0xfffe
	s_add_co_i32 s66, s9, s8
	v_and_b32_e32 v21, -4, v2
	s_mul_hi_u32 s8, s10, s66
	v_mul_lo_u32 v1, v24, s38
	s_wait_alu 0xfffe
	s_mul_i32 s8, s8, s37
	v_cmp_lt_u32_e64 s4, 31, v2
	s_wait_alu 0xfffe
	s_sub_co_i32 s8, s10, s8
	v_cmp_lt_u32_e64 s5, 11, v3
	s_wait_alu 0xfffe
	s_sub_co_i32 s9, s8, s37
	s_cmp_ge_u32 s8, s37
	v_cmp_ne_u32_e64 s7, v2, v21
	s_wait_alu 0xfffe
	s_cselect_b32 s12, s9, s8
	v_or_b32_e32 v2, 2, v17
	s_sub_co_i32 s13, s12, s37
	s_cmp_ge_u32 s12, s37
	v_or_b32_e32 v3, 3, v17
	s_cselect_b32 s12, s13, s12
	v_add_co_u32 v11, s13, s58, v1
	v_add3_u32 v1, s37, s36, v0
	v_mul_lo_u32 v26, s38, v2
	v_mul_lo_u32 v27, s38, v3
	s_sub_co_i32 s79, s10, s12
	v_cmp_gt_u32_e64 s0, s36, v0
	v_subrev_nc_u32_e32 v1, s11, v1
	v_cmp_eq_u32_e64 s1, 0, v16
	v_cmp_gt_u32_e64 s3, 2, v0
	v_dual_mov_b32 v33, 0 :: v_dual_add_nc_u32 v22, v0, v21
	s_delay_alu instid0(VALU_DEP_4)
	v_mul_lo_u32 v29, s38, v1
	v_cmp_ne_u32_e64 s6, 0, v4
	v_cmp_gt_u32_e64 s8, s78, v17
	v_cmp_gt_u32_e64 s9, s36, v24
	v_add_co_ci_u32_e64 v12, null, s59, 0, s13
	s_wait_alu 0xfffe
	v_cmp_gt_u32_e64 s10, s79, v0
	v_lshlrev_b32_e32 v25, 2, v4
	v_lshlrev_b32_e32 v28, 2, v15
	v_lshl_or_b32 v30, v16, 2, 0xc00
	s_mul_i32 s53, s38, s37
	s_mov_b32 s74, s38
	s_mov_b32 s75, s38
	;; [unrolled: 1-line block ×7, first 2 shown]
	s_lshl_b32 s80, s53, 2
	s_add_nc_u64 s[68:69], s[14:15], s[62:63]
	s_mov_b32 s81, 0
                                        ; implicit-def: $sgpr85
                                        ; implicit-def: $sgpr87
                                        ; implicit-def: $sgpr82
                                        ; implicit-def: $sgpr84
                                        ; implicit-def: $sgpr86
                                        ; implicit-def: $sgpr83
	s_branch .LBB82_11
.LBB82_8:                               ;   in Loop: Header=BB82_11 Depth=1
	s_wait_alu 0xfffe
	s_or_b32 exec_lo, exec_lo, s15
	s_delay_alu instid0(SALU_CYCLE_1)
	s_and_b32 s12, s12, exec_lo
	s_and_not1_b32 s17, s17, exec_lo
	s_and_not1_b32 s16, s16, exec_lo
	s_or_not1_b32 s14, s14, exec_lo
.LBB82_9:                               ;   in Loop: Header=BB82_11 Depth=1
	s_wait_alu 0xfffe
	s_or_b32 exec_lo, exec_lo, s11
	s_delay_alu instid0(SALU_CYCLE_1)
	s_and_not1_b32 s11, s83, exec_lo
	s_and_b32 s12, s12, exec_lo
	s_and_not1_b32 s15, s84, exec_lo
	s_wait_alu 0xfffe
	s_or_b32 s83, s11, s12
	s_and_not1_b32 s11, s86, exec_lo
	s_and_b32 s12, s17, exec_lo
	s_and_b32 s16, s16, exec_lo
	s_wait_alu 0xfffe
	s_or_b32 s86, s11, s12
	s_or_b32 s84, s15, s16
	s_or_not1_b32 s15, s14, exec_lo
.LBB82_10:                              ;   in Loop: Header=BB82_11 Depth=1
	s_wait_alu 0xfffe
	s_or_b32 exec_lo, exec_lo, s13
	s_delay_alu instid0(SALU_CYCLE_1)
	s_and_b32 s11, exec_lo, s15
	v_mov_b32_e32 v34, v2
	s_wait_alu 0xfffe
	s_or_b32 s81, s11, s81
	s_and_not1_b32 s11, s82, exec_lo
	s_and_b32 s12, s83, exec_lo
	s_and_not1_b32 s13, s87, exec_lo
	s_wait_alu 0xfffe
	s_or_b32 s82, s11, s12
	s_and_b32 s11, s86, exec_lo
	s_and_not1_b32 s12, s85, exec_lo
	s_and_b32 s14, s84, exec_lo
	s_wait_alu 0xfffe
	s_or_b32 s87, s13, s11
	s_or_b32 s85, s12, s14
	s_mov_b32 s88, s22
	s_and_not1_b32 exec_lo, exec_lo, s81
	s_cbranch_execz .LBB82_246
.LBB82_11:                              ; =>This Loop Header: Depth=1
                                        ;     Child Loop BB82_16 Depth 2
                                        ;     Child Loop BB82_37 Depth 2
	;; [unrolled: 1-line block ×18, first 2 shown]
	ds_load_b64 v[1:2], v18 offset:4104
	s_wait_dscnt 0x0
	v_readfirstlane_b32 s62, v1
	s_cmp_lg_u32 s62, 0
	s_cbranch_scc1 .LBB82_56
; %bb.12:                               ;   in Loop: Header=BB82_11 Depth=1
	s_and_b32 vcc_lo, exec_lo, s51
	s_wait_alu 0xfffe
	s_cbranch_vccz .LBB82_24
; %bb.13:                               ;   in Loop: Header=BB82_11 Depth=1
	v_cmp_gt_u32_e32 vcc_lo, 0xc01, v2
	s_mov_b32 s13, 0
	s_mov_b32 s11, 0
	s_cbranch_vccz .LBB82_25
; %bb.14:                               ;   in Loop: Header=BB82_11 Depth=1
	global_load_u8 v2, v[9:10], off
	s_load_u16 s14, s[68:69], 0x0
	v_mov_b32_e32 v3, v0
	s_mov_b32 s15, 0
	s_wait_kmcnt 0x0
	v_add_nc_u32_e32 v1, s14, v0
	s_mul_i32 s16, s38, s14
	s_delay_alu instid0(VALU_DEP_1)
	v_mul_lo_u32 v1, s38, v1
	s_branch .LBB82_16
.LBB82_15:                              ;   in Loop: Header=BB82_16 Depth=2
	s_wait_alu 0xfffe
	s_or_b32 exec_lo, exec_lo, s12
	v_dual_mov_b32 v2, v4 :: v_dual_add_nc_u32 v1, s16, v1
	s_and_not1_b32 exec_lo, exec_lo, s15
	s_cbranch_execz .LBB82_31
.LBB82_16:                              ;   Parent Loop BB82_11 Depth=1
                                        ; =>  This Inner Loop Header: Depth=2
	v_dual_mov_b32 v4, 0 :: v_dual_add_nc_u32 v3, s14, v3
	s_wait_dscnt 0x0
	v_mov_b32_e32 v5, 0
	s_mov_b32 s12, exec_lo
	s_delay_alu instid0(VALU_DEP_2)
	v_cmp_le_u32_e32 vcc_lo, s36, v3
	v_cmpx_gt_u32_e64 s36, v3
	s_cbranch_execz .LBB82_18
; %bb.17:                               ;   in Loop: Header=BB82_16 Depth=2
	global_load_u8 v4, v1, s[58:59]
.LBB82_18:                              ;   in Loop: Header=BB82_16 Depth=2
	s_wait_alu 0xfffe
	s_or_b32 exec_lo, exec_lo, s12
	s_wait_loadcnt 0x0
	v_bfe_i32 v6, v2, 0, 8
	s_delay_alu instid0(VALU_DEP_1) | instskip(NEXT) | instid1(VALU_DEP_1)
	v_add_nc_u32_e32 v6, 0x80, v6
	v_and_b32_e32 v6, v6, v32
	s_delay_alu instid0(VALU_DEP_1)
	v_cmp_eq_u32_e64 s11, v6, v14
	s_cmp_lg_u32 s11, 0
	s_cselect_b32 s12, -1, 0
	s_wait_alu 0xfffe
	s_and_b32 s12, s1, s12
	s_wait_alu 0xfffe
	s_and_saveexec_b32 s17, s12
	s_cbranch_execz .LBB82_22
; %bb.19:                               ;   in Loop: Header=BB82_16 Depth=2
	s_mov_b32 s20, exec_lo
	s_bcnt1_i32_b32 s18, s11
	s_wait_alu 0xfffe
	v_mbcnt_lo_u32_b32 v5, s20, 0
	s_mov_b32 s19, exec_lo
                                        ; implicit-def: $vgpr6
	s_delay_alu instid0(VALU_DEP_1)
	v_cmpx_eq_u32_e32 0, v5
; %bb.20:                               ;   in Loop: Header=BB82_16 Depth=2
	s_bcnt1_i32_b32 s12, s20
	s_wait_alu 0xfffe
	s_mul_i32 s12, s18, s12
	s_wait_alu 0xfffe
	v_mov_b32_e32 v6, s12
	ds_add_rtn_u32 v6, v18, v6 offset:4112
; %bb.21:                               ;   in Loop: Header=BB82_16 Depth=2
	s_or_b32 exec_lo, exec_lo, s19
	s_wait_dscnt 0x0
	v_readfirstlane_b32 s12, v6
	s_wait_alu 0xf1ff
	s_delay_alu instid0(VALU_DEP_1)
	v_mad_u32_u24 v5, s18, v5, s12
.LBB82_22:                              ;   in Loop: Header=BB82_16 Depth=2
	s_wait_alu 0xfffe
	s_or_b32 exec_lo, exec_lo, s17
	ds_bpermute_b32 v5, v18, v5
	s_and_b32 s12, exec_lo, vcc_lo
	s_wait_alu 0xfffe
	s_or_b32 s15, s12, s15
	s_and_saveexec_b32 s12, s11
	s_cbranch_execz .LBB82_15
; %bb.23:                               ;   in Loop: Header=BB82_16 Depth=2
	v_and_b32_e32 v6, s11, v19
	s_wait_dscnt 0x0
	s_delay_alu instid0(VALU_DEP_1)
	v_bcnt_u32_b32 v5, v6, v5
	ds_store_b8 v5, v2
	s_branch .LBB82_15
.LBB82_24:                              ;   in Loop: Header=BB82_11 Depth=1
	s_mov_b32 s13, -1
	s_mov_b32 s11, 0
.LBB82_25:                              ;   in Loop: Header=BB82_11 Depth=1
	s_wait_alu 0xfffe
	s_and_b32 vcc_lo, exec_lo, s13
	s_wait_alu 0xfffe
	s_cbranch_vccz .LBB82_54
.LBB82_26:                              ;   in Loop: Header=BB82_11 Depth=1
	s_and_saveexec_b32 s12, s0
	s_cbranch_execz .LBB82_51
; %bb.27:                               ;   in Loop: Header=BB82_11 Depth=1
	global_load_u8 v35, v[9:10], off
	s_load_u16 s14, s[68:69], 0x0
	s_mov_b32 s13, exec_lo
	s_wait_kmcnt 0x0
	v_dual_mov_b32 v2, v0 :: v_dual_add_nc_u32 v1, s14, v0
	s_delay_alu instid0(VALU_DEP_1)
	v_cmpx_gt_u32_e64 s36, v1
	s_cbranch_execz .LBB82_50
; %bb.28:                               ;   in Loop: Header=BB82_11 Depth=1
	s_mov_b32 s11, 0
	s_mul_i32 s15, s38, s14
                                        ; implicit-def: $vgpr2
                                        ; implicit-def: $vgpr5
                                        ; implicit-def: $vgpr3
                                        ; implicit-def: $vgpr4
	s_and_saveexec_b32 s16, s4
	s_wait_alu 0xfffe
	s_xor_b32 s16, exec_lo, s16
	s_cbranch_execnz .LBB82_34
; %bb.29:                               ;   in Loop: Header=BB82_11 Depth=1
	s_wait_alu 0xfffe
	s_and_not1_saveexec_b32 s16, s16
	s_cbranch_execnz .LBB82_45
.LBB82_30:                              ;   in Loop: Header=BB82_11 Depth=1
	s_wait_alu 0xfffe
	s_or_b32 exec_lo, exec_lo, s16
	s_and_saveexec_b32 s15, s11
	s_cbranch_execnz .LBB82_46
	s_branch .LBB82_49
.LBB82_31:                              ;   in Loop: Header=BB82_11 Depth=1
	s_or_b32 exec_lo, exec_lo, s15
	s_wait_dscnt 0x0
	s_barrier_signal -1
	s_barrier_wait -1
	global_inv scope:SCOPE_SE
	s_and_saveexec_b32 s11, s2
	s_cbranch_execz .LBB82_33
; %bb.32:                               ;   in Loop: Header=BB82_11 Depth=1
	ds_load_b32 v1, v18 offset:4112
	s_wait_dscnt 0x0
	ds_store_b32 v18, v1 offset:4104
.LBB82_33:                              ;   in Loop: Header=BB82_11 Depth=1
	s_wait_alu 0xfffe
	s_or_b32 exec_lo, exec_lo, s11
	s_wait_loadcnt_dscnt 0x0
	s_barrier_signal -1
	s_mov_b32 s11, -1
	s_barrier_wait -1
	s_and_b32 vcc_lo, exec_lo, s13
	s_wait_alu 0xfffe
	s_cbranch_vccnz .LBB82_26
	s_branch .LBB82_54
.LBB82_34:                              ;   in Loop: Header=BB82_11 Depth=1
	v_add_nc_u32_e32 v2, s14, v1
	s_cvt_f32_u32 s11, s14
	s_wait_alu 0xfffe
	s_delay_alu instid0(SALU_CYCLE_2) | instskip(NEXT) | instid1(VALU_DEP_1)
	v_rcp_iflag_f32_e32 v3, s11
	v_max_u32_e32 v2, s36, v2
	s_lshl_b32 s11, s14, 1
	s_delay_alu instid0(VALU_DEP_1) | instskip(NEXT) | instid1(TRANS32_DEP_1)
	v_sub_nc_u32_e32 v2, v2, v0
	v_readfirstlane_b32 s17, v3
	s_wait_alu 0xfffe
	s_delay_alu instid0(VALU_DEP_2) | instskip(SKIP_3) | instid1(VALU_DEP_1)
	v_cmp_ne_u32_e32 vcc_lo, s11, v2
	s_mul_f32 s17, s17, 0x4f7ffffe
	s_wait_alu 0xfffd
	v_cndmask_b32_e64 v3, 0, 1, vcc_lo
	v_or_b32_e32 v3, s11, v3
	s_wait_alu 0xfffe
	s_cvt_u32_f32 s11, s17
	s_sub_co_i32 s17, 0, s14
	s_wait_alu 0xfffe
	s_delay_alu instid0(SALU_CYCLE_1)
	s_mul_i32 s17, s17, s11
	v_sub_nc_u32_e32 v2, v2, v3
	s_wait_alu 0xfffe
	s_mul_hi_u32 s17, s11, s17
	s_wait_alu 0xfffe
	s_add_co_i32 s11, s11, s17
	s_not_b32 s17, s15
	s_wait_alu 0xfffe
	v_mul_hi_u32 v3, v2, s11
	s_delay_alu instid0(VALU_DEP_1) | instskip(NEXT) | instid1(VALU_DEP_1)
	v_mul_lo_u32 v4, v3, s14
	v_sub_nc_u32_e32 v2, v2, v4
	v_add_nc_u32_e32 v4, 1, v3
	s_delay_alu instid0(VALU_DEP_2) | instskip(SKIP_2) | instid1(VALU_DEP_1)
	v_subrev_nc_u32_e32 v5, s14, v2
	v_cmp_le_u32_e64 s11, s14, v2
	s_wait_alu 0xf1ff
	v_cndmask_b32_e64 v3, v3, v4, s11
	s_delay_alu instid0(VALU_DEP_3) | instskip(NEXT) | instid1(VALU_DEP_2)
	v_cndmask_b32_e64 v2, v2, v5, s11
	v_add_nc_u32_e32 v4, 1, v3
	s_delay_alu instid0(VALU_DEP_2) | instskip(SKIP_1) | instid1(VALU_DEP_1)
	v_cmp_le_u32_e64 s11, s14, v2
	s_wait_alu 0xf1ff
	v_cndmask_b32_e64 v2, v3, v4, s11
	v_mul_lo_u32 v3, s38, v1
	s_abs_i32 s11, s15
	s_delay_alu instid0(VALU_DEP_2) | instskip(SKIP_1) | instid1(VALU_DEP_1)
	v_add_co_ci_u32_e64 v2, null, 0, v2, vcc_lo
	s_wait_alu 0xfffe
	v_mul_hi_u32 v4, s11, v2
	v_mul_lo_u32 v2, s11, v2
	s_ashr_i32 s11, s17, 31
	s_cmp_eq_u32 s14, 1
	s_wait_alu 0xfffe
	v_xor_b32_e32 v3, s11, v3
	s_cselect_b32 s17, -1, 0
	s_delay_alu instid0(VALU_DEP_3) | instskip(NEXT) | instid1(VALU_DEP_2)
	v_cmp_eq_u32_e32 vcc_lo, 0, v4
	v_cmp_le_u32_e64 s11, v2, v3
	v_mov_b32_e32 v3, v0
                                        ; implicit-def: $vgpr2
	s_wait_alu 0xfffe
	s_and_b32 s17, vcc_lo, s17
	s_wait_alu 0xfffe
	s_and_b32 s18, s17, s11
	s_mov_b32 s17, -1
	s_wait_alu 0xfffe
	s_and_saveexec_b32 s11, s18
	s_cbranch_execz .LBB82_44
; %bb.35:                               ;   in Loop: Header=BB82_11 Depth=1
	v_add_nc_u32_e32 v4, 3, v1
	v_dual_mov_b32 v38, 0 :: v_dual_add_nc_u32 v3, 2, v1
	v_add_nc_u32_e32 v2, 1, v1
	s_wait_loadcnt 0x0
	v_lshlrev_b32_e32 v36, 24, v35
	v_dual_mov_b32 v8, v4 :: v_dual_mov_b32 v5, v1
	s_delay_alu instid0(VALU_DEP_3)
	v_dual_mov_b32 v7, v3 :: v_dual_mov_b32 v6, v2
                                        ; implicit-def: $vgpr35
	s_and_saveexec_b32 s17, s5
	s_cbranch_execz .LBB82_39
; %bb.36:                               ;   in Loop: Header=BB82_11 Depth=1
	v_dual_mov_b32 v37, v23 :: v_dual_mov_b32 v8, v4
	v_dual_mov_b32 v7, v3 :: v_dual_mov_b32 v6, v2
	v_mov_b32_e32 v5, v1
	s_mov_b32 s18, 0
	s_mov_b32 s19, 0
.LBB82_37:                              ;   Parent Loop BB82_11 Depth=1
                                        ; =>  This Inner Loop Header: Depth=2
	s_delay_alu instid0(VALU_DEP_1)
	v_mul_lo_u32 v2, v5, s74
	v_mul_lo_u32 v38, v6, s75
	v_add_nc_u32_e32 v3, 4, v5
	v_mul_lo_u32 v35, v7, s76
	v_add_nc_u32_e32 v39, 4, v6
	;; [unrolled: 2-line block ×3, first 2 shown]
	v_mul_lo_u32 v53, v3, s74
	v_add_co_u32 v2, s20, s58, v2
	v_add_nc_u32_e32 v41, 4, v8
	v_add_nc_u32_e32 v42, 8, v5
	v_mul_lo_u32 v52, v39, s75
	s_wait_alu 0xf1ff
	v_add_co_ci_u32_e64 v3, null, s59, 0, s20
	v_add_co_u32 v38, s20, s58, v38
	v_add_nc_u32_e32 v43, 8, v6
	v_add_nc_u32_e32 v44, 8, v7
	v_mul_lo_u32 v51, v40, s76
	s_wait_alu 0xf1ff
	v_add_co_ci_u32_e64 v39, null, s59, 0, s20
	v_add_co_u32 v40, s20, s58, v35
	v_add_nc_u32_e32 v45, 8, v8
	v_add_nc_u32_e32 v46, 12, v5
	v_mul_lo_u32 v50, v41, s77
	v_mul_lo_u32 v55, v42, s74
	s_wait_alu 0xf1ff
	v_add_co_ci_u32_e64 v41, null, s59, 0, s20
	v_add_co_u32 v42, s20, s58, v4
	v_add_nc_u32_e32 v47, 12, v6
	v_add_nc_u32_e32 v48, 12, v7
	v_mul_lo_u32 v56, v44, s76
	v_mul_lo_u32 v54, v43, s75
	s_wait_alu 0xf1ff
	v_add_co_ci_u32_e64 v43, null, s59, 0, s20
	v_add_co_u32 v44, s20, s58, v53
	v_add_nc_u32_e32 v49, 12, v8
	v_mul_lo_u32 v58, v45, s77
	v_mul_lo_u32 v60, v46, s74
	s_wait_alu 0xf1ff
	v_add_co_ci_u32_e64 v45, null, s59, 0, s20
	v_add_co_u32 v46, s20, s58, v52
	v_mul_lo_u32 v64, v48, s76
	v_mul_lo_u32 v62, v47, s75
	s_wait_alu 0xf1ff
	v_add_co_ci_u32_e64 v47, null, s59, 0, s20
	v_add_co_u32 v48, s20, s58, v51
	v_mul_lo_u32 v66, v49, s77
	s_wait_alu 0xf1ff
	v_add_co_ci_u32_e64 v49, null, s59, 0, s20
	v_add_co_u32 v50, s20, s58, v50
	s_wait_alu 0xf1ff
	v_add_co_ci_u32_e64 v51, null, s59, 0, s20
	v_add_co_u32 v52, s20, s58, v55
	;; [unrolled: 3-line block ×9, first 2 shown]
	s_wait_alu 0xf1ff
	v_add_co_ci_u32_e64 v67, null, s59, 0, s20
	s_clause 0xf
	global_load_u8 v4, v[40:41], off
	global_load_u8 v40, v[42:43], off
	;; [unrolled: 1-line block ×16, first 2 shown]
	v_add_nc_u32_e32 v37, -4, v37
	s_wait_alu 0xfffe
	v_add_nc_u32_e32 v51, s19, v0
	s_add_co_i32 s19, s19, 16
	v_add_nc_u32_e32 v8, 16, v8
	v_add_nc_u32_e32 v7, 16, v7
	v_cmp_eq_u32_e32 vcc_lo, 0, v37
	v_add_nc_u32_e32 v6, 16, v6
	s_wait_alu 0xfffe
	v_dual_mov_b32 v38, s19 :: v_dual_add_nc_u32 v5, 16, v5
	s_or_b32 s18, vcc_lo, s18
	s_wait_loadcnt 0x9
	v_perm_b32 v4, v39, v4, 0xc0c0004
	s_wait_loadcnt 0x8
	v_perm_b32 v2, v36, v2, 0xc0c0007
	v_perm_b32 v36, v40, v41, 0xc0c0004
	;; [unrolled: 1-line block ×3, first 2 shown]
	s_wait_loadcnt 0x7
	v_perm_b32 v3, v43, v3, 0xc0c0004
	s_wait_loadcnt 0x4
	v_perm_b32 v41, v47, v45, 0xc0c0004
	v_lshl_or_b32 v39, v4, 16, v2
	s_wait_loadcnt 0x2
	v_perm_b32 v44, v48, v49, 0xc0c0004
	s_wait_loadcnt 0x1
	v_perm_b32 v43, v50, v48, 0xc0c0004
	v_perm_b32 v42, v46, v50, 0xc0c0004
	s_wait_loadcnt 0x0
	v_perm_b32 v45, v49, v35, 0xc0c0004
	v_lshl_or_b32 v40, v40, 16, v36
	v_lshl_or_b32 v41, v41, 16, v3
	;; [unrolled: 1-line block ×3, first 2 shown]
	s_delay_alu instid0(VALU_DEP_4)
	v_lshl_or_b32 v36, v45, 16, v43
	ds_store_b128 v51, v[39:42]
	s_wait_alu 0xfffe
	s_and_not1_b32 exec_lo, exec_lo, s18
	s_cbranch_execnz .LBB82_37
; %bb.38:                               ;   in Loop: Header=BB82_11 Depth=1
	s_or_b32 exec_lo, exec_lo, s18
.LBB82_39:                              ;   in Loop: Header=BB82_11 Depth=1
	s_wait_alu 0xfffe
	s_or_b32 exec_lo, exec_lo, s17
	s_and_saveexec_b32 s17, s6
	s_cbranch_execz .LBB82_43
; %bb.40:                               ;   in Loop: Header=BB82_11 Depth=1
	v_dual_mov_b32 v3, v25 :: v_dual_add_nc_u32 v2, v0, v38
	s_mov_b32 s18, 0
.LBB82_41:                              ;   Parent Loop BB82_11 Depth=1
                                        ; =>  This Inner Loop Header: Depth=2
	v_mul_lo_u32 v4, v5, s74
	v_mul_lo_u32 v35, v6, s75
	;; [unrolled: 1-line block ×4, first 2 shown]
	v_add_nc_u32_e32 v3, -4, v3
	v_add_nc_u32_e32 v8, 4, v8
	v_add_nc_u32_e32 v6, 4, v6
	;; [unrolled: 1-line block ×3, first 2 shown]
	v_add_co_u32 v37, s19, s58, v4
	s_wait_alu 0xf1ff
	v_add_co_ci_u32_e64 v38, null, s59, 0, s19
	v_add_co_u32 v39, s19, s58, v35
	s_wait_alu 0xf1ff
	v_add_co_ci_u32_e64 v40, null, s59, 0, s19
	;; [unrolled: 3-line block ×4, first 2 shown]
	s_clause 0x3
	global_load_u8 v4, v[39:40], off
	global_load_u8 v39, v[41:42], off
	;; [unrolled: 1-line block ×4, first 2 shown]
	v_cmp_eq_u32_e32 vcc_lo, 0, v3
	s_wait_alu 0xfffe
	s_or_b32 s18, vcc_lo, s18
	s_wait_loadcnt 0x2
	v_perm_b32 v38, v4, v39, 0xc0c0004
	s_wait_loadcnt 0x1
	v_perm_b32 v36, v36, v37, 0xc0c0007
	v_perm_b32 v4, v37, v4, 0xc0c0004
	s_wait_loadcnt 0x0
	v_perm_b32 v37, v39, v35, 0xc0c0004
	s_delay_alu instid0(VALU_DEP_3) | instskip(NEXT) | instid1(VALU_DEP_2)
	v_lshl_or_b32 v36, v38, 16, v36
	v_lshl_or_b32 v4, v37, 16, v4
	v_add_nc_u32_e32 v7, 4, v7
	ds_store_b32 v2, v36
	v_add_nc_u32_e32 v2, 4, v2
	v_mov_b32_e32 v36, v4
	s_wait_alu 0xfffe
	s_and_not1_b32 exec_lo, exec_lo, s18
	s_cbranch_execnz .LBB82_41
; %bb.42:                               ;   in Loop: Header=BB82_11 Depth=1
	s_or_b32 exec_lo, exec_lo, s18
.LBB82_43:                              ;   in Loop: Header=BB82_11 Depth=1
	s_wait_alu 0xfffe
	s_or_b32 exec_lo, exec_lo, s17
	v_add_nc_u32_e32 v1, v1, v21
	s_or_not1_b32 s17, s7, exec_lo
	s_delay_alu instid0(VALU_DEP_1)
	v_dual_mov_b32 v3, v22 :: v_dual_add_nc_u32 v2, -1, v1
.LBB82_44:                              ;   in Loop: Header=BB82_11 Depth=1
	s_wait_alu 0xfffe
	s_or_b32 exec_lo, exec_lo, s11
	s_wait_loadcnt 0x0
	v_dual_mov_b32 v4, s15 :: v_dual_mov_b32 v5, v35
	s_and_b32 s11, s17, exec_lo
	s_and_not1_saveexec_b32 s16, s16
	s_cbranch_execz .LBB82_30
.LBB82_45:                              ;   in Loop: Header=BB82_11 Depth=1
	s_wait_loadcnt 0x0
	s_wait_alu 0xfffe
	v_dual_mov_b32 v4, s15 :: v_dual_mov_b32 v5, v35
	v_mov_b32_e32 v3, v0
	s_or_b32 s11, s11, exec_lo
	s_or_b32 exec_lo, exec_lo, s16
	s_wait_alu 0xfffe
	s_and_saveexec_b32 s15, s11
	s_cbranch_execz .LBB82_49
.LBB82_46:                              ;   in Loop: Header=BB82_11 Depth=1
	v_mul_lo_u32 v2, s38, v1
	s_mov_b32 s16, 0
	s_sub_co_i32 s11, 0, s14
.LBB82_47:                              ;   Parent Loop BB82_11 Depth=1
                                        ; =>  This Inner Loop Header: Depth=2
	s_wait_loadcnt 0x0
	global_load_u8 v35, v2, s[58:59]
	v_mov_b32_e32 v6, v1
	ds_store_b8 v3, v5
	s_wait_loadcnt 0x0
	v_dual_mov_b32 v5, v35 :: v_dual_add_nc_u32 v2, v2, v4
	v_add_nc_u32_e32 v1, s14, v6
	v_mov_b32_e32 v3, v6
	s_delay_alu instid0(VALU_DEP_2)
	v_cmp_le_u32_e32 vcc_lo, s36, v1
	s_wait_alu 0xfffe
	s_or_b32 s16, vcc_lo, s16
	s_wait_alu 0xfffe
	s_and_not1_b32 exec_lo, exec_lo, s16
	s_cbranch_execnz .LBB82_47
; %bb.48:                               ;   in Loop: Header=BB82_11 Depth=1
	s_or_b32 exec_lo, exec_lo, s16
	v_add_nc_u32_e32 v2, s11, v1
.LBB82_49:                              ;   in Loop: Header=BB82_11 Depth=1
	s_wait_alu 0xfffe
	s_or_b32 exec_lo, exec_lo, s15
.LBB82_50:                              ;   in Loop: Header=BB82_11 Depth=1
	s_wait_alu 0xfffe
	s_or_b32 exec_lo, exec_lo, s13
	s_wait_loadcnt 0x0
	ds_store_b8 v2, v35
.LBB82_51:                              ;   in Loop: Header=BB82_11 Depth=1
	s_wait_alu 0xfffe
	s_or_b32 exec_lo, exec_lo, s12
	s_wait_loadcnt_dscnt 0x0
	s_barrier_signal -1
	s_barrier_wait -1
	global_inv scope:SCOPE_SE
	s_and_saveexec_b32 s11, s2
; %bb.52:                               ;   in Loop: Header=BB82_11 Depth=1
	v_mov_b32_e32 v1, s36
	ds_store_b32 v18, v1 offset:4104
; %bb.53:                               ;   in Loop: Header=BB82_11 Depth=1
	s_wait_alu 0xfffe
	s_or_b32 exec_lo, exec_lo, s11
	s_mov_b32 s11, -1
	s_wait_loadcnt_dscnt 0x0
	s_barrier_signal -1
	s_barrier_wait -1
.LBB82_54:                              ;   in Loop: Header=BB82_11 Depth=1
	s_wait_alu 0xfffe
	s_and_b32 vcc_lo, exec_lo, s11
	s_mov_b32 s62, 0
	s_wait_alu 0xfffe
	s_cbranch_vccz .LBB82_56
; %bb.55:                               ;   in Loop: Header=BB82_11 Depth=1
	s_wait_loadcnt 0x0
	global_inv scope:SCOPE_SE
	ds_load_b32 v1, v18 offset:4104
	s_wait_dscnt 0x0
	v_readfirstlane_b32 s62, v1
.LBB82_56:                              ;   in Loop: Header=BB82_11 Depth=1
	s_delay_alu instid0(VALU_DEP_1)
	s_cmp_lt_i32 s62, 1
	s_mov_b32 s11, -1
                                        ; implicit-def: $vgpr4
	s_cbranch_scc1 .LBB82_66
; %bb.57:                               ;   in Loop: Header=BB82_11 Depth=1
	s_wait_alu 0xfffe
	s_and_b32 vcc_lo, exec_lo, s11
	s_wait_alu 0xfffe
	s_cbranch_vccnz .LBB82_77
.LBB82_58:                              ;   in Loop: Header=BB82_11 Depth=1
	v_lshlrev_b32_e32 v5, 7, v31
	s_and_saveexec_b32 s11, s1
.LBB82_59:                              ;   in Loop: Header=BB82_11 Depth=1
	s_delay_alu instid0(VALU_DEP_1)
	v_lshl_add_u32 v6, v5, 2, v20
	ds_store_b128 v6, v[1:4]
.LBB82_60:                              ;   in Loop: Header=BB82_11 Depth=1
	s_wait_alu 0xfffe
	s_or_b32 exec_lo, exec_lo, s11
	s_wait_loadcnt_dscnt 0x0
	s_barrier_signal -1
	s_barrier_wait -1
	global_inv scope:SCOPE_SE
	s_and_saveexec_b32 s11, s47
	s_cbranch_execz .LBB82_90
; %bb.61:                               ;   in Loop: Header=BB82_11 Depth=1
	v_mov_b32_e32 v1, 0
	s_and_not1_b32 vcc_lo, exec_lo, s60
	s_wait_alu 0xfffe
	s_cbranch_vccnz .LBB82_89
; %bb.62:                               ;   in Loop: Header=BB82_11 Depth=1
	s_and_not1_b32 vcc_lo, exec_lo, s71
	s_wait_alu 0xfffe
	s_cbranch_vccnz .LBB82_86
; %bb.63:                               ;   in Loop: Header=BB82_11 Depth=1
	v_lshl_add_u32 v2, v31, 9, v30
	v_mov_b32_e32 v1, 0
	s_mov_b32 s12, 0
.LBB82_64:                              ;   Parent Loop BB82_11 Depth=1
                                        ; =>  This Inner Loop Header: Depth=2
	ds_load_2addr_b32 v[3:4], v2 offset1:4
	ds_load_2addr_b32 v[6:7], v2 offset0:8 offset1:12
	ds_load_2addr_b32 v[35:36], v2 offset0:16 offset1:20
	;; [unrolled: 1-line block ×3, first 2 shown]
	v_add_nc_u32_e32 v2, 0x80, v2
	s_wait_alu 0xfffe
	s_add_co_i32 s12, s12, 8
	s_wait_alu 0xfffe
	s_cmp_eq_u32 s72, s12
	s_wait_dscnt 0x3
	v_add3_u32 v1, v3, v1, v4
	s_wait_dscnt 0x2
	s_delay_alu instid0(VALU_DEP_1) | instskip(SKIP_1) | instid1(VALU_DEP_1)
	v_add3_u32 v1, v6, v1, v7
	s_wait_dscnt 0x1
	v_add3_u32 v1, v35, v1, v36
	s_wait_dscnt 0x0
	s_delay_alu instid0(VALU_DEP_1)
	v_add3_u32 v1, v37, v1, v38
	s_cbranch_scc0 .LBB82_64
; %bb.65:                               ;   in Loop: Header=BB82_11 Depth=1
	s_mov_b32 s12, s72
	s_and_not1_b32 vcc_lo, exec_lo, s73
	s_wait_alu 0xfffe
	s_cbranch_vccz .LBB82_87
	s_branch .LBB82_89
.LBB82_66:                              ;   in Loop: Header=BB82_11 Depth=1
	v_dual_mov_b32 v1, 0 :: v_dual_mov_b32 v2, 0
	v_dual_mov_b32 v3, 0 :: v_dual_mov_b32 v4, 0
	s_and_saveexec_b32 s89, s8
	s_cbranch_execz .LBB82_70
; %bb.67:                               ;   in Loop: Header=BB82_11 Depth=1
	v_mov_b32_e32 v5, v17
	s_mov_b32 s90, 0
	s_mov_b32 s91, 0
	;; [unrolled: 1-line block ×6, first 2 shown]
.LBB82_68:                              ;   Parent Loop BB82_11 Depth=1
                                        ; =>  This Inner Loop Header: Depth=2
	s_wait_alu 0xfffe
	v_add_nc_u32_e32 v1, s91, v28
	v_add_nc_u32_e32 v2, s91, v13
	;; [unrolled: 1-line block ×5, first 2 shown]
	s_clause 0x3
	global_load_i8 v1, v1, s[58:59]
	global_load_i8 v2, v2, s[58:59]
	;; [unrolled: 1-line block ×4, first 2 shown]
	s_add_co_i32 s91, s91, s80
	v_cmp_le_u32_e32 vcc_lo, s78, v5
	s_wait_loadcnt 0x3
	v_add_nc_u32_e32 v1, 0x80, v1
	s_wait_loadcnt 0x2
	v_add_nc_u32_e32 v2, 0x80, v2
	;; [unrolled: 2-line block ×4, first 2 shown]
	v_and_b32_e32 v6, v1, v32
	v_bfe_u32 v1, v1, s88, 2
	v_and_b32_e32 v7, v2, v32
	v_bfe_u32 v2, v2, s88, 2
	v_and_b32_e32 v8, v3, v32
	v_bfe_u32 v3, v3, s88, 2
	v_cmp_eq_u32_e64 s11, v6, v14
	v_cmp_eq_u32_e64 s15, 0, v1
	v_and_b32_e32 v35, v4, v32
	v_bfe_u32 v4, v4, s88, 2
	v_cmp_eq_u32_e64 s12, v7, v14
	v_cmp_eq_u32_e64 s16, 0, v2
	;; [unrolled: 1-line block ×4, first 2 shown]
	s_and_b32 s15, s11, s15
	v_cmp_eq_u32_e64 s14, v35, v14
	v_cmp_eq_u32_e64 s18, 0, v4
	;; [unrolled: 1-line block ×5, first 2 shown]
	s_wait_alu 0xfffe
	v_cndmask_b32_e64 v1, 0, 1, s15
	s_and_b32 s15, s12, s16
	v_cmp_eq_u32_e64 s20, 1, v2
	v_cmp_eq_u32_e64 s24, 2, v2
	v_cmp_eq_u32_e64 s28, 3, v2
	s_wait_alu 0xfffe
	v_cndmask_b32_e64 v2, 0, 1, s15
	s_and_b32 s15, s13, s17
	v_cmp_eq_u32_e64 s21, 1, v3
	v_cmp_eq_u32_e64 s25, 2, v3
	v_cmp_eq_u32_e64 s29, 3, v3
	;; [unrolled: 6-line block ×3, first 2 shown]
	s_wait_alu 0xfffe
	v_cndmask_b32_e64 v4, 0, 1, s15
	s_and_b32 s15, s11, s19
	s_wait_alu 0xfffe
	v_cndmask_b32_e64 v6, 0, 1, s15
	s_and_b32 s15, s12, s20
	;; [unrolled: 3-line block ×4, first 2 shown]
	v_cmp_ne_u32_e64 s16, 0, v7
	s_wait_alu 0xfffe
	v_cndmask_b32_e64 v35, 0, 1, s15
	s_and_b32 s15, s11, s23
	s_and_b32 s11, s11, s27
	s_wait_alu 0xfffe
	v_cndmask_b32_e64 v36, 0, 1, s15
	s_and_b32 s15, s12, s24
	v_cndmask_b32_e64 v40, 0, 1, s11
	s_and_b32 s11, s12, s28
	s_wait_alu 0xfffe
	v_cndmask_b32_e64 v37, 0, 1, s15
	s_and_b32 s15, s13, s25
	v_cndmask_b32_e64 v41, 0, 1, s11
	;; [unrolled: 5-line block ×3, first 2 shown]
	s_and_b32 s11, s14, s30
	s_wait_alu 0xfffe
	v_cndmask_b32_e64 v39, 0, 1, s15
	v_cndmask_b32_e64 v43, 0, 1, s11
	v_cmp_ne_u32_e64 s11, 0, v1
	v_cmp_ne_u32_e64 s15, 0, v6
	;; [unrolled: 1-line block ×11, first 2 shown]
	s_bcnt1_i32_b32 s11, s11
	s_bcnt1_i32_b32 s15, s15
	;; [unrolled: 1-line block ×4, first 2 shown]
	v_cmp_ne_u32_e64 s14, 0, v4
	v_cmp_ne_u32_e64 s18, 0, v35
	;; [unrolled: 1-line block ×4, first 2 shown]
	s_bcnt1_i32_b32 s12, s12
	s_bcnt1_i32_b32 s16, s16
	s_bcnt1_i32_b32 s20, s20
	s_bcnt1_i32_b32 s24, s24
	s_wait_alu 0xfffe
	s_add_co_i32 s11, s11, s95
	s_add_co_i32 s15, s15, s94
	s_add_co_i32 s19, s19, s93
	s_add_co_i32 s23, s23, s92
	s_bcnt1_i32_b32 s13, s13
	s_bcnt1_i32_b32 s17, s17
	s_bcnt1_i32_b32 s21, s21
	s_bcnt1_i32_b32 s25, s25
	s_wait_alu 0xfffe
	s_add_co_i32 s11, s11, s12
	s_add_co_i32 s12, s15, s16
	s_add_co_i32 s15, s19, s20
	s_add_co_i32 s16, s23, s24
	;; [unrolled: 9-line block ×3, first 2 shown]
	s_wait_alu 0xfffe
	s_add_co_i32 s95, s11, s14
	s_add_co_i32 s94, s12, s18
	;; [unrolled: 1-line block ×4, first 2 shown]
	s_wait_alu 0xfffe
	v_dual_mov_b32 v1, s95 :: v_dual_mov_b32 v2, s94
	v_dual_mov_b32 v3, s93 :: v_dual_mov_b32 v4, s92
	s_or_b32 s90, vcc_lo, s90
	s_wait_alu 0xfffe
	s_and_not1_b32 exec_lo, exec_lo, s90
	s_cbranch_execnz .LBB82_68
; %bb.69:                               ;   in Loop: Header=BB82_11 Depth=1
	s_or_b32 exec_lo, exec_lo, s90
.LBB82_70:                              ;   in Loop: Header=BB82_11 Depth=1
	s_wait_alu 0xfffe
	s_or_b32 exec_lo, exec_lo, s89
	s_and_saveexec_b32 s15, s9
	s_cbranch_execz .LBB82_76
; %bb.71:                               ;   in Loop: Header=BB82_11 Depth=1
	global_load_u8 v8, v[11:12], off
	v_dual_mov_b32 v5, v29 :: v_dual_mov_b32 v6, v24
	s_mov_b32 s16, 0
	s_branch .LBB82_73
.LBB82_72:                              ;   in Loop: Header=BB82_73 Depth=2
	s_wait_alu 0xfffe
	s_or_b32 exec_lo, exec_lo, s12
	s_wait_loadcnt 0x0
	v_bfe_i32 v8, v8, 0, 8
	s_and_b32 s12, exec_lo, vcc_lo
	v_add_nc_u32_e32 v5, s53, v5
	s_wait_alu 0xfffe
	s_or_b32 s16, s12, s16
	v_add_nc_u32_e32 v8, 0x80, v8
	s_delay_alu instid0(VALU_DEP_1) | instskip(SKIP_1) | instid1(VALU_DEP_2)
	v_and_b32_e32 v35, v8, v32
	v_bfe_u32 v8, v8, s88, 2
	v_cmp_eq_u32_e32 vcc_lo, v35, v14
	s_delay_alu instid0(VALU_DEP_2)
	v_cmp_eq_u32_e64 s11, 0, v8
	v_cmp_eq_u32_e64 s12, 1, v8
	;; [unrolled: 1-line block ×4, first 2 shown]
	s_and_b32 s11, vcc_lo, s11
	s_wait_alu 0xfffe
	v_cndmask_b32_e64 v8, 0, 1, s11
	s_and_b32 s11, vcc_lo, s12
	s_wait_alu 0xfffe
	v_cndmask_b32_e64 v35, 0, 1, s11
	;; [unrolled: 3-line block ×3, first 2 shown]
	s_and_b32 s11, vcc_lo, s14
	v_cmp_ne_u32_e32 vcc_lo, 0, v8
	s_wait_alu 0xfffe
	v_cndmask_b32_e64 v37, 0, 1, s11
	v_cmp_ne_u32_e64 s11, 0, v35
	v_cmp_ne_u32_e64 s12, 0, v36
	v_mov_b32_e32 v8, v7
	s_bcnt1_i32_b32 s14, vcc_lo
	v_cmp_ne_u32_e64 s13, 0, v37
	s_bcnt1_i32_b32 s11, s11
	s_bcnt1_i32_b32 s12, s12
	s_wait_alu 0xfffe
	v_add_nc_u32_e32 v1, s14, v1
	v_add_nc_u32_e32 v2, s11, v2
	s_bcnt1_i32_b32 s13, s13
	v_add_nc_u32_e32 v3, s12, v3
	s_wait_alu 0xfffe
	v_add_nc_u32_e32 v4, s13, v4
	s_and_not1_b32 exec_lo, exec_lo, s16
	s_cbranch_execz .LBB82_75
.LBB82_73:                              ;   Parent Loop BB82_11 Depth=1
                                        ; =>  This Inner Loop Header: Depth=2
	s_delay_alu instid0(VALU_DEP_1) | instskip(SKIP_1) | instid1(VALU_DEP_1)
	v_dual_mov_b32 v7, 0 :: v_dual_add_nc_u32 v6, s37, v6
	s_mov_b32 s12, exec_lo
	v_cmp_le_u32_e32 vcc_lo, s36, v6
	v_cmpx_gt_u32_e64 s36, v6
	s_cbranch_execz .LBB82_72
; %bb.74:                               ;   in Loop: Header=BB82_73 Depth=2
	global_load_u8 v7, v5, s[58:59]
	s_branch .LBB82_72
.LBB82_75:                              ;   in Loop: Header=BB82_11 Depth=1
	s_or_b32 exec_lo, exec_lo, s16
.LBB82_76:                              ;   in Loop: Header=BB82_11 Depth=1
	s_wait_alu 0xfffe
	s_or_b32 exec_lo, exec_lo, s15
	s_branch .LBB82_58
.LBB82_77:                              ;   in Loop: Header=BB82_11 Depth=1
	s_mul_u64 s[12:13], s[62:63], s[64:65]
	v_dual_mov_b32 v1, 0 :: v_dual_mov_b32 v2, 0
	s_wait_alu 0xfffe
	s_mul_i32 s11, s13, s39
	v_dual_mov_b32 v3, 0 :: v_dual_mov_b32 v4, 0
	s_wait_alu 0xfffe
	s_sub_co_i32 s11, s62, s11
	s_mov_b32 s90, exec_lo
	s_wait_alu 0xfffe
	s_sub_co_i32 s12, s11, s39
	s_cmp_ge_u32 s11, s39
	s_wait_alu 0xfffe
	s_cselect_b32 s11, s12, s11
	s_wait_alu 0xfffe
	s_sub_co_i32 s12, s11, s39
	s_cmp_ge_u32 s11, s39
	s_wait_alu 0xfffe
	s_cselect_b32 s11, s12, s11
	s_wait_alu 0xfffe
	s_sub_co_i32 s89, s62, s11
	s_wait_alu 0xfffe
	v_cmpx_gt_u32_e64 s89, v17
	s_cbranch_execz .LBB82_81
; %bb.78:                               ;   in Loop: Header=BB82_11 Depth=1
	v_mov_b32_e32 v5, v17
	s_mov_b32 s91, 0
	s_mov_b32 s92, 0
	s_mov_b32 s93, 0
	s_mov_b32 s94, 0
	s_mov_b32 s95, 0
.LBB82_79:                              ;   Parent Loop BB82_11 Depth=1
                                        ; =>  This Inner Loop Header: Depth=2
	ds_load_b32 v1, v5
	s_wait_dscnt 0x0
	v_bfe_i32 v2, v1, 0, 8
	v_bfe_i32 v3, v1, 8, 8
	;; [unrolled: 1-line block ×3, first 2 shown]
	v_ashrrev_i32_e32 v1, 24, v1
	s_delay_alu instid0(VALU_DEP_4) | instskip(NEXT) | instid1(VALU_DEP_4)
	v_add_nc_u32_e32 v2, 0x80, v2
	v_add_nc_u32_e32 v3, 0x80, v3
	s_delay_alu instid0(VALU_DEP_4) | instskip(NEXT) | instid1(VALU_DEP_4)
	v_add_nc_u32_e32 v4, 0x80, v4
	v_add_nc_u32_e32 v1, 0x80, v1
	s_delay_alu instid0(VALU_DEP_4)
	v_and_b32_e32 v6, v2, v32
	v_bfe_u32 v2, v2, s88, 2
	v_and_b32_e32 v7, v3, v32
	v_bfe_u32 v3, v3, s88, 2
	;; [unrolled: 2-line block ×3, first 2 shown]
	v_cmp_eq_u32_e64 s11, v6, v14
	v_cmp_eq_u32_e64 s15, 0, v2
	v_and_b32_e32 v35, v1, v32
	v_bfe_u32 v1, v1, s88, 2
	v_cmp_eq_u32_e64 s12, v7, v14
	v_cmp_eq_u32_e64 s16, 0, v3
	;; [unrolled: 1-line block ×4, first 2 shown]
	s_and_b32 s15, s11, s15
	v_cmp_eq_u32_e64 s14, v35, v14
	v_cmp_eq_u32_e64 s18, 0, v1
	;; [unrolled: 1-line block ×5, first 2 shown]
	s_wait_alu 0xfffe
	v_cndmask_b32_e64 v1, 0, 1, s15
	s_and_b32 s15, s12, s16
	v_cmp_eq_u32_e64 s19, 1, v2
	v_cmp_eq_u32_e64 s23, 2, v2
	v_cmp_eq_u32_e64 s27, 3, v2
	s_wait_alu 0xfffe
	v_cndmask_b32_e64 v2, 0, 1, s15
	s_and_b32 s15, s13, s17
	v_cmp_eq_u32_e64 s20, 1, v3
	v_cmp_eq_u32_e64 s24, 2, v3
	v_cmp_eq_u32_e64 s28, 3, v3
	;; [unrolled: 6-line block ×3, first 2 shown]
	s_wait_alu 0xfffe
	v_cndmask_b32_e64 v4, 0, 1, s15
	s_and_b32 s15, s11, s19
	s_wait_alu 0xfffe
	v_cndmask_b32_e64 v6, 0, 1, s15
	s_and_b32 s15, s12, s20
	;; [unrolled: 3-line block ×4, first 2 shown]
	v_cmp_ne_u32_e64 s16, 0, v7
	s_wait_alu 0xfffe
	v_cndmask_b32_e64 v35, 0, 1, s15
	s_and_b32 s15, s11, s23
	s_and_b32 s11, s11, s27
	s_wait_alu 0xfffe
	v_cndmask_b32_e64 v36, 0, 1, s15
	s_and_b32 s15, s12, s24
	v_cndmask_b32_e64 v40, 0, 1, s11
	s_and_b32 s11, s12, s28
	s_wait_alu 0xfffe
	v_cndmask_b32_e64 v37, 0, 1, s15
	s_and_b32 s15, s13, s25
	v_cndmask_b32_e64 v41, 0, 1, s11
	s_and_b32 s11, s13, s29
	s_wait_alu 0xfffe
	v_cndmask_b32_e64 v38, 0, 1, s15
	s_and_b32 s15, s14, s26
	v_cndmask_b32_e64 v42, 0, 1, s11
	s_and_b32 s11, s14, s30
	s_wait_alu 0xfffe
	v_cndmask_b32_e64 v39, 0, 1, s15
	v_cndmask_b32_e64 v43, 0, 1, s11
	v_cmp_ne_u32_e64 s11, 0, v1
	v_cmp_ne_u32_e64 s15, 0, v6
	;; [unrolled: 1-line block ×6, first 2 shown]
	s_bcnt1_i32_b32 s11, s11
	s_bcnt1_i32_b32 s15, s15
	v_cmp_ne_u32_e64 s18, 0, v35
	v_cmp_ne_u32_e64 s20, 0, v37
	;; [unrolled: 1-line block ×3, first 2 shown]
	s_bcnt1_i32_b32 s12, s12
	s_bcnt1_i32_b32 s16, s16
	s_wait_alu 0xfffe
	s_add_co_i32 s11, s11, s95
	s_add_co_i32 s15, s15, s94
	v_cmp_ne_u32_e64 s13, 0, v3
	v_cmp_ne_u32_e64 s21, 0, v38
	;; [unrolled: 1-line block ×3, first 2 shown]
	s_bcnt1_i32_b32 s17, s17
	s_wait_alu 0xfffe
	s_add_co_i32 s11, s11, s12
	s_add_co_i32 s12, s15, s16
	s_bcnt1_i32_b32 s19, s19
	s_bcnt1_i32_b32 s23, s23
	v_cmp_ne_u32_e64 s14, 0, v4
	v_cmp_ne_u32_e64 s22, 0, v39
	;; [unrolled: 1-line block ×3, first 2 shown]
	s_bcnt1_i32_b32 s18, s18
	s_wait_alu 0xfffe
	s_add_co_i32 s12, s12, s17
	s_bcnt1_i32_b32 s20, s20
	s_bcnt1_i32_b32 s24, s24
	s_add_co_i32 s19, s19, s93
	s_add_co_i32 s23, s23, s92
	s_wait_alu 0xfffe
	s_add_co_i32 s94, s12, s18
	s_wait_alu 0xfffe
	v_dual_mov_b32 v2, s94 :: v_dual_add_nc_u32 v5, s39, v5
	s_bcnt1_i32_b32 s13, s13
	s_bcnt1_i32_b32 s21, s21
	s_bcnt1_i32_b32 s25, s25
	s_add_co_i32 s15, s19, s20
	s_add_co_i32 s16, s23, s24
	s_bcnt1_i32_b32 s14, s14
	s_bcnt1_i32_b32 s22, s22
	;; [unrolled: 1-line block ×3, first 2 shown]
	s_wait_alu 0xfffe
	s_add_co_i32 s11, s11, s13
	s_add_co_i32 s13, s15, s21
	;; [unrolled: 1-line block ×3, first 2 shown]
	v_cmp_le_u32_e32 vcc_lo, s89, v5
	s_wait_alu 0xfffe
	s_add_co_i32 s95, s11, s14
	s_add_co_i32 s93, s13, s22
	;; [unrolled: 1-line block ×3, first 2 shown]
	s_wait_alu 0xfffe
	v_mov_b32_e32 v1, s95
	v_dual_mov_b32 v3, s93 :: v_dual_mov_b32 v4, s92
	s_or_b32 s91, vcc_lo, s91
	s_wait_alu 0xfffe
	s_and_not1_b32 exec_lo, exec_lo, s91
	s_cbranch_execnz .LBB82_79
; %bb.80:                               ;   in Loop: Header=BB82_11 Depth=1
	s_or_b32 exec_lo, exec_lo, s91
.LBB82_81:                              ;   in Loop: Header=BB82_11 Depth=1
	s_delay_alu instid0(SALU_CYCLE_1) | instskip(SKIP_2) | instid1(VALU_DEP_1)
	s_or_b32 exec_lo, exec_lo, s90
	v_add_nc_u32_e32 v5, s89, v0
	s_mov_b32 s16, exec_lo
	v_cmpx_gt_u32_e64 s62, v5
	s_cbranch_execz .LBB82_85
; %bb.82:                               ;   in Loop: Header=BB82_11 Depth=1
	s_mov_b32 s17, 0
.LBB82_83:                              ;   Parent Loop BB82_11 Depth=1
                                        ; =>  This Inner Loop Header: Depth=2
	ds_load_i8 v6, v5
	v_add_nc_u32_e32 v5, s37, v5
	s_delay_alu instid0(VALU_DEP_1) | instskip(SKIP_2) | instid1(VALU_DEP_1)
	v_cmp_le_u32_e32 vcc_lo, s62, v5
	s_wait_dscnt 0x0
	v_add_nc_u32_e32 v6, 0x80, v6
	v_and_b32_e32 v7, v6, v32
	v_bfe_u32 v6, v6, s88, 2
	s_delay_alu instid0(VALU_DEP_2) | instskip(NEXT) | instid1(VALU_DEP_2)
	v_cmp_eq_u32_e64 s11, v7, v14
	v_cmp_eq_u32_e64 s12, 0, v6
	;; [unrolled: 1-line block ×5, first 2 shown]
	s_and_b32 s12, s11, s12
	s_wait_alu 0xfffe
	v_cndmask_b32_e64 v6, 0, 1, s12
	s_and_b32 s12, s11, s13
	s_wait_alu 0xfffe
	v_cndmask_b32_e64 v7, 0, 1, s12
	s_and_b32 s12, s11, s14
	s_and_b32 s11, s11, s15
	s_wait_alu 0xfffe
	v_cndmask_b32_e64 v8, 0, 1, s12
	v_cndmask_b32_e64 v35, 0, 1, s11
	v_cmp_ne_u32_e64 s11, 0, v6
	v_cmp_ne_u32_e64 s12, 0, v7
	s_delay_alu instid0(VALU_DEP_4) | instskip(NEXT) | instid1(VALU_DEP_4)
	v_cmp_ne_u32_e64 s13, 0, v8
	v_cmp_ne_u32_e64 s14, 0, v35
	s_bcnt1_i32_b32 s11, s11
	s_bcnt1_i32_b32 s12, s12
	s_wait_alu 0xfffe
	v_add_nc_u32_e32 v1, s11, v1
	s_bcnt1_i32_b32 s13, s13
	s_bcnt1_i32_b32 s14, s14
	v_add_nc_u32_e32 v2, s12, v2
	s_wait_alu 0xfffe
	v_add_nc_u32_e32 v3, s13, v3
	v_add_nc_u32_e32 v4, s14, v4
	s_or_b32 s17, vcc_lo, s17
	s_wait_alu 0xfffe
	s_and_not1_b32 exec_lo, exec_lo, s17
	s_cbranch_execnz .LBB82_83
; %bb.84:                               ;   in Loop: Header=BB82_11 Depth=1
	s_or_b32 exec_lo, exec_lo, s17
.LBB82_85:                              ;   in Loop: Header=BB82_11 Depth=1
	s_wait_alu 0xfffe
	s_or_b32 exec_lo, exec_lo, s16
	v_lshlrev_b32_e32 v5, 7, v31
	s_and_saveexec_b32 s11, s1
	s_cbranch_execnz .LBB82_59
	s_branch .LBB82_60
.LBB82_86:                              ;   in Loop: Header=BB82_11 Depth=1
	v_mov_b32_e32 v1, 0
	s_mov_b32 s12, 0
	s_and_not1_b32 vcc_lo, exec_lo, s73
	s_wait_alu 0xfffe
	s_cbranch_vccnz .LBB82_89
.LBB82_87:                              ;   in Loop: Header=BB82_11 Depth=1
	v_lshlrev_b32_e32 v2, 9, v31
	s_lshl_b32 s12, s12, 4
	s_wait_alu 0xfffe
	s_delay_alu instid0(VALU_DEP_1)
	v_add3_u32 v2, v2, s12, v30
	s_mov_b32 s12, s70
.LBB82_88:                              ;   Parent Loop BB82_11 Depth=1
                                        ; =>  This Inner Loop Header: Depth=2
	ds_load_b32 v3, v2
	v_add_nc_u32_e32 v2, 16, v2
	s_wait_alu 0xfffe
	s_add_co_i32 s12, s12, -1
	s_wait_alu 0xfffe
	s_cmp_lg_u32 s12, 0
	s_wait_dscnt 0x0
	v_add_nc_u32_e32 v1, v3, v1
	s_cbranch_scc1 .LBB82_88
.LBB82_89:                              ;   in Loop: Header=BB82_11 Depth=1
	v_add_lshl_u32 v2, v5, v16, 2
	ds_store_b32 v2, v1 offset:3072
.LBB82_90:                              ;   in Loop: Header=BB82_11 Depth=1
	s_wait_alu 0xfffe
	s_or_b32 exec_lo, exec_lo, s11
	v_lshlrev_b32_e32 v1, 2, v5
	s_wait_loadcnt_dscnt 0x0
	s_barrier_signal -1
	s_barrier_wait -1
	global_inv scope:SCOPE_SE
	ds_load_b128 v[1:4], v1 offset:3072
	s_lshl_b32 s12, 3, s88
	v_cmp_eq_u32_e32 vcc_lo, 1, v34
	s_wait_alu 0xfffe
	s_not_b32 s19, s12
	s_mov_b32 s15, -1
	s_mov_b32 s23, -1
                                        ; implicit-def: $sgpr20
                                        ; implicit-def: $sgpr17
	s_wait_dscnt 0x0
	v_readfirstlane_b32 s14, v1
	v_readfirstlane_b32 s21, v2
	;; [unrolled: 1-line block ×4, first 2 shown]
	s_cmp_eq_u32 s14, 1
	s_cselect_b32 s13, -1, 0
	s_wait_alu 0xfffe
	s_and_b32 s16, s13, vcc_lo
	s_wait_alu 0xfffe
	s_and_saveexec_b32 s13, s16
	s_cbranch_execz .LBB82_116
; %bb.91:                               ;   in Loop: Header=BB82_11 Depth=1
	ds_load_b32 v1, v18 offset:4104
	s_wait_loadcnt_dscnt 0x0
	s_barrier_signal -1
	s_barrier_wait -1
	global_inv scope:SCOPE_SE
	v_readfirstlane_b32 s23, v1
	s_and_saveexec_b32 s17, s3
; %bb.92:                               ;   in Loop: Header=BB82_11 Depth=1
	ds_store_b8 v0, v18 offset:3072
; %bb.93:                               ;   in Loop: Header=BB82_11 Depth=1
	s_wait_alu 0xfffe
	s_or_b32 exec_lo, exec_lo, s17
	v_and_b32_e32 v14, s19, v14
	v_or_b32_e32 v32, s12, v32
	s_mov_b32 s17, -1
	s_mov_b32 s20, 0
	s_cmp_eq_u32 s23, 0
	s_mov_b32 s22, 0
	s_mov_b32 s24, -1
	s_wait_loadcnt_dscnt 0x0
	s_barrier_signal -1
	s_barrier_wait -1
	global_inv scope:SCOPE_SE
                                        ; implicit-def: $vgpr33
	s_cbranch_scc1 .LBB82_104
; %bb.94:                               ;   in Loop: Header=BB82_11 Depth=1
	s_add_co_i32 s62, s23, s43
                                        ; implicit-def: $vgpr33
	s_wait_alu 0xfffe
	s_mul_u64 s[24:25], s[62:63], s[66:67]
	s_wait_alu 0xfffe
	s_mul_i32 s22, s25, s37
	s_mov_b32 s25, exec_lo
	s_wait_alu 0xfffe
	s_sub_co_i32 s22, s62, s22
	s_wait_alu 0xfffe
	s_sub_co_i32 s24, s22, s37
	s_cmp_ge_u32 s22, s37
	s_wait_alu 0xfffe
	s_cselect_b32 s22, s24, s22
	s_wait_alu 0xfffe
	s_sub_co_i32 s24, s22, s37
	s_cmp_ge_u32 s22, s37
	s_wait_alu 0xfffe
	s_cselect_b32 s22, s24, s22
	s_mov_b32 s24, 0
	s_wait_alu 0xfffe
	s_sub_co_i32 s26, s62, s22
	s_mov_b32 s22, 0
	s_wait_alu 0xfffe
	v_cmpx_gt_u32_e64 s26, v0
	s_cbranch_execz .LBB82_103
; %bb.95:                               ;   in Loop: Header=BB82_11 Depth=1
	v_mov_b32_e32 v1, v0
                                        ; implicit-def: $sgpr27
	s_branch .LBB82_98
.LBB82_96:                              ;   in Loop: Header=BB82_98 Depth=2
	s_wait_alu 0xfffe
	s_or_b32 exec_lo, exec_lo, s28
	s_wait_loadcnt_dscnt 0x0
	s_barrier_signal -1
	s_barrier_wait -1
	global_inv scope:SCOPE_SE
	ds_load_u16 v2, v18 offset:3072
	s_mov_b32 s29, -1
	s_mov_b32 s28, -1
	s_wait_loadcnt_dscnt 0x0
	s_barrier_signal -1
	s_barrier_wait -1
	global_inv scope:SCOPE_SE
	v_and_b32_e32 v3, 0xff, v2
	s_delay_alu instid0(VALU_DEP_1)
	v_cmp_ne_u32_e32 vcc_lo, 0, v3
	s_cbranch_vccz .LBB82_101
.LBB82_97:                              ;   in Loop: Header=BB82_98 Depth=2
	s_wait_alu 0xfffe
	s_and_b32 s29, exec_lo, s29
	s_wait_alu 0xfffe
	s_or_b32 s22, s29, s22
	s_and_not1_b32 s27, s27, exec_lo
	s_and_b32 s28, s28, exec_lo
	s_wait_alu 0xfffe
	s_or_b32 s27, s27, s28
	s_and_not1_b32 exec_lo, exec_lo, s22
	s_cbranch_execz .LBB82_102
.LBB82_98:                              ;   Parent Loop BB82_11 Depth=1
                                        ; =>  This Inner Loop Header: Depth=2
	s_mov_b32 s28, exec_lo
	s_delay_alu instid0(VALU_DEP_1)
	v_cmpx_gt_u32_e64 s23, v1
	s_cbranch_execz .LBB82_96
; %bb.99:                               ;   in Loop: Header=BB82_98 Depth=2
	ds_load_u8 v2, v1
	s_wait_dscnt 0x0
	v_bfe_i32 v3, v2, 0, 8
	s_delay_alu instid0(VALU_DEP_1) | instskip(NEXT) | instid1(VALU_DEP_1)
	v_add_nc_u32_e32 v3, 0x80, v3
	v_and_b32_e32 v3, v3, v32
	s_delay_alu instid0(VALU_DEP_1)
	v_cmp_eq_u32_e32 vcc_lo, v3, v14
	s_and_b32 exec_lo, exec_lo, vcc_lo
	s_cbranch_execz .LBB82_96
; %bb.100:                              ;   in Loop: Header=BB82_98 Depth=2
	v_lshlrev_b16 v2, 8, v2
	s_delay_alu instid0(VALU_DEP_1)
	v_or_b32_e32 v2, 1, v2
	ds_store_b16 v18, v2 offset:3072
	s_branch .LBB82_96
.LBB82_101:                             ;   in Loop: Header=BB82_98 Depth=2
	v_add_nc_u32_e32 v1, s37, v1
	s_mov_b32 s28, 0
	s_delay_alu instid0(VALU_DEP_1)
	v_cmp_le_u32_e32 vcc_lo, s26, v1
	s_or_not1_b32 s29, vcc_lo, exec_lo
	s_branch .LBB82_97
.LBB82_102:                             ;   in Loop: Header=BB82_11 Depth=1
	s_or_b32 exec_lo, exec_lo, s22
	v_and_b32_e32 v1, 0xffff, v2
	s_wait_alu 0xfffe
	s_and_b32 s22, s27, exec_lo
	s_delay_alu instid0(VALU_DEP_1)
	v_lshrrev_b32_e32 v33, 8, v1
.LBB82_103:                             ;   in Loop: Header=BB82_11 Depth=1
	s_or_b32 exec_lo, exec_lo, s25
.LBB82_104:                             ;   in Loop: Header=BB82_11 Depth=1
	s_wait_alu 0xfffe
	s_and_b32 vcc_lo, exec_lo, s24
	s_wait_alu 0xfffe
	s_cbranch_vccz .LBB82_115
; %bb.105:                              ;   in Loop: Header=BB82_11 Depth=1
                                        ; implicit-def: $vgpr33
	s_and_saveexec_b32 s17, s10
	s_cbranch_execz .LBB82_114
; %bb.106:                              ;   in Loop: Header=BB82_11 Depth=1
	v_dual_mov_b32 v1, v15 :: v_dual_mov_b32 v2, v0
	s_mov_b32 s23, 0
                                        ; implicit-def: $sgpr20
	s_branch .LBB82_109
.LBB82_107:                             ;   in Loop: Header=BB82_109 Depth=2
	s_wait_alu 0xfffe
	s_or_b32 exec_lo, exec_lo, s24
	s_wait_loadcnt_dscnt 0x0
	s_barrier_signal -1
	s_barrier_wait -1
	global_inv scope:SCOPE_SE
	ds_load_u16 v3, v18 offset:3072
	s_mov_b32 s24, -1
	s_mov_b32 s25, -1
	s_wait_loadcnt_dscnt 0x0
	s_barrier_signal -1
	s_barrier_wait -1
	global_inv scope:SCOPE_SE
	v_and_b32_e32 v4, 0xff, v3
	s_delay_alu instid0(VALU_DEP_1)
	v_cmp_ne_u32_e32 vcc_lo, 0, v4
	s_cbranch_vccz .LBB82_112
.LBB82_108:                             ;   in Loop: Header=BB82_109 Depth=2
	s_wait_alu 0xfffe
	s_and_b32 s24, exec_lo, s24
	s_wait_alu 0xfffe
	s_or_b32 s23, s24, s23
	s_and_not1_b32 s20, s20, exec_lo
	s_and_b32 s24, s25, exec_lo
	s_wait_alu 0xfffe
	s_or_b32 s20, s20, s24
	s_and_not1_b32 exec_lo, exec_lo, s23
	s_cbranch_execz .LBB82_113
.LBB82_109:                             ;   Parent Loop BB82_11 Depth=1
                                        ; =>  This Inner Loop Header: Depth=2
	s_mov_b32 s24, exec_lo
	s_delay_alu instid0(VALU_DEP_1)
	v_cmpx_gt_u32_e64 s36, v2
	s_cbranch_execz .LBB82_107
; %bb.110:                              ;   in Loop: Header=BB82_109 Depth=2
	global_load_u8 v3, v1, s[58:59]
	s_wait_loadcnt 0x0
	v_bfe_i32 v4, v3, 0, 8
	s_delay_alu instid0(VALU_DEP_1) | instskip(NEXT) | instid1(VALU_DEP_1)
	v_add_nc_u32_e32 v4, 0x80, v4
	v_and_b32_e32 v4, v4, v32
	s_delay_alu instid0(VALU_DEP_1)
	v_cmp_eq_u32_e32 vcc_lo, v4, v14
	s_and_b32 exec_lo, exec_lo, vcc_lo
	s_cbranch_execz .LBB82_107
; %bb.111:                              ;   in Loop: Header=BB82_109 Depth=2
	v_lshlrev_b16 v3, 8, v3
	s_delay_alu instid0(VALU_DEP_1)
	v_or_b32_e32 v3, 1, v3
	ds_store_b16 v18, v3 offset:3072
	s_branch .LBB82_107
.LBB82_112:                             ;   in Loop: Header=BB82_109 Depth=2
	v_add_nc_u32_e32 v2, s37, v2
	v_add_nc_u32_e32 v1, s53, v1
	s_mov_b32 s25, 0
	s_delay_alu instid0(VALU_DEP_2)
	v_cmp_le_u32_e32 vcc_lo, s79, v2
	s_or_not1_b32 s24, vcc_lo, exec_lo
	s_branch .LBB82_108
.LBB82_113:                             ;   in Loop: Header=BB82_11 Depth=1
	s_or_b32 exec_lo, exec_lo, s23
	v_and_b32_e32 v1, 0xffff, v3
	s_and_not1_b32 s22, s22, exec_lo
	s_wait_alu 0xfffe
	s_and_b32 s20, s20, exec_lo
	s_wait_alu 0xfffe
	s_or_b32 s22, s22, s20
	v_lshrrev_b32_e32 v33, 8, v1
.LBB82_114:                             ;   in Loop: Header=BB82_11 Depth=1
	s_wait_alu 0xfffe
	s_or_b32 exec_lo, exec_lo, s17
	s_mov_b32 s17, 0
	s_mov_b32 s20, -1
.LBB82_115:                             ;   in Loop: Header=BB82_11 Depth=1
	s_or_not1_b32 s23, s22, exec_lo
.LBB82_116:                             ;   in Loop: Header=BB82_11 Depth=1
	s_wait_alu 0xfffe
	s_or_b32 exec_lo, exec_lo, s13
	v_readfirstlane_b32 s22, v0
	s_and_not1_b32 s13, s86, exec_lo
	s_and_b32 s20, s20, exec_lo
	s_and_not1_b32 s24, s84, exec_lo
	s_and_b32 s17, s17, exec_lo
	s_and_not1_b32 s83, s83, exec_lo
	s_wait_alu 0xfffe
	s_or_b32 s86, s13, s20
	s_or_b32 s84, s24, s17
                                        ; implicit-def: $vgpr2
	s_and_saveexec_b32 s13, s23
	s_cbranch_execz .LBB82_10
; %bb.117:                              ;   in Loop: Header=BB82_11 Depth=1
	v_dual_mov_b32 v2, 1 :: v_dual_mov_b32 v1, 1
	s_xor_b32 s16, s16, -1
	s_mov_b32 s22, 0
	s_wait_alu 0xfffe
	s_and_saveexec_b32 s15, s16
	s_cbranch_execz .LBB82_126
; %bb.118:                              ;   in Loop: Header=BB82_11 Depth=1
	s_mov_b32 s16, exec_lo
	v_cmpx_ge_u32_e64 s14, v34
	s_wait_alu 0xfffe
	s_xor_b32 s16, exec_lo, s16
	s_cbranch_execz .LBB82_123
; %bb.119:                              ;   in Loop: Header=BB82_11 Depth=1
	ds_load_b32 v1, v18 offset:4104
	v_and_b32_e32 v14, s19, v14
	v_or_b32_e32 v32, s12, v32
	s_wait_dscnt 0x0
	v_cmp_ne_u32_e32 vcc_lo, 0, v1
	s_cbranch_vccnz .LBB82_123
; %bb.120:                              ;   in Loop: Header=BB82_11 Depth=1
	s_and_saveexec_b32 s17, s2
; %bb.121:                              ;   in Loop: Header=BB82_11 Depth=1
	v_mov_b32_e32 v1, s14
	ds_store_b32 v18, v1 offset:4108
; %bb.122:                              ;   in Loop: Header=BB82_11 Depth=1
	s_wait_alu 0xfffe
	s_or_b32 exec_lo, exec_lo, s17
	s_wait_loadcnt_dscnt 0x0
	s_barrier_signal -1
	s_barrier_wait -1
	global_inv scope:SCOPE_SE
.LBB82_123:                             ;   in Loop: Header=BB82_11 Depth=1
	s_wait_alu 0xfffe
	s_or_saveexec_b32 s16, s16
	v_mov_b32_e32 v1, 8
	s_mov_b32 s17, 0
	s_wait_alu 0xfffe
	s_xor_b32 exec_lo, exec_lo, s16
; %bb.124:                              ;   in Loop: Header=BB82_11 Depth=1
	v_subrev_nc_u32_e32 v34, s14, v34
	v_mov_b32_e32 v1, 0
	s_mov_b32 s17, exec_lo
; %bb.125:                              ;   in Loop: Header=BB82_11 Depth=1
	s_or_b32 exec_lo, exec_lo, s16
	s_delay_alu instid0(VALU_DEP_2)
	v_mov_b32_e32 v2, v34
	s_wait_alu 0xfffe
	s_and_b32 s22, s17, exec_lo
.LBB82_126:                             ;   in Loop: Header=BB82_11 Depth=1
	s_wait_alu 0xfffe
	s_or_b32 exec_lo, exec_lo, s15
	s_mov_b32 s14, -1
	s_mov_b32 s20, -1
                                        ; implicit-def: $sgpr16
                                        ; implicit-def: $sgpr17
	s_and_saveexec_b32 s15, s22
	s_wait_alu 0xfffe
	s_xor_b32 s15, exec_lo, s15
	s_cbranch_execz .LBB82_243
; %bb.127:                              ;   in Loop: Header=BB82_11 Depth=1
	v_cmp_eq_u32_e32 vcc_lo, 1, v2
	s_cmp_eq_u32 s21, 1
	s_mov_b32 s23, -1
	s_cselect_b32 s16, -1, 0
                                        ; implicit-def: $sgpr17
	s_wait_alu 0xfffe
	s_and_b32 s22, s16, vcc_lo
                                        ; implicit-def: $sgpr16
	s_wait_alu 0xfffe
	s_and_saveexec_b32 s20, s22
	s_cbranch_execz .LBB82_153
; %bb.128:                              ;   in Loop: Header=BB82_11 Depth=1
	ds_load_b32 v3, v18 offset:4104
	s_wait_loadcnt_dscnt 0x0
	s_barrier_signal -1
	s_barrier_wait -1
	global_inv scope:SCOPE_SE
	v_readfirstlane_b32 s24, v3
	s_and_saveexec_b32 s16, s3
; %bb.129:                              ;   in Loop: Header=BB82_11 Depth=1
	ds_store_b8 v0, v18 offset:3072
; %bb.130:                              ;   in Loop: Header=BB82_11 Depth=1
	s_wait_alu 0xfffe
	s_or_b32 exec_lo, exec_lo, s16
	s_lshl_b32 s16, 1, s88
	v_or_b32_e32 v32, s12, v32
	s_wait_alu 0xfffe
	v_and_or_b32 v14, v14, s19, s16
	s_mov_b32 s16, -1
	s_mov_b32 s17, 0
	s_cmp_eq_u32 s24, 0
	s_mov_b32 s23, 0
	s_mov_b32 s25, -1
	s_wait_loadcnt_dscnt 0x0
	s_barrier_signal -1
	s_barrier_wait -1
	global_inv scope:SCOPE_SE
                                        ; implicit-def: $vgpr33
	s_cbranch_scc1 .LBB82_141
; %bb.131:                              ;   in Loop: Header=BB82_11 Depth=1
	s_add_co_i32 s62, s24, s43
                                        ; implicit-def: $vgpr33
	s_wait_alu 0xfffe
	s_mul_u64 s[26:27], s[62:63], s[66:67]
	s_mov_b32 s26, exec_lo
	s_wait_alu 0xfffe
	s_mul_i32 s23, s27, s37
	s_wait_alu 0xfffe
	s_sub_co_i32 s23, s62, s23
	s_wait_alu 0xfffe
	s_sub_co_i32 s25, s23, s37
	s_cmp_ge_u32 s23, s37
	s_wait_alu 0xfffe
	s_cselect_b32 s23, s25, s23
	s_wait_alu 0xfffe
	s_sub_co_i32 s25, s23, s37
	s_cmp_ge_u32 s23, s37
	s_wait_alu 0xfffe
	s_cselect_b32 s23, s25, s23
	s_mov_b32 s25, 0
	s_wait_alu 0xfffe
	s_sub_co_i32 s27, s62, s23
	s_mov_b32 s23, 0
	s_wait_alu 0xfffe
	v_cmpx_gt_u32_e64 s27, v0
	s_cbranch_execz .LBB82_140
; %bb.132:                              ;   in Loop: Header=BB82_11 Depth=1
	v_mov_b32_e32 v3, v0
                                        ; implicit-def: $sgpr28
	s_branch .LBB82_135
.LBB82_133:                             ;   in Loop: Header=BB82_135 Depth=2
	s_wait_alu 0xfffe
	s_or_b32 exec_lo, exec_lo, s29
	s_wait_loadcnt_dscnt 0x0
	s_barrier_signal -1
	s_barrier_wait -1
	global_inv scope:SCOPE_SE
	ds_load_u16 v4, v18 offset:3072
	s_mov_b32 s30, -1
	s_mov_b32 s29, -1
	s_wait_loadcnt_dscnt 0x0
	s_barrier_signal -1
	s_barrier_wait -1
	global_inv scope:SCOPE_SE
	v_and_b32_e32 v5, 0xff, v4
	s_delay_alu instid0(VALU_DEP_1)
	v_cmp_ne_u32_e32 vcc_lo, 0, v5
	s_cbranch_vccz .LBB82_138
.LBB82_134:                             ;   in Loop: Header=BB82_135 Depth=2
	s_wait_alu 0xfffe
	s_and_b32 s30, exec_lo, s30
	s_wait_alu 0xfffe
	s_or_b32 s23, s30, s23
	s_and_not1_b32 s28, s28, exec_lo
	s_and_b32 s29, s29, exec_lo
	s_wait_alu 0xfffe
	s_or_b32 s28, s28, s29
	s_and_not1_b32 exec_lo, exec_lo, s23
	s_cbranch_execz .LBB82_139
.LBB82_135:                             ;   Parent Loop BB82_11 Depth=1
                                        ; =>  This Inner Loop Header: Depth=2
	s_mov_b32 s29, exec_lo
	s_delay_alu instid0(VALU_DEP_1)
	v_cmpx_gt_u32_e64 s24, v3
	s_cbranch_execz .LBB82_133
; %bb.136:                              ;   in Loop: Header=BB82_135 Depth=2
	ds_load_u8 v4, v3
	s_wait_dscnt 0x0
	v_bfe_i32 v5, v4, 0, 8
	s_delay_alu instid0(VALU_DEP_1) | instskip(NEXT) | instid1(VALU_DEP_1)
	v_add_nc_u32_e32 v5, 0x80, v5
	v_and_b32_e32 v5, v5, v32
	s_delay_alu instid0(VALU_DEP_1)
	v_cmp_eq_u32_e32 vcc_lo, v5, v14
	s_and_b32 exec_lo, exec_lo, vcc_lo
	s_cbranch_execz .LBB82_133
; %bb.137:                              ;   in Loop: Header=BB82_135 Depth=2
	v_lshlrev_b16 v4, 8, v4
	s_delay_alu instid0(VALU_DEP_1)
	v_or_b32_e32 v4, 1, v4
	ds_store_b16 v18, v4 offset:3072
	s_branch .LBB82_133
.LBB82_138:                             ;   in Loop: Header=BB82_135 Depth=2
	v_add_nc_u32_e32 v3, s37, v3
	s_mov_b32 s29, 0
	s_delay_alu instid0(VALU_DEP_1)
	v_cmp_le_u32_e32 vcc_lo, s27, v3
	s_or_not1_b32 s30, vcc_lo, exec_lo
	s_branch .LBB82_134
.LBB82_139:                             ;   in Loop: Header=BB82_11 Depth=1
	s_or_b32 exec_lo, exec_lo, s23
	v_and_b32_e32 v3, 0xffff, v4
	s_wait_alu 0xfffe
	s_and_b32 s23, s28, exec_lo
	s_delay_alu instid0(VALU_DEP_1)
	v_lshrrev_b32_e32 v33, 8, v3
.LBB82_140:                             ;   in Loop: Header=BB82_11 Depth=1
	s_or_b32 exec_lo, exec_lo, s26
.LBB82_141:                             ;   in Loop: Header=BB82_11 Depth=1
	s_wait_alu 0xfffe
	s_and_b32 vcc_lo, exec_lo, s25
	s_wait_alu 0xfffe
	s_cbranch_vccz .LBB82_152
; %bb.142:                              ;   in Loop: Header=BB82_11 Depth=1
                                        ; implicit-def: $vgpr33
	s_and_saveexec_b32 s16, s10
	s_cbranch_execz .LBB82_151
; %bb.143:                              ;   in Loop: Header=BB82_11 Depth=1
	v_dual_mov_b32 v3, v15 :: v_dual_mov_b32 v4, v0
	s_mov_b32 s17, 0
                                        ; implicit-def: $sgpr24
	s_branch .LBB82_146
.LBB82_144:                             ;   in Loop: Header=BB82_146 Depth=2
	s_wait_alu 0xfffe
	s_or_b32 exec_lo, exec_lo, s25
	s_wait_loadcnt_dscnt 0x0
	s_barrier_signal -1
	s_barrier_wait -1
	global_inv scope:SCOPE_SE
	ds_load_u16 v5, v18 offset:3072
	s_mov_b32 s25, -1
	s_mov_b32 s26, -1
	s_wait_loadcnt_dscnt 0x0
	s_barrier_signal -1
	s_barrier_wait -1
	global_inv scope:SCOPE_SE
	v_and_b32_e32 v6, 0xff, v5
	s_delay_alu instid0(VALU_DEP_1)
	v_cmp_eq_u32_e32 vcc_lo, 0, v6
	s_cbranch_vccnz .LBB82_149
.LBB82_145:                             ;   in Loop: Header=BB82_146 Depth=2
	s_wait_alu 0xfffe
	s_and_b32 s25, exec_lo, s25
	s_wait_alu 0xfffe
	s_or_b32 s17, s25, s17
	s_and_not1_b32 s24, s24, exec_lo
	s_and_b32 s25, s26, exec_lo
	s_wait_alu 0xfffe
	s_or_b32 s24, s24, s25
	s_and_not1_b32 exec_lo, exec_lo, s17
	s_cbranch_execz .LBB82_150
.LBB82_146:                             ;   Parent Loop BB82_11 Depth=1
                                        ; =>  This Inner Loop Header: Depth=2
	s_mov_b32 s25, exec_lo
	s_delay_alu instid0(VALU_DEP_1)
	v_cmpx_gt_u32_e64 s36, v4
	s_cbranch_execz .LBB82_144
; %bb.147:                              ;   in Loop: Header=BB82_146 Depth=2
	global_load_u8 v5, v3, s[58:59]
	s_wait_loadcnt 0x0
	v_bfe_i32 v6, v5, 0, 8
	s_delay_alu instid0(VALU_DEP_1) | instskip(NEXT) | instid1(VALU_DEP_1)
	v_add_nc_u32_e32 v6, 0x80, v6
	v_and_b32_e32 v6, v6, v32
	s_delay_alu instid0(VALU_DEP_1)
	v_cmp_eq_u32_e32 vcc_lo, v6, v14
	s_and_b32 exec_lo, exec_lo, vcc_lo
	s_cbranch_execz .LBB82_144
; %bb.148:                              ;   in Loop: Header=BB82_146 Depth=2
	v_lshlrev_b16 v5, 8, v5
	s_delay_alu instid0(VALU_DEP_1)
	v_or_b32_e32 v5, 1, v5
	ds_store_b16 v18, v5 offset:3072
	s_branch .LBB82_144
.LBB82_149:                             ;   in Loop: Header=BB82_146 Depth=2
	v_add_nc_u32_e32 v4, s37, v4
	v_add_nc_u32_e32 v3, s53, v3
	s_mov_b32 s26, 0
	s_delay_alu instid0(VALU_DEP_2)
	v_cmp_le_u32_e32 vcc_lo, s79, v4
	s_or_not1_b32 s25, vcc_lo, exec_lo
	s_branch .LBB82_145
.LBB82_150:                             ;   in Loop: Header=BB82_11 Depth=1
	s_or_b32 exec_lo, exec_lo, s17
	v_and_b32_e32 v3, 0xffff, v5
	s_and_not1_b32 s17, s23, exec_lo
	s_wait_alu 0xfffe
	s_and_b32 s23, s24, exec_lo
	s_wait_alu 0xfffe
	s_or_b32 s23, s17, s23
	v_lshrrev_b32_e32 v33, 8, v3
.LBB82_151:                             ;   in Loop: Header=BB82_11 Depth=1
	s_wait_alu 0xfffe
	s_or_b32 exec_lo, exec_lo, s16
	s_mov_b32 s16, 0
	s_mov_b32 s17, -1
.LBB82_152:                             ;   in Loop: Header=BB82_11 Depth=1
	s_or_not1_b32 s23, s23, exec_lo
.LBB82_153:                             ;   in Loop: Header=BB82_11 Depth=1
	s_wait_alu 0xfffe
	s_or_b32 exec_lo, exec_lo, s20
	s_mov_b32 s24, 0
	s_and_saveexec_b32 s20, s23
	s_cbranch_execz .LBB82_242
; %bb.154:                              ;   in Loop: Header=BB82_11 Depth=1
	v_mov_b32_e32 v3, 1
	v_mov_b32_e32 v1, 1
	s_xor_b32 s23, s22, -1
	s_mov_b32 s25, 0
	s_wait_alu 0xfffe
	s_and_saveexec_b32 s22, s23
	s_cbranch_execz .LBB82_163
; %bb.155:                              ;   in Loop: Header=BB82_11 Depth=1
	s_mov_b32 s23, exec_lo
	v_cmpx_ge_u32_e64 s21, v2
	s_wait_alu 0xfffe
	s_xor_b32 s23, exec_lo, s23
	s_cbranch_execz .LBB82_160
; %bb.156:                              ;   in Loop: Header=BB82_11 Depth=1
	ds_load_b32 v1, v18 offset:4104
	s_lshl_b32 s24, 1, s88
	v_or_b32_e32 v32, s12, v32
	s_wait_alu 0xfffe
	v_and_or_b32 v14, v14, s19, s24
	s_wait_dscnt 0x0
	v_cmp_ne_u32_e32 vcc_lo, 0, v1
	s_cbranch_vccnz .LBB82_160
; %bb.157:                              ;   in Loop: Header=BB82_11 Depth=1
	s_and_saveexec_b32 s24, s2
; %bb.158:                              ;   in Loop: Header=BB82_11 Depth=1
	v_mov_b32_e32 v1, s21
	ds_store_b32 v18, v1 offset:4108
; %bb.159:                              ;   in Loop: Header=BB82_11 Depth=1
	s_wait_alu 0xfffe
	s_or_b32 exec_lo, exec_lo, s24
	s_wait_loadcnt_dscnt 0x0
	s_barrier_signal -1
	s_barrier_wait -1
	global_inv scope:SCOPE_SE
.LBB82_160:                             ;   in Loop: Header=BB82_11 Depth=1
	s_wait_alu 0xfffe
	s_or_saveexec_b32 s23, s23
	v_mov_b32_e32 v1, 8
	s_mov_b32 s24, 0
	s_wait_alu 0xfffe
	s_xor_b32 exec_lo, exec_lo, s23
; %bb.161:                              ;   in Loop: Header=BB82_11 Depth=1
	v_subrev_nc_u32_e32 v2, s21, v2
	v_mov_b32_e32 v1, 0
	s_mov_b32 s24, exec_lo
; %bb.162:                              ;   in Loop: Header=BB82_11 Depth=1
	s_or_b32 exec_lo, exec_lo, s23
	s_delay_alu instid0(VALU_DEP_2)
	v_mov_b32_e32 v3, v2
	s_wait_alu 0xfffe
	s_and_b32 s25, s24, exec_lo
.LBB82_163:                             ;   in Loop: Header=BB82_11 Depth=1
	s_wait_alu 0xfffe
	s_or_b32 exec_lo, exec_lo, s22
	s_mov_b32 s24, -1
                                        ; implicit-def: $sgpr22
                                        ; implicit-def: $sgpr23
	s_and_saveexec_b32 s21, s25
	s_cbranch_execz .LBB82_241
; %bb.164:                              ;   in Loop: Header=BB82_11 Depth=1
	v_cmp_eq_u32_e32 vcc_lo, 1, v3
	s_cmp_eq_u32 s18, 1
	s_mov_b32 s26, -1
	s_cselect_b32 s22, -1, 0
                                        ; implicit-def: $sgpr23
	s_wait_alu 0xfffe
	s_and_b32 s25, s22, vcc_lo
                                        ; implicit-def: $sgpr22
	s_wait_alu 0xfffe
	s_and_saveexec_b32 s24, s25
	s_cbranch_execz .LBB82_190
; %bb.165:                              ;   in Loop: Header=BB82_11 Depth=1
	ds_load_b32 v2, v18 offset:4104
	s_wait_loadcnt_dscnt 0x0
	s_barrier_signal -1
	s_barrier_wait -1
	global_inv scope:SCOPE_SE
	v_readfirstlane_b32 s27, v2
	s_and_saveexec_b32 s22, s3
; %bb.166:                              ;   in Loop: Header=BB82_11 Depth=1
	ds_store_b8 v0, v18 offset:3072
; %bb.167:                              ;   in Loop: Header=BB82_11 Depth=1
	s_wait_alu 0xfffe
	s_or_b32 exec_lo, exec_lo, s22
	s_lshl_b32 s22, 2, s88
	v_or_b32_e32 v32, s12, v32
	s_wait_alu 0xfffe
	v_and_or_b32 v14, v14, s19, s22
	s_mov_b32 s22, -1
	s_mov_b32 s23, 0
	s_cmp_eq_u32 s27, 0
	s_mov_b32 s26, 0
	s_mov_b32 s28, -1
	s_wait_loadcnt_dscnt 0x0
	s_barrier_signal -1
	s_barrier_wait -1
	global_inv scope:SCOPE_SE
                                        ; implicit-def: $vgpr33
	s_cbranch_scc1 .LBB82_178
; %bb.168:                              ;   in Loop: Header=BB82_11 Depth=1
	s_add_co_i32 s62, s27, s43
                                        ; implicit-def: $vgpr33
	s_wait_alu 0xfffe
	s_mul_u64 s[28:29], s[62:63], s[66:67]
	s_wait_alu 0xfffe
	s_mul_i32 s26, s29, s37
	s_mov_b32 s29, exec_lo
	s_wait_alu 0xfffe
	s_sub_co_i32 s26, s62, s26
	s_wait_alu 0xfffe
	s_sub_co_i32 s28, s26, s37
	s_cmp_ge_u32 s26, s37
	s_wait_alu 0xfffe
	s_cselect_b32 s26, s28, s26
	s_wait_alu 0xfffe
	s_sub_co_i32 s28, s26, s37
	s_cmp_ge_u32 s26, s37
	s_wait_alu 0xfffe
	s_cselect_b32 s26, s28, s26
	s_mov_b32 s28, 0
	s_wait_alu 0xfffe
	s_sub_co_i32 s30, s62, s26
	s_mov_b32 s26, 0
	s_wait_alu 0xfffe
	v_cmpx_gt_u32_e64 s30, v0
	s_cbranch_execz .LBB82_177
; %bb.169:                              ;   in Loop: Header=BB82_11 Depth=1
	v_mov_b32_e32 v2, v0
                                        ; implicit-def: $sgpr62
	s_branch .LBB82_172
.LBB82_170:                             ;   in Loop: Header=BB82_172 Depth=2
	s_wait_alu 0xfffe
	s_or_b32 exec_lo, exec_lo, s89
	s_wait_loadcnt_dscnt 0x0
	s_barrier_signal -1
	s_barrier_wait -1
	global_inv scope:SCOPE_SE
	ds_load_u16 v4, v18 offset:3072
	s_mov_b32 s90, -1
	s_mov_b32 s89, -1
	s_wait_loadcnt_dscnt 0x0
	s_barrier_signal -1
	s_barrier_wait -1
	global_inv scope:SCOPE_SE
	v_and_b32_e32 v5, 0xff, v4
	s_delay_alu instid0(VALU_DEP_1)
	v_cmp_ne_u32_e32 vcc_lo, 0, v5
	s_cbranch_vccz .LBB82_175
.LBB82_171:                             ;   in Loop: Header=BB82_172 Depth=2
	s_wait_alu 0xfffe
	s_and_b32 s90, exec_lo, s90
	s_wait_alu 0xfffe
	s_or_b32 s26, s90, s26
	s_and_not1_b32 s62, s62, exec_lo
	s_and_b32 s89, s89, exec_lo
	s_wait_alu 0xfffe
	s_or_b32 s62, s62, s89
	s_and_not1_b32 exec_lo, exec_lo, s26
	s_cbranch_execz .LBB82_176
.LBB82_172:                             ;   Parent Loop BB82_11 Depth=1
                                        ; =>  This Inner Loop Header: Depth=2
	s_mov_b32 s89, exec_lo
	s_delay_alu instid0(VALU_DEP_1)
	v_cmpx_gt_u32_e64 s27, v2
	s_cbranch_execz .LBB82_170
; %bb.173:                              ;   in Loop: Header=BB82_172 Depth=2
	ds_load_u8 v4, v2
	s_wait_dscnt 0x0
	v_bfe_i32 v5, v4, 0, 8
	s_delay_alu instid0(VALU_DEP_1) | instskip(NEXT) | instid1(VALU_DEP_1)
	v_add_nc_u32_e32 v5, 0x80, v5
	v_and_b32_e32 v5, v5, v32
	s_delay_alu instid0(VALU_DEP_1)
	v_cmp_eq_u32_e32 vcc_lo, v5, v14
	s_and_b32 exec_lo, exec_lo, vcc_lo
	s_cbranch_execz .LBB82_170
; %bb.174:                              ;   in Loop: Header=BB82_172 Depth=2
	v_lshlrev_b16 v4, 8, v4
	s_delay_alu instid0(VALU_DEP_1)
	v_or_b32_e32 v4, 1, v4
	ds_store_b16 v18, v4 offset:3072
	s_branch .LBB82_170
.LBB82_175:                             ;   in Loop: Header=BB82_172 Depth=2
	v_add_nc_u32_e32 v2, s37, v2
	s_mov_b32 s89, 0
	s_delay_alu instid0(VALU_DEP_1)
	v_cmp_le_u32_e32 vcc_lo, s30, v2
	s_or_not1_b32 s90, vcc_lo, exec_lo
	s_branch .LBB82_171
.LBB82_176:                             ;   in Loop: Header=BB82_11 Depth=1
	s_or_b32 exec_lo, exec_lo, s26
	v_and_b32_e32 v2, 0xffff, v4
	s_wait_alu 0xfffe
	s_and_b32 s26, s62, exec_lo
	s_delay_alu instid0(VALU_DEP_1)
	v_lshrrev_b32_e32 v33, 8, v2
.LBB82_177:                             ;   in Loop: Header=BB82_11 Depth=1
	s_or_b32 exec_lo, exec_lo, s29
.LBB82_178:                             ;   in Loop: Header=BB82_11 Depth=1
	s_wait_alu 0xfffe
	s_and_b32 vcc_lo, exec_lo, s28
	s_wait_alu 0xfffe
	s_cbranch_vccz .LBB82_189
; %bb.179:                              ;   in Loop: Header=BB82_11 Depth=1
                                        ; implicit-def: $vgpr33
	s_and_saveexec_b32 s22, s10
	s_cbranch_execz .LBB82_188
; %bb.180:                              ;   in Loop: Header=BB82_11 Depth=1
	v_mov_b32_e32 v2, v15
	v_mov_b32_e32 v4, v0
	s_mov_b32 s23, 0
                                        ; implicit-def: $sgpr27
	s_branch .LBB82_183
.LBB82_181:                             ;   in Loop: Header=BB82_183 Depth=2
	s_wait_alu 0xfffe
	s_or_b32 exec_lo, exec_lo, s28
	s_wait_loadcnt_dscnt 0x0
	s_barrier_signal -1
	s_barrier_wait -1
	global_inv scope:SCOPE_SE
	ds_load_u16 v5, v18 offset:3072
	s_mov_b32 s28, -1
	s_mov_b32 s29, -1
	s_wait_loadcnt_dscnt 0x0
	s_barrier_signal -1
	s_barrier_wait -1
	global_inv scope:SCOPE_SE
	v_and_b32_e32 v6, 0xff, v5
	s_delay_alu instid0(VALU_DEP_1)
	v_cmp_eq_u32_e32 vcc_lo, 0, v6
	s_cbranch_vccnz .LBB82_186
.LBB82_182:                             ;   in Loop: Header=BB82_183 Depth=2
	s_wait_alu 0xfffe
	s_and_b32 s28, exec_lo, s28
	s_wait_alu 0xfffe
	s_or_b32 s23, s28, s23
	s_and_not1_b32 s27, s27, exec_lo
	s_and_b32 s28, s29, exec_lo
	s_wait_alu 0xfffe
	s_or_b32 s27, s27, s28
	s_and_not1_b32 exec_lo, exec_lo, s23
	s_cbranch_execz .LBB82_187
.LBB82_183:                             ;   Parent Loop BB82_11 Depth=1
                                        ; =>  This Inner Loop Header: Depth=2
	s_mov_b32 s28, exec_lo
	s_delay_alu instid0(VALU_DEP_1)
	v_cmpx_gt_u32_e64 s36, v4
	s_cbranch_execz .LBB82_181
; %bb.184:                              ;   in Loop: Header=BB82_183 Depth=2
	global_load_u8 v5, v2, s[58:59]
	s_wait_loadcnt 0x0
	v_bfe_i32 v6, v5, 0, 8
	s_delay_alu instid0(VALU_DEP_1) | instskip(NEXT) | instid1(VALU_DEP_1)
	v_add_nc_u32_e32 v6, 0x80, v6
	v_and_b32_e32 v6, v6, v32
	s_delay_alu instid0(VALU_DEP_1)
	v_cmp_eq_u32_e32 vcc_lo, v6, v14
	s_and_b32 exec_lo, exec_lo, vcc_lo
	s_cbranch_execz .LBB82_181
; %bb.185:                              ;   in Loop: Header=BB82_183 Depth=2
	v_lshlrev_b16 v5, 8, v5
	s_delay_alu instid0(VALU_DEP_1)
	v_or_b32_e32 v5, 1, v5
	ds_store_b16 v18, v5 offset:3072
	s_branch .LBB82_181
.LBB82_186:                             ;   in Loop: Header=BB82_183 Depth=2
	v_add_nc_u32_e32 v4, s37, v4
	v_add_nc_u32_e32 v2, s53, v2
	s_mov_b32 s29, 0
	s_delay_alu instid0(VALU_DEP_2)
	v_cmp_le_u32_e32 vcc_lo, s79, v4
	s_or_not1_b32 s28, vcc_lo, exec_lo
	s_branch .LBB82_182
.LBB82_187:                             ;   in Loop: Header=BB82_11 Depth=1
	s_or_b32 exec_lo, exec_lo, s23
	v_and_b32_e32 v2, 0xffff, v5
	s_and_not1_b32 s23, s26, exec_lo
	s_wait_alu 0xfffe
	s_and_b32 s26, s27, exec_lo
	s_wait_alu 0xfffe
	s_or_b32 s26, s23, s26
	v_lshrrev_b32_e32 v33, 8, v2
.LBB82_188:                             ;   in Loop: Header=BB82_11 Depth=1
	s_wait_alu 0xfffe
	s_or_b32 exec_lo, exec_lo, s22
	s_mov_b32 s22, 0
	s_mov_b32 s23, -1
.LBB82_189:                             ;   in Loop: Header=BB82_11 Depth=1
	s_or_not1_b32 s26, s26, exec_lo
.LBB82_190:                             ;   in Loop: Header=BB82_11 Depth=1
	s_wait_alu 0xfffe
	s_or_b32 exec_lo, exec_lo, s24
	s_mov_b32 s27, 0
	s_and_saveexec_b32 s24, s26
	s_cbranch_execz .LBB82_240
; %bb.191:                              ;   in Loop: Header=BB82_11 Depth=1
	v_dual_mov_b32 v2, 1 :: v_dual_mov_b32 v1, 1
	s_xor_b32 s26, s25, -1
	s_wait_alu 0xfffe
	s_and_saveexec_b32 s25, s26
	s_cbranch_execz .LBB82_200
; %bb.192:                              ;   in Loop: Header=BB82_11 Depth=1
	s_mov_b32 s26, exec_lo
	v_cmpx_ge_u32_e64 s18, v3
	s_wait_alu 0xfffe
	s_xor_b32 s26, exec_lo, s26
	s_cbranch_execz .LBB82_197
; %bb.193:                              ;   in Loop: Header=BB82_11 Depth=1
	ds_load_b32 v1, v18 offset:4104
	s_lshl_b32 s27, 2, s88
	v_or_b32_e32 v32, s12, v32
	s_wait_alu 0xfffe
	v_and_or_b32 v14, v14, s19, s27
	s_wait_dscnt 0x0
	v_cmp_ne_u32_e32 vcc_lo, 0, v1
	s_cbranch_vccnz .LBB82_197
; %bb.194:                              ;   in Loop: Header=BB82_11 Depth=1
	s_and_saveexec_b32 s19, s2
; %bb.195:                              ;   in Loop: Header=BB82_11 Depth=1
	v_mov_b32_e32 v1, s18
	ds_store_b32 v18, v1 offset:4108
; %bb.196:                              ;   in Loop: Header=BB82_11 Depth=1
	s_wait_alu 0xfffe
	s_or_b32 exec_lo, exec_lo, s19
	s_wait_loadcnt_dscnt 0x0
	s_barrier_signal -1
	s_barrier_wait -1
	global_inv scope:SCOPE_SE
.LBB82_197:                             ;   in Loop: Header=BB82_11 Depth=1
	s_wait_alu 0xfffe
	s_or_saveexec_b32 s19, s26
	v_mov_b32_e32 v1, 8
	s_mov_b32 s26, 0
	s_wait_alu 0xfffe
	s_xor_b32 exec_lo, exec_lo, s19
; %bb.198:                              ;   in Loop: Header=BB82_11 Depth=1
	v_subrev_nc_u32_e32 v3, s18, v3
	v_mov_b32_e32 v1, 0
	s_mov_b32 s26, exec_lo
; %bb.199:                              ;   in Loop: Header=BB82_11 Depth=1
	s_or_b32 exec_lo, exec_lo, s19
	s_delay_alu instid0(VALU_DEP_2)
	v_mov_b32_e32 v2, v3
	s_wait_alu 0xfffe
	s_and_b32 s27, s26, exec_lo
.LBB82_200:                             ;   in Loop: Header=BB82_11 Depth=1
	s_wait_alu 0xfffe
	s_or_b32 exec_lo, exec_lo, s25
	s_mov_b32 s19, -1
                                        ; implicit-def: $sgpr26
                                        ; implicit-def: $sgpr25
	s_and_saveexec_b32 s18, s27
	s_cbranch_execz .LBB82_239
; %bb.201:                              ;   in Loop: Header=BB82_11 Depth=1
	v_cmp_eq_u32_e32 vcc_lo, 1, v2
	s_cmp_eq_u32 s11, 1
	s_mov_b32 s28, -1
	s_cselect_b32 s19, -1, 0
                                        ; implicit-def: $sgpr26
                                        ; implicit-def: $sgpr25
	s_wait_alu 0xfffe
	s_and_b32 s19, s19, vcc_lo
	s_wait_alu 0xfffe
	s_and_saveexec_b32 s27, s19
	s_cbranch_execz .LBB82_227
; %bb.202:                              ;   in Loop: Header=BB82_11 Depth=1
	ds_load_b32 v3, v18 offset:4104
	s_wait_loadcnt_dscnt 0x0
	s_barrier_signal -1
	s_barrier_wait -1
	global_inv scope:SCOPE_SE
	v_readfirstlane_b32 s29, v3
	s_and_saveexec_b32 s25, s3
; %bb.203:                              ;   in Loop: Header=BB82_11 Depth=1
	ds_store_b8 v0, v18 offset:3072
; %bb.204:                              ;   in Loop: Header=BB82_11 Depth=1
	s_wait_alu 0xfffe
	s_or_b32 exec_lo, exec_lo, s25
	v_or_b32_e32 v14, s12, v14
	v_or_b32_e32 v32, s12, v32
	s_mov_b32 s25, -1
	s_mov_b32 s26, 0
	s_cmp_eq_u32 s29, 0
	s_mov_b32 s28, 0
	s_mov_b32 s30, -1
	s_wait_loadcnt_dscnt 0x0
	s_barrier_signal -1
	s_barrier_wait -1
	global_inv scope:SCOPE_SE
                                        ; implicit-def: $vgpr33
	s_cbranch_scc1 .LBB82_215
; %bb.205:                              ;   in Loop: Header=BB82_11 Depth=1
	s_add_co_i32 s62, s29, s43
                                        ; implicit-def: $vgpr33
	s_wait_alu 0xfffe
	s_mul_u64 s[90:91], s[62:63], s[66:67]
	s_wait_alu 0xfffe
	s_mul_i32 s28, s91, s37
	s_wait_alu 0xfffe
	s_sub_co_i32 s28, s62, s28
	s_wait_alu 0xfffe
	s_sub_co_i32 s30, s28, s37
	s_cmp_ge_u32 s28, s37
	s_wait_alu 0xfffe
	s_cselect_b32 s28, s30, s28
	s_wait_alu 0xfffe
	s_sub_co_i32 s30, s28, s37
	s_cmp_ge_u32 s28, s37
	s_wait_alu 0xfffe
	s_cselect_b32 s28, s30, s28
	s_mov_b32 s30, 0
	s_wait_alu 0xfffe
	s_sub_co_i32 s89, s62, s28
	s_mov_b32 s28, 0
	s_mov_b32 s62, exec_lo
	s_wait_alu 0xfffe
	v_cmpx_gt_u32_e64 s89, v0
	s_cbranch_execz .LBB82_214
; %bb.206:                              ;   in Loop: Header=BB82_11 Depth=1
	v_mov_b32_e32 v3, v0
                                        ; implicit-def: $sgpr90
	s_branch .LBB82_209
.LBB82_207:                             ;   in Loop: Header=BB82_209 Depth=2
	s_wait_alu 0xfffe
	s_or_b32 exec_lo, exec_lo, s91
	s_wait_loadcnt_dscnt 0x0
	s_barrier_signal -1
	s_barrier_wait -1
	global_inv scope:SCOPE_SE
	ds_load_u16 v4, v18 offset:3072
	s_mov_b32 s92, -1
	s_mov_b32 s91, -1
	s_wait_loadcnt_dscnt 0x0
	s_barrier_signal -1
	s_barrier_wait -1
	global_inv scope:SCOPE_SE
	v_and_b32_e32 v5, 0xff, v4
	s_delay_alu instid0(VALU_DEP_1)
	v_cmp_ne_u32_e32 vcc_lo, 0, v5
	s_cbranch_vccz .LBB82_212
.LBB82_208:                             ;   in Loop: Header=BB82_209 Depth=2
	s_wait_alu 0xfffe
	s_and_b32 s92, exec_lo, s92
	s_wait_alu 0xfffe
	s_or_b32 s28, s92, s28
	s_and_not1_b32 s90, s90, exec_lo
	s_and_b32 s91, s91, exec_lo
	s_wait_alu 0xfffe
	s_or_b32 s90, s90, s91
	s_and_not1_b32 exec_lo, exec_lo, s28
	s_cbranch_execz .LBB82_213
.LBB82_209:                             ;   Parent Loop BB82_11 Depth=1
                                        ; =>  This Inner Loop Header: Depth=2
	s_mov_b32 s91, exec_lo
	s_delay_alu instid0(VALU_DEP_1)
	v_cmpx_gt_u32_e64 s29, v3
	s_cbranch_execz .LBB82_207
; %bb.210:                              ;   in Loop: Header=BB82_209 Depth=2
	ds_load_u8 v4, v3
	s_wait_dscnt 0x0
	v_bfe_i32 v5, v4, 0, 8
	s_delay_alu instid0(VALU_DEP_1) | instskip(NEXT) | instid1(VALU_DEP_1)
	v_add_nc_u32_e32 v5, 0x80, v5
	v_and_b32_e32 v5, v5, v32
	s_delay_alu instid0(VALU_DEP_1)
	v_cmp_eq_u32_e32 vcc_lo, v5, v14
	s_and_b32 exec_lo, exec_lo, vcc_lo
	s_cbranch_execz .LBB82_207
; %bb.211:                              ;   in Loop: Header=BB82_209 Depth=2
	v_lshlrev_b16 v4, 8, v4
	s_delay_alu instid0(VALU_DEP_1)
	v_or_b32_e32 v4, 1, v4
	ds_store_b16 v18, v4 offset:3072
	s_branch .LBB82_207
.LBB82_212:                             ;   in Loop: Header=BB82_209 Depth=2
	v_add_nc_u32_e32 v3, s37, v3
	s_mov_b32 s91, 0
	s_delay_alu instid0(VALU_DEP_1)
	v_cmp_le_u32_e32 vcc_lo, s89, v3
	s_or_not1_b32 s92, vcc_lo, exec_lo
	s_branch .LBB82_208
.LBB82_213:                             ;   in Loop: Header=BB82_11 Depth=1
	s_or_b32 exec_lo, exec_lo, s28
	v_and_b32_e32 v3, 0xffff, v4
	s_wait_alu 0xfffe
	s_and_b32 s28, s90, exec_lo
	s_delay_alu instid0(VALU_DEP_1)
	v_lshrrev_b32_e32 v33, 8, v3
.LBB82_214:                             ;   in Loop: Header=BB82_11 Depth=1
	s_or_b32 exec_lo, exec_lo, s62
.LBB82_215:                             ;   in Loop: Header=BB82_11 Depth=1
	s_wait_alu 0xfffe
	s_and_b32 vcc_lo, exec_lo, s30
	s_wait_alu 0xfffe
	s_cbranch_vccz .LBB82_226
; %bb.216:                              ;   in Loop: Header=BB82_11 Depth=1
                                        ; implicit-def: $vgpr33
	s_and_saveexec_b32 s25, s10
	s_cbranch_execz .LBB82_225
; %bb.217:                              ;   in Loop: Header=BB82_11 Depth=1
	v_dual_mov_b32 v3, v15 :: v_dual_mov_b32 v4, v0
	s_mov_b32 s26, 0
                                        ; implicit-def: $sgpr29
	s_branch .LBB82_220
.LBB82_218:                             ;   in Loop: Header=BB82_220 Depth=2
	s_wait_alu 0xfffe
	s_or_b32 exec_lo, exec_lo, s30
	s_wait_loadcnt_dscnt 0x0
	s_barrier_signal -1
	s_barrier_wait -1
	global_inv scope:SCOPE_SE
	ds_load_u16 v5, v18 offset:3072
	s_mov_b32 s30, -1
	s_mov_b32 s62, -1
	s_wait_loadcnt_dscnt 0x0
	s_barrier_signal -1
	s_barrier_wait -1
	global_inv scope:SCOPE_SE
	v_and_b32_e32 v6, 0xff, v5
	s_delay_alu instid0(VALU_DEP_1)
	v_cmp_eq_u32_e32 vcc_lo, 0, v6
	s_cbranch_vccnz .LBB82_223
.LBB82_219:                             ;   in Loop: Header=BB82_220 Depth=2
	s_wait_alu 0xfffe
	s_and_b32 s30, exec_lo, s30
	s_wait_alu 0xfffe
	s_or_b32 s26, s30, s26
	s_and_not1_b32 s29, s29, exec_lo
	s_and_b32 s30, s62, exec_lo
	s_wait_alu 0xfffe
	s_or_b32 s29, s29, s30
	s_and_not1_b32 exec_lo, exec_lo, s26
	s_cbranch_execz .LBB82_224
.LBB82_220:                             ;   Parent Loop BB82_11 Depth=1
                                        ; =>  This Inner Loop Header: Depth=2
	s_mov_b32 s30, exec_lo
	s_delay_alu instid0(VALU_DEP_1)
	v_cmpx_gt_u32_e64 s36, v4
	s_cbranch_execz .LBB82_218
; %bb.221:                              ;   in Loop: Header=BB82_220 Depth=2
	global_load_u8 v5, v3, s[58:59]
	s_wait_loadcnt 0x0
	v_bfe_i32 v6, v5, 0, 8
	s_delay_alu instid0(VALU_DEP_1) | instskip(NEXT) | instid1(VALU_DEP_1)
	v_add_nc_u32_e32 v6, 0x80, v6
	v_and_b32_e32 v6, v6, v32
	s_delay_alu instid0(VALU_DEP_1)
	v_cmp_eq_u32_e32 vcc_lo, v6, v14
	s_and_b32 exec_lo, exec_lo, vcc_lo
	s_cbranch_execz .LBB82_218
; %bb.222:                              ;   in Loop: Header=BB82_220 Depth=2
	v_lshlrev_b16 v5, 8, v5
	s_delay_alu instid0(VALU_DEP_1)
	v_or_b32_e32 v5, 1, v5
	ds_store_b16 v18, v5 offset:3072
	s_branch .LBB82_218
.LBB82_223:                             ;   in Loop: Header=BB82_220 Depth=2
	v_add_nc_u32_e32 v4, s37, v4
	v_add_nc_u32_e32 v3, s53, v3
	s_mov_b32 s62, 0
	s_delay_alu instid0(VALU_DEP_2)
	v_cmp_le_u32_e32 vcc_lo, s79, v4
	s_or_not1_b32 s30, vcc_lo, exec_lo
	s_branch .LBB82_219
.LBB82_224:                             ;   in Loop: Header=BB82_11 Depth=1
	s_or_b32 exec_lo, exec_lo, s26
	v_and_b32_e32 v3, 0xffff, v5
	s_and_not1_b32 s26, s28, exec_lo
	s_wait_alu 0xfffe
	s_and_b32 s28, s29, exec_lo
	s_wait_alu 0xfffe
	s_or_b32 s28, s26, s28
	v_lshrrev_b32_e32 v33, 8, v3
.LBB82_225:                             ;   in Loop: Header=BB82_11 Depth=1
	s_wait_alu 0xfffe
	s_or_b32 exec_lo, exec_lo, s25
	s_mov_b32 s25, 0
	s_mov_b32 s26, -1
.LBB82_226:                             ;   in Loop: Header=BB82_11 Depth=1
	s_or_not1_b32 s28, s28, exec_lo
.LBB82_227:                             ;   in Loop: Header=BB82_11 Depth=1
	s_wait_alu 0xfffe
	s_or_b32 exec_lo, exec_lo, s27
	s_mov_b32 s29, 0
	s_and_saveexec_b32 s27, s28
	s_cbranch_execz .LBB82_238
; %bb.228:                              ;   in Loop: Header=BB82_11 Depth=1
	v_mov_b32_e32 v1, 1
	v_mov_b32_e32 v3, 1
	s_xor_b32 s28, s19, -1
	s_wait_alu 0xfffe
	s_and_saveexec_b32 s19, s28
	s_cbranch_execz .LBB82_237
; %bb.229:                              ;   in Loop: Header=BB82_11 Depth=1
	s_mov_b32 s28, exec_lo
	v_cmpx_ge_u32_e64 s11, v2
	s_wait_alu 0xfffe
	s_xor_b32 s28, exec_lo, s28
	s_cbranch_execz .LBB82_234
; %bb.230:                              ;   in Loop: Header=BB82_11 Depth=1
	ds_load_b32 v1, v18 offset:4104
	v_or_b32_e32 v14, s12, v14
	v_or_b32_e32 v32, s12, v32
	s_wait_dscnt 0x0
	v_cmp_ne_u32_e32 vcc_lo, 0, v1
	s_cbranch_vccnz .LBB82_234
; %bb.231:                              ;   in Loop: Header=BB82_11 Depth=1
	s_and_saveexec_b32 s12, s2
; %bb.232:                              ;   in Loop: Header=BB82_11 Depth=1
	v_mov_b32_e32 v1, s11
	ds_store_b32 v18, v1 offset:4108
; %bb.233:                              ;   in Loop: Header=BB82_11 Depth=1
	s_wait_alu 0xfffe
	s_or_b32 exec_lo, exec_lo, s12
	s_wait_loadcnt_dscnt 0x0
	s_barrier_signal -1
	s_barrier_wait -1
	global_inv scope:SCOPE_SE
.LBB82_234:                             ;   in Loop: Header=BB82_11 Depth=1
	s_wait_alu 0xfffe
	s_and_not1_saveexec_b32 s12, s28
; %bb.235:                              ;   in Loop: Header=BB82_11 Depth=1
	v_subrev_nc_u32_e32 v2, s11, v2
; %bb.236:                              ;   in Loop: Header=BB82_11 Depth=1
	s_wait_alu 0xfffe
	s_or_b32 exec_lo, exec_lo, s12
	v_mov_b32_e32 v1, 8
	s_delay_alu instid0(VALU_DEP_2)
	v_mov_b32_e32 v3, v2
.LBB82_237:                             ;   in Loop: Header=BB82_11 Depth=1
	s_wait_alu 0xfffe
	s_or_b32 exec_lo, exec_lo, s19
	s_delay_alu instid0(VALU_DEP_1)
	v_mov_b32_e32 v2, v3
	s_mov_b32 s29, exec_lo
.LBB82_238:                             ;   in Loop: Header=BB82_11 Depth=1
	s_wait_alu 0xfffe
	s_or_b32 exec_lo, exec_lo, s27
	s_delay_alu instid0(SALU_CYCLE_1)
	s_or_not1_b32 s19, s29, exec_lo
.LBB82_239:                             ;   in Loop: Header=BB82_11 Depth=1
	s_wait_alu 0xfffe
	s_or_b32 exec_lo, exec_lo, s18
	v_mov_b32_e32 v3, v2
	s_and_not1_b32 s11, s23, exec_lo
	s_and_b32 s12, s26, exec_lo
	s_and_not1_b32 s18, s22, exec_lo
	s_and_b32 s22, s25, exec_lo
	s_wait_alu 0xfffe
	s_or_b32 s23, s11, s12
	s_or_b32 s22, s18, s22
	s_and_b32 s27, s19, exec_lo
.LBB82_240:                             ;   in Loop: Header=BB82_11 Depth=1
	s_wait_alu 0xfffe
	s_or_b32 exec_lo, exec_lo, s24
	s_delay_alu instid0(SALU_CYCLE_1)
	s_or_not1_b32 s24, s27, exec_lo
.LBB82_241:                             ;   in Loop: Header=BB82_11 Depth=1
	s_wait_alu 0xfffe
	s_or_b32 exec_lo, exec_lo, s21
	v_mov_b32_e32 v2, v3
	s_and_not1_b32 s11, s17, exec_lo
	s_and_b32 s12, s23, exec_lo
	s_and_not1_b32 s16, s16, exec_lo
	s_and_b32 s18, s22, exec_lo
	s_wait_alu 0xfffe
	s_or_b32 s17, s11, s12
	s_or_b32 s16, s16, s18
	s_and_b32 s24, s24, exec_lo
.LBB82_242:                             ;   in Loop: Header=BB82_11 Depth=1
	s_wait_alu 0xfffe
	s_or_b32 exec_lo, exec_lo, s20
	s_delay_alu instid0(SALU_CYCLE_1)
	s_or_not1_b32 s20, s24, exec_lo
.LBB82_243:                             ;   in Loop: Header=BB82_11 Depth=1
	s_wait_alu 0xfffe
	s_or_b32 exec_lo, exec_lo, s15
	s_mov_b32 s12, 0
                                        ; implicit-def: $sgpr22
	s_and_saveexec_b32 s11, s20
	s_wait_alu 0xfffe
	s_xor_b32 s11, exec_lo, s11
	s_cbranch_execz .LBB82_9
; %bb.244:                              ;   in Loop: Header=BB82_11 Depth=1
	v_and_b32_e32 v1, 7, v1
	s_mov_b32 s14, -1
	s_mov_b32 s12, -1
	s_mov_b32 s15, exec_lo
                                        ; implicit-def: $sgpr22
	s_delay_alu instid0(VALU_DEP_1)
	v_cmpx_eq_u32_e32 0, v1
	s_cbranch_execz .LBB82_8
; %bb.245:                              ;   in Loop: Header=BB82_11 Depth=1
	s_add_co_i32 s22, s88, -2
	s_cmp_eq_u32 s88, 0
	v_xor_b32_e32 v31, 1, v31
	s_cselect_b32 s14, -1, 0
	s_xor_b32 s12, exec_lo, -1
	s_wait_alu 0xfffe
	s_or_not1_b32 s14, s14, exec_lo
	s_branch .LBB82_8
.LBB82_246:
	s_or_b32 exec_lo, exec_lo, s81
	s_xor_b32 s4, s87, -1
	s_xor_b32 s1, s85, -1
	;; [unrolled: 1-line block ×3, first 2 shown]
	s_mov_b32 s2, 0
	s_and_saveexec_b32 s5, s1
	s_wait_alu 0xfffe
	s_xor_b32 s1, exec_lo, s5
	s_cbranch_execnz .LBB82_251
; %bb.247:
	s_and_not1_saveexec_b32 s0, s1
	s_cbranch_execnz .LBB82_264
.LBB82_248:
	s_or_b32 exec_lo, exec_lo, s0
	s_wait_alu 0xfffe
	s_and_saveexec_b32 s0, s2
.LBB82_249:
	; divergent unreachable
.LBB82_250:
	s_endpgm
.LBB82_251:
	s_and_saveexec_b32 s2, s4
	s_wait_alu 0xfffe
	s_xor_b32 s2, exec_lo, s2
	s_cbranch_execz .LBB82_262
; %bb.252:
	s_and_saveexec_b32 s4, s3
	s_wait_alu 0xfffe
	s_xor_b32 s3, exec_lo, s4
; %bb.253:
	v_xor_b32_e32 v33, 0xffffff80, v14
; %bb.254:
	s_wait_alu 0xfffe
	s_or_b32 exec_lo, exec_lo, s3
	s_mul_i32 s4, s61, s48
	s_mul_i32 s3, s52, s49
	s_wait_alu 0xfffe
	s_sub_co_i32 s4, s52, s4
	s_sub_co_i32 s3, s33, s3
	s_add_co_i32 s5, s61, 1
	s_wait_alu 0xfffe
	s_sub_co_i32 s6, s4, s48
	s_cmp_ge_u32 s4, s48
	s_wait_kmcnt 0x0
	s_mul_i32 s3, s3, s46
	s_cselect_b32 s5, s5, s61
	s_wait_alu 0xfffe
	s_cselect_b32 s4, s6, s4
	s_add_co_i32 s6, s5, 1
	s_wait_alu 0xfffe
	s_cmp_ge_u32 s4, s48
	s_cselect_b32 s4, s6, s5
	s_wait_alu 0xfffe
	s_mul_i32 s5, s4, s48
	s_mul_i32 s4, s4, s44
	s_wait_alu 0xfffe
	s_sub_co_i32 s5, s52, s5
	s_wait_alu 0xfffe
	s_mul_i32 s5, s5, s45
	s_wait_alu 0xfffe
	s_add_co_i32 s3, s5, s3
	s_wait_alu 0xfffe
	s_add_co_i32 s3, s3, s4
	s_wait_alu 0xfffe
	v_mov_b32_e32 v1, s3
	global_store_b8 v1, v33, s[56:57]
	s_and_saveexec_b32 s3, s0
	s_cbranch_execz .LBB82_261
; %bb.255:
	v_and_b32_e32 v2, 0xff, v33
	s_mov_b32 s0, 0
                                        ; implicit-def: $sgpr4
                                        ; implicit-def: $sgpr6
                                        ; implicit-def: $sgpr5
	s_branch .LBB82_257
.LBB82_256:                             ;   in Loop: Header=BB82_257 Depth=1
	s_wait_alu 0xfffe
	s_or_b32 exec_lo, exec_lo, s7
	s_delay_alu instid0(SALU_CYCLE_1)
	s_and_b32 s7, exec_lo, s6
	s_wait_alu 0xfffe
	s_or_b32 s0, s7, s0
	s_and_not1_b32 s4, s4, exec_lo
	s_and_b32 s7, s5, exec_lo
	s_wait_alu 0xfffe
	s_or_b32 s4, s4, s7
	s_and_not1_b32 exec_lo, exec_lo, s0
	s_cbranch_execz .LBB82_259
.LBB82_257:                             ; =>This Inner Loop Header: Depth=1
	global_load_u8 v3, v15, s[58:59]
	v_mov_b32_e32 v1, v0
	s_or_b32 s5, s5, exec_lo
	s_or_b32 s6, s6, exec_lo
	s_mov_b32 s7, exec_lo
                                        ; implicit-def: $vgpr0
	s_wait_loadcnt 0x0
	v_cmpx_ne_u16_e64 v3, v2
	s_cbranch_execz .LBB82_256
; %bb.258:                              ;   in Loop: Header=BB82_257 Depth=1
	v_add_nc_u32_e32 v0, s37, v1
	v_add_nc_u32_e32 v15, s53, v15
	s_wait_alu 0xfffe
	s_and_not1_b32 s6, s6, exec_lo
	s_and_not1_b32 s5, s5, exec_lo
	v_cmp_le_u32_e32 vcc_lo, s36, v0
	s_and_b32 s8, vcc_lo, exec_lo
	s_wait_alu 0xfffe
	s_or_b32 s6, s6, s8
	s_branch .LBB82_256
.LBB82_259:
	s_or_b32 exec_lo, exec_lo, s0
	s_wait_alu 0xfffe
	s_and_saveexec_b32 s0, s4
	s_delay_alu instid0(SALU_CYCLE_1)
	s_xor_b32 s0, exec_lo, s0
	s_cbranch_execz .LBB82_261
; %bb.260:
	s_mul_i32 s4, s31, s34
	s_mul_i32 s0, s50, s35
	s_wait_alu 0xfffe
	s_sub_co_i32 s4, s50, s4
	s_sub_co_i32 s0, s33, s0
	s_add_co_i32 s5, s31, 1
	s_wait_alu 0xfffe
	s_sub_co_i32 s6, s4, s34
	s_cmp_ge_u32 s4, s34
	s_mul_i32 s0, s0, s42
	s_cselect_b32 s5, s5, s31
	s_wait_alu 0xfffe
	s_cselect_b32 s4, s6, s4
	s_add_co_i32 s6, s5, 1
	s_wait_alu 0xfffe
	s_cmp_ge_u32 s4, s34
	v_mov_b32_e32 v2, 0
	s_cselect_b32 s4, s6, s5
	s_wait_alu 0xfffe
	s_mul_i32 s5, s4, s34
	s_mul_i32 s4, s4, s40
	s_wait_alu 0xfffe
	s_sub_co_i32 s5, s50, s5
	s_wait_alu 0xfffe
	s_mul_i32 s5, s5, s41
	s_wait_alu 0xfffe
	s_add_co_i32 s0, s5, s0
	s_mov_b32 s5, 0
	s_add_co_i32 s4, s0, s4
	s_wait_alu 0xfffe
	s_lshl_b64 s[4:5], s[4:5], 3
	s_wait_alu 0xfffe
	s_add_nc_u64 s[4:5], s[54:55], s[4:5]
	global_store_b64 v2, v[1:2], s[4:5]
.LBB82_261:
	s_wait_alu 0xfffe
	s_or_b32 exec_lo, exec_lo, s3
.LBB82_262:
	s_wait_alu 0xfffe
	s_or_saveexec_b32 s0, s2
	s_mov_b32 s2, 0
	s_xor_b32 exec_lo, exec_lo, s0
	s_cbranch_execnz .LBB82_265
.LBB82_263:
	s_or_b32 exec_lo, exec_lo, s0
	s_wait_alu 0xfffe
	s_and_b32 s2, s2, exec_lo
	s_and_not1_saveexec_b32 s0, s1
	s_cbranch_execz .LBB82_248
.LBB82_264:
	s_wait_alu 0xfffe
	s_or_b32 s2, s2, exec_lo
	s_trap 2
	s_or_b32 exec_lo, exec_lo, s0
	s_wait_alu 0xfffe
	s_and_saveexec_b32 s0, s2
	s_cbranch_execnz .LBB82_249
	s_branch .LBB82_250
.LBB82_265:
	s_mov_b32 s2, exec_lo
	s_trap 2
	s_branch .LBB82_263
	.section	.rodata,"a",@progbits
	.p2align	6, 0x0
	.amdhsa_kernel _ZN2at6native12_GLOBAL__N_112gatherMedianIajLi3EEEvNS_4cuda6detail10TensorInfoIT_T0_EENS5_IlS7_EENS5_IKS6_S7_EES7_S7_S7_b
		.amdhsa_group_segment_fixed_size 4120
		.amdhsa_private_segment_fixed_size 0
		.amdhsa_kernarg_size 920
		.amdhsa_user_sgpr_count 2
		.amdhsa_user_sgpr_dispatch_ptr 0
		.amdhsa_user_sgpr_queue_ptr 0
		.amdhsa_user_sgpr_kernarg_segment_ptr 1
		.amdhsa_user_sgpr_dispatch_id 0
		.amdhsa_user_sgpr_private_segment_size 0
		.amdhsa_wavefront_size32 1
		.amdhsa_uses_dynamic_stack 0
		.amdhsa_enable_private_segment 0
		.amdhsa_system_sgpr_workgroup_id_x 1
		.amdhsa_system_sgpr_workgroup_id_y 1
		.amdhsa_system_sgpr_workgroup_id_z 1
		.amdhsa_system_sgpr_workgroup_info 0
		.amdhsa_system_vgpr_workitem_id 0
		.amdhsa_next_free_vgpr 68
		.amdhsa_next_free_sgpr 96
		.amdhsa_reserve_vcc 1
		.amdhsa_float_round_mode_32 0
		.amdhsa_float_round_mode_16_64 0
		.amdhsa_float_denorm_mode_32 3
		.amdhsa_float_denorm_mode_16_64 3
		.amdhsa_fp16_overflow 0
		.amdhsa_workgroup_processor_mode 1
		.amdhsa_memory_ordered 1
		.amdhsa_forward_progress 1
		.amdhsa_inst_pref_size 104
		.amdhsa_round_robin_scheduling 0
		.amdhsa_exception_fp_ieee_invalid_op 0
		.amdhsa_exception_fp_denorm_src 0
		.amdhsa_exception_fp_ieee_div_zero 0
		.amdhsa_exception_fp_ieee_overflow 0
		.amdhsa_exception_fp_ieee_underflow 0
		.amdhsa_exception_fp_ieee_inexact 0
		.amdhsa_exception_int_div_zero 0
	.end_amdhsa_kernel
	.section	.text._ZN2at6native12_GLOBAL__N_112gatherMedianIajLi3EEEvNS_4cuda6detail10TensorInfoIT_T0_EENS5_IlS7_EENS5_IKS6_S7_EES7_S7_S7_b,"axG",@progbits,_ZN2at6native12_GLOBAL__N_112gatherMedianIajLi3EEEvNS_4cuda6detail10TensorInfoIT_T0_EENS5_IlS7_EENS5_IKS6_S7_EES7_S7_S7_b,comdat
.Lfunc_end82:
	.size	_ZN2at6native12_GLOBAL__N_112gatherMedianIajLi3EEEvNS_4cuda6detail10TensorInfoIT_T0_EENS5_IlS7_EENS5_IKS6_S7_EES7_S7_S7_b, .Lfunc_end82-_ZN2at6native12_GLOBAL__N_112gatherMedianIajLi3EEEvNS_4cuda6detail10TensorInfoIT_T0_EENS5_IlS7_EENS5_IKS6_S7_EES7_S7_S7_b
                                        ; -- End function
	.set _ZN2at6native12_GLOBAL__N_112gatherMedianIajLi3EEEvNS_4cuda6detail10TensorInfoIT_T0_EENS5_IlS7_EENS5_IKS6_S7_EES7_S7_S7_b.num_vgpr, 68
	.set _ZN2at6native12_GLOBAL__N_112gatherMedianIajLi3EEEvNS_4cuda6detail10TensorInfoIT_T0_EENS5_IlS7_EENS5_IKS6_S7_EES7_S7_S7_b.num_agpr, 0
	.set _ZN2at6native12_GLOBAL__N_112gatherMedianIajLi3EEEvNS_4cuda6detail10TensorInfoIT_T0_EENS5_IlS7_EENS5_IKS6_S7_EES7_S7_S7_b.numbered_sgpr, 96
	.set _ZN2at6native12_GLOBAL__N_112gatherMedianIajLi3EEEvNS_4cuda6detail10TensorInfoIT_T0_EENS5_IlS7_EENS5_IKS6_S7_EES7_S7_S7_b.num_named_barrier, 0
	.set _ZN2at6native12_GLOBAL__N_112gatherMedianIajLi3EEEvNS_4cuda6detail10TensorInfoIT_T0_EENS5_IlS7_EENS5_IKS6_S7_EES7_S7_S7_b.private_seg_size, 0
	.set _ZN2at6native12_GLOBAL__N_112gatherMedianIajLi3EEEvNS_4cuda6detail10TensorInfoIT_T0_EENS5_IlS7_EENS5_IKS6_S7_EES7_S7_S7_b.uses_vcc, 1
	.set _ZN2at6native12_GLOBAL__N_112gatherMedianIajLi3EEEvNS_4cuda6detail10TensorInfoIT_T0_EENS5_IlS7_EENS5_IKS6_S7_EES7_S7_S7_b.uses_flat_scratch, 0
	.set _ZN2at6native12_GLOBAL__N_112gatherMedianIajLi3EEEvNS_4cuda6detail10TensorInfoIT_T0_EENS5_IlS7_EENS5_IKS6_S7_EES7_S7_S7_b.has_dyn_sized_stack, 0
	.set _ZN2at6native12_GLOBAL__N_112gatherMedianIajLi3EEEvNS_4cuda6detail10TensorInfoIT_T0_EENS5_IlS7_EENS5_IKS6_S7_EES7_S7_S7_b.has_recursion, 0
	.set _ZN2at6native12_GLOBAL__N_112gatherMedianIajLi3EEEvNS_4cuda6detail10TensorInfoIT_T0_EENS5_IlS7_EENS5_IKS6_S7_EES7_S7_S7_b.has_indirect_call, 0
	.section	.AMDGPU.csdata,"",@progbits
; Kernel info:
; codeLenInByte = 13248
; TotalNumSgprs: 98
; NumVgprs: 68
; ScratchSize: 0
; MemoryBound: 0
; FloatMode: 240
; IeeeMode: 1
; LDSByteSize: 4120 bytes/workgroup (compile time only)
; SGPRBlocks: 0
; VGPRBlocks: 8
; NumSGPRsForWavesPerEU: 98
; NumVGPRsForWavesPerEU: 68
; Occupancy: 16
; WaveLimiterHint : 1
; COMPUTE_PGM_RSRC2:SCRATCH_EN: 0
; COMPUTE_PGM_RSRC2:USER_SGPR: 2
; COMPUTE_PGM_RSRC2:TRAP_HANDLER: 0
; COMPUTE_PGM_RSRC2:TGID_X_EN: 1
; COMPUTE_PGM_RSRC2:TGID_Y_EN: 1
; COMPUTE_PGM_RSRC2:TGID_Z_EN: 1
; COMPUTE_PGM_RSRC2:TIDIG_COMP_CNT: 0
	.section	.text._ZN2at6native12_GLOBAL__N_112gatherMedianIajLin1EEEvNS_4cuda6detail10TensorInfoIT_T0_EENS5_IlS7_EENS5_IKS6_S7_EES7_S7_S7_b,"axG",@progbits,_ZN2at6native12_GLOBAL__N_112gatherMedianIajLin1EEEvNS_4cuda6detail10TensorInfoIT_T0_EENS5_IlS7_EENS5_IKS6_S7_EES7_S7_S7_b,comdat
	.globl	_ZN2at6native12_GLOBAL__N_112gatherMedianIajLin1EEEvNS_4cuda6detail10TensorInfoIT_T0_EENS5_IlS7_EENS5_IKS6_S7_EES7_S7_S7_b ; -- Begin function _ZN2at6native12_GLOBAL__N_112gatherMedianIajLin1EEEvNS_4cuda6detail10TensorInfoIT_T0_EENS5_IlS7_EENS5_IKS6_S7_EES7_S7_S7_b
	.p2align	8
	.type	_ZN2at6native12_GLOBAL__N_112gatherMedianIajLin1EEEvNS_4cuda6detail10TensorInfoIT_T0_EENS5_IlS7_EENS5_IKS6_S7_EES7_S7_S7_b,@function
_ZN2at6native12_GLOBAL__N_112gatherMedianIajLin1EEEvNS_4cuda6detail10TensorInfoIT_T0_EENS5_IlS7_EENS5_IKS6_S7_EES7_S7_S7_b: ; @_ZN2at6native12_GLOBAL__N_112gatherMedianIajLin1EEEvNS_4cuda6detail10TensorInfoIT_T0_EENS5_IlS7_EENS5_IKS6_S7_EES7_S7_S7_b
; %bb.0:
	s_clause 0x1
	s_load_b64 s[4:5], s[0:1], 0x298
	s_load_b128 s[36:39], s[0:1], 0x288
	s_lshr_b32 s2, ttmp7, 16
	s_and_b32 s3, ttmp7, 0xffff
	s_wait_kmcnt 0x0
	s_mul_i32 s2, s5, s2
	s_delay_alu instid0(SALU_CYCLE_1) | instskip(NEXT) | instid1(SALU_CYCLE_1)
	s_add_co_i32 s2, s2, s3
	s_mul_i32 s2, s2, s4
	s_delay_alu instid0(SALU_CYCLE_1) | instskip(NEXT) | instid1(SALU_CYCLE_1)
	s_add_co_i32 s5, s2, ttmp9
	s_cmp_ge_u32 s5, s37
	s_cbranch_scc1 .LBB83_259
; %bb.1:
	s_load_b32 s2, s[0:1], 0xd0
	s_mov_b32 s31, 0
	s_mov_b32 s33, s5
	s_wait_kmcnt 0x0
	s_cmp_lt_i32 s2, 2
	s_cbranch_scc1 .LBB83_4
; %bb.2:
	s_add_co_i32 s30, s2, -1
	s_mov_b32 s33, s5
	s_lshl_b64 s[6:7], s[30:31], 2
	s_delay_alu instid0(SALU_CYCLE_1)
	s_add_nc_u64 s[8:9], s[0:1], s[6:7]
	s_add_co_i32 s6, s2, 1
	s_add_nc_u64 s[2:3], s[8:9], 8
.LBB83_3:                               ; =>This Inner Loop Header: Depth=1
	s_clause 0x1
	s_load_b32 s7, s[2:3], 0x0
	s_load_b32 s8, s[2:3], 0x64
	s_mov_b32 s11, s33
	s_add_nc_u64 s[2:3], s[2:3], -4
	s_wait_kmcnt 0x0
	s_cvt_f32_u32 s9, s7
	s_sub_co_i32 s10, 0, s7
	s_wait_alu 0xfffe
	s_delay_alu instid0(SALU_CYCLE_1) | instskip(NEXT) | instid1(TRANS32_DEP_1)
	v_rcp_iflag_f32_e32 v1, s9
	v_readfirstlane_b32 s9, v1
	s_mul_f32 s9, s9, 0x4f7ffffe
	s_wait_alu 0xfffe
	s_delay_alu instid0(SALU_CYCLE_2) | instskip(SKIP_1) | instid1(SALU_CYCLE_2)
	s_cvt_u32_f32 s9, s9
	s_wait_alu 0xfffe
	s_mul_i32 s10, s10, s9
	s_delay_alu instid0(SALU_CYCLE_1) | instskip(NEXT) | instid1(SALU_CYCLE_1)
	s_mul_hi_u32 s10, s9, s10
	s_add_co_i32 s9, s9, s10
	s_wait_alu 0xfffe
	s_mul_hi_u32 s9, s33, s9
	s_wait_alu 0xfffe
	s_mul_i32 s10, s9, s7
	s_add_co_i32 s12, s9, 1
	s_sub_co_i32 s10, s33, s10
	s_delay_alu instid0(SALU_CYCLE_1)
	s_sub_co_i32 s13, s10, s7
	s_cmp_ge_u32 s10, s7
	s_cselect_b32 s9, s12, s9
	s_cselect_b32 s10, s13, s10
	s_wait_alu 0xfffe
	s_add_co_i32 s12, s9, 1
	s_cmp_ge_u32 s10, s7
	s_cselect_b32 s33, s12, s9
	s_add_co_i32 s6, s6, -1
	s_mul_i32 s7, s33, s7
	s_delay_alu instid0(SALU_CYCLE_1) | instskip(NEXT) | instid1(SALU_CYCLE_1)
	s_sub_co_i32 s7, s11, s7
	s_mul_i32 s7, s8, s7
	s_delay_alu instid0(SALU_CYCLE_1)
	s_add_co_i32 s31, s7, s31
	s_cmp_gt_u32 s6, 2
	s_cbranch_scc1 .LBB83_3
.LBB83_4:
	s_load_b32 s6, s[0:1], 0x1a8
	s_add_nc_u64 s[12:13], s[0:1], 0x298
	s_add_nc_u64 s[2:3], s[0:1], 0xd8
	s_mov_b32 s35, 0
	s_mov_b32 s34, s5
	s_wait_kmcnt 0x0
	s_cmp_lt_i32 s6, 2
	s_cbranch_scc1 .LBB83_7
; %bb.5:
	s_add_co_i32 s34, s6, -1
	s_delay_alu instid0(SALU_CYCLE_1)
	s_lshl_b64 s[8:9], s[34:35], 2
	s_mov_b32 s34, s5
	s_wait_alu 0xfffe
	s_add_nc_u64 s[10:11], s[2:3], s[8:9]
	s_add_co_i32 s8, s6, 1
	s_add_nc_u64 s[6:7], s[10:11], 8
.LBB83_6:                               ; =>This Inner Loop Header: Depth=1
	s_clause 0x1
	s_load_b32 s9, s[6:7], 0x0
	s_load_b32 s10, s[6:7], 0x64
	s_mov_b32 s15, s34
	s_add_nc_u64 s[6:7], s[6:7], -4
	s_wait_kmcnt 0x0
	s_cvt_f32_u32 s11, s9
	s_sub_co_i32 s14, 0, s9
	s_wait_alu 0xfffe
	s_delay_alu instid0(SALU_CYCLE_1) | instskip(NEXT) | instid1(TRANS32_DEP_1)
	v_rcp_iflag_f32_e32 v1, s11
	v_readfirstlane_b32 s11, v1
	s_mul_f32 s11, s11, 0x4f7ffffe
	s_wait_alu 0xfffe
	s_delay_alu instid0(SALU_CYCLE_2) | instskip(SKIP_1) | instid1(SALU_CYCLE_2)
	s_cvt_u32_f32 s11, s11
	s_wait_alu 0xfffe
	s_mul_i32 s14, s14, s11
	s_delay_alu instid0(SALU_CYCLE_1) | instskip(NEXT) | instid1(SALU_CYCLE_1)
	s_mul_hi_u32 s14, s11, s14
	s_add_co_i32 s11, s11, s14
	s_wait_alu 0xfffe
	s_mul_hi_u32 s11, s34, s11
	s_wait_alu 0xfffe
	s_mul_i32 s14, s11, s9
	s_add_co_i32 s16, s11, 1
	s_sub_co_i32 s14, s34, s14
	s_delay_alu instid0(SALU_CYCLE_1)
	s_sub_co_i32 s17, s14, s9
	s_cmp_ge_u32 s14, s9
	s_cselect_b32 s11, s16, s11
	s_cselect_b32 s14, s17, s14
	s_wait_alu 0xfffe
	s_add_co_i32 s16, s11, 1
	s_cmp_ge_u32 s14, s9
	s_cselect_b32 s34, s16, s11
	s_add_co_i32 s8, s8, -1
	s_mul_i32 s9, s34, s9
	s_wait_alu 0xfffe
	s_sub_co_i32 s9, s15, s9
	s_wait_alu 0xfffe
	s_mul_i32 s9, s10, s9
	s_wait_alu 0xfffe
	s_add_co_i32 s35, s9, s35
	s_cmp_gt_u32 s8, 2
	s_cbranch_scc1 .LBB83_6
.LBB83_7:
	s_clause 0x1
	s_load_b32 s54, s[0:1], 0x6c
	s_load_b32 s8, s[0:1], 0x280
	s_mov_b32 s7, 0
	s_wait_kmcnt 0x0
	s_cmp_lt_i32 s8, 2
	s_cbranch_scc1 .LBB83_10
; %bb.8:
	s_add_co_i32 s6, s8, -1
	s_add_nc_u64 s[10:11], s[0:1], 0x1b0
	s_lshl_b64 s[14:15], s[6:7], 2
	s_add_co_i32 s6, s8, 1
	s_wait_alu 0xfffe
	s_add_nc_u64 s[10:11], s[10:11], s[14:15]
	s_wait_alu 0xfffe
	s_add_nc_u64 s[8:9], s[10:11], 8
.LBB83_9:                               ; =>This Inner Loop Header: Depth=1
	s_clause 0x1
	s_load_b32 s10, s[8:9], 0x0
	s_load_b32 s11, s[8:9], 0x64
	s_mov_b32 s16, s5
	s_add_nc_u64 s[8:9], s[8:9], -4
	s_wait_kmcnt 0x0
	s_cvt_f32_u32 s14, s10
	s_sub_co_i32 s15, 0, s10
	s_wait_alu 0xfffe
	s_delay_alu instid0(SALU_CYCLE_1) | instskip(NEXT) | instid1(TRANS32_DEP_1)
	v_rcp_iflag_f32_e32 v1, s14
	v_readfirstlane_b32 s14, v1
	s_mul_f32 s14, s14, 0x4f7ffffe
	s_wait_alu 0xfffe
	s_delay_alu instid0(SALU_CYCLE_2) | instskip(SKIP_1) | instid1(SALU_CYCLE_2)
	s_cvt_u32_f32 s14, s14
	s_wait_alu 0xfffe
	s_mul_i32 s15, s15, s14
	s_wait_alu 0xfffe
	s_mul_hi_u32 s15, s14, s15
	s_wait_alu 0xfffe
	s_add_co_i32 s14, s14, s15
	s_wait_alu 0xfffe
	s_mul_hi_u32 s5, s5, s14
	s_delay_alu instid0(SALU_CYCLE_1)
	s_mul_i32 s14, s5, s10
	s_add_co_i32 s15, s5, 1
	s_wait_alu 0xfffe
	s_sub_co_i32 s14, s16, s14
	s_wait_alu 0xfffe
	s_sub_co_i32 s17, s14, s10
	s_cmp_ge_u32 s14, s10
	s_cselect_b32 s5, s15, s5
	s_cselect_b32 s14, s17, s14
	s_add_co_i32 s15, s5, 1
	s_wait_alu 0xfffe
	s_cmp_ge_u32 s14, s10
	s_cselect_b32 s5, s15, s5
	s_add_co_i32 s6, s6, -1
	s_mul_i32 s10, s5, s10
	s_wait_alu 0xfffe
	s_sub_co_i32 s10, s16, s10
	s_wait_alu 0xfffe
	s_mul_i32 s10, s11, s10
	s_wait_alu 0xfffe
	s_add_co_i32 s7, s10, s7
	s_cmp_gt_u32 s6, 2
	s_cbranch_scc1 .LBB83_9
.LBB83_10:
	s_load_b32 s55, s[2:3], 0x6c
	v_cmp_eq_u32_e64 s2, 0, v0
	s_and_saveexec_b32 s3, s2
; %bb.11:
	v_mov_b32_e32 v1, 0
	s_delay_alu instid0(VALU_DEP_1)
	v_mov_b32_e32 v2, v1
	ds_store_b64 v1, v[1:2] offset:4096
; %bb.12:
	s_or_b32 exec_lo, exec_lo, s3
	v_mov_b32_e32 v1, 0
	s_wait_dscnt 0x0
	s_barrier_signal -1
	s_barrier_wait -1
	global_inv scope:SCOPE_SE
	s_wait_loadcnt 0x0
	s_barrier_signal -1
	s_barrier_wait -1
	global_inv scope:SCOPE_SE
	ds_load_b64 v[1:2], v1 offset:4096
	s_bitcmp1_b32 s39, 0
	s_mov_b32 s11, s36
	s_cselect_b32 s6, -1, 0
	s_wait_dscnt 0x0
	v_readfirstlane_b32 s8, v1
	v_readfirstlane_b32 s9, v2
	s_wait_alu 0xf1ff
	s_delay_alu instid0(VALU_DEP_1) | instskip(SKIP_1) | instid1(SALU_CYCLE_1)
	v_cmp_lt_i64_e64 s3, s[8:9], 1
	s_or_b32 s3, s6, s3
	s_and_not1_b32 vcc_lo, exec_lo, s3
	s_cbranch_vccnz .LBB83_14
; %bb.13:
	s_not_b64 s[8:9], s[8:9]
	s_mov_b32 s37, 0
	s_wait_alu 0xfffe
	s_add_nc_u64 s[8:9], s[8:9], s[36:37]
	s_mov_b32 s11, s37
	s_wait_alu 0xfffe
	s_lshr_b32 s10, s9, 31
	s_wait_alu 0xfffe
	s_add_nc_u64 s[8:9], s[8:9], s[10:11]
	s_wait_alu 0xfffe
	s_lshr_b64 s[8:9], s[8:9], 1
	s_wait_alu 0xfffe
	s_add_co_i32 s11, s8, 1
.LBB83_14:
	s_clause 0x2
	s_load_b64 s[42:43], s[0:1], 0x0
	s_load_b32 s3, s[0:1], 0x21c
	s_load_b64 s[8:9], s[0:1], 0x1b0
	s_and_saveexec_b32 s6, s2
	s_cbranch_execz .LBB83_16
; %bb.15:
	v_dual_mov_b32 v1, 0 :: v_dual_mov_b32 v2, s36
	ds_store_b32 v1, v1 offset:4112
	ds_store_b64 v1, v[1:2] offset:4104
.LBB83_16:
	s_or_b32 exec_lo, exec_lo, s6
	s_wait_loadcnt_dscnt 0x0
	s_barrier_signal -1
	s_barrier_wait -1
	global_inv scope:SCOPE_SE
	s_load_b32 s6, s[12:13], 0xc
	s_load_b64 s[40:41], s[0:1], 0xd8
	v_mul_lo_u32 v15, s38, v0
	s_wait_kmcnt 0x0
	s_mul_i32 s5, s3, s5
	s_mov_b32 s47, 0
	s_add_co_i32 s46, s5, s7
	v_mbcnt_lo_u32_b32 v16, -1, 0
	s_add_nc_u64 s[44:45], s[8:9], s[46:47]
	v_dual_mov_b32 v34, s11 :: v_dual_add_nc_u32 v1, 2, v0
	v_cmp_gt_u32_e32 vcc_lo, 32, v0
	s_delay_alu instid0(VALU_DEP_3) | instskip(SKIP_1) | instid1(VALU_DEP_4)
	v_cmp_gt_i32_e64 s3, 4, v16
	v_dual_mov_b32 v18, 0 :: v_dual_lshlrev_b32 v17, 2, v0
	v_max_u32_e32 v3, s36, v1
	v_lshlrev_b64_e64 v[1:2], v16, -1
	s_and_b32 s39, vcc_lo, s3
	v_cmp_gt_u32_e64 s0, s36, v0
	s_wait_alu 0xfffe
	v_mad_co_u64_u32 v[13:14], null, s38, v17, s[38:39]
	s_and_b32 s37, s6, 0xffff
	s_bfe_u32 s5, s6, 0xb0005
	s_wait_alu 0xfffe
	s_lshl_b32 s57, s37, 2
	v_add_co_u32 v9, s6, s44, v15
	s_delay_alu instid0(VALU_DEP_1)
	v_add_co_ci_u32_e64 v10, null, s45, 0, s6
	s_cvt_f32_u32 s6, s57
	s_add_co_i32 s56, s37, -1
	v_not_b32_e32 v19, v1
	s_add_co_i32 s10, s56, s36
	s_wait_alu 0xfffe
	v_rcp_iflag_f32_e32 v4, s6
	s_cmp_gt_u32 s36, 0xc00
	v_lshrrev_b32_e32 v1, 1, v0
	s_cselect_b32 s58, -1, 0
	s_cmp_gt_u32 s37, 31
	s_movk_i32 s6, 0x1f0
	s_cselect_b32 s59, -1, 0
	s_cmp_lt_u32 ttmp9, s4
	s_wait_alu 0xfffe
	v_and_or_b32 v20, v1, s6, 0xc00
	s_cselect_b32 s46, 12, 18
	s_add_co_i32 s4, s5, -1
	v_readfirstlane_b32 s6, v4
	s_and_b32 s4, s4, 0xffff
	s_bfe_u32 s61, s37, 0x30005
	s_cmp_gt_u32 s4, 6
	v_xad_u32 v2, v0, -1, v3
	s_cselect_b32 s62, -1, 0
	s_and_b32 s63, s5, 0x7f8
	s_mul_f32 s5, s6, 0x4f7ffffe
	s_cvt_f32_u32 s6, s37
	s_cmp_lg_u32 s61, 0
	v_dual_mov_b32 v14, 0 :: v_dual_add_nc_u32 v3, -4, v2
	s_cvt_u32_f32 s5, s5
	s_cselect_b32 s64, -1, 0
	s_sub_co_i32 s7, 0, s57
	s_wait_alu 0xfffe
	v_rcp_iflag_f32_e32 v4, s6
	s_mul_i32 s7, s7, s5
	v_lshrrev_b32_e32 v5, 2, v3
	s_wait_alu 0xfffe
	s_mul_hi_u32 s6, s5, s7
	v_mov_b32_e32 v32, 0
	s_wait_alu 0xfffe
	s_add_co_i32 s48, s5, s6
	v_and_b32_e32 v21, -4, v2
	s_mul_hi_u32 s5, s36, s48
	v_add_nc_u32_e32 v1, 1, v5
	s_mul_i32 s5, s5, s57
	v_readfirstlane_b32 s6, v4
	s_sub_co_i32 s5, s36, s5
	v_cmp_lt_u32_e64 s4, 31, v2
	s_sub_co_i32 s7, s5, s57
	s_cmp_ge_u32 s5, s57
	s_mul_f32 s6, s6, 0x4f7ffffe
	s_wait_alu 0xfffe
	s_cselect_b32 s7, s7, s5
	v_dual_mov_b32 v31, 0 :: v_dual_and_b32 v4, 3, v1
	s_wait_alu 0xfffe
	s_sub_co_i32 s8, s7, s57
	s_cmp_ge_u32 s7, s57
	s_cvt_u32_f32 s9, s6
	s_wait_alu 0xfffe
	s_cselect_b32 s14, s8, s7
	s_sub_co_i32 s6, 0, s37
	s_wait_alu 0xfffe
	s_sub_co_i32 s69, s36, s14
	s_mul_i32 s7, s6, s9
	v_add_nc_u32_e32 v24, s69, v0
	s_wait_alu 0xfffe
	s_mul_hi_u32 s8, s9, s7
	v_and_b32_e32 v23, 0x7ffffffc, v1
	s_wait_alu 0xfffe
	s_add_co_i32 s50, s9, s8
	v_cmp_lt_u32_e64 s5, 11, v3
	s_mul_hi_u32 s8, s10, s50
	v_mul_lo_u32 v1, v24, s38
	s_wait_alu 0xfffe
	s_mul_i32 s8, s8, s37
	v_cmp_ne_u32_e64 s7, v2, v21
	s_wait_alu 0xfffe
	s_sub_co_i32 s8, s10, s8
	v_or_b32_e32 v2, 2, v17
	s_wait_alu 0xfffe
	s_sub_co_i32 s9, s8, s37
	s_cmp_ge_u32 s8, s37
	v_or_b32_e32 v3, 3, v17
	s_wait_alu 0xfffe
	s_cselect_b32 s15, s9, s8
	v_mul_lo_u32 v26, s38, v2
	s_wait_alu 0xfffe
	s_sub_co_i32 s16, s15, s37
	s_cmp_ge_u32 s15, s37
	v_mul_lo_u32 v27, s38, v3
	s_cselect_b32 s15, s16, s15
	v_add_co_u32 v11, s16, s44, v1
	v_add3_u32 v1, s37, s36, v0
	s_wait_alu 0xfffe
	s_sub_co_i32 s70, s10, s15
	v_cmp_gt_u32_e64 s1, 2, v0
	v_cmp_eq_u32_e64 s3, 0, v16
	v_dual_mov_b32 v33, 0 :: v_dual_add_nc_u32 v22, v0, v21
	v_subrev_nc_u32_e32 v1, s14, v1
	v_cmp_ne_u32_e64 s6, 0, v4
	v_cmp_gt_u32_e64 s8, s69, v17
	v_cmp_gt_u32_e64 s9, s36, v24
	v_add_co_ci_u32_e64 v12, null, s45, 0, s16
	v_mul_lo_u32 v29, s38, v1
	v_cmp_gt_u32_e64 s10, s70, v0
	v_lshlrev_b32_e32 v25, 2, v4
	v_lshlrev_b32_e32 v28, 2, v15
	v_lshl_or_b32 v30, v16, 2, 0xc00
	s_mul_i32 s60, s38, s37
	s_mov_b32 s65, s38
	s_mov_b32 s66, s38
	;; [unrolled: 1-line block ×7, first 2 shown]
	s_lshl_b32 s71, s60, 2
	s_add_nc_u64 s[52:53], s[12:13], s[46:47]
	s_mov_b32 s72, 0
                                        ; implicit-def: $sgpr76
                                        ; implicit-def: $sgpr78
                                        ; implicit-def: $sgpr73
                                        ; implicit-def: $sgpr75
                                        ; implicit-def: $sgpr77
                                        ; implicit-def: $sgpr74
	s_branch .LBB83_20
.LBB83_17:                              ;   in Loop: Header=BB83_20 Depth=1
	s_wait_alu 0xfffe
	s_or_b32 exec_lo, exec_lo, s15
	s_delay_alu instid0(SALU_CYCLE_1)
	s_and_b32 s12, s12, exec_lo
	s_and_not1_b32 s17, s17, exec_lo
	s_and_not1_b32 s16, s16, exec_lo
	s_or_not1_b32 s14, s14, exec_lo
.LBB83_18:                              ;   in Loop: Header=BB83_20 Depth=1
	s_wait_alu 0xfffe
	s_or_b32 exec_lo, exec_lo, s11
	s_delay_alu instid0(SALU_CYCLE_1)
	s_and_not1_b32 s11, s74, exec_lo
	s_and_b32 s12, s12, exec_lo
	s_and_not1_b32 s15, s75, exec_lo
	s_wait_alu 0xfffe
	s_or_b32 s74, s11, s12
	s_and_not1_b32 s11, s77, exec_lo
	s_and_b32 s12, s17, exec_lo
	s_and_b32 s16, s16, exec_lo
	s_wait_alu 0xfffe
	s_or_b32 s77, s11, s12
	s_or_b32 s75, s15, s16
	s_or_not1_b32 s15, s14, exec_lo
.LBB83_19:                              ;   in Loop: Header=BB83_20 Depth=1
	s_wait_alu 0xfffe
	s_or_b32 exec_lo, exec_lo, s13
	s_delay_alu instid0(SALU_CYCLE_1)
	s_and_b32 s11, exec_lo, s15
	v_mov_b32_e32 v34, v2
	s_wait_alu 0xfffe
	s_or_b32 s72, s11, s72
	s_and_not1_b32 s11, s73, exec_lo
	s_and_b32 s12, s74, exec_lo
	s_and_not1_b32 s13, s78, exec_lo
	s_wait_alu 0xfffe
	s_or_b32 s73, s11, s12
	s_and_b32 s11, s77, exec_lo
	s_and_not1_b32 s12, s76, exec_lo
	s_and_b32 s14, s75, exec_lo
	s_wait_alu 0xfffe
	s_or_b32 s78, s13, s11
	s_or_b32 s76, s12, s14
	s_mov_b32 s79, s22
	s_and_not1_b32 exec_lo, exec_lo, s72
	s_cbranch_execz .LBB83_255
.LBB83_20:                              ; =>This Loop Header: Depth=1
                                        ;     Child Loop BB83_25 Depth 2
                                        ;     Child Loop BB83_46 Depth 2
	;; [unrolled: 1-line block ×18, first 2 shown]
	ds_load_b64 v[1:2], v18 offset:4104
	s_wait_dscnt 0x0
	v_readfirstlane_b32 s46, v1
	s_cmp_lg_u32 s46, 0
	s_cbranch_scc1 .LBB83_65
; %bb.21:                               ;   in Loop: Header=BB83_20 Depth=1
	s_and_b32 vcc_lo, exec_lo, s58
	s_wait_alu 0xfffe
	s_cbranch_vccz .LBB83_33
; %bb.22:                               ;   in Loop: Header=BB83_20 Depth=1
	v_cmp_gt_u32_e32 vcc_lo, 0xc01, v2
	s_mov_b32 s13, 0
	s_mov_b32 s11, 0
	s_cbranch_vccz .LBB83_34
; %bb.23:                               ;   in Loop: Header=BB83_20 Depth=1
	global_load_u8 v2, v[9:10], off
	s_load_u16 s14, s[52:53], 0x0
	v_mov_b32_e32 v3, v0
	s_mov_b32 s15, 0
	s_wait_kmcnt 0x0
	v_add_nc_u32_e32 v1, s14, v0
	s_mul_i32 s16, s38, s14
	s_delay_alu instid0(VALU_DEP_1)
	v_mul_lo_u32 v1, s38, v1
	s_branch .LBB83_25
.LBB83_24:                              ;   in Loop: Header=BB83_25 Depth=2
	s_wait_alu 0xfffe
	s_or_b32 exec_lo, exec_lo, s12
	v_dual_mov_b32 v2, v4 :: v_dual_add_nc_u32 v1, s16, v1
	s_and_not1_b32 exec_lo, exec_lo, s15
	s_cbranch_execz .LBB83_40
.LBB83_25:                              ;   Parent Loop BB83_20 Depth=1
                                        ; =>  This Inner Loop Header: Depth=2
	v_dual_mov_b32 v4, 0 :: v_dual_add_nc_u32 v3, s14, v3
	s_wait_dscnt 0x0
	v_mov_b32_e32 v5, 0
	s_mov_b32 s12, exec_lo
	s_delay_alu instid0(VALU_DEP_2)
	v_cmp_le_u32_e32 vcc_lo, s36, v3
	v_cmpx_gt_u32_e64 s36, v3
	s_cbranch_execz .LBB83_27
; %bb.26:                               ;   in Loop: Header=BB83_25 Depth=2
	global_load_u8 v4, v1, s[44:45]
.LBB83_27:                              ;   in Loop: Header=BB83_25 Depth=2
	s_wait_alu 0xfffe
	s_or_b32 exec_lo, exec_lo, s12
	s_wait_loadcnt 0x0
	v_bfe_i32 v6, v2, 0, 8
	s_delay_alu instid0(VALU_DEP_1) | instskip(NEXT) | instid1(VALU_DEP_1)
	v_add_nc_u32_e32 v6, 0x80, v6
	v_and_b32_e32 v6, v6, v32
	s_delay_alu instid0(VALU_DEP_1)
	v_cmp_eq_u32_e64 s11, v6, v14
	s_cmp_lg_u32 s11, 0
	s_cselect_b32 s12, -1, 0
	s_wait_alu 0xfffe
	s_and_b32 s12, s3, s12
	s_wait_alu 0xfffe
	s_and_saveexec_b32 s17, s12
	s_cbranch_execz .LBB83_31
; %bb.28:                               ;   in Loop: Header=BB83_25 Depth=2
	s_mov_b32 s20, exec_lo
	s_bcnt1_i32_b32 s18, s11
	s_wait_alu 0xfffe
	v_mbcnt_lo_u32_b32 v5, s20, 0
	s_mov_b32 s19, exec_lo
                                        ; implicit-def: $vgpr6
	s_delay_alu instid0(VALU_DEP_1)
	v_cmpx_eq_u32_e32 0, v5
; %bb.29:                               ;   in Loop: Header=BB83_25 Depth=2
	s_bcnt1_i32_b32 s12, s20
	s_wait_alu 0xfffe
	s_mul_i32 s12, s18, s12
	s_wait_alu 0xfffe
	v_mov_b32_e32 v6, s12
	ds_add_rtn_u32 v6, v18, v6 offset:4112
; %bb.30:                               ;   in Loop: Header=BB83_25 Depth=2
	s_or_b32 exec_lo, exec_lo, s19
	s_wait_dscnt 0x0
	v_readfirstlane_b32 s12, v6
	s_wait_alu 0xf1ff
	s_delay_alu instid0(VALU_DEP_1)
	v_mad_u32_u24 v5, s18, v5, s12
.LBB83_31:                              ;   in Loop: Header=BB83_25 Depth=2
	s_wait_alu 0xfffe
	s_or_b32 exec_lo, exec_lo, s17
	ds_bpermute_b32 v5, v18, v5
	s_and_b32 s12, exec_lo, vcc_lo
	s_wait_alu 0xfffe
	s_or_b32 s15, s12, s15
	s_and_saveexec_b32 s12, s11
	s_cbranch_execz .LBB83_24
; %bb.32:                               ;   in Loop: Header=BB83_25 Depth=2
	v_and_b32_e32 v6, s11, v19
	s_wait_dscnt 0x0
	s_delay_alu instid0(VALU_DEP_1)
	v_bcnt_u32_b32 v5, v6, v5
	ds_store_b8 v5, v2
	s_branch .LBB83_24
.LBB83_33:                              ;   in Loop: Header=BB83_20 Depth=1
	s_mov_b32 s13, -1
	s_mov_b32 s11, 0
.LBB83_34:                              ;   in Loop: Header=BB83_20 Depth=1
	s_wait_alu 0xfffe
	s_and_b32 vcc_lo, exec_lo, s13
	s_wait_alu 0xfffe
	s_cbranch_vccz .LBB83_63
.LBB83_35:                              ;   in Loop: Header=BB83_20 Depth=1
	s_and_saveexec_b32 s12, s0
	s_cbranch_execz .LBB83_60
; %bb.36:                               ;   in Loop: Header=BB83_20 Depth=1
	global_load_u8 v35, v[9:10], off
	s_load_u16 s14, s[52:53], 0x0
	s_mov_b32 s13, exec_lo
	s_wait_kmcnt 0x0
	v_dual_mov_b32 v2, v0 :: v_dual_add_nc_u32 v1, s14, v0
	s_delay_alu instid0(VALU_DEP_1)
	v_cmpx_gt_u32_e64 s36, v1
	s_cbranch_execz .LBB83_59
; %bb.37:                               ;   in Loop: Header=BB83_20 Depth=1
	s_mov_b32 s11, 0
	s_mul_i32 s15, s38, s14
                                        ; implicit-def: $vgpr2
                                        ; implicit-def: $vgpr5
                                        ; implicit-def: $vgpr3
                                        ; implicit-def: $vgpr4
	s_and_saveexec_b32 s16, s4
	s_wait_alu 0xfffe
	s_xor_b32 s16, exec_lo, s16
	s_cbranch_execnz .LBB83_43
; %bb.38:                               ;   in Loop: Header=BB83_20 Depth=1
	s_wait_alu 0xfffe
	s_and_not1_saveexec_b32 s16, s16
	s_cbranch_execnz .LBB83_54
.LBB83_39:                              ;   in Loop: Header=BB83_20 Depth=1
	s_wait_alu 0xfffe
	s_or_b32 exec_lo, exec_lo, s16
	s_and_saveexec_b32 s15, s11
	s_cbranch_execnz .LBB83_55
	s_branch .LBB83_58
.LBB83_40:                              ;   in Loop: Header=BB83_20 Depth=1
	s_or_b32 exec_lo, exec_lo, s15
	s_wait_dscnt 0x0
	s_barrier_signal -1
	s_barrier_wait -1
	global_inv scope:SCOPE_SE
	s_and_saveexec_b32 s11, s2
	s_cbranch_execz .LBB83_42
; %bb.41:                               ;   in Loop: Header=BB83_20 Depth=1
	ds_load_b32 v1, v18 offset:4112
	s_wait_dscnt 0x0
	ds_store_b32 v18, v1 offset:4104
.LBB83_42:                              ;   in Loop: Header=BB83_20 Depth=1
	s_wait_alu 0xfffe
	s_or_b32 exec_lo, exec_lo, s11
	s_wait_loadcnt_dscnt 0x0
	s_barrier_signal -1
	s_mov_b32 s11, -1
	s_barrier_wait -1
	s_and_b32 vcc_lo, exec_lo, s13
	s_wait_alu 0xfffe
	s_cbranch_vccnz .LBB83_35
	s_branch .LBB83_63
.LBB83_43:                              ;   in Loop: Header=BB83_20 Depth=1
	v_add_nc_u32_e32 v2, s14, v1
	s_cvt_f32_u32 s11, s14
	s_wait_alu 0xfffe
	s_delay_alu instid0(SALU_CYCLE_2) | instskip(NEXT) | instid1(VALU_DEP_1)
	v_rcp_iflag_f32_e32 v3, s11
	v_max_u32_e32 v2, s36, v2
	s_lshl_b32 s11, s14, 1
	s_delay_alu instid0(VALU_DEP_1) | instskip(NEXT) | instid1(TRANS32_DEP_1)
	v_sub_nc_u32_e32 v2, v2, v0
	v_readfirstlane_b32 s17, v3
	s_wait_alu 0xfffe
	s_delay_alu instid0(VALU_DEP_2) | instskip(SKIP_3) | instid1(VALU_DEP_1)
	v_cmp_ne_u32_e32 vcc_lo, s11, v2
	s_mul_f32 s17, s17, 0x4f7ffffe
	s_wait_alu 0xfffd
	v_cndmask_b32_e64 v3, 0, 1, vcc_lo
	v_or_b32_e32 v3, s11, v3
	s_wait_alu 0xfffe
	s_cvt_u32_f32 s11, s17
	s_sub_co_i32 s17, 0, s14
	s_wait_alu 0xfffe
	s_delay_alu instid0(SALU_CYCLE_1)
	s_mul_i32 s17, s17, s11
	v_sub_nc_u32_e32 v2, v2, v3
	s_wait_alu 0xfffe
	s_mul_hi_u32 s17, s11, s17
	s_wait_alu 0xfffe
	s_add_co_i32 s11, s11, s17
	s_not_b32 s17, s15
	s_wait_alu 0xfffe
	v_mul_hi_u32 v3, v2, s11
	s_delay_alu instid0(VALU_DEP_1) | instskip(NEXT) | instid1(VALU_DEP_1)
	v_mul_lo_u32 v4, v3, s14
	v_sub_nc_u32_e32 v2, v2, v4
	v_add_nc_u32_e32 v4, 1, v3
	s_delay_alu instid0(VALU_DEP_2) | instskip(SKIP_2) | instid1(VALU_DEP_1)
	v_subrev_nc_u32_e32 v5, s14, v2
	v_cmp_le_u32_e64 s11, s14, v2
	s_wait_alu 0xf1ff
	v_cndmask_b32_e64 v3, v3, v4, s11
	s_delay_alu instid0(VALU_DEP_3) | instskip(NEXT) | instid1(VALU_DEP_2)
	v_cndmask_b32_e64 v2, v2, v5, s11
	v_add_nc_u32_e32 v4, 1, v3
	s_delay_alu instid0(VALU_DEP_2) | instskip(SKIP_1) | instid1(VALU_DEP_1)
	v_cmp_le_u32_e64 s11, s14, v2
	s_wait_alu 0xf1ff
	v_cndmask_b32_e64 v2, v3, v4, s11
	v_mul_lo_u32 v3, s38, v1
	s_abs_i32 s11, s15
	s_delay_alu instid0(VALU_DEP_2) | instskip(SKIP_1) | instid1(VALU_DEP_1)
	v_add_co_ci_u32_e64 v2, null, 0, v2, vcc_lo
	s_wait_alu 0xfffe
	v_mul_hi_u32 v4, s11, v2
	v_mul_lo_u32 v2, s11, v2
	s_ashr_i32 s11, s17, 31
	s_cmp_eq_u32 s14, 1
	s_wait_alu 0xfffe
	v_xor_b32_e32 v3, s11, v3
	s_cselect_b32 s17, -1, 0
	s_delay_alu instid0(VALU_DEP_3) | instskip(NEXT) | instid1(VALU_DEP_2)
	v_cmp_eq_u32_e32 vcc_lo, 0, v4
	v_cmp_le_u32_e64 s11, v2, v3
	v_mov_b32_e32 v3, v0
                                        ; implicit-def: $vgpr2
	s_wait_alu 0xfffe
	s_and_b32 s17, vcc_lo, s17
	s_wait_alu 0xfffe
	s_and_b32 s18, s17, s11
	s_mov_b32 s17, -1
	s_wait_alu 0xfffe
	s_and_saveexec_b32 s11, s18
	s_cbranch_execz .LBB83_53
; %bb.44:                               ;   in Loop: Header=BB83_20 Depth=1
	v_add_nc_u32_e32 v4, 3, v1
	v_dual_mov_b32 v38, 0 :: v_dual_add_nc_u32 v3, 2, v1
	v_add_nc_u32_e32 v2, 1, v1
	s_wait_loadcnt 0x0
	v_lshlrev_b32_e32 v36, 24, v35
	v_dual_mov_b32 v8, v4 :: v_dual_mov_b32 v5, v1
	s_delay_alu instid0(VALU_DEP_3)
	v_dual_mov_b32 v7, v3 :: v_dual_mov_b32 v6, v2
                                        ; implicit-def: $vgpr35
	s_and_saveexec_b32 s17, s5
	s_cbranch_execz .LBB83_48
; %bb.45:                               ;   in Loop: Header=BB83_20 Depth=1
	v_dual_mov_b32 v37, v23 :: v_dual_mov_b32 v8, v4
	v_dual_mov_b32 v7, v3 :: v_dual_mov_b32 v6, v2
	v_mov_b32_e32 v5, v1
	s_mov_b32 s18, 0
	s_mov_b32 s19, 0
.LBB83_46:                              ;   Parent Loop BB83_20 Depth=1
                                        ; =>  This Inner Loop Header: Depth=2
	s_delay_alu instid0(VALU_DEP_1)
	v_mul_lo_u32 v2, v5, s65
	v_mul_lo_u32 v38, v6, s66
	v_add_nc_u32_e32 v3, 4, v5
	v_mul_lo_u32 v35, v7, s67
	v_add_nc_u32_e32 v39, 4, v6
	;; [unrolled: 2-line block ×3, first 2 shown]
	v_mul_lo_u32 v53, v3, s65
	v_add_co_u32 v2, s20, s44, v2
	v_add_nc_u32_e32 v41, 4, v8
	v_add_nc_u32_e32 v42, 8, v5
	v_mul_lo_u32 v52, v39, s66
	s_wait_alu 0xf1ff
	v_add_co_ci_u32_e64 v3, null, s45, 0, s20
	v_add_co_u32 v38, s20, s44, v38
	v_add_nc_u32_e32 v43, 8, v6
	v_add_nc_u32_e32 v44, 8, v7
	v_mul_lo_u32 v51, v40, s67
	s_wait_alu 0xf1ff
	v_add_co_ci_u32_e64 v39, null, s45, 0, s20
	v_add_co_u32 v40, s20, s44, v35
	v_add_nc_u32_e32 v45, 8, v8
	v_add_nc_u32_e32 v46, 12, v5
	v_mul_lo_u32 v50, v41, s68
	v_mul_lo_u32 v55, v42, s65
	s_wait_alu 0xf1ff
	v_add_co_ci_u32_e64 v41, null, s45, 0, s20
	v_add_co_u32 v42, s20, s44, v4
	v_add_nc_u32_e32 v47, 12, v6
	v_add_nc_u32_e32 v48, 12, v7
	v_mul_lo_u32 v56, v44, s67
	v_mul_lo_u32 v54, v43, s66
	s_wait_alu 0xf1ff
	v_add_co_ci_u32_e64 v43, null, s45, 0, s20
	v_add_co_u32 v44, s20, s44, v53
	v_add_nc_u32_e32 v49, 12, v8
	v_mul_lo_u32 v58, v45, s68
	v_mul_lo_u32 v60, v46, s65
	s_wait_alu 0xf1ff
	v_add_co_ci_u32_e64 v45, null, s45, 0, s20
	v_add_co_u32 v46, s20, s44, v52
	v_mul_lo_u32 v64, v48, s67
	v_mul_lo_u32 v62, v47, s66
	s_wait_alu 0xf1ff
	v_add_co_ci_u32_e64 v47, null, s45, 0, s20
	v_add_co_u32 v48, s20, s44, v51
	v_mul_lo_u32 v66, v49, s68
	s_wait_alu 0xf1ff
	v_add_co_ci_u32_e64 v49, null, s45, 0, s20
	v_add_co_u32 v50, s20, s44, v50
	s_wait_alu 0xf1ff
	v_add_co_ci_u32_e64 v51, null, s45, 0, s20
	v_add_co_u32 v52, s20, s44, v55
	;; [unrolled: 3-line block ×9, first 2 shown]
	s_wait_alu 0xf1ff
	v_add_co_ci_u32_e64 v67, null, s45, 0, s20
	s_clause 0xf
	global_load_u8 v4, v[40:41], off
	global_load_u8 v40, v[42:43], off
	;; [unrolled: 1-line block ×16, first 2 shown]
	v_add_nc_u32_e32 v37, -4, v37
	s_wait_alu 0xfffe
	v_add_nc_u32_e32 v51, s19, v0
	s_add_co_i32 s19, s19, 16
	v_add_nc_u32_e32 v8, 16, v8
	v_add_nc_u32_e32 v7, 16, v7
	v_cmp_eq_u32_e32 vcc_lo, 0, v37
	v_add_nc_u32_e32 v6, 16, v6
	s_wait_alu 0xfffe
	v_dual_mov_b32 v38, s19 :: v_dual_add_nc_u32 v5, 16, v5
	s_or_b32 s18, vcc_lo, s18
	s_wait_loadcnt 0x9
	v_perm_b32 v4, v39, v4, 0xc0c0004
	s_wait_loadcnt 0x8
	v_perm_b32 v2, v36, v2, 0xc0c0007
	v_perm_b32 v36, v40, v41, 0xc0c0004
	;; [unrolled: 1-line block ×3, first 2 shown]
	s_wait_loadcnt 0x7
	v_perm_b32 v3, v43, v3, 0xc0c0004
	s_wait_loadcnt 0x4
	v_perm_b32 v41, v47, v45, 0xc0c0004
	v_lshl_or_b32 v39, v4, 16, v2
	s_wait_loadcnt 0x2
	v_perm_b32 v44, v48, v49, 0xc0c0004
	s_wait_loadcnt 0x1
	v_perm_b32 v43, v50, v48, 0xc0c0004
	v_perm_b32 v42, v46, v50, 0xc0c0004
	s_wait_loadcnt 0x0
	v_perm_b32 v45, v49, v35, 0xc0c0004
	v_lshl_or_b32 v40, v40, 16, v36
	v_lshl_or_b32 v41, v41, 16, v3
	v_lshl_or_b32 v42, v44, 16, v42
	s_delay_alu instid0(VALU_DEP_4)
	v_lshl_or_b32 v36, v45, 16, v43
	ds_store_b128 v51, v[39:42]
	s_wait_alu 0xfffe
	s_and_not1_b32 exec_lo, exec_lo, s18
	s_cbranch_execnz .LBB83_46
; %bb.47:                               ;   in Loop: Header=BB83_20 Depth=1
	s_or_b32 exec_lo, exec_lo, s18
.LBB83_48:                              ;   in Loop: Header=BB83_20 Depth=1
	s_wait_alu 0xfffe
	s_or_b32 exec_lo, exec_lo, s17
	s_and_saveexec_b32 s17, s6
	s_cbranch_execz .LBB83_52
; %bb.49:                               ;   in Loop: Header=BB83_20 Depth=1
	v_dual_mov_b32 v3, v25 :: v_dual_add_nc_u32 v2, v0, v38
	s_mov_b32 s18, 0
.LBB83_50:                              ;   Parent Loop BB83_20 Depth=1
                                        ; =>  This Inner Loop Header: Depth=2
	v_mul_lo_u32 v4, v5, s65
	v_mul_lo_u32 v35, v6, s66
	;; [unrolled: 1-line block ×4, first 2 shown]
	v_add_nc_u32_e32 v3, -4, v3
	v_add_nc_u32_e32 v8, 4, v8
	v_add_nc_u32_e32 v6, 4, v6
	;; [unrolled: 1-line block ×3, first 2 shown]
	v_add_co_u32 v37, s19, s44, v4
	s_wait_alu 0xf1ff
	v_add_co_ci_u32_e64 v38, null, s45, 0, s19
	v_add_co_u32 v39, s19, s44, v35
	s_wait_alu 0xf1ff
	v_add_co_ci_u32_e64 v40, null, s45, 0, s19
	;; [unrolled: 3-line block ×4, first 2 shown]
	s_clause 0x3
	global_load_u8 v4, v[39:40], off
	global_load_u8 v39, v[41:42], off
	;; [unrolled: 1-line block ×4, first 2 shown]
	v_cmp_eq_u32_e32 vcc_lo, 0, v3
	s_wait_alu 0xfffe
	s_or_b32 s18, vcc_lo, s18
	s_wait_loadcnt 0x2
	v_perm_b32 v38, v4, v39, 0xc0c0004
	s_wait_loadcnt 0x1
	v_perm_b32 v36, v36, v37, 0xc0c0007
	v_perm_b32 v4, v37, v4, 0xc0c0004
	s_wait_loadcnt 0x0
	v_perm_b32 v37, v39, v35, 0xc0c0004
	s_delay_alu instid0(VALU_DEP_3) | instskip(NEXT) | instid1(VALU_DEP_2)
	v_lshl_or_b32 v36, v38, 16, v36
	v_lshl_or_b32 v4, v37, 16, v4
	v_add_nc_u32_e32 v7, 4, v7
	ds_store_b32 v2, v36
	v_add_nc_u32_e32 v2, 4, v2
	v_mov_b32_e32 v36, v4
	s_wait_alu 0xfffe
	s_and_not1_b32 exec_lo, exec_lo, s18
	s_cbranch_execnz .LBB83_50
; %bb.51:                               ;   in Loop: Header=BB83_20 Depth=1
	s_or_b32 exec_lo, exec_lo, s18
.LBB83_52:                              ;   in Loop: Header=BB83_20 Depth=1
	s_wait_alu 0xfffe
	s_or_b32 exec_lo, exec_lo, s17
	v_add_nc_u32_e32 v1, v1, v21
	s_or_not1_b32 s17, s7, exec_lo
	s_delay_alu instid0(VALU_DEP_1)
	v_dual_mov_b32 v3, v22 :: v_dual_add_nc_u32 v2, -1, v1
.LBB83_53:                              ;   in Loop: Header=BB83_20 Depth=1
	s_wait_alu 0xfffe
	s_or_b32 exec_lo, exec_lo, s11
	s_wait_loadcnt 0x0
	v_dual_mov_b32 v4, s15 :: v_dual_mov_b32 v5, v35
	s_and_b32 s11, s17, exec_lo
	s_and_not1_saveexec_b32 s16, s16
	s_cbranch_execz .LBB83_39
.LBB83_54:                              ;   in Loop: Header=BB83_20 Depth=1
	s_wait_loadcnt 0x0
	v_dual_mov_b32 v4, s15 :: v_dual_mov_b32 v5, v35
	v_mov_b32_e32 v3, v0
	s_wait_alu 0xfffe
	s_or_b32 s11, s11, exec_lo
	s_or_b32 exec_lo, exec_lo, s16
	s_wait_alu 0xfffe
	s_and_saveexec_b32 s15, s11
	s_cbranch_execz .LBB83_58
.LBB83_55:                              ;   in Loop: Header=BB83_20 Depth=1
	v_mul_lo_u32 v2, s38, v1
	s_mov_b32 s16, 0
	s_sub_co_i32 s11, 0, s14
.LBB83_56:                              ;   Parent Loop BB83_20 Depth=1
                                        ; =>  This Inner Loop Header: Depth=2
	s_wait_loadcnt 0x0
	global_load_u8 v35, v2, s[44:45]
	v_mov_b32_e32 v6, v1
	ds_store_b8 v3, v5
	s_wait_loadcnt 0x0
	v_dual_mov_b32 v5, v35 :: v_dual_add_nc_u32 v2, v2, v4
	v_add_nc_u32_e32 v1, s14, v6
	v_mov_b32_e32 v3, v6
	s_delay_alu instid0(VALU_DEP_2)
	v_cmp_le_u32_e32 vcc_lo, s36, v1
	s_wait_alu 0xfffe
	s_or_b32 s16, vcc_lo, s16
	s_wait_alu 0xfffe
	s_and_not1_b32 exec_lo, exec_lo, s16
	s_cbranch_execnz .LBB83_56
; %bb.57:                               ;   in Loop: Header=BB83_20 Depth=1
	s_or_b32 exec_lo, exec_lo, s16
	v_add_nc_u32_e32 v2, s11, v1
.LBB83_58:                              ;   in Loop: Header=BB83_20 Depth=1
	s_wait_alu 0xfffe
	s_or_b32 exec_lo, exec_lo, s15
.LBB83_59:                              ;   in Loop: Header=BB83_20 Depth=1
	s_wait_alu 0xfffe
	s_or_b32 exec_lo, exec_lo, s13
	s_wait_loadcnt 0x0
	ds_store_b8 v2, v35
.LBB83_60:                              ;   in Loop: Header=BB83_20 Depth=1
	s_wait_alu 0xfffe
	s_or_b32 exec_lo, exec_lo, s12
	s_wait_loadcnt_dscnt 0x0
	s_barrier_signal -1
	s_barrier_wait -1
	global_inv scope:SCOPE_SE
	s_and_saveexec_b32 s11, s2
; %bb.61:                               ;   in Loop: Header=BB83_20 Depth=1
	v_mov_b32_e32 v1, s36
	ds_store_b32 v18, v1 offset:4104
; %bb.62:                               ;   in Loop: Header=BB83_20 Depth=1
	s_wait_alu 0xfffe
	s_or_b32 exec_lo, exec_lo, s11
	s_mov_b32 s11, -1
	s_wait_loadcnt_dscnt 0x0
	s_barrier_signal -1
	s_barrier_wait -1
.LBB83_63:                              ;   in Loop: Header=BB83_20 Depth=1
	s_wait_alu 0xfffe
	s_and_b32 vcc_lo, exec_lo, s11
	s_mov_b32 s46, 0
	s_wait_alu 0xfffe
	s_cbranch_vccz .LBB83_65
; %bb.64:                               ;   in Loop: Header=BB83_20 Depth=1
	s_wait_loadcnt 0x0
	global_inv scope:SCOPE_SE
	ds_load_b32 v1, v18 offset:4104
	s_wait_dscnt 0x0
	v_readfirstlane_b32 s46, v1
.LBB83_65:                              ;   in Loop: Header=BB83_20 Depth=1
	s_delay_alu instid0(VALU_DEP_1)
	s_cmp_lt_i32 s46, 1
	s_mov_b32 s11, -1
                                        ; implicit-def: $vgpr4
	s_cbranch_scc1 .LBB83_75
; %bb.66:                               ;   in Loop: Header=BB83_20 Depth=1
	s_wait_alu 0xfffe
	s_and_b32 vcc_lo, exec_lo, s11
	s_wait_alu 0xfffe
	s_cbranch_vccnz .LBB83_86
.LBB83_67:                              ;   in Loop: Header=BB83_20 Depth=1
	v_lshlrev_b32_e32 v5, 7, v31
	s_and_saveexec_b32 s11, s3
.LBB83_68:                              ;   in Loop: Header=BB83_20 Depth=1
	s_delay_alu instid0(VALU_DEP_1)
	v_lshl_add_u32 v6, v5, 2, v20
	ds_store_b128 v6, v[1:4]
.LBB83_69:                              ;   in Loop: Header=BB83_20 Depth=1
	s_wait_alu 0xfffe
	s_or_b32 exec_lo, exec_lo, s11
	s_wait_loadcnt_dscnt 0x0
	s_barrier_signal -1
	s_barrier_wait -1
	global_inv scope:SCOPE_SE
	s_and_saveexec_b32 s11, s39
	s_cbranch_execz .LBB83_99
; %bb.70:                               ;   in Loop: Header=BB83_20 Depth=1
	v_mov_b32_e32 v1, 0
	s_and_not1_b32 vcc_lo, exec_lo, s59
	s_wait_alu 0xfffe
	s_cbranch_vccnz .LBB83_98
; %bb.71:                               ;   in Loop: Header=BB83_20 Depth=1
	s_and_not1_b32 vcc_lo, exec_lo, s62
	s_wait_alu 0xfffe
	s_cbranch_vccnz .LBB83_95
; %bb.72:                               ;   in Loop: Header=BB83_20 Depth=1
	v_lshl_add_u32 v2, v31, 9, v30
	v_mov_b32_e32 v1, 0
	s_mov_b32 s12, 0
.LBB83_73:                              ;   Parent Loop BB83_20 Depth=1
                                        ; =>  This Inner Loop Header: Depth=2
	ds_load_2addr_b32 v[3:4], v2 offset1:4
	ds_load_2addr_b32 v[6:7], v2 offset0:8 offset1:12
	ds_load_2addr_b32 v[35:36], v2 offset0:16 offset1:20
	;; [unrolled: 1-line block ×3, first 2 shown]
	v_add_nc_u32_e32 v2, 0x80, v2
	s_wait_alu 0xfffe
	s_add_co_i32 s12, s12, 8
	s_wait_alu 0xfffe
	s_cmp_eq_u32 s63, s12
	s_wait_dscnt 0x3
	v_add3_u32 v1, v3, v1, v4
	s_wait_dscnt 0x2
	s_delay_alu instid0(VALU_DEP_1) | instskip(SKIP_1) | instid1(VALU_DEP_1)
	v_add3_u32 v1, v6, v1, v7
	s_wait_dscnt 0x1
	v_add3_u32 v1, v35, v1, v36
	s_wait_dscnt 0x0
	s_delay_alu instid0(VALU_DEP_1)
	v_add3_u32 v1, v37, v1, v38
	s_cbranch_scc0 .LBB83_73
; %bb.74:                               ;   in Loop: Header=BB83_20 Depth=1
	s_mov_b32 s12, s63
	s_and_not1_b32 vcc_lo, exec_lo, s64
	s_wait_alu 0xfffe
	s_cbranch_vccz .LBB83_96
	s_branch .LBB83_98
.LBB83_75:                              ;   in Loop: Header=BB83_20 Depth=1
	v_dual_mov_b32 v1, 0 :: v_dual_mov_b32 v2, 0
	v_dual_mov_b32 v3, 0 :: v_dual_mov_b32 v4, 0
	s_and_saveexec_b32 s80, s8
	s_cbranch_execz .LBB83_79
; %bb.76:                               ;   in Loop: Header=BB83_20 Depth=1
	v_mov_b32_e32 v5, v17
	s_mov_b32 s81, 0
	s_mov_b32 s82, 0
	s_mov_b32 s83, 0
	s_mov_b32 s84, 0
	s_mov_b32 s85, 0
	s_mov_b32 s86, 0
.LBB83_77:                              ;   Parent Loop BB83_20 Depth=1
                                        ; =>  This Inner Loop Header: Depth=2
	s_wait_alu 0xfffe
	v_add_nc_u32_e32 v1, s82, v28
	v_add_nc_u32_e32 v2, s82, v13
	;; [unrolled: 1-line block ×5, first 2 shown]
	s_clause 0x3
	global_load_i8 v1, v1, s[44:45]
	global_load_i8 v2, v2, s[44:45]
	;; [unrolled: 1-line block ×4, first 2 shown]
	s_add_co_i32 s82, s82, s71
	v_cmp_le_u32_e32 vcc_lo, s69, v5
	s_wait_loadcnt 0x3
	v_add_nc_u32_e32 v1, 0x80, v1
	s_wait_loadcnt 0x2
	v_add_nc_u32_e32 v2, 0x80, v2
	;; [unrolled: 2-line block ×4, first 2 shown]
	v_and_b32_e32 v6, v1, v32
	v_bfe_u32 v1, v1, s79, 2
	v_and_b32_e32 v7, v2, v32
	v_bfe_u32 v2, v2, s79, 2
	;; [unrolled: 2-line block ×3, first 2 shown]
	v_cmp_eq_u32_e64 s11, v6, v14
	v_cmp_eq_u32_e64 s15, 0, v1
	v_and_b32_e32 v35, v4, v32
	v_bfe_u32 v4, v4, s79, 2
	v_cmp_eq_u32_e64 s12, v7, v14
	v_cmp_eq_u32_e64 s16, 0, v2
	;; [unrolled: 1-line block ×4, first 2 shown]
	s_and_b32 s15, s11, s15
	v_cmp_eq_u32_e64 s14, v35, v14
	v_cmp_eq_u32_e64 s18, 0, v4
	;; [unrolled: 1-line block ×5, first 2 shown]
	s_wait_alu 0xfffe
	v_cndmask_b32_e64 v1, 0, 1, s15
	s_and_b32 s15, s12, s16
	v_cmp_eq_u32_e64 s20, 1, v2
	v_cmp_eq_u32_e64 s24, 2, v2
	v_cmp_eq_u32_e64 s28, 3, v2
	s_wait_alu 0xfffe
	v_cndmask_b32_e64 v2, 0, 1, s15
	s_and_b32 s15, s13, s17
	v_cmp_eq_u32_e64 s21, 1, v3
	v_cmp_eq_u32_e64 s25, 2, v3
	v_cmp_eq_u32_e64 s29, 3, v3
	;; [unrolled: 6-line block ×3, first 2 shown]
	s_wait_alu 0xfffe
	v_cndmask_b32_e64 v4, 0, 1, s15
	s_and_b32 s15, s11, s19
	s_wait_alu 0xfffe
	v_cndmask_b32_e64 v6, 0, 1, s15
	s_and_b32 s15, s12, s20
	;; [unrolled: 3-line block ×4, first 2 shown]
	v_cmp_ne_u32_e64 s16, 0, v7
	s_wait_alu 0xfffe
	v_cndmask_b32_e64 v35, 0, 1, s15
	s_and_b32 s15, s11, s23
	s_and_b32 s11, s11, s27
	s_wait_alu 0xfffe
	v_cndmask_b32_e64 v36, 0, 1, s15
	s_and_b32 s15, s12, s24
	v_cndmask_b32_e64 v40, 0, 1, s11
	s_and_b32 s11, s12, s28
	s_wait_alu 0xfffe
	v_cndmask_b32_e64 v37, 0, 1, s15
	s_and_b32 s15, s13, s25
	v_cndmask_b32_e64 v41, 0, 1, s11
	s_and_b32 s11, s13, s29
	s_wait_alu 0xfffe
	v_cndmask_b32_e64 v38, 0, 1, s15
	s_and_b32 s15, s14, s26
	v_cndmask_b32_e64 v42, 0, 1, s11
	s_and_b32 s11, s14, s30
	s_wait_alu 0xfffe
	v_cndmask_b32_e64 v39, 0, 1, s15
	v_cndmask_b32_e64 v43, 0, 1, s11
	v_cmp_ne_u32_e64 s11, 0, v1
	v_cmp_ne_u32_e64 s15, 0, v6
	;; [unrolled: 1-line block ×11, first 2 shown]
	s_bcnt1_i32_b32 s11, s11
	s_bcnt1_i32_b32 s15, s15
	;; [unrolled: 1-line block ×4, first 2 shown]
	v_cmp_ne_u32_e64 s14, 0, v4
	v_cmp_ne_u32_e64 s18, 0, v35
	v_cmp_ne_u32_e64 s22, 0, v39
	v_cmp_ne_u32_e64 s26, 0, v43
	s_bcnt1_i32_b32 s12, s12
	s_bcnt1_i32_b32 s16, s16
	s_bcnt1_i32_b32 s20, s20
	s_bcnt1_i32_b32 s24, s24
	s_wait_alu 0xfffe
	s_add_co_i32 s11, s11, s86
	s_add_co_i32 s15, s15, s85
	s_add_co_i32 s19, s19, s84
	s_add_co_i32 s23, s23, s83
	s_bcnt1_i32_b32 s13, s13
	s_bcnt1_i32_b32 s17, s17
	s_bcnt1_i32_b32 s21, s21
	s_bcnt1_i32_b32 s25, s25
	s_wait_alu 0xfffe
	s_add_co_i32 s11, s11, s12
	s_add_co_i32 s12, s15, s16
	s_add_co_i32 s15, s19, s20
	s_add_co_i32 s16, s23, s24
	;; [unrolled: 9-line block ×3, first 2 shown]
	s_wait_alu 0xfffe
	s_add_co_i32 s86, s11, s14
	s_add_co_i32 s85, s12, s18
	;; [unrolled: 1-line block ×4, first 2 shown]
	s_wait_alu 0xfffe
	v_dual_mov_b32 v1, s86 :: v_dual_mov_b32 v2, s85
	v_dual_mov_b32 v3, s84 :: v_dual_mov_b32 v4, s83
	s_or_b32 s81, vcc_lo, s81
	s_wait_alu 0xfffe
	s_and_not1_b32 exec_lo, exec_lo, s81
	s_cbranch_execnz .LBB83_77
; %bb.78:                               ;   in Loop: Header=BB83_20 Depth=1
	s_or_b32 exec_lo, exec_lo, s81
.LBB83_79:                              ;   in Loop: Header=BB83_20 Depth=1
	s_wait_alu 0xfffe
	s_or_b32 exec_lo, exec_lo, s80
	s_and_saveexec_b32 s15, s9
	s_cbranch_execz .LBB83_85
; %bb.80:                               ;   in Loop: Header=BB83_20 Depth=1
	global_load_u8 v8, v[11:12], off
	v_dual_mov_b32 v5, v29 :: v_dual_mov_b32 v6, v24
	s_mov_b32 s16, 0
	s_branch .LBB83_82
.LBB83_81:                              ;   in Loop: Header=BB83_82 Depth=2
	s_wait_alu 0xfffe
	s_or_b32 exec_lo, exec_lo, s12
	s_wait_loadcnt 0x0
	v_bfe_i32 v8, v8, 0, 8
	s_and_b32 s12, exec_lo, vcc_lo
	v_add_nc_u32_e32 v5, s60, v5
	s_wait_alu 0xfffe
	s_or_b32 s16, s12, s16
	v_add_nc_u32_e32 v8, 0x80, v8
	s_delay_alu instid0(VALU_DEP_1) | instskip(SKIP_1) | instid1(VALU_DEP_2)
	v_and_b32_e32 v35, v8, v32
	v_bfe_u32 v8, v8, s79, 2
	v_cmp_eq_u32_e32 vcc_lo, v35, v14
	s_delay_alu instid0(VALU_DEP_2)
	v_cmp_eq_u32_e64 s11, 0, v8
	v_cmp_eq_u32_e64 s12, 1, v8
	;; [unrolled: 1-line block ×4, first 2 shown]
	s_and_b32 s11, vcc_lo, s11
	s_wait_alu 0xfffe
	v_cndmask_b32_e64 v8, 0, 1, s11
	s_and_b32 s11, vcc_lo, s12
	s_wait_alu 0xfffe
	v_cndmask_b32_e64 v35, 0, 1, s11
	;; [unrolled: 3-line block ×3, first 2 shown]
	s_and_b32 s11, vcc_lo, s14
	v_cmp_ne_u32_e32 vcc_lo, 0, v8
	s_wait_alu 0xfffe
	v_cndmask_b32_e64 v37, 0, 1, s11
	v_cmp_ne_u32_e64 s11, 0, v35
	v_cmp_ne_u32_e64 s12, 0, v36
	v_mov_b32_e32 v8, v7
	s_bcnt1_i32_b32 s14, vcc_lo
	v_cmp_ne_u32_e64 s13, 0, v37
	s_bcnt1_i32_b32 s11, s11
	s_bcnt1_i32_b32 s12, s12
	s_wait_alu 0xfffe
	v_add_nc_u32_e32 v1, s14, v1
	v_add_nc_u32_e32 v2, s11, v2
	s_bcnt1_i32_b32 s13, s13
	v_add_nc_u32_e32 v3, s12, v3
	s_wait_alu 0xfffe
	v_add_nc_u32_e32 v4, s13, v4
	s_and_not1_b32 exec_lo, exec_lo, s16
	s_cbranch_execz .LBB83_84
.LBB83_82:                              ;   Parent Loop BB83_20 Depth=1
                                        ; =>  This Inner Loop Header: Depth=2
	s_delay_alu instid0(VALU_DEP_1) | instskip(SKIP_1) | instid1(VALU_DEP_1)
	v_dual_mov_b32 v7, 0 :: v_dual_add_nc_u32 v6, s37, v6
	s_mov_b32 s12, exec_lo
	v_cmp_le_u32_e32 vcc_lo, s36, v6
	v_cmpx_gt_u32_e64 s36, v6
	s_cbranch_execz .LBB83_81
; %bb.83:                               ;   in Loop: Header=BB83_82 Depth=2
	global_load_u8 v7, v5, s[44:45]
	s_branch .LBB83_81
.LBB83_84:                              ;   in Loop: Header=BB83_20 Depth=1
	s_or_b32 exec_lo, exec_lo, s16
.LBB83_85:                              ;   in Loop: Header=BB83_20 Depth=1
	s_wait_alu 0xfffe
	s_or_b32 exec_lo, exec_lo, s15
	s_branch .LBB83_67
.LBB83_86:                              ;   in Loop: Header=BB83_20 Depth=1
	s_mul_u64 s[12:13], s[46:47], s[48:49]
	v_dual_mov_b32 v1, 0 :: v_dual_mov_b32 v2, 0
	s_wait_alu 0xfffe
	s_mul_i32 s11, s13, s57
	v_dual_mov_b32 v3, 0 :: v_dual_mov_b32 v4, 0
	s_wait_alu 0xfffe
	s_sub_co_i32 s11, s46, s11
	s_mov_b32 s81, exec_lo
	s_wait_alu 0xfffe
	s_sub_co_i32 s12, s11, s57
	s_cmp_ge_u32 s11, s57
	s_wait_alu 0xfffe
	s_cselect_b32 s11, s12, s11
	s_wait_alu 0xfffe
	s_sub_co_i32 s12, s11, s57
	s_cmp_ge_u32 s11, s57
	s_wait_alu 0xfffe
	s_cselect_b32 s11, s12, s11
	s_wait_alu 0xfffe
	s_sub_co_i32 s80, s46, s11
	s_wait_alu 0xfffe
	v_cmpx_gt_u32_e64 s80, v17
	s_cbranch_execz .LBB83_90
; %bb.87:                               ;   in Loop: Header=BB83_20 Depth=1
	v_mov_b32_e32 v5, v17
	s_mov_b32 s82, 0
	s_mov_b32 s83, 0
	;; [unrolled: 1-line block ×5, first 2 shown]
.LBB83_88:                              ;   Parent Loop BB83_20 Depth=1
                                        ; =>  This Inner Loop Header: Depth=2
	ds_load_b32 v1, v5
	s_wait_dscnt 0x0
	v_bfe_i32 v2, v1, 0, 8
	v_bfe_i32 v3, v1, 8, 8
	v_bfe_i32 v4, v1, 16, 8
	v_ashrrev_i32_e32 v1, 24, v1
	s_delay_alu instid0(VALU_DEP_4) | instskip(NEXT) | instid1(VALU_DEP_4)
	v_add_nc_u32_e32 v2, 0x80, v2
	v_add_nc_u32_e32 v3, 0x80, v3
	s_delay_alu instid0(VALU_DEP_4) | instskip(NEXT) | instid1(VALU_DEP_4)
	v_add_nc_u32_e32 v4, 0x80, v4
	v_add_nc_u32_e32 v1, 0x80, v1
	s_delay_alu instid0(VALU_DEP_4)
	v_and_b32_e32 v6, v2, v32
	v_bfe_u32 v2, v2, s79, 2
	v_and_b32_e32 v7, v3, v32
	v_bfe_u32 v3, v3, s79, 2
	;; [unrolled: 2-line block ×3, first 2 shown]
	v_cmp_eq_u32_e64 s11, v6, v14
	v_cmp_eq_u32_e64 s15, 0, v2
	v_and_b32_e32 v35, v1, v32
	v_bfe_u32 v1, v1, s79, 2
	v_cmp_eq_u32_e64 s12, v7, v14
	v_cmp_eq_u32_e64 s16, 0, v3
	;; [unrolled: 1-line block ×4, first 2 shown]
	s_and_b32 s15, s11, s15
	v_cmp_eq_u32_e64 s14, v35, v14
	v_cmp_eq_u32_e64 s18, 0, v1
	;; [unrolled: 1-line block ×5, first 2 shown]
	s_wait_alu 0xfffe
	v_cndmask_b32_e64 v1, 0, 1, s15
	s_and_b32 s15, s12, s16
	v_cmp_eq_u32_e64 s19, 1, v2
	v_cmp_eq_u32_e64 s23, 2, v2
	v_cmp_eq_u32_e64 s27, 3, v2
	s_wait_alu 0xfffe
	v_cndmask_b32_e64 v2, 0, 1, s15
	s_and_b32 s15, s13, s17
	v_cmp_eq_u32_e64 s20, 1, v3
	v_cmp_eq_u32_e64 s24, 2, v3
	v_cmp_eq_u32_e64 s28, 3, v3
	;; [unrolled: 6-line block ×3, first 2 shown]
	s_wait_alu 0xfffe
	v_cndmask_b32_e64 v4, 0, 1, s15
	s_and_b32 s15, s11, s19
	s_wait_alu 0xfffe
	v_cndmask_b32_e64 v6, 0, 1, s15
	s_and_b32 s15, s12, s20
	;; [unrolled: 3-line block ×4, first 2 shown]
	v_cmp_ne_u32_e64 s16, 0, v7
	s_wait_alu 0xfffe
	v_cndmask_b32_e64 v35, 0, 1, s15
	s_and_b32 s15, s11, s23
	s_and_b32 s11, s11, s27
	s_wait_alu 0xfffe
	v_cndmask_b32_e64 v36, 0, 1, s15
	s_and_b32 s15, s12, s24
	v_cndmask_b32_e64 v40, 0, 1, s11
	s_and_b32 s11, s12, s28
	s_wait_alu 0xfffe
	v_cndmask_b32_e64 v37, 0, 1, s15
	s_and_b32 s15, s13, s25
	v_cndmask_b32_e64 v41, 0, 1, s11
	;; [unrolled: 5-line block ×3, first 2 shown]
	s_and_b32 s11, s14, s30
	s_wait_alu 0xfffe
	v_cndmask_b32_e64 v39, 0, 1, s15
	v_cndmask_b32_e64 v43, 0, 1, s11
	v_cmp_ne_u32_e64 s11, 0, v1
	v_cmp_ne_u32_e64 s15, 0, v6
	v_cmp_ne_u32_e64 s12, 0, v2
	v_cmp_ne_u32_e64 s17, 0, v8
	v_cmp_ne_u32_e64 s19, 0, v36
	v_cmp_ne_u32_e64 s23, 0, v40
	s_bcnt1_i32_b32 s11, s11
	s_bcnt1_i32_b32 s15, s15
	v_cmp_ne_u32_e64 s18, 0, v35
	v_cmp_ne_u32_e64 s20, 0, v37
	;; [unrolled: 1-line block ×3, first 2 shown]
	s_bcnt1_i32_b32 s12, s12
	s_bcnt1_i32_b32 s16, s16
	s_wait_alu 0xfffe
	s_add_co_i32 s11, s11, s86
	s_add_co_i32 s15, s15, s85
	v_cmp_ne_u32_e64 s13, 0, v3
	v_cmp_ne_u32_e64 s21, 0, v38
	v_cmp_ne_u32_e64 s25, 0, v42
	s_bcnt1_i32_b32 s17, s17
	s_wait_alu 0xfffe
	s_add_co_i32 s11, s11, s12
	s_add_co_i32 s12, s15, s16
	s_bcnt1_i32_b32 s19, s19
	s_bcnt1_i32_b32 s23, s23
	v_cmp_ne_u32_e64 s14, 0, v4
	v_cmp_ne_u32_e64 s22, 0, v39
	;; [unrolled: 1-line block ×3, first 2 shown]
	s_bcnt1_i32_b32 s18, s18
	s_wait_alu 0xfffe
	s_add_co_i32 s12, s12, s17
	s_bcnt1_i32_b32 s20, s20
	s_bcnt1_i32_b32 s24, s24
	s_add_co_i32 s19, s19, s84
	s_add_co_i32 s23, s23, s83
	s_wait_alu 0xfffe
	s_add_co_i32 s85, s12, s18
	s_wait_alu 0xfffe
	v_dual_mov_b32 v2, s85 :: v_dual_add_nc_u32 v5, s57, v5
	s_bcnt1_i32_b32 s13, s13
	s_bcnt1_i32_b32 s21, s21
	;; [unrolled: 1-line block ×3, first 2 shown]
	s_add_co_i32 s15, s19, s20
	s_add_co_i32 s16, s23, s24
	s_bcnt1_i32_b32 s14, s14
	s_bcnt1_i32_b32 s22, s22
	;; [unrolled: 1-line block ×3, first 2 shown]
	s_wait_alu 0xfffe
	s_add_co_i32 s11, s11, s13
	s_add_co_i32 s13, s15, s21
	;; [unrolled: 1-line block ×3, first 2 shown]
	v_cmp_le_u32_e32 vcc_lo, s80, v5
	s_wait_alu 0xfffe
	s_add_co_i32 s86, s11, s14
	s_add_co_i32 s84, s13, s22
	;; [unrolled: 1-line block ×3, first 2 shown]
	s_wait_alu 0xfffe
	v_mov_b32_e32 v1, s86
	v_dual_mov_b32 v3, s84 :: v_dual_mov_b32 v4, s83
	s_or_b32 s82, vcc_lo, s82
	s_wait_alu 0xfffe
	s_and_not1_b32 exec_lo, exec_lo, s82
	s_cbranch_execnz .LBB83_88
; %bb.89:                               ;   in Loop: Header=BB83_20 Depth=1
	s_or_b32 exec_lo, exec_lo, s82
.LBB83_90:                              ;   in Loop: Header=BB83_20 Depth=1
	s_delay_alu instid0(SALU_CYCLE_1) | instskip(SKIP_2) | instid1(VALU_DEP_1)
	s_or_b32 exec_lo, exec_lo, s81
	v_add_nc_u32_e32 v5, s80, v0
	s_mov_b32 s16, exec_lo
	v_cmpx_gt_u32_e64 s46, v5
	s_cbranch_execz .LBB83_94
; %bb.91:                               ;   in Loop: Header=BB83_20 Depth=1
	s_mov_b32 s17, 0
.LBB83_92:                              ;   Parent Loop BB83_20 Depth=1
                                        ; =>  This Inner Loop Header: Depth=2
	ds_load_i8 v6, v5
	v_add_nc_u32_e32 v5, s37, v5
	s_delay_alu instid0(VALU_DEP_1) | instskip(SKIP_2) | instid1(VALU_DEP_1)
	v_cmp_le_u32_e32 vcc_lo, s46, v5
	s_wait_dscnt 0x0
	v_add_nc_u32_e32 v6, 0x80, v6
	v_and_b32_e32 v7, v6, v32
	v_bfe_u32 v6, v6, s79, 2
	s_delay_alu instid0(VALU_DEP_2) | instskip(NEXT) | instid1(VALU_DEP_2)
	v_cmp_eq_u32_e64 s11, v7, v14
	v_cmp_eq_u32_e64 s12, 0, v6
	;; [unrolled: 1-line block ×5, first 2 shown]
	s_and_b32 s12, s11, s12
	s_wait_alu 0xfffe
	v_cndmask_b32_e64 v6, 0, 1, s12
	s_and_b32 s12, s11, s13
	s_wait_alu 0xfffe
	v_cndmask_b32_e64 v7, 0, 1, s12
	s_and_b32 s12, s11, s14
	s_and_b32 s11, s11, s15
	s_wait_alu 0xfffe
	v_cndmask_b32_e64 v8, 0, 1, s12
	v_cndmask_b32_e64 v35, 0, 1, s11
	v_cmp_ne_u32_e64 s11, 0, v6
	v_cmp_ne_u32_e64 s12, 0, v7
	s_delay_alu instid0(VALU_DEP_4) | instskip(NEXT) | instid1(VALU_DEP_4)
	v_cmp_ne_u32_e64 s13, 0, v8
	v_cmp_ne_u32_e64 s14, 0, v35
	s_bcnt1_i32_b32 s11, s11
	s_bcnt1_i32_b32 s12, s12
	s_wait_alu 0xfffe
	v_add_nc_u32_e32 v1, s11, v1
	s_bcnt1_i32_b32 s13, s13
	s_bcnt1_i32_b32 s14, s14
	v_add_nc_u32_e32 v2, s12, v2
	s_wait_alu 0xfffe
	v_add_nc_u32_e32 v3, s13, v3
	v_add_nc_u32_e32 v4, s14, v4
	s_or_b32 s17, vcc_lo, s17
	s_wait_alu 0xfffe
	s_and_not1_b32 exec_lo, exec_lo, s17
	s_cbranch_execnz .LBB83_92
; %bb.93:                               ;   in Loop: Header=BB83_20 Depth=1
	s_or_b32 exec_lo, exec_lo, s17
.LBB83_94:                              ;   in Loop: Header=BB83_20 Depth=1
	s_wait_alu 0xfffe
	s_or_b32 exec_lo, exec_lo, s16
	v_lshlrev_b32_e32 v5, 7, v31
	s_and_saveexec_b32 s11, s3
	s_cbranch_execnz .LBB83_68
	s_branch .LBB83_69
.LBB83_95:                              ;   in Loop: Header=BB83_20 Depth=1
	v_mov_b32_e32 v1, 0
	s_mov_b32 s12, 0
	s_and_not1_b32 vcc_lo, exec_lo, s64
	s_wait_alu 0xfffe
	s_cbranch_vccnz .LBB83_98
.LBB83_96:                              ;   in Loop: Header=BB83_20 Depth=1
	v_lshlrev_b32_e32 v2, 9, v31
	s_lshl_b32 s12, s12, 4
	s_wait_alu 0xfffe
	s_delay_alu instid0(VALU_DEP_1)
	v_add3_u32 v2, v2, s12, v30
	s_mov_b32 s12, s61
.LBB83_97:                              ;   Parent Loop BB83_20 Depth=1
                                        ; =>  This Inner Loop Header: Depth=2
	ds_load_b32 v3, v2
	v_add_nc_u32_e32 v2, 16, v2
	s_wait_alu 0xfffe
	s_add_co_i32 s12, s12, -1
	s_wait_alu 0xfffe
	s_cmp_lg_u32 s12, 0
	s_wait_dscnt 0x0
	v_add_nc_u32_e32 v1, v3, v1
	s_cbranch_scc1 .LBB83_97
.LBB83_98:                              ;   in Loop: Header=BB83_20 Depth=1
	v_add_lshl_u32 v2, v5, v16, 2
	ds_store_b32 v2, v1 offset:3072
.LBB83_99:                              ;   in Loop: Header=BB83_20 Depth=1
	s_wait_alu 0xfffe
	s_or_b32 exec_lo, exec_lo, s11
	v_lshlrev_b32_e32 v1, 2, v5
	s_wait_loadcnt_dscnt 0x0
	s_barrier_signal -1
	s_barrier_wait -1
	global_inv scope:SCOPE_SE
	ds_load_b128 v[1:4], v1 offset:3072
	s_lshl_b32 s12, 3, s79
	v_cmp_eq_u32_e32 vcc_lo, 1, v34
	s_wait_alu 0xfffe
	s_not_b32 s19, s12
	s_mov_b32 s15, -1
	s_mov_b32 s23, -1
                                        ; implicit-def: $sgpr20
                                        ; implicit-def: $sgpr17
	s_wait_dscnt 0x0
	v_readfirstlane_b32 s14, v1
	v_readfirstlane_b32 s21, v2
	;; [unrolled: 1-line block ×4, first 2 shown]
	s_cmp_eq_u32 s14, 1
	s_cselect_b32 s13, -1, 0
	s_wait_alu 0xfffe
	s_and_b32 s16, s13, vcc_lo
	s_wait_alu 0xfffe
	s_and_saveexec_b32 s13, s16
	s_cbranch_execz .LBB83_125
; %bb.100:                              ;   in Loop: Header=BB83_20 Depth=1
	ds_load_b32 v1, v18 offset:4104
	s_wait_loadcnt_dscnt 0x0
	s_barrier_signal -1
	s_barrier_wait -1
	global_inv scope:SCOPE_SE
	v_readfirstlane_b32 s23, v1
	s_and_saveexec_b32 s17, s1
; %bb.101:                              ;   in Loop: Header=BB83_20 Depth=1
	ds_store_b8 v0, v18 offset:3072
; %bb.102:                              ;   in Loop: Header=BB83_20 Depth=1
	s_wait_alu 0xfffe
	s_or_b32 exec_lo, exec_lo, s17
	v_and_b32_e32 v14, s19, v14
	v_or_b32_e32 v32, s12, v32
	s_mov_b32 s17, -1
	s_mov_b32 s20, 0
	s_cmp_eq_u32 s23, 0
	s_mov_b32 s22, 0
	s_mov_b32 s24, -1
	s_wait_loadcnt_dscnt 0x0
	s_barrier_signal -1
	s_barrier_wait -1
	global_inv scope:SCOPE_SE
                                        ; implicit-def: $vgpr33
	s_cbranch_scc1 .LBB83_113
; %bb.103:                              ;   in Loop: Header=BB83_20 Depth=1
	s_add_co_i32 s46, s23, s56
                                        ; implicit-def: $vgpr33
	s_wait_alu 0xfffe
	s_mul_u64 s[24:25], s[46:47], s[50:51]
	s_wait_alu 0xfffe
	s_mul_i32 s22, s25, s37
	s_mov_b32 s25, exec_lo
	s_wait_alu 0xfffe
	s_sub_co_i32 s22, s46, s22
	s_wait_alu 0xfffe
	s_sub_co_i32 s24, s22, s37
	s_cmp_ge_u32 s22, s37
	s_wait_alu 0xfffe
	s_cselect_b32 s22, s24, s22
	s_wait_alu 0xfffe
	s_sub_co_i32 s24, s22, s37
	s_cmp_ge_u32 s22, s37
	s_wait_alu 0xfffe
	s_cselect_b32 s22, s24, s22
	s_mov_b32 s24, 0
	s_wait_alu 0xfffe
	s_sub_co_i32 s26, s46, s22
	s_mov_b32 s22, 0
	s_wait_alu 0xfffe
	v_cmpx_gt_u32_e64 s26, v0
	s_cbranch_execz .LBB83_112
; %bb.104:                              ;   in Loop: Header=BB83_20 Depth=1
	v_mov_b32_e32 v1, v0
                                        ; implicit-def: $sgpr27
	s_branch .LBB83_107
.LBB83_105:                             ;   in Loop: Header=BB83_107 Depth=2
	s_wait_alu 0xfffe
	s_or_b32 exec_lo, exec_lo, s28
	s_wait_loadcnt_dscnt 0x0
	s_barrier_signal -1
	s_barrier_wait -1
	global_inv scope:SCOPE_SE
	ds_load_u16 v2, v18 offset:3072
	s_mov_b32 s29, -1
	s_mov_b32 s28, -1
	s_wait_loadcnt_dscnt 0x0
	s_barrier_signal -1
	s_barrier_wait -1
	global_inv scope:SCOPE_SE
	v_and_b32_e32 v3, 0xff, v2
	s_delay_alu instid0(VALU_DEP_1)
	v_cmp_ne_u32_e32 vcc_lo, 0, v3
	s_cbranch_vccz .LBB83_110
.LBB83_106:                             ;   in Loop: Header=BB83_107 Depth=2
	s_wait_alu 0xfffe
	s_and_b32 s29, exec_lo, s29
	s_wait_alu 0xfffe
	s_or_b32 s22, s29, s22
	s_and_not1_b32 s27, s27, exec_lo
	s_and_b32 s28, s28, exec_lo
	s_wait_alu 0xfffe
	s_or_b32 s27, s27, s28
	s_and_not1_b32 exec_lo, exec_lo, s22
	s_cbranch_execz .LBB83_111
.LBB83_107:                             ;   Parent Loop BB83_20 Depth=1
                                        ; =>  This Inner Loop Header: Depth=2
	s_mov_b32 s28, exec_lo
	s_delay_alu instid0(VALU_DEP_1)
	v_cmpx_gt_u32_e64 s23, v1
	s_cbranch_execz .LBB83_105
; %bb.108:                              ;   in Loop: Header=BB83_107 Depth=2
	ds_load_u8 v2, v1
	s_wait_dscnt 0x0
	v_bfe_i32 v3, v2, 0, 8
	s_delay_alu instid0(VALU_DEP_1) | instskip(NEXT) | instid1(VALU_DEP_1)
	v_add_nc_u32_e32 v3, 0x80, v3
	v_and_b32_e32 v3, v3, v32
	s_delay_alu instid0(VALU_DEP_1)
	v_cmp_eq_u32_e32 vcc_lo, v3, v14
	s_and_b32 exec_lo, exec_lo, vcc_lo
	s_cbranch_execz .LBB83_105
; %bb.109:                              ;   in Loop: Header=BB83_107 Depth=2
	v_lshlrev_b16 v2, 8, v2
	s_delay_alu instid0(VALU_DEP_1)
	v_or_b32_e32 v2, 1, v2
	ds_store_b16 v18, v2 offset:3072
	s_branch .LBB83_105
.LBB83_110:                             ;   in Loop: Header=BB83_107 Depth=2
	v_add_nc_u32_e32 v1, s37, v1
	s_mov_b32 s28, 0
	s_delay_alu instid0(VALU_DEP_1)
	v_cmp_le_u32_e32 vcc_lo, s26, v1
	s_or_not1_b32 s29, vcc_lo, exec_lo
	s_branch .LBB83_106
.LBB83_111:                             ;   in Loop: Header=BB83_20 Depth=1
	s_or_b32 exec_lo, exec_lo, s22
	v_and_b32_e32 v1, 0xffff, v2
	s_wait_alu 0xfffe
	s_and_b32 s22, s27, exec_lo
	s_delay_alu instid0(VALU_DEP_1)
	v_lshrrev_b32_e32 v33, 8, v1
.LBB83_112:                             ;   in Loop: Header=BB83_20 Depth=1
	s_or_b32 exec_lo, exec_lo, s25
.LBB83_113:                             ;   in Loop: Header=BB83_20 Depth=1
	s_wait_alu 0xfffe
	s_and_b32 vcc_lo, exec_lo, s24
	s_wait_alu 0xfffe
	s_cbranch_vccz .LBB83_124
; %bb.114:                              ;   in Loop: Header=BB83_20 Depth=1
                                        ; implicit-def: $vgpr33
	s_and_saveexec_b32 s17, s10
	s_cbranch_execz .LBB83_123
; %bb.115:                              ;   in Loop: Header=BB83_20 Depth=1
	v_dual_mov_b32 v1, v15 :: v_dual_mov_b32 v2, v0
	s_mov_b32 s23, 0
                                        ; implicit-def: $sgpr20
	s_branch .LBB83_118
.LBB83_116:                             ;   in Loop: Header=BB83_118 Depth=2
	s_wait_alu 0xfffe
	s_or_b32 exec_lo, exec_lo, s24
	s_wait_loadcnt_dscnt 0x0
	s_barrier_signal -1
	s_barrier_wait -1
	global_inv scope:SCOPE_SE
	ds_load_u16 v3, v18 offset:3072
	s_mov_b32 s24, -1
	s_mov_b32 s25, -1
	s_wait_loadcnt_dscnt 0x0
	s_barrier_signal -1
	s_barrier_wait -1
	global_inv scope:SCOPE_SE
	v_and_b32_e32 v4, 0xff, v3
	s_delay_alu instid0(VALU_DEP_1)
	v_cmp_ne_u32_e32 vcc_lo, 0, v4
	s_cbranch_vccz .LBB83_121
.LBB83_117:                             ;   in Loop: Header=BB83_118 Depth=2
	s_wait_alu 0xfffe
	s_and_b32 s24, exec_lo, s24
	s_wait_alu 0xfffe
	s_or_b32 s23, s24, s23
	s_and_not1_b32 s20, s20, exec_lo
	s_and_b32 s24, s25, exec_lo
	s_wait_alu 0xfffe
	s_or_b32 s20, s20, s24
	s_and_not1_b32 exec_lo, exec_lo, s23
	s_cbranch_execz .LBB83_122
.LBB83_118:                             ;   Parent Loop BB83_20 Depth=1
                                        ; =>  This Inner Loop Header: Depth=2
	s_mov_b32 s24, exec_lo
	s_delay_alu instid0(VALU_DEP_1)
	v_cmpx_gt_u32_e64 s36, v2
	s_cbranch_execz .LBB83_116
; %bb.119:                              ;   in Loop: Header=BB83_118 Depth=2
	global_load_u8 v3, v1, s[44:45]
	s_wait_loadcnt 0x0
	v_bfe_i32 v4, v3, 0, 8
	s_delay_alu instid0(VALU_DEP_1) | instskip(NEXT) | instid1(VALU_DEP_1)
	v_add_nc_u32_e32 v4, 0x80, v4
	v_and_b32_e32 v4, v4, v32
	s_delay_alu instid0(VALU_DEP_1)
	v_cmp_eq_u32_e32 vcc_lo, v4, v14
	s_and_b32 exec_lo, exec_lo, vcc_lo
	s_cbranch_execz .LBB83_116
; %bb.120:                              ;   in Loop: Header=BB83_118 Depth=2
	v_lshlrev_b16 v3, 8, v3
	s_delay_alu instid0(VALU_DEP_1)
	v_or_b32_e32 v3, 1, v3
	ds_store_b16 v18, v3 offset:3072
	s_branch .LBB83_116
.LBB83_121:                             ;   in Loop: Header=BB83_118 Depth=2
	v_add_nc_u32_e32 v2, s37, v2
	v_add_nc_u32_e32 v1, s60, v1
	s_mov_b32 s25, 0
	s_delay_alu instid0(VALU_DEP_2)
	v_cmp_le_u32_e32 vcc_lo, s70, v2
	s_or_not1_b32 s24, vcc_lo, exec_lo
	s_branch .LBB83_117
.LBB83_122:                             ;   in Loop: Header=BB83_20 Depth=1
	s_or_b32 exec_lo, exec_lo, s23
	v_and_b32_e32 v1, 0xffff, v3
	s_and_not1_b32 s22, s22, exec_lo
	s_wait_alu 0xfffe
	s_and_b32 s20, s20, exec_lo
	s_wait_alu 0xfffe
	s_or_b32 s22, s22, s20
	v_lshrrev_b32_e32 v33, 8, v1
.LBB83_123:                             ;   in Loop: Header=BB83_20 Depth=1
	s_wait_alu 0xfffe
	s_or_b32 exec_lo, exec_lo, s17
	s_mov_b32 s17, 0
	s_mov_b32 s20, -1
.LBB83_124:                             ;   in Loop: Header=BB83_20 Depth=1
	s_or_not1_b32 s23, s22, exec_lo
.LBB83_125:                             ;   in Loop: Header=BB83_20 Depth=1
	s_wait_alu 0xfffe
	s_or_b32 exec_lo, exec_lo, s13
	v_readfirstlane_b32 s22, v0
	s_and_not1_b32 s13, s77, exec_lo
	s_and_b32 s20, s20, exec_lo
	s_and_not1_b32 s24, s75, exec_lo
	s_and_b32 s17, s17, exec_lo
	s_and_not1_b32 s74, s74, exec_lo
	s_wait_alu 0xfffe
	s_or_b32 s77, s13, s20
	s_or_b32 s75, s24, s17
                                        ; implicit-def: $vgpr2
	s_and_saveexec_b32 s13, s23
	s_cbranch_execz .LBB83_19
; %bb.126:                              ;   in Loop: Header=BB83_20 Depth=1
	v_dual_mov_b32 v2, 1 :: v_dual_mov_b32 v1, 1
	s_xor_b32 s16, s16, -1
	s_mov_b32 s22, 0
	s_wait_alu 0xfffe
	s_and_saveexec_b32 s15, s16
	s_cbranch_execz .LBB83_135
; %bb.127:                              ;   in Loop: Header=BB83_20 Depth=1
	s_mov_b32 s16, exec_lo
	v_cmpx_ge_u32_e64 s14, v34
	s_wait_alu 0xfffe
	s_xor_b32 s16, exec_lo, s16
	s_cbranch_execz .LBB83_132
; %bb.128:                              ;   in Loop: Header=BB83_20 Depth=1
	ds_load_b32 v1, v18 offset:4104
	v_and_b32_e32 v14, s19, v14
	v_or_b32_e32 v32, s12, v32
	s_wait_dscnt 0x0
	v_cmp_ne_u32_e32 vcc_lo, 0, v1
	s_cbranch_vccnz .LBB83_132
; %bb.129:                              ;   in Loop: Header=BB83_20 Depth=1
	s_and_saveexec_b32 s17, s2
; %bb.130:                              ;   in Loop: Header=BB83_20 Depth=1
	v_mov_b32_e32 v1, s14
	ds_store_b32 v18, v1 offset:4108
; %bb.131:                              ;   in Loop: Header=BB83_20 Depth=1
	s_wait_alu 0xfffe
	s_or_b32 exec_lo, exec_lo, s17
	s_wait_loadcnt_dscnt 0x0
	s_barrier_signal -1
	s_barrier_wait -1
	global_inv scope:SCOPE_SE
.LBB83_132:                             ;   in Loop: Header=BB83_20 Depth=1
	s_wait_alu 0xfffe
	s_or_saveexec_b32 s16, s16
	v_mov_b32_e32 v1, 8
	s_mov_b32 s17, 0
	s_wait_alu 0xfffe
	s_xor_b32 exec_lo, exec_lo, s16
; %bb.133:                              ;   in Loop: Header=BB83_20 Depth=1
	v_subrev_nc_u32_e32 v34, s14, v34
	v_mov_b32_e32 v1, 0
	s_mov_b32 s17, exec_lo
; %bb.134:                              ;   in Loop: Header=BB83_20 Depth=1
	s_or_b32 exec_lo, exec_lo, s16
	s_delay_alu instid0(VALU_DEP_2)
	v_mov_b32_e32 v2, v34
	s_wait_alu 0xfffe
	s_and_b32 s22, s17, exec_lo
.LBB83_135:                             ;   in Loop: Header=BB83_20 Depth=1
	s_wait_alu 0xfffe
	s_or_b32 exec_lo, exec_lo, s15
	s_mov_b32 s14, -1
	s_mov_b32 s20, -1
                                        ; implicit-def: $sgpr16
                                        ; implicit-def: $sgpr17
	s_and_saveexec_b32 s15, s22
	s_wait_alu 0xfffe
	s_xor_b32 s15, exec_lo, s15
	s_cbranch_execz .LBB83_252
; %bb.136:                              ;   in Loop: Header=BB83_20 Depth=1
	v_cmp_eq_u32_e32 vcc_lo, 1, v2
	s_cmp_eq_u32 s21, 1
	s_mov_b32 s23, -1
	s_cselect_b32 s16, -1, 0
                                        ; implicit-def: $sgpr17
	s_wait_alu 0xfffe
	s_and_b32 s22, s16, vcc_lo
                                        ; implicit-def: $sgpr16
	s_wait_alu 0xfffe
	s_and_saveexec_b32 s20, s22
	s_cbranch_execz .LBB83_162
; %bb.137:                              ;   in Loop: Header=BB83_20 Depth=1
	ds_load_b32 v3, v18 offset:4104
	s_wait_loadcnt_dscnt 0x0
	s_barrier_signal -1
	s_barrier_wait -1
	global_inv scope:SCOPE_SE
	v_readfirstlane_b32 s24, v3
	s_and_saveexec_b32 s16, s1
; %bb.138:                              ;   in Loop: Header=BB83_20 Depth=1
	ds_store_b8 v0, v18 offset:3072
; %bb.139:                              ;   in Loop: Header=BB83_20 Depth=1
	s_wait_alu 0xfffe
	s_or_b32 exec_lo, exec_lo, s16
	s_lshl_b32 s16, 1, s79
	v_or_b32_e32 v32, s12, v32
	s_wait_alu 0xfffe
	v_and_or_b32 v14, v14, s19, s16
	s_mov_b32 s16, -1
	s_mov_b32 s17, 0
	s_cmp_eq_u32 s24, 0
	s_mov_b32 s23, 0
	s_mov_b32 s25, -1
	s_wait_loadcnt_dscnt 0x0
	s_barrier_signal -1
	s_barrier_wait -1
	global_inv scope:SCOPE_SE
                                        ; implicit-def: $vgpr33
	s_cbranch_scc1 .LBB83_150
; %bb.140:                              ;   in Loop: Header=BB83_20 Depth=1
	s_add_co_i32 s46, s24, s56
                                        ; implicit-def: $vgpr33
	s_wait_alu 0xfffe
	s_mul_u64 s[26:27], s[46:47], s[50:51]
	s_mov_b32 s26, exec_lo
	s_wait_alu 0xfffe
	s_mul_i32 s23, s27, s37
	s_wait_alu 0xfffe
	s_sub_co_i32 s23, s46, s23
	s_wait_alu 0xfffe
	s_sub_co_i32 s25, s23, s37
	s_cmp_ge_u32 s23, s37
	s_wait_alu 0xfffe
	s_cselect_b32 s23, s25, s23
	s_wait_alu 0xfffe
	s_sub_co_i32 s25, s23, s37
	s_cmp_ge_u32 s23, s37
	s_wait_alu 0xfffe
	s_cselect_b32 s23, s25, s23
	s_mov_b32 s25, 0
	s_wait_alu 0xfffe
	s_sub_co_i32 s27, s46, s23
	s_mov_b32 s23, 0
	s_wait_alu 0xfffe
	v_cmpx_gt_u32_e64 s27, v0
	s_cbranch_execz .LBB83_149
; %bb.141:                              ;   in Loop: Header=BB83_20 Depth=1
	v_mov_b32_e32 v3, v0
                                        ; implicit-def: $sgpr28
	s_branch .LBB83_144
.LBB83_142:                             ;   in Loop: Header=BB83_144 Depth=2
	s_wait_alu 0xfffe
	s_or_b32 exec_lo, exec_lo, s29
	s_wait_loadcnt_dscnt 0x0
	s_barrier_signal -1
	s_barrier_wait -1
	global_inv scope:SCOPE_SE
	ds_load_u16 v4, v18 offset:3072
	s_mov_b32 s30, -1
	s_mov_b32 s29, -1
	s_wait_loadcnt_dscnt 0x0
	s_barrier_signal -1
	s_barrier_wait -1
	global_inv scope:SCOPE_SE
	v_and_b32_e32 v5, 0xff, v4
	s_delay_alu instid0(VALU_DEP_1)
	v_cmp_ne_u32_e32 vcc_lo, 0, v5
	s_cbranch_vccz .LBB83_147
.LBB83_143:                             ;   in Loop: Header=BB83_144 Depth=2
	s_wait_alu 0xfffe
	s_and_b32 s30, exec_lo, s30
	s_wait_alu 0xfffe
	s_or_b32 s23, s30, s23
	s_and_not1_b32 s28, s28, exec_lo
	s_and_b32 s29, s29, exec_lo
	s_wait_alu 0xfffe
	s_or_b32 s28, s28, s29
	s_and_not1_b32 exec_lo, exec_lo, s23
	s_cbranch_execz .LBB83_148
.LBB83_144:                             ;   Parent Loop BB83_20 Depth=1
                                        ; =>  This Inner Loop Header: Depth=2
	s_mov_b32 s29, exec_lo
	s_delay_alu instid0(VALU_DEP_1)
	v_cmpx_gt_u32_e64 s24, v3
	s_cbranch_execz .LBB83_142
; %bb.145:                              ;   in Loop: Header=BB83_144 Depth=2
	ds_load_u8 v4, v3
	s_wait_dscnt 0x0
	v_bfe_i32 v5, v4, 0, 8
	s_delay_alu instid0(VALU_DEP_1) | instskip(NEXT) | instid1(VALU_DEP_1)
	v_add_nc_u32_e32 v5, 0x80, v5
	v_and_b32_e32 v5, v5, v32
	s_delay_alu instid0(VALU_DEP_1)
	v_cmp_eq_u32_e32 vcc_lo, v5, v14
	s_and_b32 exec_lo, exec_lo, vcc_lo
	s_cbranch_execz .LBB83_142
; %bb.146:                              ;   in Loop: Header=BB83_144 Depth=2
	v_lshlrev_b16 v4, 8, v4
	s_delay_alu instid0(VALU_DEP_1)
	v_or_b32_e32 v4, 1, v4
	ds_store_b16 v18, v4 offset:3072
	s_branch .LBB83_142
.LBB83_147:                             ;   in Loop: Header=BB83_144 Depth=2
	v_add_nc_u32_e32 v3, s37, v3
	s_mov_b32 s29, 0
	s_delay_alu instid0(VALU_DEP_1)
	v_cmp_le_u32_e32 vcc_lo, s27, v3
	s_or_not1_b32 s30, vcc_lo, exec_lo
	s_branch .LBB83_143
.LBB83_148:                             ;   in Loop: Header=BB83_20 Depth=1
	s_or_b32 exec_lo, exec_lo, s23
	v_and_b32_e32 v3, 0xffff, v4
	s_wait_alu 0xfffe
	s_and_b32 s23, s28, exec_lo
	s_delay_alu instid0(VALU_DEP_1)
	v_lshrrev_b32_e32 v33, 8, v3
.LBB83_149:                             ;   in Loop: Header=BB83_20 Depth=1
	s_or_b32 exec_lo, exec_lo, s26
.LBB83_150:                             ;   in Loop: Header=BB83_20 Depth=1
	s_wait_alu 0xfffe
	s_and_b32 vcc_lo, exec_lo, s25
	s_wait_alu 0xfffe
	s_cbranch_vccz .LBB83_161
; %bb.151:                              ;   in Loop: Header=BB83_20 Depth=1
                                        ; implicit-def: $vgpr33
	s_and_saveexec_b32 s16, s10
	s_cbranch_execz .LBB83_160
; %bb.152:                              ;   in Loop: Header=BB83_20 Depth=1
	v_dual_mov_b32 v3, v15 :: v_dual_mov_b32 v4, v0
	s_mov_b32 s17, 0
                                        ; implicit-def: $sgpr24
	s_branch .LBB83_155
.LBB83_153:                             ;   in Loop: Header=BB83_155 Depth=2
	s_wait_alu 0xfffe
	s_or_b32 exec_lo, exec_lo, s25
	s_wait_loadcnt_dscnt 0x0
	s_barrier_signal -1
	s_barrier_wait -1
	global_inv scope:SCOPE_SE
	ds_load_u16 v5, v18 offset:3072
	s_mov_b32 s25, -1
	s_mov_b32 s26, -1
	s_wait_loadcnt_dscnt 0x0
	s_barrier_signal -1
	s_barrier_wait -1
	global_inv scope:SCOPE_SE
	v_and_b32_e32 v6, 0xff, v5
	s_delay_alu instid0(VALU_DEP_1)
	v_cmp_eq_u32_e32 vcc_lo, 0, v6
	s_cbranch_vccnz .LBB83_158
.LBB83_154:                             ;   in Loop: Header=BB83_155 Depth=2
	s_wait_alu 0xfffe
	s_and_b32 s25, exec_lo, s25
	s_wait_alu 0xfffe
	s_or_b32 s17, s25, s17
	s_and_not1_b32 s24, s24, exec_lo
	s_and_b32 s25, s26, exec_lo
	s_wait_alu 0xfffe
	s_or_b32 s24, s24, s25
	s_and_not1_b32 exec_lo, exec_lo, s17
	s_cbranch_execz .LBB83_159
.LBB83_155:                             ;   Parent Loop BB83_20 Depth=1
                                        ; =>  This Inner Loop Header: Depth=2
	s_mov_b32 s25, exec_lo
	s_delay_alu instid0(VALU_DEP_1)
	v_cmpx_gt_u32_e64 s36, v4
	s_cbranch_execz .LBB83_153
; %bb.156:                              ;   in Loop: Header=BB83_155 Depth=2
	global_load_u8 v5, v3, s[44:45]
	s_wait_loadcnt 0x0
	v_bfe_i32 v6, v5, 0, 8
	s_delay_alu instid0(VALU_DEP_1) | instskip(NEXT) | instid1(VALU_DEP_1)
	v_add_nc_u32_e32 v6, 0x80, v6
	v_and_b32_e32 v6, v6, v32
	s_delay_alu instid0(VALU_DEP_1)
	v_cmp_eq_u32_e32 vcc_lo, v6, v14
	s_and_b32 exec_lo, exec_lo, vcc_lo
	s_cbranch_execz .LBB83_153
; %bb.157:                              ;   in Loop: Header=BB83_155 Depth=2
	v_lshlrev_b16 v5, 8, v5
	s_delay_alu instid0(VALU_DEP_1)
	v_or_b32_e32 v5, 1, v5
	ds_store_b16 v18, v5 offset:3072
	s_branch .LBB83_153
.LBB83_158:                             ;   in Loop: Header=BB83_155 Depth=2
	v_add_nc_u32_e32 v4, s37, v4
	v_add_nc_u32_e32 v3, s60, v3
	s_mov_b32 s26, 0
	s_delay_alu instid0(VALU_DEP_2)
	v_cmp_le_u32_e32 vcc_lo, s70, v4
	s_or_not1_b32 s25, vcc_lo, exec_lo
	s_branch .LBB83_154
.LBB83_159:                             ;   in Loop: Header=BB83_20 Depth=1
	s_or_b32 exec_lo, exec_lo, s17
	v_and_b32_e32 v3, 0xffff, v5
	s_and_not1_b32 s17, s23, exec_lo
	s_wait_alu 0xfffe
	s_and_b32 s23, s24, exec_lo
	s_wait_alu 0xfffe
	s_or_b32 s23, s17, s23
	v_lshrrev_b32_e32 v33, 8, v3
.LBB83_160:                             ;   in Loop: Header=BB83_20 Depth=1
	s_wait_alu 0xfffe
	s_or_b32 exec_lo, exec_lo, s16
	s_mov_b32 s16, 0
	s_mov_b32 s17, -1
.LBB83_161:                             ;   in Loop: Header=BB83_20 Depth=1
	s_or_not1_b32 s23, s23, exec_lo
.LBB83_162:                             ;   in Loop: Header=BB83_20 Depth=1
	s_wait_alu 0xfffe
	s_or_b32 exec_lo, exec_lo, s20
	s_mov_b32 s24, 0
	s_and_saveexec_b32 s20, s23
	s_cbranch_execz .LBB83_251
; %bb.163:                              ;   in Loop: Header=BB83_20 Depth=1
	v_mov_b32_e32 v3, 1
	v_mov_b32_e32 v1, 1
	s_xor_b32 s23, s22, -1
	s_mov_b32 s25, 0
	s_wait_alu 0xfffe
	s_and_saveexec_b32 s22, s23
	s_cbranch_execz .LBB83_172
; %bb.164:                              ;   in Loop: Header=BB83_20 Depth=1
	s_mov_b32 s23, exec_lo
	v_cmpx_ge_u32_e64 s21, v2
	s_wait_alu 0xfffe
	s_xor_b32 s23, exec_lo, s23
	s_cbranch_execz .LBB83_169
; %bb.165:                              ;   in Loop: Header=BB83_20 Depth=1
	ds_load_b32 v1, v18 offset:4104
	s_lshl_b32 s24, 1, s79
	v_or_b32_e32 v32, s12, v32
	s_wait_alu 0xfffe
	v_and_or_b32 v14, v14, s19, s24
	s_wait_dscnt 0x0
	v_cmp_ne_u32_e32 vcc_lo, 0, v1
	s_cbranch_vccnz .LBB83_169
; %bb.166:                              ;   in Loop: Header=BB83_20 Depth=1
	s_and_saveexec_b32 s24, s2
; %bb.167:                              ;   in Loop: Header=BB83_20 Depth=1
	v_mov_b32_e32 v1, s21
	ds_store_b32 v18, v1 offset:4108
; %bb.168:                              ;   in Loop: Header=BB83_20 Depth=1
	s_wait_alu 0xfffe
	s_or_b32 exec_lo, exec_lo, s24
	s_wait_loadcnt_dscnt 0x0
	s_barrier_signal -1
	s_barrier_wait -1
	global_inv scope:SCOPE_SE
.LBB83_169:                             ;   in Loop: Header=BB83_20 Depth=1
	s_wait_alu 0xfffe
	s_or_saveexec_b32 s23, s23
	v_mov_b32_e32 v1, 8
	s_mov_b32 s24, 0
	s_wait_alu 0xfffe
	s_xor_b32 exec_lo, exec_lo, s23
; %bb.170:                              ;   in Loop: Header=BB83_20 Depth=1
	v_subrev_nc_u32_e32 v2, s21, v2
	v_mov_b32_e32 v1, 0
	s_mov_b32 s24, exec_lo
; %bb.171:                              ;   in Loop: Header=BB83_20 Depth=1
	s_or_b32 exec_lo, exec_lo, s23
	s_delay_alu instid0(VALU_DEP_2)
	v_mov_b32_e32 v3, v2
	s_wait_alu 0xfffe
	s_and_b32 s25, s24, exec_lo
.LBB83_172:                             ;   in Loop: Header=BB83_20 Depth=1
	s_wait_alu 0xfffe
	s_or_b32 exec_lo, exec_lo, s22
	s_mov_b32 s24, -1
                                        ; implicit-def: $sgpr22
                                        ; implicit-def: $sgpr23
	s_and_saveexec_b32 s21, s25
	s_cbranch_execz .LBB83_250
; %bb.173:                              ;   in Loop: Header=BB83_20 Depth=1
	v_cmp_eq_u32_e32 vcc_lo, 1, v3
	s_cmp_eq_u32 s18, 1
	s_mov_b32 s26, -1
	s_cselect_b32 s22, -1, 0
                                        ; implicit-def: $sgpr23
	s_wait_alu 0xfffe
	s_and_b32 s25, s22, vcc_lo
                                        ; implicit-def: $sgpr22
	s_wait_alu 0xfffe
	s_and_saveexec_b32 s24, s25
	s_cbranch_execz .LBB83_199
; %bb.174:                              ;   in Loop: Header=BB83_20 Depth=1
	ds_load_b32 v2, v18 offset:4104
	s_wait_loadcnt_dscnt 0x0
	s_barrier_signal -1
	s_barrier_wait -1
	global_inv scope:SCOPE_SE
	v_readfirstlane_b32 s27, v2
	s_and_saveexec_b32 s22, s1
; %bb.175:                              ;   in Loop: Header=BB83_20 Depth=1
	ds_store_b8 v0, v18 offset:3072
; %bb.176:                              ;   in Loop: Header=BB83_20 Depth=1
	s_wait_alu 0xfffe
	s_or_b32 exec_lo, exec_lo, s22
	s_lshl_b32 s22, 2, s79
	v_or_b32_e32 v32, s12, v32
	s_wait_alu 0xfffe
	v_and_or_b32 v14, v14, s19, s22
	s_mov_b32 s22, -1
	s_mov_b32 s23, 0
	s_cmp_eq_u32 s27, 0
	s_mov_b32 s26, 0
	s_mov_b32 s28, -1
	s_wait_loadcnt_dscnt 0x0
	s_barrier_signal -1
	s_barrier_wait -1
	global_inv scope:SCOPE_SE
                                        ; implicit-def: $vgpr33
	s_cbranch_scc1 .LBB83_187
; %bb.177:                              ;   in Loop: Header=BB83_20 Depth=1
	s_add_co_i32 s46, s27, s56
                                        ; implicit-def: $vgpr33
	s_wait_alu 0xfffe
	s_mul_u64 s[28:29], s[46:47], s[50:51]
	s_wait_alu 0xfffe
	s_mul_i32 s26, s29, s37
	s_mov_b32 s29, exec_lo
	s_wait_alu 0xfffe
	s_sub_co_i32 s26, s46, s26
	s_wait_alu 0xfffe
	s_sub_co_i32 s28, s26, s37
	s_cmp_ge_u32 s26, s37
	s_wait_alu 0xfffe
	s_cselect_b32 s26, s28, s26
	s_wait_alu 0xfffe
	s_sub_co_i32 s28, s26, s37
	s_cmp_ge_u32 s26, s37
	s_wait_alu 0xfffe
	s_cselect_b32 s26, s28, s26
	s_mov_b32 s28, 0
	s_wait_alu 0xfffe
	s_sub_co_i32 s30, s46, s26
	s_mov_b32 s26, 0
	s_wait_alu 0xfffe
	v_cmpx_gt_u32_e64 s30, v0
	s_cbranch_execz .LBB83_186
; %bb.178:                              ;   in Loop: Header=BB83_20 Depth=1
	v_mov_b32_e32 v2, v0
                                        ; implicit-def: $sgpr46
	s_branch .LBB83_181
.LBB83_179:                             ;   in Loop: Header=BB83_181 Depth=2
	s_wait_alu 0xfffe
	s_or_b32 exec_lo, exec_lo, s80
	s_wait_loadcnt_dscnt 0x0
	s_barrier_signal -1
	s_barrier_wait -1
	global_inv scope:SCOPE_SE
	ds_load_u16 v4, v18 offset:3072
	s_mov_b32 s81, -1
	s_mov_b32 s80, -1
	s_wait_loadcnt_dscnt 0x0
	s_barrier_signal -1
	s_barrier_wait -1
	global_inv scope:SCOPE_SE
	v_and_b32_e32 v5, 0xff, v4
	s_delay_alu instid0(VALU_DEP_1)
	v_cmp_ne_u32_e32 vcc_lo, 0, v5
	s_cbranch_vccz .LBB83_184
.LBB83_180:                             ;   in Loop: Header=BB83_181 Depth=2
	s_wait_alu 0xfffe
	s_and_b32 s81, exec_lo, s81
	s_wait_alu 0xfffe
	s_or_b32 s26, s81, s26
	s_and_not1_b32 s46, s46, exec_lo
	s_and_b32 s80, s80, exec_lo
	s_wait_alu 0xfffe
	s_or_b32 s46, s46, s80
	s_and_not1_b32 exec_lo, exec_lo, s26
	s_cbranch_execz .LBB83_185
.LBB83_181:                             ;   Parent Loop BB83_20 Depth=1
                                        ; =>  This Inner Loop Header: Depth=2
	s_mov_b32 s80, exec_lo
	s_delay_alu instid0(VALU_DEP_1)
	v_cmpx_gt_u32_e64 s27, v2
	s_cbranch_execz .LBB83_179
; %bb.182:                              ;   in Loop: Header=BB83_181 Depth=2
	ds_load_u8 v4, v2
	s_wait_dscnt 0x0
	v_bfe_i32 v5, v4, 0, 8
	s_delay_alu instid0(VALU_DEP_1) | instskip(NEXT) | instid1(VALU_DEP_1)
	v_add_nc_u32_e32 v5, 0x80, v5
	v_and_b32_e32 v5, v5, v32
	s_delay_alu instid0(VALU_DEP_1)
	v_cmp_eq_u32_e32 vcc_lo, v5, v14
	s_and_b32 exec_lo, exec_lo, vcc_lo
	s_cbranch_execz .LBB83_179
; %bb.183:                              ;   in Loop: Header=BB83_181 Depth=2
	v_lshlrev_b16 v4, 8, v4
	s_delay_alu instid0(VALU_DEP_1)
	v_or_b32_e32 v4, 1, v4
	ds_store_b16 v18, v4 offset:3072
	s_branch .LBB83_179
.LBB83_184:                             ;   in Loop: Header=BB83_181 Depth=2
	v_add_nc_u32_e32 v2, s37, v2
	s_mov_b32 s80, 0
	s_delay_alu instid0(VALU_DEP_1)
	v_cmp_le_u32_e32 vcc_lo, s30, v2
	s_or_not1_b32 s81, vcc_lo, exec_lo
	s_branch .LBB83_180
.LBB83_185:                             ;   in Loop: Header=BB83_20 Depth=1
	s_or_b32 exec_lo, exec_lo, s26
	v_and_b32_e32 v2, 0xffff, v4
	s_wait_alu 0xfffe
	s_and_b32 s26, s46, exec_lo
	s_delay_alu instid0(VALU_DEP_1)
	v_lshrrev_b32_e32 v33, 8, v2
.LBB83_186:                             ;   in Loop: Header=BB83_20 Depth=1
	s_or_b32 exec_lo, exec_lo, s29
.LBB83_187:                             ;   in Loop: Header=BB83_20 Depth=1
	s_wait_alu 0xfffe
	s_and_b32 vcc_lo, exec_lo, s28
	s_wait_alu 0xfffe
	s_cbranch_vccz .LBB83_198
; %bb.188:                              ;   in Loop: Header=BB83_20 Depth=1
                                        ; implicit-def: $vgpr33
	s_and_saveexec_b32 s22, s10
	s_cbranch_execz .LBB83_197
; %bb.189:                              ;   in Loop: Header=BB83_20 Depth=1
	v_mov_b32_e32 v2, v15
	v_mov_b32_e32 v4, v0
	s_mov_b32 s23, 0
                                        ; implicit-def: $sgpr27
	s_branch .LBB83_192
.LBB83_190:                             ;   in Loop: Header=BB83_192 Depth=2
	s_wait_alu 0xfffe
	s_or_b32 exec_lo, exec_lo, s28
	s_wait_loadcnt_dscnt 0x0
	s_barrier_signal -1
	s_barrier_wait -1
	global_inv scope:SCOPE_SE
	ds_load_u16 v5, v18 offset:3072
	s_mov_b32 s28, -1
	s_mov_b32 s29, -1
	s_wait_loadcnt_dscnt 0x0
	s_barrier_signal -1
	s_barrier_wait -1
	global_inv scope:SCOPE_SE
	v_and_b32_e32 v6, 0xff, v5
	s_delay_alu instid0(VALU_DEP_1)
	v_cmp_eq_u32_e32 vcc_lo, 0, v6
	s_cbranch_vccnz .LBB83_195
.LBB83_191:                             ;   in Loop: Header=BB83_192 Depth=2
	s_wait_alu 0xfffe
	s_and_b32 s28, exec_lo, s28
	s_wait_alu 0xfffe
	s_or_b32 s23, s28, s23
	s_and_not1_b32 s27, s27, exec_lo
	s_and_b32 s28, s29, exec_lo
	s_wait_alu 0xfffe
	s_or_b32 s27, s27, s28
	s_and_not1_b32 exec_lo, exec_lo, s23
	s_cbranch_execz .LBB83_196
.LBB83_192:                             ;   Parent Loop BB83_20 Depth=1
                                        ; =>  This Inner Loop Header: Depth=2
	s_mov_b32 s28, exec_lo
	s_delay_alu instid0(VALU_DEP_1)
	v_cmpx_gt_u32_e64 s36, v4
	s_cbranch_execz .LBB83_190
; %bb.193:                              ;   in Loop: Header=BB83_192 Depth=2
	global_load_u8 v5, v2, s[44:45]
	s_wait_loadcnt 0x0
	v_bfe_i32 v6, v5, 0, 8
	s_delay_alu instid0(VALU_DEP_1) | instskip(NEXT) | instid1(VALU_DEP_1)
	v_add_nc_u32_e32 v6, 0x80, v6
	v_and_b32_e32 v6, v6, v32
	s_delay_alu instid0(VALU_DEP_1)
	v_cmp_eq_u32_e32 vcc_lo, v6, v14
	s_and_b32 exec_lo, exec_lo, vcc_lo
	s_cbranch_execz .LBB83_190
; %bb.194:                              ;   in Loop: Header=BB83_192 Depth=2
	v_lshlrev_b16 v5, 8, v5
	s_delay_alu instid0(VALU_DEP_1)
	v_or_b32_e32 v5, 1, v5
	ds_store_b16 v18, v5 offset:3072
	s_branch .LBB83_190
.LBB83_195:                             ;   in Loop: Header=BB83_192 Depth=2
	v_add_nc_u32_e32 v4, s37, v4
	v_add_nc_u32_e32 v2, s60, v2
	s_mov_b32 s29, 0
	s_delay_alu instid0(VALU_DEP_2)
	v_cmp_le_u32_e32 vcc_lo, s70, v4
	s_or_not1_b32 s28, vcc_lo, exec_lo
	s_branch .LBB83_191
.LBB83_196:                             ;   in Loop: Header=BB83_20 Depth=1
	s_or_b32 exec_lo, exec_lo, s23
	v_and_b32_e32 v2, 0xffff, v5
	s_and_not1_b32 s23, s26, exec_lo
	s_wait_alu 0xfffe
	s_and_b32 s26, s27, exec_lo
	s_wait_alu 0xfffe
	s_or_b32 s26, s23, s26
	v_lshrrev_b32_e32 v33, 8, v2
.LBB83_197:                             ;   in Loop: Header=BB83_20 Depth=1
	s_wait_alu 0xfffe
	s_or_b32 exec_lo, exec_lo, s22
	s_mov_b32 s22, 0
	s_mov_b32 s23, -1
.LBB83_198:                             ;   in Loop: Header=BB83_20 Depth=1
	s_or_not1_b32 s26, s26, exec_lo
.LBB83_199:                             ;   in Loop: Header=BB83_20 Depth=1
	s_wait_alu 0xfffe
	s_or_b32 exec_lo, exec_lo, s24
	s_mov_b32 s27, 0
	s_and_saveexec_b32 s24, s26
	s_cbranch_execz .LBB83_249
; %bb.200:                              ;   in Loop: Header=BB83_20 Depth=1
	v_dual_mov_b32 v2, 1 :: v_dual_mov_b32 v1, 1
	s_xor_b32 s26, s25, -1
	s_wait_alu 0xfffe
	s_and_saveexec_b32 s25, s26
	s_cbranch_execz .LBB83_209
; %bb.201:                              ;   in Loop: Header=BB83_20 Depth=1
	s_mov_b32 s26, exec_lo
	v_cmpx_ge_u32_e64 s18, v3
	s_wait_alu 0xfffe
	s_xor_b32 s26, exec_lo, s26
	s_cbranch_execz .LBB83_206
; %bb.202:                              ;   in Loop: Header=BB83_20 Depth=1
	ds_load_b32 v1, v18 offset:4104
	s_lshl_b32 s27, 2, s79
	v_or_b32_e32 v32, s12, v32
	s_wait_alu 0xfffe
	v_and_or_b32 v14, v14, s19, s27
	s_wait_dscnt 0x0
	v_cmp_ne_u32_e32 vcc_lo, 0, v1
	s_cbranch_vccnz .LBB83_206
; %bb.203:                              ;   in Loop: Header=BB83_20 Depth=1
	s_and_saveexec_b32 s19, s2
; %bb.204:                              ;   in Loop: Header=BB83_20 Depth=1
	v_mov_b32_e32 v1, s18
	ds_store_b32 v18, v1 offset:4108
; %bb.205:                              ;   in Loop: Header=BB83_20 Depth=1
	s_wait_alu 0xfffe
	s_or_b32 exec_lo, exec_lo, s19
	s_wait_loadcnt_dscnt 0x0
	s_barrier_signal -1
	s_barrier_wait -1
	global_inv scope:SCOPE_SE
.LBB83_206:                             ;   in Loop: Header=BB83_20 Depth=1
	s_wait_alu 0xfffe
	s_or_saveexec_b32 s19, s26
	v_mov_b32_e32 v1, 8
	s_mov_b32 s26, 0
	s_wait_alu 0xfffe
	s_xor_b32 exec_lo, exec_lo, s19
; %bb.207:                              ;   in Loop: Header=BB83_20 Depth=1
	v_subrev_nc_u32_e32 v3, s18, v3
	v_mov_b32_e32 v1, 0
	s_mov_b32 s26, exec_lo
; %bb.208:                              ;   in Loop: Header=BB83_20 Depth=1
	s_or_b32 exec_lo, exec_lo, s19
	s_delay_alu instid0(VALU_DEP_2)
	v_mov_b32_e32 v2, v3
	s_wait_alu 0xfffe
	s_and_b32 s27, s26, exec_lo
.LBB83_209:                             ;   in Loop: Header=BB83_20 Depth=1
	s_wait_alu 0xfffe
	s_or_b32 exec_lo, exec_lo, s25
	s_mov_b32 s19, -1
                                        ; implicit-def: $sgpr26
                                        ; implicit-def: $sgpr25
	s_and_saveexec_b32 s18, s27
	s_cbranch_execz .LBB83_248
; %bb.210:                              ;   in Loop: Header=BB83_20 Depth=1
	v_cmp_eq_u32_e32 vcc_lo, 1, v2
	s_cmp_eq_u32 s11, 1
	s_mov_b32 s28, -1
	s_cselect_b32 s19, -1, 0
                                        ; implicit-def: $sgpr26
                                        ; implicit-def: $sgpr25
	s_wait_alu 0xfffe
	s_and_b32 s19, s19, vcc_lo
	s_wait_alu 0xfffe
	s_and_saveexec_b32 s27, s19
	s_cbranch_execz .LBB83_236
; %bb.211:                              ;   in Loop: Header=BB83_20 Depth=1
	ds_load_b32 v3, v18 offset:4104
	s_wait_loadcnt_dscnt 0x0
	s_barrier_signal -1
	s_barrier_wait -1
	global_inv scope:SCOPE_SE
	v_readfirstlane_b32 s29, v3
	s_and_saveexec_b32 s25, s1
; %bb.212:                              ;   in Loop: Header=BB83_20 Depth=1
	ds_store_b8 v0, v18 offset:3072
; %bb.213:                              ;   in Loop: Header=BB83_20 Depth=1
	s_wait_alu 0xfffe
	s_or_b32 exec_lo, exec_lo, s25
	v_or_b32_e32 v14, s12, v14
	v_or_b32_e32 v32, s12, v32
	s_mov_b32 s25, -1
	s_mov_b32 s26, 0
	s_cmp_eq_u32 s29, 0
	s_mov_b32 s28, 0
	s_mov_b32 s30, -1
	s_wait_loadcnt_dscnt 0x0
	s_barrier_signal -1
	s_barrier_wait -1
	global_inv scope:SCOPE_SE
                                        ; implicit-def: $vgpr33
	s_cbranch_scc1 .LBB83_224
; %bb.214:                              ;   in Loop: Header=BB83_20 Depth=1
	s_add_co_i32 s46, s29, s56
                                        ; implicit-def: $vgpr33
	s_wait_alu 0xfffe
	s_mul_u64 s[80:81], s[46:47], s[50:51]
	s_wait_alu 0xfffe
	s_mul_i32 s28, s81, s37
	s_wait_alu 0xfffe
	s_sub_co_i32 s28, s46, s28
	s_wait_alu 0xfffe
	s_sub_co_i32 s30, s28, s37
	s_cmp_ge_u32 s28, s37
	s_wait_alu 0xfffe
	s_cselect_b32 s28, s30, s28
	s_wait_alu 0xfffe
	s_sub_co_i32 s30, s28, s37
	s_cmp_ge_u32 s28, s37
	s_wait_alu 0xfffe
	s_cselect_b32 s28, s30, s28
	s_mov_b32 s30, 0
	s_wait_alu 0xfffe
	s_sub_co_i32 s80, s46, s28
	s_mov_b32 s28, 0
	s_mov_b32 s46, exec_lo
	s_wait_alu 0xfffe
	v_cmpx_gt_u32_e64 s80, v0
	s_cbranch_execz .LBB83_223
; %bb.215:                              ;   in Loop: Header=BB83_20 Depth=1
	v_mov_b32_e32 v3, v0
                                        ; implicit-def: $sgpr81
	s_branch .LBB83_218
.LBB83_216:                             ;   in Loop: Header=BB83_218 Depth=2
	s_wait_alu 0xfffe
	s_or_b32 exec_lo, exec_lo, s82
	s_wait_loadcnt_dscnt 0x0
	s_barrier_signal -1
	s_barrier_wait -1
	global_inv scope:SCOPE_SE
	ds_load_u16 v4, v18 offset:3072
	s_mov_b32 s83, -1
	s_mov_b32 s82, -1
	s_wait_loadcnt_dscnt 0x0
	s_barrier_signal -1
	s_barrier_wait -1
	global_inv scope:SCOPE_SE
	v_and_b32_e32 v5, 0xff, v4
	s_delay_alu instid0(VALU_DEP_1)
	v_cmp_ne_u32_e32 vcc_lo, 0, v5
	s_cbranch_vccz .LBB83_221
.LBB83_217:                             ;   in Loop: Header=BB83_218 Depth=2
	s_wait_alu 0xfffe
	s_and_b32 s83, exec_lo, s83
	s_wait_alu 0xfffe
	s_or_b32 s28, s83, s28
	s_and_not1_b32 s81, s81, exec_lo
	s_and_b32 s82, s82, exec_lo
	s_wait_alu 0xfffe
	s_or_b32 s81, s81, s82
	s_and_not1_b32 exec_lo, exec_lo, s28
	s_cbranch_execz .LBB83_222
.LBB83_218:                             ;   Parent Loop BB83_20 Depth=1
                                        ; =>  This Inner Loop Header: Depth=2
	s_mov_b32 s82, exec_lo
	s_delay_alu instid0(VALU_DEP_1)
	v_cmpx_gt_u32_e64 s29, v3
	s_cbranch_execz .LBB83_216
; %bb.219:                              ;   in Loop: Header=BB83_218 Depth=2
	ds_load_u8 v4, v3
	s_wait_dscnt 0x0
	v_bfe_i32 v5, v4, 0, 8
	s_delay_alu instid0(VALU_DEP_1) | instskip(NEXT) | instid1(VALU_DEP_1)
	v_add_nc_u32_e32 v5, 0x80, v5
	v_and_b32_e32 v5, v5, v32
	s_delay_alu instid0(VALU_DEP_1)
	v_cmp_eq_u32_e32 vcc_lo, v5, v14
	s_and_b32 exec_lo, exec_lo, vcc_lo
	s_cbranch_execz .LBB83_216
; %bb.220:                              ;   in Loop: Header=BB83_218 Depth=2
	v_lshlrev_b16 v4, 8, v4
	s_delay_alu instid0(VALU_DEP_1)
	v_or_b32_e32 v4, 1, v4
	ds_store_b16 v18, v4 offset:3072
	s_branch .LBB83_216
.LBB83_221:                             ;   in Loop: Header=BB83_218 Depth=2
	v_add_nc_u32_e32 v3, s37, v3
	s_mov_b32 s82, 0
	s_delay_alu instid0(VALU_DEP_1)
	v_cmp_le_u32_e32 vcc_lo, s80, v3
	s_or_not1_b32 s83, vcc_lo, exec_lo
	s_branch .LBB83_217
.LBB83_222:                             ;   in Loop: Header=BB83_20 Depth=1
	s_or_b32 exec_lo, exec_lo, s28
	v_and_b32_e32 v3, 0xffff, v4
	s_wait_alu 0xfffe
	s_and_b32 s28, s81, exec_lo
	s_delay_alu instid0(VALU_DEP_1)
	v_lshrrev_b32_e32 v33, 8, v3
.LBB83_223:                             ;   in Loop: Header=BB83_20 Depth=1
	s_or_b32 exec_lo, exec_lo, s46
.LBB83_224:                             ;   in Loop: Header=BB83_20 Depth=1
	s_wait_alu 0xfffe
	s_and_b32 vcc_lo, exec_lo, s30
	s_wait_alu 0xfffe
	s_cbranch_vccz .LBB83_235
; %bb.225:                              ;   in Loop: Header=BB83_20 Depth=1
                                        ; implicit-def: $vgpr33
	s_and_saveexec_b32 s25, s10
	s_cbranch_execz .LBB83_234
; %bb.226:                              ;   in Loop: Header=BB83_20 Depth=1
	v_dual_mov_b32 v3, v15 :: v_dual_mov_b32 v4, v0
	s_mov_b32 s26, 0
                                        ; implicit-def: $sgpr29
	s_branch .LBB83_229
.LBB83_227:                             ;   in Loop: Header=BB83_229 Depth=2
	s_wait_alu 0xfffe
	s_or_b32 exec_lo, exec_lo, s30
	s_wait_loadcnt_dscnt 0x0
	s_barrier_signal -1
	s_barrier_wait -1
	global_inv scope:SCOPE_SE
	ds_load_u16 v5, v18 offset:3072
	s_mov_b32 s30, -1
	s_mov_b32 s46, -1
	s_wait_loadcnt_dscnt 0x0
	s_barrier_signal -1
	s_barrier_wait -1
	global_inv scope:SCOPE_SE
	v_and_b32_e32 v6, 0xff, v5
	s_delay_alu instid0(VALU_DEP_1)
	v_cmp_eq_u32_e32 vcc_lo, 0, v6
	s_cbranch_vccnz .LBB83_232
.LBB83_228:                             ;   in Loop: Header=BB83_229 Depth=2
	s_wait_alu 0xfffe
	s_and_b32 s30, exec_lo, s30
	s_wait_alu 0xfffe
	s_or_b32 s26, s30, s26
	s_and_not1_b32 s29, s29, exec_lo
	s_and_b32 s30, s46, exec_lo
	s_wait_alu 0xfffe
	s_or_b32 s29, s29, s30
	s_and_not1_b32 exec_lo, exec_lo, s26
	s_cbranch_execz .LBB83_233
.LBB83_229:                             ;   Parent Loop BB83_20 Depth=1
                                        ; =>  This Inner Loop Header: Depth=2
	s_mov_b32 s30, exec_lo
	s_delay_alu instid0(VALU_DEP_1)
	v_cmpx_gt_u32_e64 s36, v4
	s_cbranch_execz .LBB83_227
; %bb.230:                              ;   in Loop: Header=BB83_229 Depth=2
	global_load_u8 v5, v3, s[44:45]
	s_wait_loadcnt 0x0
	v_bfe_i32 v6, v5, 0, 8
	s_delay_alu instid0(VALU_DEP_1) | instskip(NEXT) | instid1(VALU_DEP_1)
	v_add_nc_u32_e32 v6, 0x80, v6
	v_and_b32_e32 v6, v6, v32
	s_delay_alu instid0(VALU_DEP_1)
	v_cmp_eq_u32_e32 vcc_lo, v6, v14
	s_and_b32 exec_lo, exec_lo, vcc_lo
	s_cbranch_execz .LBB83_227
; %bb.231:                              ;   in Loop: Header=BB83_229 Depth=2
	v_lshlrev_b16 v5, 8, v5
	s_delay_alu instid0(VALU_DEP_1)
	v_or_b32_e32 v5, 1, v5
	ds_store_b16 v18, v5 offset:3072
	s_branch .LBB83_227
.LBB83_232:                             ;   in Loop: Header=BB83_229 Depth=2
	v_add_nc_u32_e32 v4, s37, v4
	v_add_nc_u32_e32 v3, s60, v3
	s_mov_b32 s46, 0
	s_delay_alu instid0(VALU_DEP_2)
	v_cmp_le_u32_e32 vcc_lo, s70, v4
	s_or_not1_b32 s30, vcc_lo, exec_lo
	s_branch .LBB83_228
.LBB83_233:                             ;   in Loop: Header=BB83_20 Depth=1
	s_or_b32 exec_lo, exec_lo, s26
	v_and_b32_e32 v3, 0xffff, v5
	s_and_not1_b32 s26, s28, exec_lo
	s_wait_alu 0xfffe
	s_and_b32 s28, s29, exec_lo
	s_wait_alu 0xfffe
	s_or_b32 s28, s26, s28
	v_lshrrev_b32_e32 v33, 8, v3
.LBB83_234:                             ;   in Loop: Header=BB83_20 Depth=1
	s_wait_alu 0xfffe
	s_or_b32 exec_lo, exec_lo, s25
	s_mov_b32 s25, 0
	s_mov_b32 s26, -1
.LBB83_235:                             ;   in Loop: Header=BB83_20 Depth=1
	s_or_not1_b32 s28, s28, exec_lo
.LBB83_236:                             ;   in Loop: Header=BB83_20 Depth=1
	s_wait_alu 0xfffe
	s_or_b32 exec_lo, exec_lo, s27
	s_mov_b32 s29, 0
	s_and_saveexec_b32 s27, s28
	s_cbranch_execz .LBB83_247
; %bb.237:                              ;   in Loop: Header=BB83_20 Depth=1
	v_mov_b32_e32 v1, 1
	v_mov_b32_e32 v3, 1
	s_xor_b32 s28, s19, -1
	s_wait_alu 0xfffe
	s_and_saveexec_b32 s19, s28
	s_cbranch_execz .LBB83_246
; %bb.238:                              ;   in Loop: Header=BB83_20 Depth=1
	s_mov_b32 s28, exec_lo
	v_cmpx_ge_u32_e64 s11, v2
	s_wait_alu 0xfffe
	s_xor_b32 s28, exec_lo, s28
	s_cbranch_execz .LBB83_243
; %bb.239:                              ;   in Loop: Header=BB83_20 Depth=1
	ds_load_b32 v1, v18 offset:4104
	v_or_b32_e32 v14, s12, v14
	v_or_b32_e32 v32, s12, v32
	s_wait_dscnt 0x0
	v_cmp_ne_u32_e32 vcc_lo, 0, v1
	s_cbranch_vccnz .LBB83_243
; %bb.240:                              ;   in Loop: Header=BB83_20 Depth=1
	s_and_saveexec_b32 s12, s2
; %bb.241:                              ;   in Loop: Header=BB83_20 Depth=1
	v_mov_b32_e32 v1, s11
	ds_store_b32 v18, v1 offset:4108
; %bb.242:                              ;   in Loop: Header=BB83_20 Depth=1
	s_wait_alu 0xfffe
	s_or_b32 exec_lo, exec_lo, s12
	s_wait_loadcnt_dscnt 0x0
	s_barrier_signal -1
	s_barrier_wait -1
	global_inv scope:SCOPE_SE
.LBB83_243:                             ;   in Loop: Header=BB83_20 Depth=1
	s_wait_alu 0xfffe
	s_and_not1_saveexec_b32 s12, s28
; %bb.244:                              ;   in Loop: Header=BB83_20 Depth=1
	v_subrev_nc_u32_e32 v2, s11, v2
; %bb.245:                              ;   in Loop: Header=BB83_20 Depth=1
	s_wait_alu 0xfffe
	s_or_b32 exec_lo, exec_lo, s12
	v_mov_b32_e32 v1, 8
	s_delay_alu instid0(VALU_DEP_2)
	v_mov_b32_e32 v3, v2
.LBB83_246:                             ;   in Loop: Header=BB83_20 Depth=1
	s_wait_alu 0xfffe
	s_or_b32 exec_lo, exec_lo, s19
	s_delay_alu instid0(VALU_DEP_1)
	v_mov_b32_e32 v2, v3
	s_mov_b32 s29, exec_lo
.LBB83_247:                             ;   in Loop: Header=BB83_20 Depth=1
	s_wait_alu 0xfffe
	s_or_b32 exec_lo, exec_lo, s27
	s_delay_alu instid0(SALU_CYCLE_1)
	s_or_not1_b32 s19, s29, exec_lo
.LBB83_248:                             ;   in Loop: Header=BB83_20 Depth=1
	s_wait_alu 0xfffe
	s_or_b32 exec_lo, exec_lo, s18
	v_mov_b32_e32 v3, v2
	s_and_not1_b32 s11, s23, exec_lo
	s_and_b32 s12, s26, exec_lo
	s_and_not1_b32 s18, s22, exec_lo
	s_and_b32 s22, s25, exec_lo
	s_wait_alu 0xfffe
	s_or_b32 s23, s11, s12
	s_or_b32 s22, s18, s22
	s_and_b32 s27, s19, exec_lo
.LBB83_249:                             ;   in Loop: Header=BB83_20 Depth=1
	s_wait_alu 0xfffe
	s_or_b32 exec_lo, exec_lo, s24
	s_delay_alu instid0(SALU_CYCLE_1)
	s_or_not1_b32 s24, s27, exec_lo
.LBB83_250:                             ;   in Loop: Header=BB83_20 Depth=1
	s_wait_alu 0xfffe
	s_or_b32 exec_lo, exec_lo, s21
	v_mov_b32_e32 v2, v3
	s_and_not1_b32 s11, s17, exec_lo
	s_and_b32 s12, s23, exec_lo
	s_and_not1_b32 s16, s16, exec_lo
	s_and_b32 s18, s22, exec_lo
	s_wait_alu 0xfffe
	s_or_b32 s17, s11, s12
	s_or_b32 s16, s16, s18
	s_and_b32 s24, s24, exec_lo
.LBB83_251:                             ;   in Loop: Header=BB83_20 Depth=1
	s_wait_alu 0xfffe
	s_or_b32 exec_lo, exec_lo, s20
	s_delay_alu instid0(SALU_CYCLE_1)
	s_or_not1_b32 s20, s24, exec_lo
.LBB83_252:                             ;   in Loop: Header=BB83_20 Depth=1
	s_wait_alu 0xfffe
	s_or_b32 exec_lo, exec_lo, s15
	s_mov_b32 s12, 0
                                        ; implicit-def: $sgpr22
	s_and_saveexec_b32 s11, s20
	s_wait_alu 0xfffe
	s_xor_b32 s11, exec_lo, s11
	s_cbranch_execz .LBB83_18
; %bb.253:                              ;   in Loop: Header=BB83_20 Depth=1
	v_and_b32_e32 v1, 7, v1
	s_mov_b32 s14, -1
	s_mov_b32 s12, -1
	s_mov_b32 s15, exec_lo
                                        ; implicit-def: $sgpr22
	s_delay_alu instid0(VALU_DEP_1)
	v_cmpx_eq_u32_e32 0, v1
	s_cbranch_execz .LBB83_17
; %bb.254:                              ;   in Loop: Header=BB83_20 Depth=1
	s_add_co_i32 s22, s79, -2
	s_cmp_eq_u32 s79, 0
	v_xor_b32_e32 v31, 1, v31
	s_cselect_b32 s14, -1, 0
	s_xor_b32 s12, exec_lo, -1
	s_wait_alu 0xfffe
	s_or_not1_b32 s14, s14, exec_lo
	s_branch .LBB83_17
.LBB83_255:
	s_or_b32 exec_lo, exec_lo, s72
	s_wait_alu 0xfffe
	s_xor_b32 s4, s78, -1
	s_xor_b32 s1, s76, -1
	;; [unrolled: 1-line block ×3, first 2 shown]
	s_mov_b32 s2, 0
	s_and_saveexec_b32 s5, s1
	s_delay_alu instid0(SALU_CYCLE_1)
	s_xor_b32 s1, exec_lo, s5
	s_cbranch_execnz .LBB83_260
; %bb.256:
	s_and_not1_saveexec_b32 s0, s1
	s_cbranch_execnz .LBB83_273
.LBB83_257:
	s_or_b32 exec_lo, exec_lo, s0
	s_wait_alu 0xfffe
	s_and_saveexec_b32 s0, s2
.LBB83_258:
	; divergent unreachable
.LBB83_259:
	s_endpgm
.LBB83_260:
	s_and_saveexec_b32 s2, s4
	s_delay_alu instid0(SALU_CYCLE_1)
	s_xor_b32 s2, exec_lo, s2
	s_cbranch_execz .LBB83_271
; %bb.261:
	s_and_saveexec_b32 s4, s3
	s_delay_alu instid0(SALU_CYCLE_1)
	s_xor_b32 s3, exec_lo, s4
; %bb.262:
	v_xor_b32_e32 v33, 0xffffff80, v14
; %bb.263:
	s_or_b32 exec_lo, exec_lo, s3
	s_mul_i32 s3, s54, s33
	s_delay_alu instid0(SALU_CYCLE_1) | instskip(NEXT) | instid1(SALU_CYCLE_1)
	s_add_co_i32 s3, s3, s31
	v_mov_b32_e32 v1, s3
	global_store_b8 v1, v33, s[42:43]
	s_and_saveexec_b32 s3, s0
	s_cbranch_execz .LBB83_270
; %bb.264:
	v_and_b32_e32 v2, 0xff, v33
	s_mov_b32 s0, 0
                                        ; implicit-def: $sgpr4
                                        ; implicit-def: $sgpr6
                                        ; implicit-def: $sgpr5
	s_branch .LBB83_266
.LBB83_265:                             ;   in Loop: Header=BB83_266 Depth=1
	s_wait_alu 0xfffe
	s_or_b32 exec_lo, exec_lo, s7
	s_delay_alu instid0(SALU_CYCLE_1)
	s_and_b32 s7, exec_lo, s6
	s_wait_alu 0xfffe
	s_or_b32 s0, s7, s0
	s_and_not1_b32 s4, s4, exec_lo
	s_and_b32 s7, s5, exec_lo
	s_wait_alu 0xfffe
	s_or_b32 s4, s4, s7
	s_and_not1_b32 exec_lo, exec_lo, s0
	s_cbranch_execz .LBB83_268
.LBB83_266:                             ; =>This Inner Loop Header: Depth=1
	global_load_u8 v3, v15, s[44:45]
	v_mov_b32_e32 v1, v0
	s_or_b32 s5, s5, exec_lo
	s_or_b32 s6, s6, exec_lo
	s_mov_b32 s7, exec_lo
                                        ; implicit-def: $vgpr0
	s_wait_loadcnt 0x0
	v_cmpx_ne_u16_e64 v3, v2
	s_cbranch_execz .LBB83_265
; %bb.267:                              ;   in Loop: Header=BB83_266 Depth=1
	v_add_nc_u32_e32 v0, s37, v1
	v_add_nc_u32_e32 v15, s60, v15
	s_wait_alu 0xfffe
	s_and_not1_b32 s6, s6, exec_lo
	s_and_not1_b32 s5, s5, exec_lo
	v_cmp_le_u32_e32 vcc_lo, s36, v0
	s_and_b32 s8, vcc_lo, exec_lo
	s_wait_alu 0xfffe
	s_or_b32 s6, s6, s8
	s_branch .LBB83_265
.LBB83_268:
	s_or_b32 exec_lo, exec_lo, s0
	s_and_saveexec_b32 s0, s4
	s_delay_alu instid0(SALU_CYCLE_1)
	s_xor_b32 s0, exec_lo, s0
	s_cbranch_execz .LBB83_270
; %bb.269:
	s_mul_i32 s0, s55, s34
	s_mov_b32 s5, 0
	s_add_co_i32 s4, s0, s35
	v_mov_b32_e32 v2, 0
	s_lshl_b64 s[4:5], s[4:5], 3
	s_delay_alu instid0(SALU_CYCLE_1)
	s_add_nc_u64 s[4:5], s[40:41], s[4:5]
	global_store_b64 v2, v[1:2], s[4:5]
.LBB83_270:
	s_wait_alu 0xfffe
	s_or_b32 exec_lo, exec_lo, s3
.LBB83_271:
	s_or_saveexec_b32 s0, s2
	s_mov_b32 s2, 0
	s_xor_b32 exec_lo, exec_lo, s0
	s_cbranch_execnz .LBB83_274
.LBB83_272:
	s_or_b32 exec_lo, exec_lo, s0
	s_wait_alu 0xfffe
	s_and_b32 s2, s2, exec_lo
	s_and_not1_saveexec_b32 s0, s1
	s_cbranch_execz .LBB83_257
.LBB83_273:
	s_wait_alu 0xfffe
	s_or_b32 s2, s2, exec_lo
	s_trap 2
	s_or_b32 exec_lo, exec_lo, s0
	s_wait_alu 0xfffe
	s_and_saveexec_b32 s0, s2
	s_cbranch_execnz .LBB83_258
	s_branch .LBB83_259
.LBB83_274:
	s_mov_b32 s2, exec_lo
	s_trap 2
	s_branch .LBB83_272
	.section	.rodata,"a",@progbits
	.p2align	6, 0x0
	.amdhsa_kernel _ZN2at6native12_GLOBAL__N_112gatherMedianIajLin1EEEvNS_4cuda6detail10TensorInfoIT_T0_EENS5_IlS7_EENS5_IKS6_S7_EES7_S7_S7_b
		.amdhsa_group_segment_fixed_size 4120
		.amdhsa_private_segment_fixed_size 0
		.amdhsa_kernarg_size 920
		.amdhsa_user_sgpr_count 2
		.amdhsa_user_sgpr_dispatch_ptr 0
		.amdhsa_user_sgpr_queue_ptr 0
		.amdhsa_user_sgpr_kernarg_segment_ptr 1
		.amdhsa_user_sgpr_dispatch_id 0
		.amdhsa_user_sgpr_private_segment_size 0
		.amdhsa_wavefront_size32 1
		.amdhsa_uses_dynamic_stack 0
		.amdhsa_enable_private_segment 0
		.amdhsa_system_sgpr_workgroup_id_x 1
		.amdhsa_system_sgpr_workgroup_id_y 1
		.amdhsa_system_sgpr_workgroup_id_z 1
		.amdhsa_system_sgpr_workgroup_info 0
		.amdhsa_system_vgpr_workitem_id 0
		.amdhsa_next_free_vgpr 68
		.amdhsa_next_free_sgpr 87
		.amdhsa_reserve_vcc 1
		.amdhsa_float_round_mode_32 0
		.amdhsa_float_round_mode_16_64 0
		.amdhsa_float_denorm_mode_32 3
		.amdhsa_float_denorm_mode_16_64 3
		.amdhsa_fp16_overflow 0
		.amdhsa_workgroup_processor_mode 1
		.amdhsa_memory_ordered 1
		.amdhsa_forward_progress 1
		.amdhsa_inst_pref_size 103
		.amdhsa_round_robin_scheduling 0
		.amdhsa_exception_fp_ieee_invalid_op 0
		.amdhsa_exception_fp_denorm_src 0
		.amdhsa_exception_fp_ieee_div_zero 0
		.amdhsa_exception_fp_ieee_overflow 0
		.amdhsa_exception_fp_ieee_underflow 0
		.amdhsa_exception_fp_ieee_inexact 0
		.amdhsa_exception_int_div_zero 0
	.end_amdhsa_kernel
	.section	.text._ZN2at6native12_GLOBAL__N_112gatherMedianIajLin1EEEvNS_4cuda6detail10TensorInfoIT_T0_EENS5_IlS7_EENS5_IKS6_S7_EES7_S7_S7_b,"axG",@progbits,_ZN2at6native12_GLOBAL__N_112gatherMedianIajLin1EEEvNS_4cuda6detail10TensorInfoIT_T0_EENS5_IlS7_EENS5_IKS6_S7_EES7_S7_S7_b,comdat
.Lfunc_end83:
	.size	_ZN2at6native12_GLOBAL__N_112gatherMedianIajLin1EEEvNS_4cuda6detail10TensorInfoIT_T0_EENS5_IlS7_EENS5_IKS6_S7_EES7_S7_S7_b, .Lfunc_end83-_ZN2at6native12_GLOBAL__N_112gatherMedianIajLin1EEEvNS_4cuda6detail10TensorInfoIT_T0_EENS5_IlS7_EENS5_IKS6_S7_EES7_S7_S7_b
                                        ; -- End function
	.set _ZN2at6native12_GLOBAL__N_112gatherMedianIajLin1EEEvNS_4cuda6detail10TensorInfoIT_T0_EENS5_IlS7_EENS5_IKS6_S7_EES7_S7_S7_b.num_vgpr, 68
	.set _ZN2at6native12_GLOBAL__N_112gatherMedianIajLin1EEEvNS_4cuda6detail10TensorInfoIT_T0_EENS5_IlS7_EENS5_IKS6_S7_EES7_S7_S7_b.num_agpr, 0
	.set _ZN2at6native12_GLOBAL__N_112gatherMedianIajLin1EEEvNS_4cuda6detail10TensorInfoIT_T0_EENS5_IlS7_EENS5_IKS6_S7_EES7_S7_S7_b.numbered_sgpr, 87
	.set _ZN2at6native12_GLOBAL__N_112gatherMedianIajLin1EEEvNS_4cuda6detail10TensorInfoIT_T0_EENS5_IlS7_EENS5_IKS6_S7_EES7_S7_S7_b.num_named_barrier, 0
	.set _ZN2at6native12_GLOBAL__N_112gatherMedianIajLin1EEEvNS_4cuda6detail10TensorInfoIT_T0_EENS5_IlS7_EENS5_IKS6_S7_EES7_S7_S7_b.private_seg_size, 0
	.set _ZN2at6native12_GLOBAL__N_112gatherMedianIajLin1EEEvNS_4cuda6detail10TensorInfoIT_T0_EENS5_IlS7_EENS5_IKS6_S7_EES7_S7_S7_b.uses_vcc, 1
	.set _ZN2at6native12_GLOBAL__N_112gatherMedianIajLin1EEEvNS_4cuda6detail10TensorInfoIT_T0_EENS5_IlS7_EENS5_IKS6_S7_EES7_S7_S7_b.uses_flat_scratch, 0
	.set _ZN2at6native12_GLOBAL__N_112gatherMedianIajLin1EEEvNS_4cuda6detail10TensorInfoIT_T0_EENS5_IlS7_EENS5_IKS6_S7_EES7_S7_S7_b.has_dyn_sized_stack, 0
	.set _ZN2at6native12_GLOBAL__N_112gatherMedianIajLin1EEEvNS_4cuda6detail10TensorInfoIT_T0_EENS5_IlS7_EENS5_IKS6_S7_EES7_S7_S7_b.has_recursion, 0
	.set _ZN2at6native12_GLOBAL__N_112gatherMedianIajLin1EEEvNS_4cuda6detail10TensorInfoIT_T0_EENS5_IlS7_EENS5_IKS6_S7_EES7_S7_S7_b.has_indirect_call, 0
	.section	.AMDGPU.csdata,"",@progbits
; Kernel info:
; codeLenInByte = 13120
; TotalNumSgprs: 89
; NumVgprs: 68
; ScratchSize: 0
; MemoryBound: 0
; FloatMode: 240
; IeeeMode: 1
; LDSByteSize: 4120 bytes/workgroup (compile time only)
; SGPRBlocks: 0
; VGPRBlocks: 8
; NumSGPRsForWavesPerEU: 89
; NumVGPRsForWavesPerEU: 68
; Occupancy: 16
; WaveLimiterHint : 1
; COMPUTE_PGM_RSRC2:SCRATCH_EN: 0
; COMPUTE_PGM_RSRC2:USER_SGPR: 2
; COMPUTE_PGM_RSRC2:TRAP_HANDLER: 0
; COMPUTE_PGM_RSRC2:TGID_X_EN: 1
; COMPUTE_PGM_RSRC2:TGID_Y_EN: 1
; COMPUTE_PGM_RSRC2:TGID_Z_EN: 1
; COMPUTE_PGM_RSRC2:TIDIG_COMP_CNT: 0
	.section	.text._ZN2at6native12_GLOBAL__N_112gatherMedianIamLi1EEEvNS_4cuda6detail10TensorInfoIT_T0_EENS5_IlS7_EENS5_IKS6_S7_EES7_S7_S7_b,"axG",@progbits,_ZN2at6native12_GLOBAL__N_112gatherMedianIamLi1EEEvNS_4cuda6detail10TensorInfoIT_T0_EENS5_IlS7_EENS5_IKS6_S7_EES7_S7_S7_b,comdat
	.globl	_ZN2at6native12_GLOBAL__N_112gatherMedianIamLi1EEEvNS_4cuda6detail10TensorInfoIT_T0_EENS5_IlS7_EENS5_IKS6_S7_EES7_S7_S7_b ; -- Begin function _ZN2at6native12_GLOBAL__N_112gatherMedianIamLi1EEEvNS_4cuda6detail10TensorInfoIT_T0_EENS5_IlS7_EENS5_IKS6_S7_EES7_S7_S7_b
	.p2align	8
	.type	_ZN2at6native12_GLOBAL__N_112gatherMedianIamLi1EEEvNS_4cuda6detail10TensorInfoIT_T0_EENS5_IlS7_EENS5_IKS6_S7_EES7_S7_S7_b,@function
_ZN2at6native12_GLOBAL__N_112gatherMedianIamLi1EEEvNS_4cuda6detail10TensorInfoIT_T0_EENS5_IlS7_EENS5_IKS6_S7_EES7_S7_S7_b: ; @_ZN2at6native12_GLOBAL__N_112gatherMedianIamLi1EEEvNS_4cuda6detail10TensorInfoIT_T0_EENS5_IlS7_EENS5_IKS6_S7_EES7_S7_S7_b
; %bb.0:
	s_clause 0x1
	s_load_b64 s[4:5], s[0:1], 0x500
	s_load_b128 s[28:31], s[0:1], 0x4e0
	s_lshr_b32 s2, ttmp7, 16
	s_and_b32 s3, ttmp7, 0xffff
	s_mov_b32 s27, 0
	s_wait_kmcnt 0x0
	s_mul_i32 s2, s5, s2
	s_delay_alu instid0(SALU_CYCLE_1) | instskip(NEXT) | instid1(SALU_CYCLE_1)
	s_add_co_i32 s2, s2, s3
	s_mul_i32 s2, s2, s4
	s_delay_alu instid0(SALU_CYCLE_1) | instskip(NEXT) | instid1(SALU_CYCLE_1)
	s_add_co_i32 s26, s2, ttmp9
	v_cmp_le_u64_e64 s2, s[30:31], s[26:27]
	s_and_b32 vcc_lo, exec_lo, s2
	s_cbranch_vccnz .LBB84_277
; %bb.1:
	s_load_b64 s[36:37], s[0:1], 0x4f0
	v_cmp_eq_u32_e64 s2, 0, v0
	s_and_saveexec_b32 s3, s2
; %bb.2:
	v_mov_b32_e32 v1, 0
	s_delay_alu instid0(VALU_DEP_1)
	v_mov_b32_e32 v2, v1
	ds_store_b64 v1, v[1:2] offset:5136
; %bb.3:
	s_or_b32 exec_lo, exec_lo, s3
	v_dual_mov_b32 v1, 0 :: v_dual_mov_b32 v26, s28
	s_wait_dscnt 0x0
	s_barrier_signal -1
	s_barrier_wait -1
	global_inv scope:SCOPE_SE
	s_wait_loadcnt 0x0
	s_barrier_signal -1
	s_barrier_wait -1
	global_inv scope:SCOPE_SE
	ds_load_b64 v[1:2], v1 offset:5136
	s_load_b32 s3, s[0:1], 0x4f8
	v_mov_b32_e32 v27, s29
	s_wait_dscnt 0x0
	v_cmp_gt_i64_e32 vcc_lo, 1, v[1:2]
	s_wait_kmcnt 0x0
	s_bitcmp1_b32 s3, 0
	s_cselect_b32 s3, -1, 0
	s_delay_alu instid0(SALU_CYCLE_1) | instskip(NEXT) | instid1(SALU_CYCLE_1)
	s_or_b32 s3, s3, vcc_lo
	s_and_not1_b32 vcc_lo, exec_lo, s3
	s_cbranch_vccnz .LBB84_5
; %bb.4:
	v_not_b32_e32 v1, v1
	v_not_b32_e32 v2, v2
	s_delay_alu instid0(VALU_DEP_2) | instskip(NEXT) | instid1(VALU_DEP_1)
	v_add_co_u32 v1, vcc_lo, s28, v1
	v_add_co_ci_u32_e64 v2, null, s29, v2, vcc_lo
	s_delay_alu instid0(VALU_DEP_1) | instskip(NEXT) | instid1(VALU_DEP_1)
	v_lshrrev_b64 v[1:2], 1, v[1:2]
	v_add_co_u32 v26, vcc_lo, v1, 1
	s_wait_alu 0xfffd
	s_delay_alu instid0(VALU_DEP_2)
	v_add_co_ci_u32_e64 v27, null, 0, v2, vcc_lo
.LBB84_5:
	s_clause 0x1
	s_load_b64 s[10:11], s[0:1], 0x410
	s_load_b64 s[8:9], s[0:1], 0x340
	s_add_nc_u64 s[6:7], s[0:1], 0x500
	s_and_saveexec_b32 s3, s2
	s_cbranch_execz .LBB84_7
; %bb.6:
	v_dual_mov_b32 v1, 0 :: v_dual_mov_b32 v4, s29
	s_delay_alu instid0(VALU_DEP_1)
	v_dual_mov_b32 v3, s28 :: v_dual_mov_b32 v2, v1
	ds_store_b32 v1, v1 offset:5144
	ds_store_b128 v1, v[1:4] offset:5120
.LBB84_7:
	s_or_b32 exec_lo, exec_lo, s3
	v_mad_co_u64_u32 v[4:5], null, s36, v0, 0
	v_mov_b32_e32 v3, 0
	v_mbcnt_lo_u32_b32 v32, -1, 0
	v_cmp_gt_u32_e32 vcc_lo, 32, v0
	s_clause 0x3
	s_load_b64 s[34:35], s[0:1], 0x270
	s_load_b64 s[30:31], s[0:1], 0x1a0
	;; [unrolled: 1-line block ×4, first 2 shown]
	s_wait_kmcnt 0x0
	s_mul_u64 s[0:1], s[10:11], s[26:27]
	s_wait_loadcnt_dscnt 0x0
	v_mov_b32_e32 v2, v5
	v_cmp_gt_i32_e64 s3, 4, v32
	v_mov_b32_e32 v1, v3
	s_add_nc_u64 s[46:47], s[8:9], s[0:1]
	s_barrier_signal -1
	v_mad_co_u64_u32 v[6:7], null, s37, v0, v[2:3]
	v_add_nc_u32_e32 v2, 2, v0
	s_and_b32 s33, vcc_lo, s3
	v_add_co_u32 v12, vcc_lo, s46, v4
	v_lshlrev_b64_e64 v[7:8], v32, -1
	s_barrier_wait -1
	s_wait_alu 0xfffd
	s_delay_alu instid0(VALU_DEP_4)
	v_add_co_ci_u32_e64 v13, null, s47, v6, vcc_lo
	v_cmp_gt_u64_e32 vcc_lo, s[28:29], v[2:3]
	v_dual_mov_b32 v5, v6 :: v_dual_lshlrev_b32 v14, 2, v0
	v_not_b32_e32 v6, v0
	global_inv scope:SCOPE_SE
	s_load_b32 s5, s[6:7], 0xc
	v_cndmask_b32_e64 v2, v2, s28, vcc_lo
	v_not_b32_e32 v33, v7
	v_cndmask_b32_e64 v7, 0, s29, vcc_lo
	v_or_b32_e32 v8, 3, v14
	v_or_b32_e32 v10, 2, v14
	v_add_co_u32 v6, vcc_lo, v2, v6
	v_mov_b32_e32 v15, v3
	s_delay_alu instid0(VALU_DEP_4) | instskip(NEXT) | instid1(VALU_DEP_3)
	v_mad_co_u64_u32 v[19:20], null, s36, v8, 0
	v_and_b32_e32 v16, -4, v6
	s_wait_alu 0xfffd
	v_add_co_ci_u32_e64 v7, null, -1, v7, vcc_lo
	v_mad_co_u64_u32 v[21:22], null, s36, v10, 0
	s_delay_alu instid0(VALU_DEP_3) | instskip(SKIP_1) | instid1(VALU_DEP_3)
	v_add_co_u32 v18, vcc_lo, v16, v0
	s_wait_alu 0xfffd
	v_add_co_ci_u32_e64 v2, null, 0, v7, vcc_lo
	v_dual_mov_b32 v17, v7 :: v_dual_mov_b32 v2, v20
	v_mad_co_u64_u32 v[23:24], null, s36, v14, s[36:37]
	s_wait_kmcnt 0x0
	s_and_b32 s38, s5, 0xffff
	s_bfe_u32 s8, s5, 0xb0005
	v_mad_co_u64_u32 v[8:9], null, s37, v8, v[2:3]
	s_cmp_gt_u32 s38, 31
	s_movk_i32 s5, 0x3e0
	s_cselect_b32 s73, -1, 0
	v_and_or_b32 v34, v0, s5, 0xc00
	s_cmp_lt_u32 ttmp9, s4
	v_cmp_lt_u64_e64 s4, 3, v[6:7]
	v_cmp_ne_u64_e64 s5, v[6:7], v[16:17]
	v_dual_mov_b32 v6, v22 :: v_dual_mov_b32 v7, v24
	s_cselect_b32 s48, 12, 18
	s_add_co_i32 s9, s8, -1
	s_mov_b32 s49, 0
	s_and_b32 s9, s9, 0xffff
	v_mad_co_u64_u32 v[9:10], null, s37, v10, v[6:7]
	v_mad_co_u64_u32 v[6:7], null, s37, v14, v[7:8]
	s_bfe_u32 s80, s38, 0x30005
	v_mul_lo_u32 v38, 0, s36
	s_cmp_gt_u32 s9, 6
	v_cmp_gt_u64_e64 s0, s[28:29], v[0:1]
	v_cmp_lt_u64_e64 s72, 0xc00, s[28:29]
	s_mov_b32 s39, s49
	v_lshlrev_b64_e32 v[24:25], 2, v[4:5]
	v_cmp_eq_u32_e64 s1, 0, v32
	v_cmp_gt_u32_e64 s3, 2, v0
	s_cselect_b32 s81, -1, 0
	s_and_b32 s82, s8, 0x7f8
	v_dual_mov_b32 v22, v8 :: v_dual_mov_b32 v35, v9
	v_dual_mov_b32 v36, v6 :: v_dual_mov_b32 v39, 0
	v_lshl_or_b32 v37, v32, 3, 0xc00
	v_mov_b32_e32 v40, 0
	v_mov_b32_e32 v20, 0
	s_add_nc_u64 s[50:51], s[38:39], -1
	s_cmp_lg_u32 s80, 0
	s_add_nc_u64 s[52:53], s[50:51], s[28:29]
	s_mov_b32 s74, s36
	s_mov_b32 s75, s37
	s_mov_b32 s76, s36
	s_mov_b32 s77, s37
	s_mov_b32 s78, s36
	s_mov_b32 s79, s37
	s_mov_b32 s84, 6
	s_cselect_b32 s83, -1, 0
	s_lshl_b64 s[54:55], s[36:37], 2
	s_mul_u64 s[44:45], s[36:37], s[38:39]
	s_add_nc_u64 s[56:57], s[6:7], s[48:49]
	s_mov_b32 s86, 0x4f800000
	s_mov_b32 s85, 0
	;; [unrolled: 1-line block ×3, first 2 shown]
                                        ; implicit-def: $sgpr91
                                        ; implicit-def: $sgpr93
                                        ; implicit-def: $sgpr88
                                        ; implicit-def: $sgpr90
                                        ; implicit-def: $sgpr92
                                        ; implicit-def: $sgpr89
	s_branch .LBB84_11
.LBB84_8:                               ;   in Loop: Header=BB84_11 Depth=1
	s_wait_alu 0xfffe
	s_or_b32 exec_lo, exec_lo, s9
	s_delay_alu instid0(SALU_CYCLE_1)
	s_and_b32 s7, s7, exec_lo
	s_and_not1_b32 s22, s22, exec_lo
	s_and_not1_b32 s21, s21, exec_lo
	s_or_not1_b32 s18, s8, exec_lo
.LBB84_9:                               ;   in Loop: Header=BB84_11 Depth=1
	s_wait_alu 0xfffe
	s_or_b32 exec_lo, exec_lo, s6
	s_delay_alu instid0(SALU_CYCLE_1)
	s_and_not1_b32 s6, s89, exec_lo
	s_and_b32 s7, s7, exec_lo
	s_and_not1_b32 s8, s90, exec_lo
	s_wait_alu 0xfffe
	s_or_b32 s89, s6, s7
	s_and_not1_b32 s6, s92, exec_lo
	s_and_b32 s7, s22, exec_lo
	s_and_b32 s9, s21, exec_lo
	s_wait_alu 0xfffe
	s_or_b32 s92, s6, s7
	s_or_b32 s90, s8, s9
	s_or_not1_b32 s18, s18, exec_lo
.LBB84_10:                              ;   in Loop: Header=BB84_11 Depth=1
	s_wait_alu 0xfffe
	s_or_b32 exec_lo, exec_lo, s17
	s_delay_alu instid0(SALU_CYCLE_1)
	s_and_b32 s6, exec_lo, s18
	v_dual_mov_b32 v27, v9 :: v_dual_mov_b32 v26, v8
	s_wait_alu 0xfffe
	s_or_b32 s85, s6, s85
	s_and_not1_b32 s6, s88, exec_lo
	s_and_b32 s7, s89, exec_lo
	s_and_not1_b32 s8, s93, exec_lo
	s_wait_alu 0xfffe
	s_or_b32 s88, s6, s7
	s_and_b32 s6, s92, exec_lo
	s_and_not1_b32 s7, s91, exec_lo
	s_and_b32 s9, s90, exec_lo
	s_wait_alu 0xfffe
	s_or_b32 s93, s8, s6
	s_or_b32 s91, s7, s9
	s_and_not1_b32 exec_lo, exec_lo, s85
	s_cbranch_execz .LBB84_273
.LBB84_11:                              ; =>This Loop Header: Depth=1
                                        ;     Child Loop BB84_16 Depth 2
                                        ;     Child Loop BB84_30 Depth 2
                                        ;     Child Loop BB84_34 Depth 2
                                        ;     Child Loop BB84_69 Depth 2
                                        ;     Child Loop BB84_73 Depth 2
                                        ;     Child Loop BB84_58 Depth 2
                                        ;     Child Loop BB84_63 Depth 2
                                        ;     Child Loop BB84_51 Depth 2
                                        ;     Child Loop BB84_79 Depth 2
                                        ;     Child Loop BB84_92 Depth 2
                                        ;     Child Loop BB84_106 Depth 2
                                        ;     Child Loop BB84_135 Depth 2
                                        ;     Child Loop BB84_154 Depth 2
                                        ;     Child Loop BB84_184 Depth 2
                                        ;     Child Loop BB84_200 Depth 2
                                        ;     Child Loop BB84_229 Depth 2
                                        ;     Child Loop BB84_245 Depth 2
	ds_load_b128 v[4:7], v3 offset:5120
	s_wait_dscnt 0x0
	v_readfirstlane_b32 s59, v5
	v_readfirstlane_b32 s58, v4
	s_cmp_lg_u64 s[58:59], 0
	s_cbranch_scc1 .LBB84_43
; %bb.12:                               ;   in Loop: Header=BB84_11 Depth=1
	s_and_b32 vcc_lo, exec_lo, s72
	s_wait_alu 0xfffe
	s_cbranch_vccz .LBB84_24
; %bb.13:                               ;   in Loop: Header=BB84_11 Depth=1
	v_cmp_gt_u64_e32 vcc_lo, 0xc01, v[6:7]
	s_mov_b32 s8, 0
	s_mov_b32 s6, 0
	s_cbranch_vccz .LBB84_25
; %bb.14:                               ;   in Loop: Header=BB84_11 Depth=1
	global_load_u16 v2, v3, s[56:57]
	global_load_u8 v8, v[12:13], off
	s_mov_b32 s9, 0
	s_wait_loadcnt 0x1
	v_and_b32_e32 v2, 0xffff, v2
	s_delay_alu instid0(VALU_DEP_1) | instskip(SKIP_3) | instid1(VALU_DEP_3)
	v_add_co_u32 v4, s6, v0, v2
	s_wait_alu 0xf1fe
	v_add_co_ci_u32_e64 v5, null, 0, 0, s6
	v_mul_lo_u32 v6, v2, s37
	v_mul_lo_u32 v10, s37, v4
	v_mul_hi_u32 v11, v2, s36
	s_delay_alu instid0(VALU_DEP_4) | instskip(SKIP_2) | instid1(VALU_DEP_2)
	v_mul_lo_u32 v7, s36, v5
	v_mad_co_u64_u32 v[4:5], null, s36, v4, s[46:47]
	v_add_nc_u32_e32 v6, v6, v38
	v_add3_u32 v5, v10, v5, v7
	s_delay_alu instid0(VALU_DEP_2)
	v_dual_mov_b32 v7, v1 :: v_dual_add_nc_u32 v10, v6, v11
	v_mul_lo_u32 v9, v2, s36
	v_mov_b32_e32 v6, v0
	s_branch .LBB84_16
.LBB84_15:                              ;   in Loop: Header=BB84_16 Depth=2
	s_wait_alu 0xfffe
	s_or_b32 exec_lo, exec_lo, s7
	v_add_co_u32 v4, vcc_lo, v4, v9
	s_wait_alu 0xfffd
	v_add_co_ci_u32_e64 v5, null, v5, v10, vcc_lo
	v_mov_b32_e32 v8, v11
	s_and_not1_b32 exec_lo, exec_lo, s9
	s_cbranch_execz .LBB84_140
.LBB84_16:                              ;   Parent Loop BB84_11 Depth=1
                                        ; =>  This Inner Loop Header: Depth=2
	s_delay_alu instid0(VALU_DEP_1)
	v_add_co_u32 v6, vcc_lo, v6, v2
	s_wait_alu 0xfffd
	v_add_co_ci_u32_e64 v7, null, 0, v7, vcc_lo
	s_wait_dscnt 0x0
	v_dual_mov_b32 v28, 0 :: v_dual_mov_b32 v11, 0
	s_mov_b32 s7, exec_lo
	s_delay_alu instid0(VALU_DEP_2)
	v_cmp_le_u64_e32 vcc_lo, s[28:29], v[6:7]
	v_cmpx_gt_u64_e64 s[28:29], v[6:7]
	s_cbranch_execz .LBB84_18
; %bb.17:                               ;   in Loop: Header=BB84_16 Depth=2
	global_load_u8 v11, v[4:5], off
.LBB84_18:                              ;   in Loop: Header=BB84_16 Depth=2
	s_wait_alu 0xfffe
	s_or_b32 exec_lo, exec_lo, s7
	s_wait_loadcnt 0x0
	v_bfe_i32 v29, v8, 0, 8
	s_delay_alu instid0(VALU_DEP_1) | instskip(NEXT) | instid1(VALU_DEP_1)
	v_add_nc_u32_e32 v29, 0x80, v29
	v_and_b32_e32 v29, v29, v39
	s_delay_alu instid0(VALU_DEP_1)
	v_cmp_eq_u32_e64 s6, v29, v20
	s_cmp_lg_u32 s6, 0
	s_cselect_b32 s7, -1, 0
	s_wait_alu 0xfffe
	s_and_b32 s7, s1, s7
	s_wait_alu 0xfffe
	s_and_saveexec_b32 s10, s7
	s_cbranch_execz .LBB84_22
; %bb.19:                               ;   in Loop: Header=BB84_16 Depth=2
	s_mov_b32 s13, exec_lo
	s_bcnt1_i32_b32 s11, s6
	s_wait_alu 0xfffe
	v_mbcnt_lo_u32_b32 v28, s13, 0
	s_mov_b32 s12, exec_lo
                                        ; implicit-def: $vgpr29
	s_delay_alu instid0(VALU_DEP_1)
	v_cmpx_eq_u32_e32 0, v28
; %bb.20:                               ;   in Loop: Header=BB84_16 Depth=2
	s_bcnt1_i32_b32 s7, s13
	s_wait_alu 0xfffe
	s_mul_i32 s7, s11, s7
	s_wait_alu 0xfffe
	v_mov_b32_e32 v29, s7
	ds_add_rtn_u32 v29, v3, v29 offset:5144
; %bb.21:                               ;   in Loop: Header=BB84_16 Depth=2
	s_or_b32 exec_lo, exec_lo, s12
	s_wait_dscnt 0x0
	v_readfirstlane_b32 s7, v29
	s_wait_alu 0xf1ff
	s_delay_alu instid0(VALU_DEP_1)
	v_mad_u32_u24 v28, s11, v28, s7
.LBB84_22:                              ;   in Loop: Header=BB84_16 Depth=2
	s_wait_alu 0xfffe
	s_or_b32 exec_lo, exec_lo, s10
	ds_bpermute_b32 v28, v3, v28
	s_and_b32 s7, exec_lo, vcc_lo
	s_wait_alu 0xfffe
	s_or_b32 s9, s7, s9
	s_and_saveexec_b32 s7, s6
	s_cbranch_execz .LBB84_15
; %bb.23:                               ;   in Loop: Header=BB84_16 Depth=2
	v_and_b32_e32 v29, s6, v33
	s_wait_dscnt 0x0
	s_delay_alu instid0(VALU_DEP_1)
	v_bcnt_u32_b32 v28, v29, v28
	ds_store_b8 v28, v8
	s_branch .LBB84_15
.LBB84_24:                              ;   in Loop: Header=BB84_11 Depth=1
	s_mov_b32 s8, -1
	s_mov_b32 s6, 0
.LBB84_25:                              ;   in Loop: Header=BB84_11 Depth=1
	s_wait_alu 0xfffe
	s_and_b32 vcc_lo, exec_lo, s8
	s_wait_alu 0xfffe
	s_cbranch_vccz .LBB84_41
.LBB84_26:                              ;   in Loop: Header=BB84_11 Depth=1
	s_and_saveexec_b32 s12, s0
	s_cbranch_execz .LBB84_38
; %bb.27:                               ;   in Loop: Header=BB84_11 Depth=1
	global_load_u16 v4, v3, s[56:57]
	global_load_u8 v30, v[12:13], off
	v_mov_b32_e32 v8, v0
	s_mov_b32 s13, exec_lo
	s_wait_loadcnt 0x1
	v_and_b32_e32 v2, 0xffff, v4
	v_readfirstlane_b32 s6, v4
	s_delay_alu instid0(VALU_DEP_2) | instskip(NEXT) | instid1(VALU_DEP_1)
	v_add_nc_u32_e32 v2, v2, v0
	v_cmpx_gt_u64_e64 s[28:29], v[2:3]
	s_cbranch_execz .LBB84_37
; %bb.28:                               ;   in Loop: Header=BB84_11 Depth=1
	s_and_b32 s48, s6, 0xffff
	v_dual_mov_b32 v7, v1 :: v_dual_mov_b32 v6, v0
	s_wait_alu 0xfffe
	s_cmp_eq_u32 s48, 1
	v_dual_mov_b32 v5, v3 :: v_dual_mov_b32 v4, v2
	s_cselect_b32 s6, -1, 0
                                        ; implicit-def: $vgpr8_vgpr9
	s_wait_alu 0xfffe
	s_and_b32 s7, s4, s6
	s_mov_b32 s6, -1
	s_wait_alu 0xfffe
	s_and_saveexec_b32 s8, s7
	s_cbranch_execz .LBB84_32
; %bb.29:                               ;   in Loop: Header=BB84_11 Depth=1
	v_add_co_u32 v8, s6, v2, 3
	s_wait_alu 0xf1ff
	v_add_co_ci_u32_e64 v9, null, 0, 0, s6
	v_add_co_u32 v6, s6, v2, 2
	s_wait_alu 0xf1ff
	v_add_co_ci_u32_e64 v7, null, 0, 0, s6
	v_add_co_u32 v4, s6, v2, 1
	s_wait_alu 0xf1ff
	v_add_co_ci_u32_e64 v5, null, 0, 0, s6
	v_mov_b32_e32 v11, v9
	v_dual_mov_b32 v29, v17 :: v_dual_mov_b32 v10, v8
	s_wait_loadcnt 0x0
	v_dual_mov_b32 v28, v16 :: v_dual_lshlrev_b32 v41, 24, v30
	v_mov_b32_e32 v9, v7
	v_dual_mov_b32 v31, v0 :: v_dual_mov_b32 v8, v6
	v_mov_b32_e32 v7, v5
	v_mov_b32_e32 v6, v4
	;; [unrolled: 1-line block ×4, first 2 shown]
	s_mov_b32 s9, 0
.LBB84_30:                              ;   Parent Loop BB84_11 Depth=1
                                        ; =>  This Inner Loop Header: Depth=2
	v_mul_lo_u32 v51, v7, s74
	v_mul_lo_u32 v52, v6, s75
	v_mad_co_u64_u32 v[44:45], null, v6, s74, 0
	v_mul_lo_u32 v30, v9, s76
	v_mul_lo_u32 v50, v8, s77
	v_mad_co_u64_u32 v[42:43], null, v8, s76, 0
	v_mul_lo_u32 v53, v5, s36
	v_mul_lo_u32 v54, v4, s37
	v_mad_co_u64_u32 v[46:47], null, v4, s36, 0
	v_mad_co_u64_u32 v[48:49], null, v10, s78, s[46:47]
	v_mul_lo_u32 v55, v10, s79
	v_mul_lo_u32 v56, v11, s78
	v_add3_u32 v51, v45, v52, v51
	v_add3_u32 v30, v43, v50, v30
	;; [unrolled: 1-line block ×3, first 2 shown]
	v_add_co_u32 v50, s7, s46, v44
	v_add_co_u32 v45, s6, s46, v42
	v_add3_u32 v49, v56, v49, v55
	v_add_co_u32 v43, vcc_lo, s46, v46
	s_wait_alu 0xf1ff
	v_add_co_ci_u32_e64 v51, null, s47, v51, s7
	v_add_co_ci_u32_e64 v46, null, s47, v30, s6
	s_wait_alu 0xfffd
	v_add_co_ci_u32_e64 v44, null, s47, v47, vcc_lo
	s_clause 0x3
	global_load_u8 v30, v[48:49], off
	global_load_u8 v42, v[50:51], off
	;; [unrolled: 1-line block ×4, first 2 shown]
	v_add_co_u32 v10, vcc_lo, v10, 4
	s_wait_alu 0xfffd
	v_add_co_ci_u32_e64 v11, null, 0, v11, vcc_lo
	v_add_co_u32 v8, vcc_lo, v8, 4
	s_wait_alu 0xfffd
	v_add_co_ci_u32_e64 v9, null, 0, v9, vcc_lo
	;; [unrolled: 3-line block ×3, first 2 shown]
	v_add_co_u32 v28, vcc_lo, v28, -4
	s_wait_alu 0xfffd
	v_add_co_ci_u32_e64 v29, null, -1, v29, vcc_lo
	v_add_co_u32 v4, vcc_lo, v4, 4
	s_wait_alu 0xfffd
	v_add_co_ci_u32_e64 v5, null, 0, v5, vcc_lo
	s_delay_alu instid0(VALU_DEP_3)
	v_cmp_eq_u64_e64 s6, 0, v[28:29]
	s_wait_alu 0xfffe
	s_or_b32 s9, s6, s9
	s_wait_loadcnt 0x0
	v_perm_b32 v44, v43, v42, 0xc0c0004
	v_perm_b32 v42, v42, v45, 0xc0c0004
	;; [unrolled: 1-line block ×4, first 2 shown]
	s_delay_alu instid0(VALU_DEP_2) | instskip(NEXT) | instid1(VALU_DEP_2)
	v_lshl_or_b32 v41, v42, 16, v41
	v_lshl_or_b32 v42, v43, 16, v44
	ds_store_b32 v31, v41
	v_add_nc_u32_e32 v31, 4, v31
	v_mov_b32_e32 v41, v42
	s_wait_alu 0xfffe
	s_and_not1_b32 exec_lo, exec_lo, s9
	s_cbranch_execnz .LBB84_30
; %bb.31:                               ;   in Loop: Header=BB84_11 Depth=1
	s_or_b32 exec_lo, exec_lo, s9
	v_add_co_u32 v4, vcc_lo, v2, v16
	s_wait_alu 0xfffd
	v_add_co_ci_u32_e64 v5, null, 0, v17, vcc_lo
	v_dual_mov_b32 v6, v18 :: v_dual_mov_b32 v7, v19
	s_delay_alu instid0(VALU_DEP_3)
	v_add_co_u32 v8, vcc_lo, v4, -1
	s_or_not1_b32 s6, s5, exec_lo
	s_wait_alu 0xfffd
	v_add_co_ci_u32_e64 v2, null, -1, v5, vcc_lo
.LBB84_32:                              ;   in Loop: Header=BB84_11 Depth=1
	s_wait_alu 0xfffe
	s_or_b32 exec_lo, exec_lo, s8
	s_and_saveexec_b32 s7, s6
	s_cbranch_execz .LBB84_36
; %bb.33:                               ;   in Loop: Header=BB84_11 Depth=1
	v_mad_co_u64_u32 v[9:10], null, s36, v4, s[46:47]
	v_mul_lo_u32 v2, s36, v5
	v_mul_lo_u32 v7, s37, v4
	s_sub_nc_u64 s[8:9], 0, s[48:49]
	s_mul_u64 s[10:11], s[36:37], s[48:49]
	s_mov_b32 s14, 0
	s_delay_alu instid0(VALU_DEP_1)
	v_add3_u32 v10, v7, v10, v2
.LBB84_34:                              ;   Parent Loop BB84_11 Depth=1
                                        ; =>  This Inner Loop Header: Depth=2
	global_load_u8 v2, v[9:10], off
	v_dual_mov_b32 v8, v5 :: v_dual_mov_b32 v7, v4
	s_wait_alu 0xfffe
	v_add_co_u32 v9, vcc_lo, v9, s10
	s_wait_alu 0xfffd
	v_add_co_ci_u32_e64 v10, null, s11, v10, vcc_lo
	v_add_co_u32 v4, s6, v7, s48
	s_wait_alu 0xf1ff
	v_add_co_ci_u32_e64 v5, null, 0, v8, s6
	s_wait_loadcnt 0x1
	ds_store_b8 v6, v30
	v_mov_b32_e32 v6, v7
	v_mov_b32_e32 v7, v8
	v_cmp_le_u64_e32 vcc_lo, s[28:29], v[4:5]
	v_add_co_u32 v8, s6, s8, v4
	s_wait_alu 0xf1ff
	v_add_co_ci_u32_e64 v7, null, s9, v5, s6
	s_or_b32 s14, vcc_lo, s14
	s_wait_loadcnt 0x0
	v_mov_b32_e32 v30, v2
	s_wait_alu 0xfffe
	s_and_not1_b32 exec_lo, exec_lo, s14
	s_cbranch_execnz .LBB84_34
; %bb.35:                               ;   in Loop: Header=BB84_11 Depth=1
	s_or_b32 exec_lo, exec_lo, s14
	v_mov_b32_e32 v30, v2
.LBB84_36:                              ;   in Loop: Header=BB84_11 Depth=1
	s_wait_alu 0xfffe
	s_or_b32 exec_lo, exec_lo, s7
.LBB84_37:                              ;   in Loop: Header=BB84_11 Depth=1
	s_wait_alu 0xfffe
	s_or_b32 exec_lo, exec_lo, s13
	s_wait_loadcnt 0x0
	ds_store_b8 v8, v30
.LBB84_38:                              ;   in Loop: Header=BB84_11 Depth=1
	s_wait_alu 0xfffe
	s_or_b32 exec_lo, exec_lo, s12
	s_wait_loadcnt_dscnt 0x0
	s_barrier_signal -1
	s_barrier_wait -1
	global_inv scope:SCOPE_SE
	s_and_saveexec_b32 s6, s2
; %bb.39:                               ;   in Loop: Header=BB84_11 Depth=1
	v_dual_mov_b32 v4, s28 :: v_dual_mov_b32 v5, s29
	ds_store_b64 v3, v[4:5] offset:5120
; %bb.40:                               ;   in Loop: Header=BB84_11 Depth=1
	s_wait_alu 0xfffe
	s_or_b32 exec_lo, exec_lo, s6
	s_mov_b32 s6, -1
	s_wait_loadcnt_dscnt 0x0
	s_barrier_signal -1
	s_barrier_wait -1
.LBB84_41:                              ;   in Loop: Header=BB84_11 Depth=1
	s_wait_alu 0xfffe
	s_and_b32 vcc_lo, exec_lo, s6
	s_mov_b64 s[58:59], 0
	s_wait_alu 0xfffe
	s_cbranch_vccz .LBB84_43
; %bb.42:                               ;   in Loop: Header=BB84_11 Depth=1
	s_wait_loadcnt 0x0
	global_inv scope:SCOPE_SE
	ds_load_b64 v[4:5], v3 offset:5120
	s_wait_dscnt 0x0
	v_readfirstlane_b32 s58, v4
.LBB84_43:                              ;   in Loop: Header=BB84_11 Depth=1
	s_delay_alu instid0(VALU_DEP_1)
	s_cmp_lt_i32 s58, 1
	s_mov_b32 s6, -1
                                        ; implicit-def: $vgpr10_vgpr11
                                        ; implicit-def: $vgpr6_vgpr7
	s_cbranch_scc1 .LBB84_53
; %bb.44:                               ;   in Loop: Header=BB84_11 Depth=1
	s_wait_alu 0xfffe
	s_and_b32 vcc_lo, exec_lo, s6
	s_wait_alu 0xfffe
	s_cbranch_vccnz .LBB84_67
.LBB84_45:                              ;   in Loop: Header=BB84_11 Depth=1
	s_lshl_b32 s6, s87, 7
	s_and_saveexec_b32 s7, s1
	s_cbranch_execz .LBB84_47
.LBB84_46:                              ;   in Loop: Header=BB84_11 Depth=1
	s_wait_alu 0xfffe
	v_lshl_add_u32 v2, s6, 3, v34
	ds_store_b128 v2, v[4:7]
	ds_store_b128 v2, v[8:11] offset:16
.LBB84_47:                              ;   in Loop: Header=BB84_11 Depth=1
	s_wait_alu 0xfffe
	s_or_b32 exec_lo, exec_lo, s7
	s_wait_loadcnt_dscnt 0x0
	s_barrier_signal -1
	s_barrier_wait -1
	global_inv scope:SCOPE_SE
	s_and_saveexec_b32 s7, s33
	s_cbranch_execz .LBB84_81
; %bb.48:                               ;   in Loop: Header=BB84_11 Depth=1
	v_mov_b32_e32 v4, 0
	v_mov_b32_e32 v5, 0
	s_and_not1_b32 vcc_lo, exec_lo, s73
	s_wait_alu 0xfffe
	s_cbranch_vccnz .LBB84_80
; %bb.49:                               ;   in Loop: Header=BB84_11 Depth=1
	v_mov_b32_e32 v4, 0
	v_mov_b32_e32 v5, 0
	s_and_not1_b32 vcc_lo, exec_lo, s81
	s_wait_alu 0xfffe
	s_cbranch_vccnz .LBB84_77
; %bb.50:                               ;   in Loop: Header=BB84_11 Depth=1
	v_lshl_add_u32 v2, s87, 10, v37
	s_mov_b32 s8, 0
.LBB84_51:                              ;   Parent Loop BB84_11 Depth=1
                                        ; =>  This Inner Loop Header: Depth=2
	ds_load_2addr_b64 v[6:9], v2 offset1:4
	ds_load_2addr_b64 v[28:31], v2 offset0:8 offset1:12
	ds_load_2addr_b64 v[41:44], v2 offset0:16 offset1:20
	s_wait_alu 0xfffe
	s_add_co_i32 s8, s8, 8
	s_wait_alu 0xfffe
	s_cmp_eq_u32 s82, s8
	s_wait_dscnt 0x2
	v_add_co_u32 v4, vcc_lo, v6, v4
	s_wait_alu 0xfffd
	v_add_co_ci_u32_e64 v5, null, v7, v5, vcc_lo
	s_delay_alu instid0(VALU_DEP_2) | instskip(SKIP_1) | instid1(VALU_DEP_2)
	v_add_co_u32 v8, vcc_lo, v8, v4
	s_wait_alu 0xfffd
	v_add_co_ci_u32_e64 v9, null, v9, v5, vcc_lo
	ds_load_2addr_b64 v[4:7], v2 offset0:24 offset1:28
	s_wait_dscnt 0x2
	v_add_co_u32 v8, vcc_lo, v28, v8
	s_wait_alu 0xfffd
	v_add_co_ci_u32_e64 v9, null, v29, v9, vcc_lo
	v_add_nc_u32_e32 v2, 0x100, v2
	s_delay_alu instid0(VALU_DEP_3) | instskip(SKIP_1) | instid1(VALU_DEP_3)
	v_add_co_u32 v8, vcc_lo, v30, v8
	s_wait_alu 0xfffd
	v_add_co_ci_u32_e64 v9, null, v31, v9, vcc_lo
	s_wait_dscnt 0x1
	s_delay_alu instid0(VALU_DEP_2) | instskip(SKIP_1) | instid1(VALU_DEP_2)
	v_add_co_u32 v8, vcc_lo, v41, v8
	s_wait_alu 0xfffd
	v_add_co_ci_u32_e64 v9, null, v42, v9, vcc_lo
	s_delay_alu instid0(VALU_DEP_2) | instskip(SKIP_1) | instid1(VALU_DEP_2)
	v_add_co_u32 v8, vcc_lo, v43, v8
	s_wait_alu 0xfffd
	v_add_co_ci_u32_e64 v9, null, v44, v9, vcc_lo
	s_wait_dscnt 0x0
	s_delay_alu instid0(VALU_DEP_2) | instskip(SKIP_1) | instid1(VALU_DEP_2)
	v_add_co_u32 v4, vcc_lo, v4, v8
	s_wait_alu 0xfffd
	v_add_co_ci_u32_e64 v5, null, v5, v9, vcc_lo
	s_delay_alu instid0(VALU_DEP_2) | instskip(SKIP_1) | instid1(VALU_DEP_2)
	v_add_co_u32 v4, vcc_lo, v6, v4
	s_wait_alu 0xfffd
	v_add_co_ci_u32_e64 v5, null, v7, v5, vcc_lo
	s_cbranch_scc0 .LBB84_51
; %bb.52:                               ;   in Loop: Header=BB84_11 Depth=1
	s_mov_b32 s8, s82
	s_and_not1_b32 vcc_lo, exec_lo, s83
	s_wait_alu 0xfffe
	s_cbranch_vccz .LBB84_78
	s_branch .LBB84_80
.LBB84_53:                              ;   in Loop: Header=BB84_11 Depth=1
	global_load_u16 v2, v3, s[56:57]
	s_mov_b32 s7, s29
	s_wait_loadcnt 0x0
	v_readfirstlane_b32 s6, v2
	s_wait_alu 0xfffe
	s_and_b32 s8, 0xffff, s6
	s_mov_b32 s6, s49
	s_wait_alu 0xfffe
	s_lshl_b32 s60, s8, 2
	s_cmp_lg_u64 s[6:7], 0
	s_cbranch_scc0 .LBB84_76
; %bb.54:                               ;   in Loop: Header=BB84_11 Depth=1
	s_wait_alu 0xfffe
	s_cvt_f32_u32 s6, s60
	s_mov_b32 s61, s49
	s_wait_alu 0xfffe
	s_sub_nc_u64 s[8:9], 0, s[60:61]
	s_fmamk_f32 s6, s86, 0x0, s6
	s_wait_alu 0xfffe
	s_delay_alu instid0(SALU_CYCLE_2) | instskip(NEXT) | instid1(TRANS32_DEP_1)
	v_s_rcp_f32 s6, s6
	s_mul_f32 s6, s6, 0x5f7ffffc
	s_wait_alu 0xfffe
	s_delay_alu instid0(SALU_CYCLE_2) | instskip(SKIP_1) | instid1(SALU_CYCLE_2)
	s_mul_f32 s7, s6, 0x2f800000
	s_wait_alu 0xfffe
	s_trunc_f32 s7, s7
	s_wait_alu 0xfffe
	s_delay_alu instid0(SALU_CYCLE_2) | instskip(SKIP_2) | instid1(SALU_CYCLE_1)
	s_fmamk_f32 s6, s7, 0xcf800000, s6
	s_cvt_u32_f32 s7, s7
	s_wait_alu 0xfffe
	s_cvt_u32_f32 s6, s6
	s_wait_alu 0xfffe
	s_delay_alu instid0(SALU_CYCLE_2)
	s_mul_u64 s[10:11], s[8:9], s[6:7]
	s_wait_alu 0xfffe
	s_mul_hi_u32 s13, s6, s11
	s_mul_i32 s12, s6, s11
	s_mul_hi_u32 s48, s6, s10
	s_mul_i32 s15, s7, s10
	s_wait_alu 0xfffe
	s_add_nc_u64 s[12:13], s[48:49], s[12:13]
	s_mul_hi_u32 s14, s7, s10
	s_mul_hi_u32 s16, s7, s11
	s_mul_i32 s10, s7, s11
	s_wait_alu 0xfffe
	s_add_co_u32 s11, s12, s15
	s_add_co_ci_u32 s48, s13, s14
	s_add_co_ci_u32 s11, s16, 0
	s_wait_alu 0xfffe
	s_add_nc_u64 s[10:11], s[48:49], s[10:11]
	s_wait_alu 0xfffe
	s_add_co_u32 s6, s6, s10
	s_cselect_b32 s10, -1, 0
	s_wait_alu 0xfffe
	s_cmp_lg_u32 s10, 0
	s_add_co_ci_u32 s7, s7, s11
	s_wait_alu 0xfffe
	s_mul_u64 s[8:9], s[8:9], s[6:7]
	s_wait_alu 0xfffe
	s_mul_hi_u32 s11, s6, s9
	s_mul_i32 s10, s6, s9
	s_mul_hi_u32 s48, s6, s8
	s_mul_i32 s13, s7, s8
	s_wait_alu 0xfffe
	s_add_nc_u64 s[10:11], s[48:49], s[10:11]
	s_mul_hi_u32 s12, s7, s8
	s_mul_hi_u32 s14, s7, s9
	s_mul_i32 s8, s7, s9
	s_wait_alu 0xfffe
	s_add_co_u32 s9, s10, s13
	s_add_co_ci_u32 s48, s11, s12
	s_add_co_ci_u32 s9, s14, 0
	s_wait_alu 0xfffe
	s_add_nc_u64 s[8:9], s[48:49], s[8:9]
	s_wait_alu 0xfffe
	s_add_co_u32 s6, s6, s8
	s_cselect_b32 s8, -1, 0
	s_wait_alu 0xfffe
	s_mul_hi_u32 s48, s28, s6
	s_cmp_lg_u32 s8, 0
	s_mul_hi_u32 s10, s29, s6
	s_add_co_ci_u32 s8, s7, s9
	s_mul_i32 s9, s29, s6
	s_wait_alu 0xfffe
	s_mul_hi_u32 s7, s28, s8
	s_mul_i32 s6, s28, s8
	s_mul_hi_u32 s11, s29, s8
	s_wait_alu 0xfffe
	s_add_nc_u64 s[6:7], s[48:49], s[6:7]
	s_mul_i32 s8, s29, s8
	s_wait_alu 0xfffe
	s_add_co_u32 s6, s6, s9
	s_add_co_ci_u32 s48, s7, s10
	s_add_co_ci_u32 s9, s11, 0
	s_wait_alu 0xfffe
	s_add_nc_u64 s[6:7], s[48:49], s[8:9]
	s_wait_alu 0xfffe
	s_mul_u64 s[6:7], s[60:61], s[6:7]
	s_wait_alu 0xfffe
	s_sub_co_u32 s6, s28, s6
	s_cselect_b32 s8, -1, 0
	s_wait_alu 0xfffe
	s_cmp_lg_u32 s8, 0
	s_sub_co_ci_u32 s7, s29, s7
	s_sub_co_u32 s8, s6, s60
	s_cselect_b32 s9, -1, 0
	s_wait_alu 0xfffe
	s_cmp_lg_u32 s9, 0
	s_sub_co_ci_u32 s9, s7, 0
	;; [unrolled: 5-line block ×3, first 2 shown]
	s_cmp_ge_u32 s8, s60
	s_cselect_b32 s12, -1, 0
	s_cmp_eq_u32 s9, 0
	s_wait_alu 0xfffe
	s_cselect_b32 s12, s12, -1
	s_wait_alu 0xfffe
	s_cmp_lg_u32 s12, 0
	s_cselect_b32 s9, s11, s9
	s_cselect_b32 s8, s10, s8
	s_cmp_ge_u32 s6, s60
	s_cselect_b32 s10, -1, 0
	s_cmp_eq_u32 s7, 0
	s_wait_alu 0xfffe
	s_cselect_b32 s10, s10, -1
	s_wait_alu 0xfffe
	s_cmp_lg_u32 s10, 0
	s_cselect_b32 s7, s9, s7
	s_cselect_b32 s6, s8, s6
	s_cbranch_execnz .LBB84_56
.LBB84_55:                              ;   in Loop: Header=BB84_11 Depth=1
	s_wait_alu 0xfffe
	v_cvt_f32_u32_e32 v4, s60
	s_sub_co_i32 s7, 0, s60
	s_delay_alu instid0(VALU_DEP_1) | instskip(NEXT) | instid1(TRANS32_DEP_1)
	v_rcp_iflag_f32_e32 v4, v4
	v_mul_f32_e32 v4, 0x4f7ffffe, v4
	s_delay_alu instid0(VALU_DEP_1) | instskip(NEXT) | instid1(VALU_DEP_1)
	v_cvt_u32_f32_e32 v4, v4
	v_readfirstlane_b32 s6, v4
	s_wait_alu 0xfffe
	s_mul_i32 s7, s7, s6
	s_wait_alu 0xfffe
	s_mul_hi_u32 s7, s6, s7
	s_wait_alu 0xfffe
	s_add_co_i32 s6, s6, s7
	s_wait_alu 0xfffe
	s_mul_hi_u32 s6, s28, s6
	s_wait_alu 0xfffe
	s_mul_i32 s6, s6, s60
	s_wait_alu 0xfffe
	s_sub_co_i32 s6, s28, s6
	s_wait_alu 0xfffe
	s_sub_co_i32 s7, s6, s60
	s_cmp_ge_u32 s6, s60
	s_wait_alu 0xfffe
	s_cselect_b32 s6, s7, s6
	s_wait_alu 0xfffe
	s_sub_co_i32 s7, s6, s60
	s_cmp_ge_u32 s6, s60
	s_wait_alu 0xfffe
	s_cselect_b32 s48, s7, s6
	s_wait_alu 0xfffe
	s_mov_b64 s[6:7], s[48:49]
.LBB84_56:                              ;   in Loop: Header=BB84_11 Depth=1
	v_mov_b32_e32 v4, 0
	v_dual_mov_b32 v8, 0 :: v_dual_mov_b32 v5, 0
	v_dual_mov_b32 v6, 0 :: v_dual_mov_b32 v9, 0
	;; [unrolled: 1-line block ×3, first 2 shown]
	v_dual_mov_b32 v11, 0 :: v_dual_and_b32 v2, 0xffff, v2
	s_wait_alu 0xfffe
	s_sub_nc_u64 s[62:63], s[28:29], s[6:7]
	s_mov_b32 s59, exec_lo
	s_wait_alu 0xfffe
	v_cmpx_gt_u64_e64 s[62:63], v[14:15]
	s_cbranch_execz .LBB84_60
; %bb.57:                               ;   in Loop: Header=BB84_11 Depth=1
	v_mul_lo_u32 v4, v2, s55
	v_mul_lo_u32 v5, 0, s54
	v_mul_hi_u32 v6, v2, s54
	v_mul_lo_u32 v41, v2, s54
	v_dual_mov_b32 v28, s46 :: v_dual_mov_b32 v31, v15
	v_mov_b32_e32 v30, v14
	s_mov_b64 s[64:65], 0
	v_dual_mov_b32 v29, s47 :: v_dual_add_nc_u32 v4, v4, v5
	s_mov_b32 s61, 0
	s_mov_b64 s[66:67], 0
	s_mov_b64 s[68:69], 0
	s_mov_b64 s[70:71], 0
	v_add_nc_u32_e32 v42, v4, v6
.LBB84_58:                              ;   Parent Loop BB84_11 Depth=1
                                        ; =>  This Inner Loop Header: Depth=2
	v_add_co_u32 v4, vcc_lo, v28, v24
	s_wait_alu 0xfffd
	v_add_co_ci_u32_e64 v5, null, v29, v25, vcc_lo
	v_add_co_u32 v6, vcc_lo, v28, v23
	s_wait_alu 0xfffd
	v_add_co_ci_u32_e64 v7, null, v29, v36, vcc_lo
	;; [unrolled: 3-line block ×4, first 2 shown]
	s_clause 0x3
	global_load_i8 v4, v[4:5], off
	global_load_i8 v5, v[6:7], off
	;; [unrolled: 1-line block ×4, first 2 shown]
	v_add_co_u32 v30, vcc_lo, v30, s60
	s_wait_alu 0xfffd
	v_add_co_ci_u32_e64 v31, null, 0, v31, vcc_lo
	v_add_co_u32 v28, vcc_lo, v28, v41
	s_wait_alu 0xfffd
	v_add_co_ci_u32_e64 v29, null, v29, v42, vcc_lo
	s_delay_alu instid0(VALU_DEP_3)
	v_cmp_le_u64_e32 vcc_lo, s[62:63], v[30:31]
	s_wait_loadcnt 0x3
	v_add_nc_u32_e32 v4, 0x80, v4
	s_wait_loadcnt 0x2
	v_add_nc_u32_e32 v5, 0x80, v5
	;; [unrolled: 2-line block ×4, first 2 shown]
	v_and_b32_e32 v8, v4, v39
	v_bfe_u32 v4, v4, s84, 2
	v_and_b32_e32 v9, v5, v39
	v_bfe_u32 v5, v5, s84, 2
	;; [unrolled: 2-line block ×3, first 2 shown]
	v_cmp_eq_u32_e64 s6, v8, v20
	v_cmp_eq_u32_e64 s10, 0, v4
	v_and_b32_e32 v11, v7, v39
	v_bfe_u32 v7, v7, s84, 2
	v_cmp_eq_u32_e64 s7, v9, v20
	v_cmp_eq_u32_e64 s11, 0, v5
	;; [unrolled: 1-line block ×4, first 2 shown]
	s_and_b32 s10, s6, s10
	v_cmp_eq_u32_e64 s9, v11, v20
	v_cmp_eq_u32_e64 s13, 0, v7
	;; [unrolled: 1-line block ×5, first 2 shown]
	s_wait_alu 0xfffe
	v_cndmask_b32_e64 v4, 0, 1, s10
	s_and_b32 s10, s7, s11
	v_cmp_eq_u32_e64 s15, 1, v5
	v_cmp_eq_u32_e64 s19, 2, v5
	v_cmp_eq_u32_e64 s23, 3, v5
	s_wait_alu 0xfffe
	v_cndmask_b32_e64 v5, 0, 1, s10
	s_and_b32 s10, s8, s12
	v_cmp_eq_u32_e64 s16, 1, v6
	v_cmp_eq_u32_e64 s20, 2, v6
	v_cmp_eq_u32_e64 s24, 3, v6
	;; [unrolled: 6-line block ×3, first 2 shown]
	s_wait_alu 0xfffe
	v_cndmask_b32_e64 v7, 0, 1, s10
	s_and_b32 s10, s6, s14
	s_wait_alu 0xfffe
	v_cndmask_b32_e64 v8, 0, 1, s10
	s_and_b32 s10, s7, s15
	;; [unrolled: 3-line block ×4, first 2 shown]
	v_cmp_ne_u32_e64 s11, 0, v9
	s_wait_alu 0xfffe
	v_cndmask_b32_e64 v11, 0, 1, s10
	s_and_b32 s10, s6, s18
	s_and_b32 s6, s6, s22
	s_wait_alu 0xfffe
	v_cndmask_b32_e64 v43, 0, 1, s10
	v_cndmask_b32_e64 v47, 0, 1, s6
	s_and_b32 s6, s7, s23
	s_and_b32 s10, s7, s19
	s_wait_alu 0xfffe
	v_cndmask_b32_e64 v48, 0, 1, s6
	s_and_b32 s6, s8, s24
	v_cndmask_b32_e64 v44, 0, 1, s10
	s_and_b32 s10, s8, s20
	s_wait_alu 0xfffe
	v_cndmask_b32_e64 v49, 0, 1, s6
	s_and_b32 s6, s9, s25
	v_cndmask_b32_e64 v45, 0, 1, s10
	s_and_b32 s10, s9, s21
	s_wait_alu 0xfffe
	v_cndmask_b32_e64 v50, 0, 1, s6
	v_cmp_ne_u32_e64 s6, 0, v4
	v_cmp_ne_u32_e64 s7, 0, v5
	v_cndmask_b32_e64 v46, 0, 1, s10
	v_cmp_ne_u32_e64 s8, 0, v6
	v_cmp_ne_u32_e64 s10, 0, v8
	;; [unrolled: 1-line block ×6, first 2 shown]
	s_bcnt1_i32_b32 s6, s6
	s_bcnt1_i32_b32 s7, s7
	v_cmp_ne_u32_e64 s13, 0, v11
	v_cmp_ne_u32_e64 s16, 0, v45
	;; [unrolled: 1-line block ×4, first 2 shown]
	s_bcnt1_i32_b32 s8, s8
	s_bcnt1_i32_b32 s10, s10
	;; [unrolled: 1-line block ×3, first 2 shown]
	s_wait_alu 0xfffe
	s_add_co_i32 s6, s7, s6
	v_cmp_ne_u32_e64 s17, 0, v46
	v_cmp_ne_u32_e64 s20, 0, v49
	s_bcnt1_i32_b32 s9, s9
	s_bcnt1_i32_b32 s12, s12
	;; [unrolled: 1-line block ×4, first 2 shown]
	s_add_co_i32 s7, s11, s10
	s_wait_alu 0xfffe
	s_add_co_i32 s6, s6, s8
	v_cmp_ne_u32_e64 s21, 0, v50
	s_bcnt1_i32_b32 s13, s13
	s_bcnt1_i32_b32 s16, s16
	s_bcnt1_i32_b32 s18, s18
	s_bcnt1_i32_b32 s19, s19
	s_add_co_i32 s10, s15, s14
	s_add_co_i32 s7, s7, s12
	s_wait_alu 0xfffe
	s_add_co_i32 s48, s6, s9
	s_bcnt1_i32_b32 s17, s17
	s_bcnt1_i32_b32 s20, s20
	s_add_co_i32 s11, s19, s18
	s_add_co_i32 s8, s10, s16
	s_wait_alu 0xfffe
	s_add_nc_u64 s[70:71], s[70:71], s[48:49]
	s_add_co_i32 s48, s7, s13
	s_bcnt1_i32_b32 s21, s21
	s_add_co_i32 s10, s11, s20
	s_wait_alu 0xfffe
	s_add_nc_u64 s[68:69], s[68:69], s[48:49]
	s_add_co_i32 s48, s8, s17
	v_mov_b32_e32 v4, s70
	s_wait_alu 0xfffe
	s_add_nc_u64 s[66:67], s[66:67], s[48:49]
	s_add_co_i32 s48, s10, s21
	v_mov_b32_e32 v6, s68
	s_wait_alu 0xfffe
	s_add_nc_u64 s[64:65], s[64:65], s[48:49]
	v_mov_b32_e32 v8, s66
	s_wait_alu 0xfffe
	v_dual_mov_b32 v10, s64 :: v_dual_mov_b32 v5, s71
	v_mov_b32_e32 v7, s69
	v_mov_b32_e32 v9, s67
	;; [unrolled: 1-line block ×3, first 2 shown]
	s_or_b32 s61, vcc_lo, s61
	s_wait_alu 0xfffe
	s_and_not1_b32 exec_lo, exec_lo, s61
	s_cbranch_execnz .LBB84_58
; %bb.59:                               ;   in Loop: Header=BB84_11 Depth=1
	s_or_b32 exec_lo, exec_lo, s61
.LBB84_60:                              ;   in Loop: Header=BB84_11 Depth=1
	s_delay_alu instid0(SALU_CYCLE_1)
	s_or_b32 exec_lo, exec_lo, s59
	v_add_co_u32 v28, s6, s62, v0
	s_wait_alu 0xf1ff
	v_add_co_ci_u32_e64 v29, null, s63, 0, s6
	s_mov_b32 s10, exec_lo
	v_cmpx_gt_u64_e64 s[28:29], v[28:29]
	s_cbranch_execz .LBB84_66
; %bb.61:                               ;   in Loop: Header=BB84_11 Depth=1
	v_mad_co_u64_u32 v[30:31], null, v28, s36, s[46:47]
	v_mul_lo_u32 v41, v28, s37
	v_mul_lo_u32 v42, v29, s36
	s_mov_b32 s11, 0
	s_delay_alu instid0(VALU_DEP_1)
	v_add3_u32 v31, v42, v31, v41
	global_load_u8 v31, v[30:31], off
	s_branch .LBB84_63
.LBB84_62:                              ;   in Loop: Header=BB84_63 Depth=2
	s_wait_alu 0xfffe
	s_or_b32 exec_lo, exec_lo, s7
	s_wait_loadcnt 0x0
	v_bfe_i32 v31, v31, 0, 8
	s_and_b32 s8, exec_lo, vcc_lo
	s_wait_alu 0xfffe
	s_or_b32 s11, s8, s11
	s_delay_alu instid0(VALU_DEP_1) | instskip(NEXT) | instid1(VALU_DEP_1)
	v_add_nc_u32_e32 v31, 0x80, v31
	v_and_b32_e32 v41, v31, v39
	v_bfe_u32 v31, v31, s84, 2
	s_delay_alu instid0(VALU_DEP_2) | instskip(NEXT) | instid1(VALU_DEP_2)
	v_cmp_eq_u32_e64 s6, v41, v20
	v_cmp_eq_u32_e64 s7, 0, v31
	v_cmp_eq_u32_e32 vcc_lo, 1, v31
	v_cmp_eq_u32_e64 s8, 2, v31
	s_and_b32 s7, s6, s7
	s_wait_alu 0xfffe
	v_cndmask_b32_e64 v41, 0, 1, s7
	s_and_b32 s7, s6, vcc_lo
	v_cmp_eq_u32_e32 vcc_lo, 3, v31
	s_wait_alu 0xfffe
	v_cndmask_b32_e64 v42, 0, 1, s7
	s_and_b32 s7, s6, s8
	s_wait_alu 0xfffe
	v_cndmask_b32_e64 v43, 0, 1, s7
	v_cmp_ne_u32_e64 s7, 0, v41
	v_cmp_ne_u32_e64 s8, 0, v42
	s_and_b32 s6, s6, vcc_lo
	s_wait_alu 0xfffe
	v_cndmask_b32_e64 v31, 0, 1, s6
	s_bcnt1_i32_b32 s6, s7
	v_cmp_ne_u32_e64 s9, 0, v43
	s_bcnt1_i32_b32 s7, s8
	s_wait_alu 0xfffe
	v_add_co_u32 v4, vcc_lo, v4, s6
	s_wait_alu 0xfffd
	v_add_co_ci_u32_e64 v5, null, 0, v5, vcc_lo
	v_add_co_u32 v6, vcc_lo, v6, s7
	s_wait_alu 0xfffd
	v_add_co_ci_u32_e64 v7, null, 0, v7, vcc_lo
	v_cmp_ne_u32_e32 vcc_lo, 0, v31
	s_bcnt1_i32_b32 s8, s9
	v_mov_b32_e32 v31, v30
	s_wait_alu 0xfffe
	v_add_co_u32 v8, s6, v8, s8
	s_wait_alu 0xf1ff
	v_add_co_ci_u32_e64 v9, null, 0, v9, s6
	s_bcnt1_i32_b32 s6, vcc_lo
	s_wait_alu 0xfffe
	v_add_co_u32 v10, vcc_lo, v10, s6
	s_wait_alu 0xfffd
	v_add_co_ci_u32_e64 v11, null, 0, v11, vcc_lo
	s_and_not1_b32 exec_lo, exec_lo, s11
	s_cbranch_execz .LBB84_65
.LBB84_63:                              ;   Parent Loop BB84_11 Depth=1
                                        ; =>  This Inner Loop Header: Depth=2
	v_add_co_u32 v28, vcc_lo, v28, v2
	s_wait_alu 0xfffd
	v_add_co_ci_u32_e64 v29, null, 0, v29, vcc_lo
	v_mov_b32_e32 v30, 0
	s_mov_b32 s7, exec_lo
	s_delay_alu instid0(VALU_DEP_2)
	v_cmp_le_u64_e32 vcc_lo, s[28:29], v[28:29]
	v_cmpx_gt_u64_e64 s[28:29], v[28:29]
	s_cbranch_execz .LBB84_62
; %bb.64:                               ;   in Loop: Header=BB84_63 Depth=2
	v_mad_co_u64_u32 v[41:42], null, v28, s36, s[46:47]
	v_mul_lo_u32 v30, v28, s37
	v_mul_lo_u32 v43, v29, s36
	s_delay_alu instid0(VALU_DEP_1)
	v_add3_u32 v42, v43, v42, v30
	global_load_u8 v30, v[41:42], off
	s_branch .LBB84_62
.LBB84_65:                              ;   in Loop: Header=BB84_11 Depth=1
	s_or_b32 exec_lo, exec_lo, s11
.LBB84_66:                              ;   in Loop: Header=BB84_11 Depth=1
	s_wait_alu 0xfffe
	s_or_b32 exec_lo, exec_lo, s10
	s_branch .LBB84_45
.LBB84_67:                              ;   in Loop: Header=BB84_11 Depth=1
	global_load_u16 v2, v3, s[56:57]
	v_mov_b32_e32 v6, 0
	v_mov_b32_e32 v8, 0
	v_dual_mov_b32 v10, 0 :: v_dual_mov_b32 v9, 0
	v_mov_b32_e32 v11, 0
	s_mov_b32 s70, exec_lo
	v_mov_b32_e32 v7, 0
	s_wait_loadcnt 0x0
	v_readfirstlane_b32 s6, v2
	v_and_b32_e32 v2, 0xffff, v2
	s_and_b32 s59, 0xffff, s6
	s_wait_alu 0xfffe
	s_lshl_b32 s69, s59, 2
	s_wait_alu 0xfffe
	s_cvt_f32_u32 s6, s69
	s_sub_co_i32 s7, 0, s69
	s_wait_alu 0xfffe
	s_delay_alu instid0(SALU_CYCLE_1) | instskip(NEXT) | instid1(TRANS32_DEP_1)
	v_rcp_iflag_f32_e32 v4, s6
	v_readfirstlane_b32 s6, v4
	s_mul_f32 s6, s6, 0x4f7ffffe
	s_wait_alu 0xfffe
	s_delay_alu instid0(SALU_CYCLE_2) | instskip(SKIP_1) | instid1(SALU_CYCLE_2)
	s_cvt_u32_f32 s6, s6
	s_wait_alu 0xfffe
	s_mul_i32 s7, s7, s6
	s_wait_alu 0xfffe
	s_mul_hi_u32 s7, s6, s7
	s_wait_alu 0xfffe
	s_add_co_i32 s6, s6, s7
	s_wait_alu 0xfffe
	s_mul_hi_u32 s6, s58, s6
	s_wait_alu 0xfffe
	s_mul_i32 s7, s6, s69
	s_add_co_i32 s8, s6, 1
	s_wait_alu 0xfffe
	s_sub_co_i32 s7, s58, s7
	s_wait_alu 0xfffe
	s_sub_co_i32 s9, s7, s69
	s_cmp_ge_u32 s7, s69
	s_cselect_b32 s6, s8, s6
	s_wait_alu 0xfffe
	s_cselect_b32 s7, s9, s7
	s_add_co_i32 s8, s6, 1
	s_wait_alu 0xfffe
	s_cmp_ge_u32 s7, s69
	s_cselect_b32 s68, s8, s6
	s_wait_alu 0xfffe
	v_mul_hi_u32 v5, s68, v2
	v_mul_lo_u32 v4, s68, v2
	s_delay_alu instid0(VALU_DEP_1) | instskip(SKIP_2) | instid1(VALU_DEP_3)
	v_lshlrev_b64_e32 v[28:29], 2, v[4:5]
	v_mov_b32_e32 v4, 0
	v_mov_b32_e32 v5, 0
	v_cmpx_gt_u64_e64 v[28:29], v[14:15]
	s_cbranch_execz .LBB84_71
; %bb.68:                               ;   in Loop: Header=BB84_11 Depth=1
	v_mov_b32_e32 v31, v15
	v_dual_mov_b32 v41, v14 :: v_dual_mov_b32 v30, v14
	s_mov_b64 s[60:61], 0
	s_mov_b32 s71, 0
	s_mov_b64 s[62:63], 0
	s_mov_b64 s[64:65], 0
	;; [unrolled: 1-line block ×3, first 2 shown]
.LBB84_69:                              ;   Parent Loop BB84_11 Depth=1
                                        ; =>  This Inner Loop Header: Depth=2
	ds_load_b32 v4, v41
	v_add_co_u32 v30, vcc_lo, v30, s69
	s_wait_alu 0xfffd
	v_add_co_ci_u32_e64 v31, null, 0, v31, vcc_lo
	s_delay_alu instid0(VALU_DEP_1)
	v_cmp_ge_u64_e32 vcc_lo, v[30:31], v[28:29]
	s_wait_dscnt 0x0
	v_bfe_i32 v5, v4, 0, 8
	v_bfe_i32 v6, v4, 8, 8
	;; [unrolled: 1-line block ×3, first 2 shown]
	v_ashrrev_i32_e32 v4, 24, v4
	s_delay_alu instid0(VALU_DEP_4) | instskip(NEXT) | instid1(VALU_DEP_4)
	v_add_nc_u32_e32 v5, 0x80, v5
	v_add_nc_u32_e32 v6, 0x80, v6
	s_delay_alu instid0(VALU_DEP_4) | instskip(NEXT) | instid1(VALU_DEP_4)
	v_add_nc_u32_e32 v7, 0x80, v7
	v_add_nc_u32_e32 v4, 0x80, v4
	s_delay_alu instid0(VALU_DEP_4)
	v_and_b32_e32 v8, v5, v39
	v_bfe_u32 v5, v5, s84, 2
	v_and_b32_e32 v9, v6, v39
	v_bfe_u32 v6, v6, s84, 2
	;; [unrolled: 2-line block ×3, first 2 shown]
	v_cmp_eq_u32_e64 s6, v8, v20
	v_cmp_eq_u32_e64 s10, 0, v5
	v_and_b32_e32 v11, v4, v39
	v_bfe_u32 v4, v4, s84, 2
	v_cmp_eq_u32_e64 s7, v9, v20
	v_cmp_eq_u32_e64 s11, 0, v6
	;; [unrolled: 1-line block ×4, first 2 shown]
	s_and_b32 s10, s6, s10
	v_cmp_eq_u32_e64 s9, v11, v20
	v_cmp_eq_u32_e64 s13, 0, v4
	;; [unrolled: 1-line block ×5, first 2 shown]
	s_wait_alu 0xfffe
	v_cndmask_b32_e64 v4, 0, 1, s10
	s_and_b32 s10, s7, s11
	v_cmp_eq_u32_e64 s14, 1, v5
	v_cmp_eq_u32_e64 s18, 2, v5
	v_cmp_eq_u32_e64 s22, 3, v5
	s_wait_alu 0xfffe
	v_cndmask_b32_e64 v5, 0, 1, s10
	s_and_b32 s10, s8, s12
	v_cmp_eq_u32_e64 s15, 1, v6
	v_cmp_eq_u32_e64 s19, 2, v6
	v_cmp_eq_u32_e64 s23, 3, v6
	;; [unrolled: 6-line block ×3, first 2 shown]
	s_wait_alu 0xfffe
	v_cndmask_b32_e64 v7, 0, 1, s10
	s_and_b32 s10, s6, s14
	s_wait_alu 0xfffe
	v_cndmask_b32_e64 v8, 0, 1, s10
	s_and_b32 s10, s7, s15
	s_wait_alu 0xfffe
	v_cndmask_b32_e64 v9, 0, 1, s10
	s_and_b32 s10, s8, s16
	s_wait_alu 0xfffe
	v_cndmask_b32_e64 v10, 0, 1, s10
	s_and_b32 s10, s9, s17
	v_cmp_ne_u32_e64 s11, 0, v9
	s_wait_alu 0xfffe
	v_cndmask_b32_e64 v11, 0, 1, s10
	s_and_b32 s10, s6, s18
	s_and_b32 s6, s6, s22
	s_wait_alu 0xfffe
	v_cndmask_b32_e64 v42, 0, 1, s10
	v_cndmask_b32_e64 v46, 0, 1, s6
	s_and_b32 s6, s7, s23
	s_and_b32 s10, s7, s19
	s_wait_alu 0xfffe
	v_cndmask_b32_e64 v47, 0, 1, s6
	s_and_b32 s6, s8, s24
	v_cndmask_b32_e64 v43, 0, 1, s10
	s_and_b32 s10, s8, s20
	s_wait_alu 0xfffe
	v_cndmask_b32_e64 v48, 0, 1, s6
	s_and_b32 s6, s9, s25
	v_cndmask_b32_e64 v44, 0, 1, s10
	s_and_b32 s10, s9, s21
	s_wait_alu 0xfffe
	v_cndmask_b32_e64 v49, 0, 1, s6
	v_cmp_ne_u32_e64 s6, 0, v4
	v_cmp_ne_u32_e64 s7, 0, v5
	v_cndmask_b32_e64 v45, 0, 1, s10
	v_cmp_ne_u32_e64 s8, 0, v6
	v_cmp_ne_u32_e64 s10, 0, v8
	;; [unrolled: 1-line block ×6, first 2 shown]
	s_bcnt1_i32_b32 s6, s6
	s_bcnt1_i32_b32 s7, s7
	v_cmp_ne_u32_e64 s13, 0, v11
	v_cmp_ne_u32_e64 s16, 0, v44
	;; [unrolled: 1-line block ×4, first 2 shown]
	s_bcnt1_i32_b32 s8, s8
	s_bcnt1_i32_b32 s10, s10
	;; [unrolled: 1-line block ×3, first 2 shown]
	s_wait_alu 0xfffe
	s_add_co_i32 s6, s7, s6
	v_cmp_ne_u32_e64 s17, 0, v45
	v_cmp_ne_u32_e64 s20, 0, v48
	s_bcnt1_i32_b32 s9, s9
	s_bcnt1_i32_b32 s12, s12
	;; [unrolled: 1-line block ×4, first 2 shown]
	s_add_co_i32 s7, s11, s10
	s_wait_alu 0xfffe
	s_add_co_i32 s6, s6, s8
	v_cmp_ne_u32_e64 s21, 0, v49
	s_bcnt1_i32_b32 s13, s13
	s_bcnt1_i32_b32 s16, s16
	s_bcnt1_i32_b32 s18, s18
	s_bcnt1_i32_b32 s19, s19
	s_add_co_i32 s10, s15, s14
	s_add_co_i32 s7, s7, s12
	s_wait_alu 0xfffe
	s_add_co_i32 s48, s6, s9
	s_bcnt1_i32_b32 s17, s17
	s_bcnt1_i32_b32 s20, s20
	s_add_co_i32 s11, s19, s18
	s_add_co_i32 s8, s10, s16
	s_wait_alu 0xfffe
	s_add_nc_u64 s[66:67], s[66:67], s[48:49]
	s_add_co_i32 s48, s7, s13
	s_bcnt1_i32_b32 s21, s21
	s_add_co_i32 s10, s11, s20
	s_wait_alu 0xfffe
	s_add_nc_u64 s[64:65], s[64:65], s[48:49]
	s_add_co_i32 s48, s8, s17
	v_dual_mov_b32 v4, s66 :: v_dual_add_nc_u32 v41, s69, v41
	s_wait_alu 0xfffe
	s_add_nc_u64 s[62:63], s[62:63], s[48:49]
	s_add_co_i32 s48, s10, s21
	v_mov_b32_e32 v6, s64
	s_wait_alu 0xfffe
	s_add_nc_u64 s[60:61], s[60:61], s[48:49]
	v_mov_b32_e32 v8, s62
	s_wait_alu 0xfffe
	v_dual_mov_b32 v10, s60 :: v_dual_mov_b32 v5, s67
	v_mov_b32_e32 v7, s65
	v_mov_b32_e32 v9, s63
	;; [unrolled: 1-line block ×3, first 2 shown]
	s_or_b32 s71, vcc_lo, s71
	s_wait_alu 0xfffe
	s_and_not1_b32 exec_lo, exec_lo, s71
	s_cbranch_execnz .LBB84_69
; %bb.70:                               ;   in Loop: Header=BB84_11 Depth=1
	s_or_b32 exec_lo, exec_lo, s71
.LBB84_71:                              ;   in Loop: Header=BB84_11 Depth=1
	s_delay_alu instid0(SALU_CYCLE_1)
	s_or_b32 exec_lo, exec_lo, s70
	v_add_co_u32 v28, vcc_lo, v28, v0
	s_wait_alu 0xfffd
	v_add_co_ci_u32_e64 v29, null, 0, v29, vcc_lo
	s_and_b32 s48, s58, 0x7fffffff
	s_mov_b32 s11, exec_lo
	s_wait_alu 0xfffe
	v_cmpx_gt_u64_e64 s[48:49], v[28:29]
	s_cbranch_execz .LBB84_75
; %bb.72:                               ;   in Loop: Header=BB84_11 Depth=1
	s_mul_i32 s68, s68, s59
	s_mov_b32 s12, 0
	s_wait_alu 0xfffe
	v_lshl_add_u32 v30, s68, 2, v0
.LBB84_73:                              ;   Parent Loop BB84_11 Depth=1
                                        ; =>  This Inner Loop Header: Depth=2
	ds_load_i8 v31, v30
	v_add_co_u32 v28, vcc_lo, v28, v2
	s_wait_alu 0xfffd
	v_add_co_ci_u32_e64 v29, null, 0, v29, vcc_lo
	v_add_nc_u32_e32 v30, s59, v30
	s_delay_alu instid0(VALU_DEP_2) | instskip(SKIP_2) | instid1(VALU_DEP_1)
	v_cmp_le_u64_e32 vcc_lo, s[48:49], v[28:29]
	s_wait_dscnt 0x0
	v_add_nc_u32_e32 v31, 0x80, v31
	v_and_b32_e32 v41, v31, v39
	v_bfe_u32 v31, v31, s84, 2
	s_delay_alu instid0(VALU_DEP_2) | instskip(NEXT) | instid1(VALU_DEP_2)
	v_cmp_eq_u32_e64 s6, v41, v20
	v_cmp_eq_u32_e64 s7, 0, v31
	;; [unrolled: 1-line block ×5, first 2 shown]
	s_and_b32 s7, s6, s7
	s_wait_alu 0xfffe
	v_cndmask_b32_e64 v31, 0, 1, s7
	s_and_b32 s7, s6, s8
	s_wait_alu 0xfffe
	v_cndmask_b32_e64 v41, 0, 1, s7
	s_and_b32 s7, s6, s9
	s_and_b32 s6, s6, s10
	s_wait_alu 0xfffe
	v_cndmask_b32_e64 v42, 0, 1, s7
	v_cndmask_b32_e64 v43, 0, 1, s6
	v_cmp_ne_u32_e64 s6, 0, v31
	v_cmp_ne_u32_e64 s7, 0, v41
	s_delay_alu instid0(VALU_DEP_4) | instskip(NEXT) | instid1(VALU_DEP_4)
	v_cmp_ne_u32_e64 s8, 0, v42
	v_cmp_ne_u32_e64 s9, 0, v43
	s_bcnt1_i32_b32 s6, s6
	s_bcnt1_i32_b32 s7, s7
	s_wait_alu 0xfffe
	v_add_co_u32 v4, s6, v4, s6
	s_bcnt1_i32_b32 s8, s8
	v_add_co_ci_u32_e64 v5, null, 0, v5, s6
	v_add_co_u32 v6, s6, v6, s7
	s_bcnt1_i32_b32 s9, s9
	v_add_co_ci_u32_e64 v7, null, 0, v7, s6
	s_wait_alu 0xfffe
	v_add_co_u32 v8, s6, v8, s8
	s_wait_alu 0xf1ff
	v_add_co_ci_u32_e64 v9, null, 0, v9, s6
	v_add_co_u32 v10, s6, v10, s9
	s_wait_alu 0xf1ff
	v_add_co_ci_u32_e64 v11, null, 0, v11, s6
	s_or_b32 s12, vcc_lo, s12
	s_wait_alu 0xfffe
	s_and_not1_b32 exec_lo, exec_lo, s12
	s_cbranch_execnz .LBB84_73
; %bb.74:                               ;   in Loop: Header=BB84_11 Depth=1
	s_or_b32 exec_lo, exec_lo, s12
.LBB84_75:                              ;   in Loop: Header=BB84_11 Depth=1
	s_delay_alu instid0(SALU_CYCLE_1)
	s_or_b32 exec_lo, exec_lo, s11
	s_lshl_b32 s6, s87, 7
	s_and_saveexec_b32 s7, s1
	s_cbranch_execnz .LBB84_46
	s_branch .LBB84_47
.LBB84_76:                              ;   in Loop: Header=BB84_11 Depth=1
                                        ; implicit-def: $sgpr6_sgpr7
	s_branch .LBB84_55
.LBB84_77:                              ;   in Loop: Header=BB84_11 Depth=1
	s_mov_b32 s8, 0
	s_and_not1_b32 vcc_lo, exec_lo, s83
	s_wait_alu 0xfffe
	s_cbranch_vccnz .LBB84_80
.LBB84_78:                              ;   in Loop: Header=BB84_11 Depth=1
	s_lshl_b32 s9, s87, 10
	s_lshl_b32 s8, s8, 5
	s_wait_alu 0xfffe
	v_add3_u32 v2, s9, s8, v37
	s_mov_b32 s8, s80
.LBB84_79:                              ;   Parent Loop BB84_11 Depth=1
                                        ; =>  This Inner Loop Header: Depth=2
	ds_load_b64 v[6:7], v2
	v_add_nc_u32_e32 v2, 32, v2
	s_wait_alu 0xfffe
	s_add_co_i32 s8, s8, -1
	s_wait_alu 0xfffe
	s_cmp_lg_u32 s8, 0
	s_wait_dscnt 0x0
	v_add_co_u32 v4, vcc_lo, v6, v4
	s_wait_alu 0xfffd
	v_add_co_ci_u32_e64 v5, null, v7, v5, vcc_lo
	s_cbranch_scc1 .LBB84_79
.LBB84_80:                              ;   in Loop: Header=BB84_11 Depth=1
	v_add_lshl_u32 v2, s6, v32, 3
	ds_store_b64 v2, v[4:5] offset:3072
.LBB84_81:                              ;   in Loop: Header=BB84_11 Depth=1
	s_wait_alu 0xfffe
	s_or_b32 exec_lo, exec_lo, s7
	s_lshl_b32 s6, s6, 3
	s_wait_loadcnt_dscnt 0x0
	s_wait_alu 0xfffe
	v_mov_b32_e32 v2, s6
	s_barrier_signal -1
	s_barrier_wait -1
	global_inv scope:SCOPE_SE
	v_cmp_eq_u64_e32 vcc_lo, 1, v[26:27]
	ds_load_b128 v[4:7], v2 offset:3072
	ds_load_b128 v[8:11], v2 offset:3088
	s_lshl_b32 s16, 3, s84
	s_mov_b32 s18, -1
	s_wait_alu 0xfffe
	s_not_b32 s20, s16
                                        ; implicit-def: $sgpr22
                                        ; implicit-def: $sgpr21
	s_wait_dscnt 0x1
	v_cmp_eq_u64_e64 s6, 1, v[4:5]
	s_wait_dscnt 0x0
	v_readfirstlane_b32 s10, v8
	v_readfirstlane_b32 s11, v9
	;; [unrolled: 1-line block ×4, first 2 shown]
	s_and_b32 s19, s6, vcc_lo
	s_mov_b32 s6, -1
	s_and_saveexec_b32 s17, s19
	s_cbranch_execz .LBB84_113
; %bb.82:                               ;   in Loop: Header=BB84_11 Depth=1
	ds_load_b64 v[8:9], v3 offset:5120
	s_wait_loadcnt_dscnt 0x0
	s_barrier_signal -1
	s_barrier_wait -1
	global_inv scope:SCOPE_SE
	v_readfirstlane_b32 s6, v8
	v_readfirstlane_b32 s7, v9
	s_and_saveexec_b32 s12, s3
; %bb.83:                               ;   in Loop: Header=BB84_11 Depth=1
	ds_store_b8 v0, v3 offset:3072
; %bb.84:                               ;   in Loop: Header=BB84_11 Depth=1
	s_wait_alu 0xfffe
	s_or_b32 exec_lo, exec_lo, s12
	v_and_b32_e32 v20, s20, v20
	v_or_b32_e32 v39, s16, v39
	s_mov_b32 s21, -1
	s_mov_b32 s22, 0
	s_cmp_eq_u64 s[6:7], 0
	s_mov_b32 s14, 0
	s_mov_b32 s15, -1
	s_wait_loadcnt_dscnt 0x0
	s_barrier_signal -1
	s_barrier_wait -1
	global_inv scope:SCOPE_SE
                                        ; implicit-def: $vgpr40
	s_cbranch_scc1 .LBB84_98
; %bb.85:                               ;   in Loop: Header=BB84_11 Depth=1
	s_add_nc_u64 s[12:13], s[6:7], s[50:51]
	s_mov_b32 s14, s49
	s_wait_alu 0xfffe
	s_mov_b32 s15, s13
	s_wait_alu 0xfffe
	s_cmp_lg_u64 s[14:15], 0
	s_cbranch_scc0 .LBB84_139
; %bb.86:                               ;   in Loop: Header=BB84_11 Depth=1
	s_cvt_f32_u32 s14, s38
	s_sub_nc_u64 s[24:25], 0, s[38:39]
	s_wait_alu 0xfffe
	s_delay_alu instid0(SALU_CYCLE_1) | instskip(SKIP_1) | instid1(SALU_CYCLE_2)
	s_fmamk_f32 s14, s86, 0x0, s14
	s_wait_alu 0xfffe
	v_s_rcp_f32 s14, s14
	s_delay_alu instid0(TRANS32_DEP_1) | instskip(SKIP_1) | instid1(SALU_CYCLE_2)
	s_mul_f32 s14, s14, 0x5f7ffffc
	s_wait_alu 0xfffe
	s_mul_f32 s15, s14, 0x2f800000
	s_wait_alu 0xfffe
	s_delay_alu instid0(SALU_CYCLE_2) | instskip(SKIP_1) | instid1(SALU_CYCLE_2)
	s_trunc_f32 s15, s15
	s_wait_alu 0xfffe
	s_fmamk_f32 s14, s15, 0xcf800000, s14
	s_cvt_u32_f32 s15, s15
	s_wait_alu 0xfffe
	s_delay_alu instid0(SALU_CYCLE_1) | instskip(SKIP_1) | instid1(SALU_CYCLE_2)
	s_cvt_u32_f32 s14, s14
	s_wait_alu 0xfffe
	s_mul_u64 s[58:59], s[24:25], s[14:15]
	s_wait_alu 0xfffe
	s_mul_hi_u32 s61, s14, s59
	s_mul_i32 s60, s14, s59
	s_mul_hi_u32 s48, s14, s58
	s_mul_i32 s62, s15, s58
	s_wait_alu 0xfffe
	s_add_nc_u64 s[60:61], s[48:49], s[60:61]
	s_mul_hi_u32 s23, s15, s58
	s_mul_hi_u32 s63, s15, s59
	s_wait_alu 0xfffe
	s_add_co_u32 s48, s60, s62
	s_add_co_ci_u32 s48, s61, s23
	s_mul_i32 s58, s15, s59
	s_add_co_ci_u32 s59, s63, 0
	s_wait_alu 0xfffe
	s_add_nc_u64 s[58:59], s[48:49], s[58:59]
	s_wait_alu 0xfffe
	s_add_co_u32 s14, s14, s58
	s_cselect_b32 s23, -1, 0
	s_delay_alu instid0(SALU_CYCLE_1) | instskip(SKIP_3) | instid1(SALU_CYCLE_1)
	s_cmp_lg_u32 s23, 0
	s_add_co_ci_u32 s15, s15, s59
	s_wait_alu 0xfffe
	s_mul_u64 s[24:25], s[24:25], s[14:15]
	s_mul_hi_u32 s59, s14, s25
	s_mul_i32 s58, s14, s25
	s_mul_hi_u32 s48, s14, s24
	s_mul_i32 s60, s15, s24
	s_wait_alu 0xfffe
	s_add_nc_u64 s[58:59], s[48:49], s[58:59]
	s_mul_hi_u32 s23, s15, s24
	s_mul_hi_u32 s61, s15, s25
	s_mul_i32 s24, s15, s25
	s_wait_alu 0xfffe
	s_add_co_u32 s25, s58, s60
	s_add_co_ci_u32 s48, s59, s23
	s_add_co_ci_u32 s25, s61, 0
	s_wait_alu 0xfffe
	s_add_nc_u64 s[24:25], s[48:49], s[24:25]
	s_delay_alu instid0(SALU_CYCLE_1)
	s_add_co_u32 s14, s14, s24
	s_cselect_b32 s23, -1, 0
	s_wait_alu 0xfffe
	s_mul_hi_u32 s48, s12, s14
	s_cmp_lg_u32 s23, 0
	s_mul_hi_u32 s23, s13, s14
	s_add_co_ci_u32 s24, s15, s25
	s_mul_i32 s25, s13, s14
	s_mul_hi_u32 s15, s12, s24
	s_mul_i32 s14, s12, s24
	s_mul_hi_u32 s58, s13, s24
	s_wait_alu 0xfffe
	s_add_nc_u64 s[14:15], s[48:49], s[14:15]
	s_mul_i32 s24, s13, s24
	s_wait_alu 0xfffe
	s_add_co_u32 s14, s14, s25
	s_add_co_ci_u32 s48, s15, s23
	s_add_co_ci_u32 s25, s58, 0
	s_wait_alu 0xfffe
	s_add_nc_u64 s[14:15], s[48:49], s[24:25]
	s_wait_alu 0xfffe
	s_mul_u64 s[14:15], s[38:39], s[14:15]
	s_wait_alu 0xfffe
	s_sub_co_u32 s14, s12, s14
	s_cselect_b32 s23, -1, 0
	s_delay_alu instid0(SALU_CYCLE_1) | instskip(SKIP_4) | instid1(SALU_CYCLE_1)
	s_cmp_lg_u32 s23, 0
	s_sub_co_ci_u32 s15, s13, s15
	s_wait_alu 0xfffe
	s_sub_co_u32 s23, s14, s38
	s_cselect_b32 s24, -1, 0
	s_cmp_lg_u32 s24, 0
	s_sub_co_ci_u32 s24, s15, 0
	s_sub_co_u32 s25, s23, s38
	s_cselect_b32 s48, -1, 0
	s_wait_alu 0xfffe
	s_cmp_lg_u32 s48, 0
	s_sub_co_ci_u32 s48, s24, 0
	s_cmp_ge_u32 s23, s38
	s_cselect_b32 s58, -1, 0
	s_cmp_eq_u32 s24, 0
	s_wait_alu 0xfffe
	s_cselect_b32 s58, s58, -1
	s_wait_alu 0xfffe
	s_cmp_lg_u32 s58, 0
	s_cselect_b32 s24, s48, s24
	s_cselect_b32 s23, s25, s23
	s_cmp_ge_u32 s14, s38
	s_cselect_b32 s25, -1, 0
	s_cmp_eq_u32 s15, 0
	s_cselect_b32 s25, s25, -1
	s_delay_alu instid0(SALU_CYCLE_1)
	s_cmp_lg_u32 s25, 0
	s_cselect_b32 s15, s24, s15
	s_cselect_b32 s14, s23, s14
	s_cbranch_execnz .LBB84_88
.LBB84_87:                              ;   in Loop: Header=BB84_11 Depth=1
	v_cvt_f32_u32_e32 v2, s38
	s_sub_co_i32 s15, 0, s38
	s_delay_alu instid0(VALU_DEP_1) | instskip(NEXT) | instid1(TRANS32_DEP_1)
	v_rcp_iflag_f32_e32 v2, v2
	v_mul_f32_e32 v2, 0x4f7ffffe, v2
	s_delay_alu instid0(VALU_DEP_1) | instskip(NEXT) | instid1(VALU_DEP_1)
	v_cvt_u32_f32_e32 v2, v2
	v_readfirstlane_b32 s14, v2
	s_wait_alu 0xfffe
	s_mul_i32 s15, s15, s14
	s_wait_alu 0xfffe
	s_mul_hi_u32 s15, s14, s15
	s_wait_alu 0xfffe
	s_add_co_i32 s14, s14, s15
	s_wait_alu 0xfffe
	s_mul_hi_u32 s14, s12, s14
	s_wait_alu 0xfffe
	s_mul_i32 s14, s14, s38
	s_wait_alu 0xfffe
	s_sub_co_i32 s14, s12, s14
	s_wait_alu 0xfffe
	s_sub_co_i32 s15, s14, s38
	s_cmp_ge_u32 s14, s38
	s_wait_alu 0xfffe
	s_cselect_b32 s14, s15, s14
	s_wait_alu 0xfffe
	s_sub_co_i32 s15, s14, s38
	s_cmp_ge_u32 s14, s38
	s_wait_alu 0xfffe
	s_cselect_b32 s48, s15, s14
	s_wait_alu 0xfffe
	s_mov_b64 s[14:15], s[48:49]
.LBB84_88:                              ;   in Loop: Header=BB84_11 Depth=1
	s_wait_alu 0xfffe
	s_sub_nc_u64 s[12:13], s[12:13], s[14:15]
	s_mov_b32 s15, 0
	s_mov_b32 s14, 0
	s_mov_b32 s23, exec_lo
                                        ; implicit-def: $vgpr40
	s_wait_alu 0xfffe
	v_cmpx_gt_u64_e64 s[12:13], v[0:1]
	s_cbranch_execz .LBB84_97
; %bb.89:                               ;   in Loop: Header=BB84_11 Depth=1
	v_dual_mov_b32 v2, v0 :: v_dual_mov_b32 v9, v1
	v_mov_b32_e32 v8, v0
                                        ; implicit-def: $sgpr24
	s_branch .LBB84_92
.LBB84_90:                              ;   in Loop: Header=BB84_92 Depth=2
	s_or_b32 exec_lo, exec_lo, s25
	s_wait_loadcnt_dscnt 0x0
	s_barrier_signal -1
	s_barrier_wait -1
	global_inv scope:SCOPE_SE
	ds_load_u16 v10, v3 offset:3072
	s_mov_b32 s25, -1
	s_mov_b32 s48, -1
	s_wait_loadcnt_dscnt 0x0
	s_barrier_signal -1
	s_barrier_wait -1
	global_inv scope:SCOPE_SE
	v_and_b32_e32 v11, 0xff, v10
	s_delay_alu instid0(VALU_DEP_1)
	v_cmp_ne_u32_e32 vcc_lo, 0, v11
	s_cbranch_vccz .LBB84_95
.LBB84_91:                              ;   in Loop: Header=BB84_92 Depth=2
	s_and_b32 s25, exec_lo, s25
	s_wait_alu 0xfffe
	s_or_b32 s14, s25, s14
	s_and_not1_b32 s24, s24, exec_lo
	s_and_b32 s25, s48, exec_lo
	s_delay_alu instid0(SALU_CYCLE_1)
	s_or_b32 s24, s24, s25
	s_wait_alu 0xfffe
	s_and_not1_b32 exec_lo, exec_lo, s14
	s_cbranch_execz .LBB84_96
.LBB84_92:                              ;   Parent Loop BB84_11 Depth=1
                                        ; =>  This Inner Loop Header: Depth=2
	s_mov_b32 s25, exec_lo
	s_delay_alu instid0(VALU_DEP_1)
	v_cmpx_gt_u64_e64 s[6:7], v[8:9]
	s_cbranch_execz .LBB84_90
; %bb.93:                               ;   in Loop: Header=BB84_92 Depth=2
	ds_load_u8 v10, v2
	s_wait_dscnt 0x0
	v_bfe_i32 v11, v10, 0, 8
	s_delay_alu instid0(VALU_DEP_1) | instskip(NEXT) | instid1(VALU_DEP_1)
	v_add_nc_u32_e32 v11, 0x80, v11
	v_and_b32_e32 v11, v11, v39
	s_delay_alu instid0(VALU_DEP_1)
	v_cmp_eq_u32_e32 vcc_lo, v11, v20
	s_and_b32 exec_lo, exec_lo, vcc_lo
	s_cbranch_execz .LBB84_90
; %bb.94:                               ;   in Loop: Header=BB84_92 Depth=2
	v_lshlrev_b16 v10, 8, v10
	s_delay_alu instid0(VALU_DEP_1)
	v_or_b32_e32 v10, 1, v10
	ds_store_b16 v3, v10 offset:3072
	s_branch .LBB84_90
.LBB84_95:                              ;   in Loop: Header=BB84_92 Depth=2
	v_add_co_u32 v8, vcc_lo, v8, s38
	s_wait_alu 0xfffd
	v_add_co_ci_u32_e64 v9, null, 0, v9, vcc_lo
	v_add_nc_u32_e32 v2, s38, v2
	s_mov_b32 s48, 0
	s_delay_alu instid0(VALU_DEP_2)
	v_cmp_le_u64_e32 vcc_lo, s[12:13], v[8:9]
	s_or_not1_b32 s25, vcc_lo, exec_lo
	s_branch .LBB84_91
.LBB84_96:                              ;   in Loop: Header=BB84_11 Depth=1
	s_or_b32 exec_lo, exec_lo, s14
	v_and_b32_e32 v2, 0xffff, v10
	s_and_b32 s14, s24, exec_lo
	s_delay_alu instid0(VALU_DEP_1)
	v_lshrrev_b32_e32 v40, 8, v2
.LBB84_97:                              ;   in Loop: Header=BB84_11 Depth=1
	s_or_b32 exec_lo, exec_lo, s23
.LBB84_98:                              ;   in Loop: Header=BB84_11 Depth=1
	s_wait_alu 0xfffe
	s_and_b32 vcc_lo, exec_lo, s15
	s_wait_alu 0xfffe
	s_cbranch_vccz .LBB84_112
; %bb.99:                               ;   in Loop: Header=BB84_11 Depth=1
	s_mov_b32 s6, s49
	s_mov_b32 s7, s53
	s_wait_alu 0xfffe
	s_cmp_lg_u64 s[6:7], 0
	s_cbranch_scc0 .LBB84_143
; %bb.100:                              ;   in Loop: Header=BB84_11 Depth=1
	s_cvt_f32_u32 s6, s38
	s_sub_nc_u64 s[12:13], 0, s[38:39]
	s_wait_alu 0xfffe
	s_delay_alu instid0(SALU_CYCLE_1) | instskip(SKIP_1) | instid1(SALU_CYCLE_2)
	s_fmamk_f32 s6, s86, 0x0, s6
	s_wait_alu 0xfffe
	v_s_rcp_f32 s6, s6
	s_delay_alu instid0(TRANS32_DEP_1) | instskip(SKIP_1) | instid1(SALU_CYCLE_2)
	s_mul_f32 s6, s6, 0x5f7ffffc
	s_wait_alu 0xfffe
	s_mul_f32 s7, s6, 0x2f800000
	s_wait_alu 0xfffe
	s_delay_alu instid0(SALU_CYCLE_2) | instskip(SKIP_1) | instid1(SALU_CYCLE_2)
	s_trunc_f32 s7, s7
	s_wait_alu 0xfffe
	s_fmamk_f32 s6, s7, 0xcf800000, s6
	s_cvt_u32_f32 s7, s7
	s_wait_alu 0xfffe
	s_delay_alu instid0(SALU_CYCLE_1) | instskip(SKIP_1) | instid1(SALU_CYCLE_2)
	s_cvt_u32_f32 s6, s6
	s_wait_alu 0xfffe
	s_mul_u64 s[22:23], s[12:13], s[6:7]
	s_delay_alu instid0(SALU_CYCLE_1)
	s_mul_hi_u32 s25, s6, s23
	s_mul_i32 s24, s6, s23
	s_mul_hi_u32 s48, s6, s22
	s_mul_i32 s21, s7, s22
	s_wait_alu 0xfffe
	s_add_nc_u64 s[24:25], s[48:49], s[24:25]
	s_mul_hi_u32 s15, s7, s22
	s_mul_hi_u32 s58, s7, s23
	s_add_co_u32 s21, s24, s21
	s_wait_alu 0xfffe
	s_add_co_ci_u32 s48, s25, s15
	s_mul_i32 s22, s7, s23
	s_add_co_ci_u32 s23, s58, 0
	s_wait_alu 0xfffe
	s_add_nc_u64 s[22:23], s[48:49], s[22:23]
	s_delay_alu instid0(SALU_CYCLE_1)
	s_add_co_u32 s6, s6, s22
	s_cselect_b32 s15, -1, 0
	s_wait_alu 0xfffe
	s_cmp_lg_u32 s15, 0
	s_add_co_ci_u32 s7, s7, s23
	s_wait_alu 0xfffe
	s_mul_u64 s[12:13], s[12:13], s[6:7]
	s_wait_alu 0xfffe
	s_mul_hi_u32 s23, s6, s13
	s_mul_i32 s22, s6, s13
	s_mul_hi_u32 s48, s6, s12
	s_mul_i32 s21, s7, s12
	s_wait_alu 0xfffe
	s_add_nc_u64 s[22:23], s[48:49], s[22:23]
	s_mul_hi_u32 s15, s7, s12
	s_mul_hi_u32 s24, s7, s13
	s_mul_i32 s12, s7, s13
	s_add_co_u32 s13, s22, s21
	s_wait_alu 0xfffe
	s_add_co_ci_u32 s48, s23, s15
	s_add_co_ci_u32 s13, s24, 0
	s_wait_alu 0xfffe
	s_add_nc_u64 s[12:13], s[48:49], s[12:13]
	s_wait_alu 0xfffe
	s_add_co_u32 s6, s6, s12
	s_cselect_b32 s12, -1, 0
	s_wait_alu 0xfffe
	s_mul_hi_u32 s48, s52, s6
	s_cmp_lg_u32 s12, 0
	s_mul_hi_u32 s15, s53, s6
	s_add_co_ci_u32 s12, s7, s13
	s_mul_i32 s13, s53, s6
	s_wait_alu 0xfffe
	s_mul_hi_u32 s7, s52, s12
	s_mul_i32 s6, s52, s12
	s_mul_hi_u32 s21, s53, s12
	s_wait_alu 0xfffe
	s_add_nc_u64 s[6:7], s[48:49], s[6:7]
	s_mul_i32 s12, s53, s12
	s_wait_alu 0xfffe
	s_add_co_u32 s6, s6, s13
	s_add_co_ci_u32 s48, s7, s15
	s_add_co_ci_u32 s13, s21, 0
	s_wait_alu 0xfffe
	s_add_nc_u64 s[6:7], s[48:49], s[12:13]
	s_wait_alu 0xfffe
	s_mul_u64 s[6:7], s[38:39], s[6:7]
	s_wait_alu 0xfffe
	s_sub_co_u32 s6, s52, s6
	s_cselect_b32 s12, -1, 0
	s_wait_alu 0xfffe
	s_cmp_lg_u32 s12, 0
	s_sub_co_ci_u32 s7, s53, s7
	s_sub_co_u32 s12, s6, s38
	s_cselect_b32 s13, -1, 0
	s_wait_alu 0xfffe
	s_cmp_lg_u32 s13, 0
	s_sub_co_ci_u32 s13, s7, 0
	;; [unrolled: 5-line block ×3, first 2 shown]
	s_cmp_ge_u32 s12, s38
	s_cselect_b32 s22, -1, 0
	s_cmp_eq_u32 s13, 0
	s_cselect_b32 s22, s22, -1
	s_delay_alu instid0(SALU_CYCLE_1)
	s_cmp_lg_u32 s22, 0
	s_wait_alu 0xfffe
	s_cselect_b32 s13, s21, s13
	s_cselect_b32 s12, s15, s12
	s_cmp_ge_u32 s6, s38
	s_cselect_b32 s15, -1, 0
	s_cmp_eq_u32 s7, 0
	s_wait_alu 0xfffe
	s_cselect_b32 s15, s15, -1
	s_wait_alu 0xfffe
	s_cmp_lg_u32 s15, 0
	s_cselect_b32 s7, s13, s7
	s_cselect_b32 s6, s12, s6
	s_cbranch_execnz .LBB84_102
.LBB84_101:                             ;   in Loop: Header=BB84_11 Depth=1
	v_cvt_f32_u32_e32 v2, s38
	s_sub_co_i32 s7, 0, s38
	s_delay_alu instid0(VALU_DEP_1) | instskip(NEXT) | instid1(TRANS32_DEP_1)
	v_rcp_iflag_f32_e32 v2, v2
	v_mul_f32_e32 v2, 0x4f7ffffe, v2
	s_delay_alu instid0(VALU_DEP_1) | instskip(NEXT) | instid1(VALU_DEP_1)
	v_cvt_u32_f32_e32 v2, v2
	v_readfirstlane_b32 s6, v2
	s_wait_alu 0xfffe
	s_mul_i32 s7, s7, s6
	s_wait_alu 0xfffe
	s_mul_hi_u32 s7, s6, s7
	s_wait_alu 0xfffe
	s_add_co_i32 s6, s6, s7
	s_wait_alu 0xfffe
	s_mul_hi_u32 s6, s52, s6
	s_wait_alu 0xfffe
	s_mul_i32 s6, s6, s38
	s_wait_alu 0xfffe
	s_sub_co_i32 s6, s52, s6
	s_wait_alu 0xfffe
	s_sub_co_i32 s7, s6, s38
	s_cmp_ge_u32 s6, s38
	s_wait_alu 0xfffe
	s_cselect_b32 s6, s7, s6
	s_wait_alu 0xfffe
	s_sub_co_i32 s7, s6, s38
	s_cmp_ge_u32 s6, s38
	s_wait_alu 0xfffe
	s_cselect_b32 s48, s7, s6
	s_wait_alu 0xfffe
	s_mov_b64 s[6:7], s[48:49]
.LBB84_102:                             ;   in Loop: Header=BB84_11 Depth=1
	s_wait_alu 0xfffe
	s_sub_nc_u64 s[12:13], s[52:53], s[6:7]
	s_mov_b32 s7, exec_lo
                                        ; implicit-def: $vgpr40
	s_wait_alu 0xfffe
	v_cmpx_gt_u64_e64 s[12:13], v[0:1]
	s_cbranch_execz .LBB84_111
; %bb.103:                              ;   in Loop: Header=BB84_11 Depth=1
	v_dual_mov_b32 v8, v12 :: v_dual_mov_b32 v9, v13
	v_dual_mov_b32 v11, v1 :: v_dual_mov_b32 v10, v0
	s_mov_b32 s21, 0
                                        ; implicit-def: $sgpr15
	s_branch .LBB84_106
.LBB84_104:                             ;   in Loop: Header=BB84_106 Depth=2
	s_wait_alu 0xfffe
	s_or_b32 exec_lo, exec_lo, s6
	s_wait_loadcnt_dscnt 0x0
	s_barrier_signal -1
	s_barrier_wait -1
	global_inv scope:SCOPE_SE
	ds_load_u16 v2, v3 offset:3072
	s_mov_b32 s6, -1
	s_mov_b32 s22, -1
	s_wait_loadcnt_dscnt 0x0
	s_barrier_signal -1
	s_barrier_wait -1
	global_inv scope:SCOPE_SE
	v_and_b32_e32 v28, 0xff, v2
	s_delay_alu instid0(VALU_DEP_1)
	v_cmp_ne_u32_e32 vcc_lo, 0, v28
	s_cbranch_vccz .LBB84_109
.LBB84_105:                             ;   in Loop: Header=BB84_106 Depth=2
	s_wait_alu 0xfffe
	s_and_b32 s6, exec_lo, s6
	s_wait_alu 0xfffe
	s_or_b32 s21, s6, s21
	s_and_not1_b32 s6, s15, exec_lo
	s_and_b32 s15, s22, exec_lo
	s_wait_alu 0xfffe
	s_or_b32 s15, s6, s15
	s_and_not1_b32 exec_lo, exec_lo, s21
	s_cbranch_execz .LBB84_110
.LBB84_106:                             ;   Parent Loop BB84_11 Depth=1
                                        ; =>  This Inner Loop Header: Depth=2
	s_mov_b32 s6, exec_lo
	s_delay_alu instid0(VALU_DEP_1)
	v_cmpx_gt_u64_e64 s[28:29], v[10:11]
	s_cbranch_execz .LBB84_104
; %bb.107:                              ;   in Loop: Header=BB84_106 Depth=2
	global_load_u8 v2, v[8:9], off
	s_wait_loadcnt 0x0
	v_bfe_i32 v28, v2, 0, 8
	s_delay_alu instid0(VALU_DEP_1) | instskip(NEXT) | instid1(VALU_DEP_1)
	v_add_nc_u32_e32 v28, 0x80, v28
	v_and_b32_e32 v28, v28, v39
	s_delay_alu instid0(VALU_DEP_1)
	v_cmp_eq_u32_e32 vcc_lo, v28, v20
	s_and_b32 exec_lo, exec_lo, vcc_lo
	s_cbranch_execz .LBB84_104
; %bb.108:                              ;   in Loop: Header=BB84_106 Depth=2
	v_lshlrev_b16 v2, 8, v2
	s_delay_alu instid0(VALU_DEP_1)
	v_or_b32_e32 v2, 1, v2
	ds_store_b16 v3, v2 offset:3072
	s_branch .LBB84_104
.LBB84_109:                             ;   in Loop: Header=BB84_106 Depth=2
	v_add_co_u32 v10, vcc_lo, v10, s38
	s_wait_alu 0xfffd
	v_add_co_ci_u32_e64 v11, null, 0, v11, vcc_lo
	v_add_co_u32 v8, s6, v8, s44
	s_wait_alu 0xf1fe
	v_add_co_ci_u32_e64 v9, null, s45, v9, s6
	s_delay_alu instid0(VALU_DEP_3)
	v_cmp_le_u64_e32 vcc_lo, s[12:13], v[10:11]
	s_mov_b32 s22, 0
	s_or_not1_b32 s6, vcc_lo, exec_lo
	s_branch .LBB84_105
.LBB84_110:                             ;   in Loop: Header=BB84_11 Depth=1
	s_or_b32 exec_lo, exec_lo, s21
	v_and_b32_e32 v2, 0xffff, v2
	s_and_not1_b32 s6, s14, exec_lo
	s_wait_alu 0xfffe
	s_and_b32 s12, s15, exec_lo
	s_wait_alu 0xfffe
	s_or_b32 s14, s6, s12
	v_lshrrev_b32_e32 v40, 8, v2
.LBB84_111:                             ;   in Loop: Header=BB84_11 Depth=1
	s_or_b32 exec_lo, exec_lo, s7
	s_mov_b32 s21, 0
	s_mov_b32 s22, -1
.LBB84_112:                             ;   in Loop: Header=BB84_11 Depth=1
	s_wait_alu 0xfffe
	s_or_not1_b32 s6, s14, exec_lo
.LBB84_113:                             ;   in Loop: Header=BB84_11 Depth=1
	s_wait_alu 0xfffe
	s_or_b32 exec_lo, exec_lo, s17
	s_delay_alu instid0(SALU_CYCLE_1)
	s_and_not1_b32 s7, s92, exec_lo
	s_and_b32 s12, s22, exec_lo
	s_and_not1_b32 s13, s90, exec_lo
	s_and_b32 s14, s21, exec_lo
	s_and_not1_b32 s89, s89, exec_lo
	s_wait_alu 0xfffe
	s_or_b32 s92, s7, s12
	s_or_b32 s90, s13, s14
                                        ; implicit-def: $vgpr8_vgpr9
	s_and_saveexec_b32 s17, s6
	s_cbranch_execz .LBB84_10
; %bb.114:                              ;   in Loop: Header=BB84_11 Depth=1
	v_mov_b32_e32 v8, 1
	v_dual_mov_b32 v9, 0 :: v_dual_mov_b32 v2, 1
	s_xor_b32 s12, s19, -1
	s_mov_b32 s7, 0
	s_wait_alu 0xfffe
	s_and_saveexec_b32 s6, s12
	s_cbranch_execz .LBB84_123
; %bb.115:                              ;   in Loop: Header=BB84_11 Depth=1
	s_mov_b32 s7, exec_lo
	v_cmpx_le_u64_e64 v[26:27], v[4:5]
	s_wait_alu 0xfffe
	s_xor_b32 s7, exec_lo, s7
	s_cbranch_execz .LBB84_120
; %bb.116:                              ;   in Loop: Header=BB84_11 Depth=1
	ds_load_b64 v[8:9], v3 offset:5120
	v_and_b32_e32 v20, s20, v20
	v_or_b32_e32 v39, s16, v39
	s_wait_dscnt 0x0
	v_cmp_ne_u64_e32 vcc_lo, 0, v[8:9]
	s_cbranch_vccnz .LBB84_120
; %bb.117:                              ;   in Loop: Header=BB84_11 Depth=1
	s_and_saveexec_b32 s12, s2
; %bb.118:                              ;   in Loop: Header=BB84_11 Depth=1
	ds_store_b64 v3, v[4:5] offset:5128
; %bb.119:                              ;   in Loop: Header=BB84_11 Depth=1
	s_wait_alu 0xfffe
	s_or_b32 exec_lo, exec_lo, s12
	s_wait_loadcnt_dscnt 0x0
	s_barrier_signal -1
	s_barrier_wait -1
	global_inv scope:SCOPE_SE
.LBB84_120:                             ;   in Loop: Header=BB84_11 Depth=1
	s_wait_alu 0xfffe
	s_or_saveexec_b32 s7, s7
	v_mov_b32_e32 v2, 8
	s_mov_b32 s12, 0
	s_wait_alu 0xfffe
	s_xor_b32 exec_lo, exec_lo, s7
; %bb.121:                              ;   in Loop: Header=BB84_11 Depth=1
	v_sub_co_u32 v26, vcc_lo, v26, v4
	s_wait_alu 0xfffd
	v_sub_co_ci_u32_e64 v27, null, v27, v5, vcc_lo
	v_mov_b32_e32 v2, 0
	s_mov_b32 s12, exec_lo
; %bb.122:                              ;   in Loop: Header=BB84_11 Depth=1
	s_or_b32 exec_lo, exec_lo, s7
	s_delay_alu instid0(VALU_DEP_2)
	v_dual_mov_b32 v8, v26 :: v_dual_mov_b32 v9, v27
	s_wait_alu 0xfffe
	s_and_b32 s7, s12, exec_lo
.LBB84_123:                             ;   in Loop: Header=BB84_11 Depth=1
	s_wait_alu 0xfffe
	s_or_b32 exec_lo, exec_lo, s6
	s_mov_b32 s18, -1
	s_mov_b32 s6, -1
                                        ; implicit-def: $sgpr21
                                        ; implicit-def: $sgpr22
	s_and_saveexec_b32 s12, s7
	s_wait_alu 0xfffe
	s_xor_b32 s19, exec_lo, s12
	s_cbranch_execz .LBB84_268
; %bb.124:                              ;   in Loop: Header=BB84_11 Depth=1
	v_cmp_eq_u64_e32 vcc_lo, 1, v[6:7]
	v_cmp_eq_u64_e64 s6, 1, v[8:9]
                                        ; implicit-def: $sgpr22
                                        ; implicit-def: $sgpr21
	s_and_b32 s24, vcc_lo, s6
	s_mov_b32 s6, -1
	s_and_saveexec_b32 s23, s24
	s_cbranch_execz .LBB84_161
; %bb.125:                              ;   in Loop: Header=BB84_11 Depth=1
	ds_load_b64 v[4:5], v3 offset:5120
	s_wait_loadcnt_dscnt 0x0
	s_barrier_signal -1
	s_barrier_wait -1
	global_inv scope:SCOPE_SE
	v_readfirstlane_b32 s6, v4
	v_readfirstlane_b32 s7, v5
	s_and_saveexec_b32 s12, s3
; %bb.126:                              ;   in Loop: Header=BB84_11 Depth=1
	ds_store_b8 v0, v3 offset:3072
; %bb.127:                              ;   in Loop: Header=BB84_11 Depth=1
	s_wait_alu 0xfffe
	s_or_b32 exec_lo, exec_lo, s12
	s_lshl_b32 s12, 1, s84
	v_or_b32_e32 v39, s16, v39
	s_wait_alu 0xfffe
	v_and_or_b32 v20, v20, s20, s12
	s_mov_b32 s21, -1
	s_mov_b32 s22, 0
	s_cmp_eq_u64 s[6:7], 0
	s_mov_b32 s14, 0
	s_mov_b32 s15, -1
	s_wait_loadcnt_dscnt 0x0
	s_barrier_signal -1
	s_barrier_wait -1
	global_inv scope:SCOPE_SE
                                        ; implicit-def: $vgpr40
	s_cbranch_scc1 .LBB84_146
; %bb.128:                              ;   in Loop: Header=BB84_11 Depth=1
	s_add_nc_u64 s[12:13], s[6:7], s[50:51]
	s_mov_b32 s14, s49
	s_wait_alu 0xfffe
	s_mov_b32 s15, s13
	s_wait_alu 0xfffe
	s_cmp_lg_u64 s[14:15], 0
	s_cbranch_scc0 .LBB84_188
; %bb.129:                              ;   in Loop: Header=BB84_11 Depth=1
	s_cvt_f32_u32 s14, s38
	s_sub_nc_u64 s[58:59], 0, s[38:39]
	s_wait_alu 0xfffe
	s_delay_alu instid0(SALU_CYCLE_1) | instskip(SKIP_1) | instid1(SALU_CYCLE_2)
	s_fmamk_f32 s14, s86, 0x0, s14
	s_wait_alu 0xfffe
	v_s_rcp_f32 s14, s14
	s_delay_alu instid0(TRANS32_DEP_1) | instskip(SKIP_1) | instid1(SALU_CYCLE_2)
	s_mul_f32 s14, s14, 0x5f7ffffc
	s_wait_alu 0xfffe
	s_mul_f32 s15, s14, 0x2f800000
	s_wait_alu 0xfffe
	s_delay_alu instid0(SALU_CYCLE_2) | instskip(SKIP_1) | instid1(SALU_CYCLE_2)
	s_trunc_f32 s15, s15
	s_wait_alu 0xfffe
	s_fmamk_f32 s14, s15, 0xcf800000, s14
	s_cvt_u32_f32 s15, s15
	s_wait_alu 0xfffe
	s_delay_alu instid0(SALU_CYCLE_1) | instskip(SKIP_1) | instid1(SALU_CYCLE_2)
	s_cvt_u32_f32 s14, s14
	s_wait_alu 0xfffe
	s_mul_u64 s[60:61], s[58:59], s[14:15]
	s_wait_alu 0xfffe
	s_mul_hi_u32 s63, s14, s61
	s_mul_i32 s62, s14, s61
	s_mul_hi_u32 s48, s14, s60
	s_mul_i32 s64, s15, s60
	s_wait_alu 0xfffe
	s_add_nc_u64 s[62:63], s[48:49], s[62:63]
	s_mul_hi_u32 s25, s15, s60
	s_mul_hi_u32 s65, s15, s61
	s_wait_alu 0xfffe
	s_add_co_u32 s48, s62, s64
	s_add_co_ci_u32 s48, s63, s25
	s_mul_i32 s60, s15, s61
	s_add_co_ci_u32 s61, s65, 0
	s_wait_alu 0xfffe
	s_add_nc_u64 s[60:61], s[48:49], s[60:61]
	s_wait_alu 0xfffe
	s_add_co_u32 s14, s14, s60
	s_cselect_b32 s25, -1, 0
	s_delay_alu instid0(SALU_CYCLE_1)
	s_cmp_lg_u32 s25, 0
	s_add_co_ci_u32 s15, s15, s61
	s_wait_alu 0xfffe
	s_mul_u64 s[58:59], s[58:59], s[14:15]
	s_wait_alu 0xfffe
	s_mul_hi_u32 s61, s14, s59
	s_mul_i32 s60, s14, s59
	s_mul_hi_u32 s48, s14, s58
	s_mul_i32 s62, s15, s58
	s_wait_alu 0xfffe
	s_add_nc_u64 s[60:61], s[48:49], s[60:61]
	s_mul_hi_u32 s25, s15, s58
	s_mul_hi_u32 s63, s15, s59
	s_wait_alu 0xfffe
	s_add_co_u32 s48, s60, s62
	s_add_co_ci_u32 s48, s61, s25
	s_mul_i32 s58, s15, s59
	s_add_co_ci_u32 s59, s63, 0
	s_wait_alu 0xfffe
	s_add_nc_u64 s[58:59], s[48:49], s[58:59]
	s_wait_alu 0xfffe
	s_add_co_u32 s14, s14, s58
	s_cselect_b32 s25, -1, 0
	s_wait_alu 0xfffe
	s_mul_hi_u32 s48, s12, s14
	s_cmp_lg_u32 s25, 0
	s_mul_hi_u32 s25, s13, s14
	s_add_co_ci_u32 s58, s15, s59
	s_mul_i32 s59, s13, s14
	s_wait_alu 0xfffe
	s_mul_hi_u32 s15, s12, s58
	s_mul_i32 s14, s12, s58
	s_mul_hi_u32 s60, s13, s58
	s_wait_alu 0xfffe
	s_add_nc_u64 s[14:15], s[48:49], s[14:15]
	s_mul_i32 s58, s13, s58
	s_wait_alu 0xfffe
	s_add_co_u32 s14, s14, s59
	s_add_co_ci_u32 s48, s15, s25
	s_add_co_ci_u32 s59, s60, 0
	s_wait_alu 0xfffe
	s_add_nc_u64 s[14:15], s[48:49], s[58:59]
	s_wait_alu 0xfffe
	s_mul_u64 s[14:15], s[38:39], s[14:15]
	s_wait_alu 0xfffe
	s_sub_co_u32 s14, s12, s14
	s_cselect_b32 s25, -1, 0
	s_delay_alu instid0(SALU_CYCLE_1)
	s_cmp_lg_u32 s25, 0
	s_sub_co_ci_u32 s15, s13, s15
	s_wait_alu 0xfffe
	s_sub_co_u32 s25, s14, s38
	s_cselect_b32 s48, -1, 0
	s_wait_alu 0xfffe
	s_cmp_lg_u32 s48, 0
	s_sub_co_ci_u32 s48, s15, 0
	s_sub_co_u32 s58, s25, s38
	s_cselect_b32 s59, -1, 0
	s_wait_alu 0xfffe
	s_cmp_lg_u32 s59, 0
	s_sub_co_ci_u32 s59, s48, 0
	s_cmp_ge_u32 s25, s38
	s_cselect_b32 s60, -1, 0
	s_cmp_eq_u32 s48, 0
	s_wait_alu 0xfffe
	s_cselect_b32 s60, s60, -1
	s_wait_alu 0xfffe
	s_cmp_lg_u32 s60, 0
	s_cselect_b32 s48, s59, s48
	s_cselect_b32 s25, s58, s25
	s_cmp_ge_u32 s14, s38
	s_cselect_b32 s58, -1, 0
	s_cmp_eq_u32 s15, 0
	s_wait_alu 0xfffe
	s_cselect_b32 s58, s58, -1
	s_wait_alu 0xfffe
	s_cmp_lg_u32 s58, 0
	s_cselect_b32 s15, s48, s15
	s_cselect_b32 s14, s25, s14
	s_cbranch_execnz .LBB84_131
.LBB84_130:                             ;   in Loop: Header=BB84_11 Depth=1
	v_cvt_f32_u32_e32 v4, s38
	s_sub_co_i32 s15, 0, s38
	s_delay_alu instid0(VALU_DEP_1) | instskip(NEXT) | instid1(TRANS32_DEP_1)
	v_rcp_iflag_f32_e32 v4, v4
	v_mul_f32_e32 v4, 0x4f7ffffe, v4
	s_delay_alu instid0(VALU_DEP_1) | instskip(NEXT) | instid1(VALU_DEP_1)
	v_cvt_u32_f32_e32 v4, v4
	v_readfirstlane_b32 s14, v4
	s_wait_alu 0xfffe
	s_mul_i32 s15, s15, s14
	s_wait_alu 0xfffe
	s_mul_hi_u32 s15, s14, s15
	s_wait_alu 0xfffe
	s_add_co_i32 s14, s14, s15
	s_wait_alu 0xfffe
	s_mul_hi_u32 s14, s12, s14
	s_wait_alu 0xfffe
	s_mul_i32 s14, s14, s38
	s_wait_alu 0xfffe
	s_sub_co_i32 s14, s12, s14
	s_wait_alu 0xfffe
	s_sub_co_i32 s15, s14, s38
	s_cmp_ge_u32 s14, s38
	s_wait_alu 0xfffe
	s_cselect_b32 s14, s15, s14
	s_wait_alu 0xfffe
	s_sub_co_i32 s15, s14, s38
	s_cmp_ge_u32 s14, s38
	s_wait_alu 0xfffe
	s_cselect_b32 s48, s15, s14
	s_wait_alu 0xfffe
	s_mov_b64 s[14:15], s[48:49]
.LBB84_131:                             ;   in Loop: Header=BB84_11 Depth=1
	s_wait_alu 0xfffe
	s_sub_nc_u64 s[12:13], s[12:13], s[14:15]
	s_mov_b32 s15, 0
	s_mov_b32 s14, 0
	s_mov_b32 s25, exec_lo
                                        ; implicit-def: $vgpr40
	s_wait_alu 0xfffe
	v_cmpx_gt_u64_e64 s[12:13], v[0:1]
	s_cbranch_execz .LBB84_145
; %bb.132:                              ;   in Loop: Header=BB84_11 Depth=1
	v_dual_mov_b32 v10, v0 :: v_dual_mov_b32 v5, v1
	v_mov_b32_e32 v4, v0
                                        ; implicit-def: $sgpr48
	s_branch .LBB84_135
.LBB84_133:                             ;   in Loop: Header=BB84_135 Depth=2
	s_wait_alu 0xfffe
	s_or_b32 exec_lo, exec_lo, s58
	s_wait_loadcnt_dscnt 0x0
	s_barrier_signal -1
	s_barrier_wait -1
	global_inv scope:SCOPE_SE
	ds_load_u16 v11, v3 offset:3072
	s_mov_b32 s58, -1
	s_mov_b32 s59, -1
	s_wait_loadcnt_dscnt 0x0
	s_barrier_signal -1
	s_barrier_wait -1
	global_inv scope:SCOPE_SE
	v_and_b32_e32 v26, 0xff, v11
	s_delay_alu instid0(VALU_DEP_1)
	v_cmp_ne_u32_e32 vcc_lo, 0, v26
	s_cbranch_vccz .LBB84_138
.LBB84_134:                             ;   in Loop: Header=BB84_135 Depth=2
	s_wait_alu 0xfffe
	s_and_b32 s58, exec_lo, s58
	s_wait_alu 0xfffe
	s_or_b32 s14, s58, s14
	s_and_not1_b32 s48, s48, exec_lo
	s_and_b32 s58, s59, exec_lo
	s_wait_alu 0xfffe
	s_or_b32 s48, s48, s58
	s_and_not1_b32 exec_lo, exec_lo, s14
	s_cbranch_execz .LBB84_144
.LBB84_135:                             ;   Parent Loop BB84_11 Depth=1
                                        ; =>  This Inner Loop Header: Depth=2
	s_mov_b32 s58, exec_lo
	s_delay_alu instid0(VALU_DEP_1)
	v_cmpx_gt_u64_e64 s[6:7], v[4:5]
	s_cbranch_execz .LBB84_133
; %bb.136:                              ;   in Loop: Header=BB84_135 Depth=2
	ds_load_u8 v11, v10
	s_wait_dscnt 0x0
	v_bfe_i32 v26, v11, 0, 8
	s_delay_alu instid0(VALU_DEP_1) | instskip(NEXT) | instid1(VALU_DEP_1)
	v_add_nc_u32_e32 v26, 0x80, v26
	v_and_b32_e32 v26, v26, v39
	s_delay_alu instid0(VALU_DEP_1)
	v_cmp_eq_u32_e32 vcc_lo, v26, v20
	s_and_b32 exec_lo, exec_lo, vcc_lo
	s_cbranch_execz .LBB84_133
; %bb.137:                              ;   in Loop: Header=BB84_135 Depth=2
	v_lshlrev_b16 v11, 8, v11
	s_delay_alu instid0(VALU_DEP_1)
	v_or_b32_e32 v11, 1, v11
	ds_store_b16 v3, v11 offset:3072
	s_branch .LBB84_133
.LBB84_138:                             ;   in Loop: Header=BB84_135 Depth=2
	v_add_co_u32 v4, vcc_lo, v4, s38
	s_wait_alu 0xfffd
	v_add_co_ci_u32_e64 v5, null, 0, v5, vcc_lo
	v_add_nc_u32_e32 v10, s38, v10
	s_mov_b32 s59, 0
	s_delay_alu instid0(VALU_DEP_2)
	v_cmp_le_u64_e32 vcc_lo, s[12:13], v[4:5]
	s_or_not1_b32 s58, vcc_lo, exec_lo
	s_branch .LBB84_134
.LBB84_139:                             ;   in Loop: Header=BB84_11 Depth=1
                                        ; implicit-def: $sgpr14_sgpr15
	s_branch .LBB84_87
.LBB84_140:                             ;   in Loop: Header=BB84_11 Depth=1
	s_or_b32 exec_lo, exec_lo, s9
	s_wait_dscnt 0x0
	s_barrier_signal -1
	s_barrier_wait -1
	global_inv scope:SCOPE_SE
	s_and_saveexec_b32 s6, s2
	s_cbranch_execz .LBB84_142
; %bb.141:                              ;   in Loop: Header=BB84_11 Depth=1
	ds_load_b32 v4, v3 offset:5144
	s_wait_dscnt 0x0
	v_ashrrev_i32_e32 v5, 31, v4
	ds_store_b64 v3, v[4:5] offset:5120
.LBB84_142:                             ;   in Loop: Header=BB84_11 Depth=1
	s_wait_alu 0xfffe
	s_or_b32 exec_lo, exec_lo, s6
	s_wait_loadcnt_dscnt 0x0
	s_barrier_signal -1
	s_mov_b32 s6, -1
	s_barrier_wait -1
	s_and_b32 vcc_lo, exec_lo, s8
	s_wait_alu 0xfffe
	s_cbranch_vccnz .LBB84_26
	s_branch .LBB84_41
.LBB84_143:                             ;   in Loop: Header=BB84_11 Depth=1
                                        ; implicit-def: $sgpr6_sgpr7
	s_branch .LBB84_101
.LBB84_144:                             ;   in Loop: Header=BB84_11 Depth=1
	s_or_b32 exec_lo, exec_lo, s14
	v_and_b32_e32 v4, 0xffff, v11
	s_wait_alu 0xfffe
	s_and_b32 s14, s48, exec_lo
	s_delay_alu instid0(VALU_DEP_1)
	v_lshrrev_b32_e32 v40, 8, v4
.LBB84_145:                             ;   in Loop: Header=BB84_11 Depth=1
	s_or_b32 exec_lo, exec_lo, s25
.LBB84_146:                             ;   in Loop: Header=BB84_11 Depth=1
	s_wait_alu 0xfffe
	s_and_b32 vcc_lo, exec_lo, s15
	s_wait_alu 0xfffe
	s_cbranch_vccz .LBB84_160
; %bb.147:                              ;   in Loop: Header=BB84_11 Depth=1
	s_mov_b32 s6, s49
	s_mov_b32 s7, s53
	s_wait_alu 0xfffe
	s_cmp_lg_u64 s[6:7], 0
	s_cbranch_scc0 .LBB84_189
; %bb.148:                              ;   in Loop: Header=BB84_11 Depth=1
	s_cvt_f32_u32 s6, s38
	s_sub_nc_u64 s[12:13], 0, s[38:39]
	s_wait_alu 0xfffe
	s_delay_alu instid0(SALU_CYCLE_1) | instskip(SKIP_1) | instid1(SALU_CYCLE_2)
	s_fmamk_f32 s6, s86, 0x0, s6
	s_wait_alu 0xfffe
	v_s_rcp_f32 s6, s6
	s_delay_alu instid0(TRANS32_DEP_1) | instskip(SKIP_1) | instid1(SALU_CYCLE_2)
	s_mul_f32 s6, s6, 0x5f7ffffc
	s_wait_alu 0xfffe
	s_mul_f32 s7, s6, 0x2f800000
	s_wait_alu 0xfffe
	s_delay_alu instid0(SALU_CYCLE_2) | instskip(SKIP_1) | instid1(SALU_CYCLE_2)
	s_trunc_f32 s7, s7
	s_wait_alu 0xfffe
	s_fmamk_f32 s6, s7, 0xcf800000, s6
	s_cvt_u32_f32 s7, s7
	s_wait_alu 0xfffe
	s_delay_alu instid0(SALU_CYCLE_1) | instskip(SKIP_1) | instid1(SALU_CYCLE_2)
	s_cvt_u32_f32 s6, s6
	s_wait_alu 0xfffe
	s_mul_u64 s[58:59], s[12:13], s[6:7]
	s_wait_alu 0xfffe
	s_mul_hi_u32 s61, s6, s59
	s_mul_i32 s60, s6, s59
	s_mul_hi_u32 s48, s6, s58
	s_mul_i32 s21, s7, s58
	s_wait_alu 0xfffe
	s_add_nc_u64 s[60:61], s[48:49], s[60:61]
	s_mul_hi_u32 s15, s7, s58
	s_mul_hi_u32 s22, s7, s59
	s_wait_alu 0xfffe
	s_add_co_u32 s21, s60, s21
	s_add_co_ci_u32 s48, s61, s15
	s_mul_i32 s58, s7, s59
	s_add_co_ci_u32 s59, s22, 0
	s_wait_alu 0xfffe
	s_add_nc_u64 s[58:59], s[48:49], s[58:59]
	s_wait_alu 0xfffe
	s_add_co_u32 s6, s6, s58
	s_cselect_b32 s15, -1, 0
	s_wait_alu 0xfffe
	s_cmp_lg_u32 s15, 0
	s_add_co_ci_u32 s7, s7, s59
	s_wait_alu 0xfffe
	s_mul_u64 s[12:13], s[12:13], s[6:7]
	s_wait_alu 0xfffe
	s_mul_hi_u32 s59, s6, s13
	s_mul_i32 s58, s6, s13
	s_mul_hi_u32 s48, s6, s12
	s_mul_i32 s21, s7, s12
	s_wait_alu 0xfffe
	s_add_nc_u64 s[58:59], s[48:49], s[58:59]
	s_mul_hi_u32 s15, s7, s12
	s_mul_hi_u32 s22, s7, s13
	s_mul_i32 s12, s7, s13
	s_wait_alu 0xfffe
	s_add_co_u32 s13, s58, s21
	s_add_co_ci_u32 s48, s59, s15
	s_add_co_ci_u32 s13, s22, 0
	s_wait_alu 0xfffe
	s_add_nc_u64 s[12:13], s[48:49], s[12:13]
	s_wait_alu 0xfffe
	s_add_co_u32 s6, s6, s12
	s_cselect_b32 s12, -1, 0
	s_wait_alu 0xfffe
	s_mul_hi_u32 s48, s52, s6
	s_cmp_lg_u32 s12, 0
	s_mul_hi_u32 s15, s53, s6
	s_add_co_ci_u32 s12, s7, s13
	s_mul_i32 s13, s53, s6
	s_wait_alu 0xfffe
	s_mul_hi_u32 s7, s52, s12
	s_mul_i32 s6, s52, s12
	s_mul_hi_u32 s21, s53, s12
	s_wait_alu 0xfffe
	s_add_nc_u64 s[6:7], s[48:49], s[6:7]
	s_mul_i32 s12, s53, s12
	s_wait_alu 0xfffe
	s_add_co_u32 s6, s6, s13
	s_add_co_ci_u32 s48, s7, s15
	s_add_co_ci_u32 s13, s21, 0
	s_wait_alu 0xfffe
	s_add_nc_u64 s[6:7], s[48:49], s[12:13]
	s_wait_alu 0xfffe
	s_mul_u64 s[6:7], s[38:39], s[6:7]
	s_wait_alu 0xfffe
	s_sub_co_u32 s6, s52, s6
	s_cselect_b32 s12, -1, 0
	s_wait_alu 0xfffe
	s_cmp_lg_u32 s12, 0
	s_sub_co_ci_u32 s7, s53, s7
	s_sub_co_u32 s12, s6, s38
	s_cselect_b32 s13, -1, 0
	s_wait_alu 0xfffe
	s_cmp_lg_u32 s13, 0
	s_sub_co_ci_u32 s13, s7, 0
	;; [unrolled: 5-line block ×3, first 2 shown]
	s_cmp_ge_u32 s12, s38
	s_cselect_b32 s22, -1, 0
	s_cmp_eq_u32 s13, 0
	s_cselect_b32 s22, s22, -1
	s_delay_alu instid0(SALU_CYCLE_1)
	s_cmp_lg_u32 s22, 0
	s_wait_alu 0xfffe
	s_cselect_b32 s13, s21, s13
	s_cselect_b32 s12, s15, s12
	s_cmp_ge_u32 s6, s38
	s_cselect_b32 s15, -1, 0
	s_cmp_eq_u32 s7, 0
	s_wait_alu 0xfffe
	s_cselect_b32 s15, s15, -1
	s_wait_alu 0xfffe
	s_cmp_lg_u32 s15, 0
	s_cselect_b32 s7, s13, s7
	s_cselect_b32 s6, s12, s6
	s_cbranch_execnz .LBB84_150
.LBB84_149:                             ;   in Loop: Header=BB84_11 Depth=1
	v_cvt_f32_u32_e32 v4, s38
	s_sub_co_i32 s7, 0, s38
	s_delay_alu instid0(VALU_DEP_1) | instskip(NEXT) | instid1(TRANS32_DEP_1)
	v_rcp_iflag_f32_e32 v4, v4
	v_mul_f32_e32 v4, 0x4f7ffffe, v4
	s_delay_alu instid0(VALU_DEP_1) | instskip(NEXT) | instid1(VALU_DEP_1)
	v_cvt_u32_f32_e32 v4, v4
	v_readfirstlane_b32 s6, v4
	s_wait_alu 0xfffe
	s_mul_i32 s7, s7, s6
	s_wait_alu 0xfffe
	s_mul_hi_u32 s7, s6, s7
	s_wait_alu 0xfffe
	s_add_co_i32 s6, s6, s7
	s_wait_alu 0xfffe
	s_mul_hi_u32 s6, s52, s6
	s_wait_alu 0xfffe
	s_mul_i32 s6, s6, s38
	s_wait_alu 0xfffe
	s_sub_co_i32 s6, s52, s6
	s_wait_alu 0xfffe
	s_sub_co_i32 s7, s6, s38
	s_cmp_ge_u32 s6, s38
	s_wait_alu 0xfffe
	s_cselect_b32 s6, s7, s6
	s_wait_alu 0xfffe
	s_sub_co_i32 s7, s6, s38
	s_cmp_ge_u32 s6, s38
	s_wait_alu 0xfffe
	s_cselect_b32 s48, s7, s6
	s_wait_alu 0xfffe
	s_mov_b64 s[6:7], s[48:49]
.LBB84_150:                             ;   in Loop: Header=BB84_11 Depth=1
	s_wait_alu 0xfffe
	s_sub_nc_u64 s[12:13], s[52:53], s[6:7]
	s_mov_b32 s7, exec_lo
                                        ; implicit-def: $vgpr40
	s_wait_alu 0xfffe
	v_cmpx_gt_u64_e64 s[12:13], v[0:1]
	s_cbranch_execz .LBB84_159
; %bb.151:                              ;   in Loop: Header=BB84_11 Depth=1
	v_dual_mov_b32 v4, v12 :: v_dual_mov_b32 v5, v13
	v_dual_mov_b32 v11, v1 :: v_dual_mov_b32 v10, v0
	s_mov_b32 s15, 0
                                        ; implicit-def: $sgpr21
	s_branch .LBB84_154
.LBB84_152:                             ;   in Loop: Header=BB84_154 Depth=2
	s_wait_alu 0xfffe
	s_or_b32 exec_lo, exec_lo, s6
	s_wait_loadcnt_dscnt 0x0
	s_barrier_signal -1
	s_barrier_wait -1
	global_inv scope:SCOPE_SE
	ds_load_u16 v26, v3 offset:3072
	s_mov_b32 s6, -1
	s_mov_b32 s22, -1
	s_wait_loadcnt_dscnt 0x0
	s_barrier_signal -1
	s_barrier_wait -1
	global_inv scope:SCOPE_SE
	v_and_b32_e32 v27, 0xff, v26
	s_delay_alu instid0(VALU_DEP_1)
	v_cmp_eq_u32_e32 vcc_lo, 0, v27
	s_cbranch_vccnz .LBB84_157
.LBB84_153:                             ;   in Loop: Header=BB84_154 Depth=2
	s_wait_alu 0xfffe
	s_and_b32 s6, exec_lo, s6
	s_wait_alu 0xfffe
	s_or_b32 s15, s6, s15
	s_and_not1_b32 s6, s21, exec_lo
	s_and_b32 s21, s22, exec_lo
	s_wait_alu 0xfffe
	s_or_b32 s21, s6, s21
	s_and_not1_b32 exec_lo, exec_lo, s15
	s_cbranch_execz .LBB84_158
.LBB84_154:                             ;   Parent Loop BB84_11 Depth=1
                                        ; =>  This Inner Loop Header: Depth=2
	s_mov_b32 s6, exec_lo
	s_delay_alu instid0(VALU_DEP_1)
	v_cmpx_gt_u64_e64 s[28:29], v[10:11]
	s_cbranch_execz .LBB84_152
; %bb.155:                              ;   in Loop: Header=BB84_154 Depth=2
	global_load_u8 v26, v[4:5], off
	s_wait_loadcnt 0x0
	v_bfe_i32 v27, v26, 0, 8
	s_delay_alu instid0(VALU_DEP_1) | instskip(NEXT) | instid1(VALU_DEP_1)
	v_add_nc_u32_e32 v27, 0x80, v27
	v_and_b32_e32 v27, v27, v39
	s_delay_alu instid0(VALU_DEP_1)
	v_cmp_eq_u32_e32 vcc_lo, v27, v20
	s_and_b32 exec_lo, exec_lo, vcc_lo
	s_cbranch_execz .LBB84_152
; %bb.156:                              ;   in Loop: Header=BB84_154 Depth=2
	v_lshlrev_b16 v26, 8, v26
	s_delay_alu instid0(VALU_DEP_1)
	v_or_b32_e32 v26, 1, v26
	ds_store_b16 v3, v26 offset:3072
	s_branch .LBB84_152
.LBB84_157:                             ;   in Loop: Header=BB84_154 Depth=2
	v_add_co_u32 v10, vcc_lo, v10, s38
	s_wait_alu 0xfffd
	v_add_co_ci_u32_e64 v11, null, 0, v11, vcc_lo
	v_add_co_u32 v4, s6, v4, s44
	s_wait_alu 0xf1fe
	v_add_co_ci_u32_e64 v5, null, s45, v5, s6
	s_delay_alu instid0(VALU_DEP_3)
	v_cmp_le_u64_e32 vcc_lo, s[12:13], v[10:11]
	s_mov_b32 s22, 0
	s_or_not1_b32 s6, vcc_lo, exec_lo
	s_branch .LBB84_153
.LBB84_158:                             ;   in Loop: Header=BB84_11 Depth=1
	s_or_b32 exec_lo, exec_lo, s15
	v_and_b32_e32 v4, 0xffff, v26
	s_and_not1_b32 s6, s14, exec_lo
	s_wait_alu 0xfffe
	s_and_b32 s12, s21, exec_lo
	s_wait_alu 0xfffe
	s_or_b32 s14, s6, s12
	v_lshrrev_b32_e32 v40, 8, v4
.LBB84_159:                             ;   in Loop: Header=BB84_11 Depth=1
	s_or_b32 exec_lo, exec_lo, s7
	s_mov_b32 s21, 0
	s_mov_b32 s22, -1
.LBB84_160:                             ;   in Loop: Header=BB84_11 Depth=1
	s_wait_alu 0xfffe
	s_or_not1_b32 s6, s14, exec_lo
.LBB84_161:                             ;   in Loop: Header=BB84_11 Depth=1
	s_or_b32 exec_lo, exec_lo, s23
	s_mov_b32 s7, 0
	s_wait_alu 0xfffe
	s_and_saveexec_b32 s23, s6
	s_cbranch_execz .LBB84_267
; %bb.162:                              ;   in Loop: Header=BB84_11 Depth=1
	v_mov_b32_e32 v4, 1
	v_dual_mov_b32 v5, 0 :: v_dual_mov_b32 v2, 1
	s_xor_b32 s12, s24, -1
	s_wait_alu 0xfffe
	s_and_saveexec_b32 s6, s12
	s_cbranch_execz .LBB84_172
; %bb.163:                              ;   in Loop: Header=BB84_11 Depth=1
	s_mov_b32 s7, exec_lo
	v_cmpx_le_u64_e64 v[8:9], v[6:7]
	s_wait_alu 0xfffe
	s_xor_b32 s7, exec_lo, s7
	s_cbranch_execz .LBB84_169
; %bb.164:                              ;   in Loop: Header=BB84_11 Depth=1
	ds_load_b64 v[4:5], v3 offset:5120
	s_lshl_b32 s12, 1, s84
	v_or_b32_e32 v39, s16, v39
	s_wait_alu 0xfffe
	v_and_or_b32 v20, v20, s20, s12
	s_wait_dscnt 0x0
	v_cmp_ne_u64_e32 vcc_lo, 0, v[4:5]
	s_cbranch_vccnz .LBB84_168
; %bb.165:                              ;   in Loop: Header=BB84_11 Depth=1
	s_and_saveexec_b32 s12, s2
; %bb.166:                              ;   in Loop: Header=BB84_11 Depth=1
	ds_store_b64 v3, v[6:7] offset:5128
; %bb.167:                              ;   in Loop: Header=BB84_11 Depth=1
	s_wait_alu 0xfffe
	s_or_b32 exec_lo, exec_lo, s12
	s_wait_loadcnt_dscnt 0x0
	s_barrier_signal -1
	s_barrier_wait -1
	global_inv scope:SCOPE_SE
.LBB84_168:                             ;   in Loop: Header=BB84_11 Depth=1
                                        ; implicit-def: $vgpr4_vgpr5_vgpr6_vgpr7
.LBB84_169:                             ;   in Loop: Header=BB84_11 Depth=1
	s_wait_alu 0xfffe
	s_or_saveexec_b32 s7, s7
	v_mov_b32_e32 v2, 8
	s_mov_b32 s12, 0
	s_wait_alu 0xfffe
	s_xor_b32 exec_lo, exec_lo, s7
; %bb.170:                              ;   in Loop: Header=BB84_11 Depth=1
	v_sub_co_u32 v8, vcc_lo, v8, v6
	s_wait_alu 0xfffd
	v_sub_co_ci_u32_e64 v9, null, v9, v7, vcc_lo
	v_mov_b32_e32 v2, 0
	s_mov_b32 s12, exec_lo
; %bb.171:                              ;   in Loop: Header=BB84_11 Depth=1
	s_or_b32 exec_lo, exec_lo, s7
	s_delay_alu instid0(VALU_DEP_2)
	v_dual_mov_b32 v4, v8 :: v_dual_mov_b32 v5, v9
	s_wait_alu 0xfffe
	s_and_b32 s7, s12, exec_lo
.LBB84_172:                             ;   in Loop: Header=BB84_11 Depth=1
	s_wait_alu 0xfffe
	s_or_b32 exec_lo, exec_lo, s6
	s_mov_b32 s6, -1
                                        ; implicit-def: $sgpr25
                                        ; implicit-def: $sgpr58
	s_and_saveexec_b32 s24, s7
	s_cbranch_execz .LBB84_266
; %bb.173:                              ;   in Loop: Header=BB84_11 Depth=1
	v_cmp_eq_u64_e32 vcc_lo, 1, v[4:5]
	s_cmp_eq_u64 s[10:11], 1
                                        ; implicit-def: $sgpr58
                                        ; implicit-def: $sgpr25
	s_cselect_b32 s6, -1, 0
	s_wait_alu 0xfffe
	s_and_b32 s59, s6, vcc_lo
	s_mov_b32 s6, -1
	s_wait_alu 0xfffe
	s_and_saveexec_b32 s60, s59
	s_cbranch_execz .LBB84_207
; %bb.174:                              ;   in Loop: Header=BB84_11 Depth=1
	ds_load_b64 v[6:7], v3 offset:5120
	s_wait_loadcnt_dscnt 0x0
	s_barrier_signal -1
	s_barrier_wait -1
	global_inv scope:SCOPE_SE
	v_readfirstlane_b32 s6, v6
	v_readfirstlane_b32 s7, v7
	s_and_saveexec_b32 s12, s3
; %bb.175:                              ;   in Loop: Header=BB84_11 Depth=1
	ds_store_b8 v0, v3 offset:3072
; %bb.176:                              ;   in Loop: Header=BB84_11 Depth=1
	s_wait_alu 0xfffe
	s_or_b32 exec_lo, exec_lo, s12
	s_lshl_b32 s12, 2, s84
	v_or_b32_e32 v39, s16, v39
	s_wait_alu 0xfffe
	v_and_or_b32 v20, v20, s20, s12
	s_mov_b32 s25, -1
	s_mov_b32 s58, 0
	s_cmp_eq_u64 s[6:7], 0
	s_mov_b32 s14, 0
	s_mov_b32 s15, -1
	s_wait_loadcnt_dscnt 0x0
	s_barrier_signal -1
	s_barrier_wait -1
	global_inv scope:SCOPE_SE
                                        ; implicit-def: $vgpr40
	s_cbranch_scc1 .LBB84_192
; %bb.177:                              ;   in Loop: Header=BB84_11 Depth=1
	s_add_nc_u64 s[12:13], s[6:7], s[50:51]
	s_mov_b32 s14, s49
	s_wait_alu 0xfffe
	s_mov_b32 s15, s13
	s_wait_alu 0xfffe
	s_cmp_lg_u64 s[14:15], 0
	s_cbranch_scc0 .LBB84_233
; %bb.178:                              ;   in Loop: Header=BB84_11 Depth=1
	s_cvt_f32_u32 s14, s38
	s_sub_nc_u64 s[62:63], 0, s[38:39]
	s_wait_alu 0xfffe
	s_delay_alu instid0(SALU_CYCLE_1) | instskip(SKIP_1) | instid1(SALU_CYCLE_2)
	s_fmamk_f32 s14, s86, 0x0, s14
	s_wait_alu 0xfffe
	v_s_rcp_f32 s14, s14
	s_delay_alu instid0(TRANS32_DEP_1) | instskip(SKIP_1) | instid1(SALU_CYCLE_2)
	s_mul_f32 s14, s14, 0x5f7ffffc
	s_wait_alu 0xfffe
	s_mul_f32 s15, s14, 0x2f800000
	s_wait_alu 0xfffe
	s_delay_alu instid0(SALU_CYCLE_2) | instskip(SKIP_1) | instid1(SALU_CYCLE_2)
	s_trunc_f32 s15, s15
	s_wait_alu 0xfffe
	s_fmamk_f32 s14, s15, 0xcf800000, s14
	s_cvt_u32_f32 s15, s15
	s_wait_alu 0xfffe
	s_delay_alu instid0(SALU_CYCLE_1) | instskip(SKIP_1) | instid1(SALU_CYCLE_2)
	s_cvt_u32_f32 s14, s14
	s_wait_alu 0xfffe
	s_mul_u64 s[64:65], s[62:63], s[14:15]
	s_wait_alu 0xfffe
	s_mul_hi_u32 s67, s14, s65
	s_mul_i32 s66, s14, s65
	s_mul_hi_u32 s48, s14, s64
	s_mul_i32 s68, s15, s64
	s_wait_alu 0xfffe
	s_add_nc_u64 s[66:67], s[48:49], s[66:67]
	s_mul_hi_u32 s61, s15, s64
	s_mul_hi_u32 s69, s15, s65
	s_wait_alu 0xfffe
	s_add_co_u32 s48, s66, s68
	s_add_co_ci_u32 s48, s67, s61
	s_mul_i32 s64, s15, s65
	s_add_co_ci_u32 s65, s69, 0
	s_wait_alu 0xfffe
	s_add_nc_u64 s[64:65], s[48:49], s[64:65]
	s_wait_alu 0xfffe
	s_add_co_u32 s14, s14, s64
	s_cselect_b32 s48, -1, 0
	s_wait_alu 0xfffe
	s_cmp_lg_u32 s48, 0
	s_add_co_ci_u32 s15, s15, s65
	s_wait_alu 0xfffe
	s_mul_u64 s[62:63], s[62:63], s[14:15]
	s_wait_alu 0xfffe
	s_mul_hi_u32 s65, s14, s63
	s_mul_i32 s64, s14, s63
	s_mul_hi_u32 s48, s14, s62
	s_mul_i32 s66, s15, s62
	s_wait_alu 0xfffe
	s_add_nc_u64 s[64:65], s[48:49], s[64:65]
	s_mul_hi_u32 s61, s15, s62
	s_mul_hi_u32 s67, s15, s63
	s_wait_alu 0xfffe
	s_add_co_u32 s48, s64, s66
	s_add_co_ci_u32 s48, s65, s61
	s_mul_i32 s62, s15, s63
	s_add_co_ci_u32 s63, s67, 0
	s_wait_alu 0xfffe
	s_add_nc_u64 s[62:63], s[48:49], s[62:63]
	s_wait_alu 0xfffe
	s_add_co_u32 s14, s14, s62
	s_cselect_b32 s61, -1, 0
	s_wait_alu 0xfffe
	s_mul_hi_u32 s48, s12, s14
	s_cmp_lg_u32 s61, 0
	s_mul_hi_u32 s61, s13, s14
	s_add_co_ci_u32 s62, s15, s63
	s_mul_i32 s63, s13, s14
	s_wait_alu 0xfffe
	s_mul_hi_u32 s15, s12, s62
	s_mul_i32 s14, s12, s62
	s_mul_hi_u32 s64, s13, s62
	s_wait_alu 0xfffe
	s_add_nc_u64 s[14:15], s[48:49], s[14:15]
	s_mul_i32 s62, s13, s62
	s_wait_alu 0xfffe
	s_add_co_u32 s14, s14, s63
	s_add_co_ci_u32 s48, s15, s61
	s_add_co_ci_u32 s63, s64, 0
	s_wait_alu 0xfffe
	s_add_nc_u64 s[14:15], s[48:49], s[62:63]
	s_wait_alu 0xfffe
	s_mul_u64 s[14:15], s[38:39], s[14:15]
	s_wait_alu 0xfffe
	s_sub_co_u32 s14, s12, s14
	s_cselect_b32 s48, -1, 0
	s_wait_alu 0xfffe
	s_cmp_lg_u32 s48, 0
	s_sub_co_ci_u32 s15, s13, s15
	s_sub_co_u32 s48, s14, s38
	s_cselect_b32 s61, -1, 0
	s_wait_alu 0xfffe
	s_cmp_lg_u32 s61, 0
	s_sub_co_ci_u32 s61, s15, 0
	s_sub_co_u32 s62, s48, s38
	s_cselect_b32 s63, -1, 0
	s_wait_alu 0xfffe
	s_cmp_lg_u32 s63, 0
	s_sub_co_ci_u32 s63, s61, 0
	s_cmp_ge_u32 s48, s38
	s_cselect_b32 s64, -1, 0
	s_cmp_eq_u32 s61, 0
	s_wait_alu 0xfffe
	s_cselect_b32 s64, s64, -1
	s_wait_alu 0xfffe
	s_cmp_lg_u32 s64, 0
	s_cselect_b32 s61, s63, s61
	s_cselect_b32 s48, s62, s48
	s_cmp_ge_u32 s14, s38
	s_cselect_b32 s62, -1, 0
	s_cmp_eq_u32 s15, 0
	s_wait_alu 0xfffe
	s_cselect_b32 s62, s62, -1
	s_wait_alu 0xfffe
	s_cmp_lg_u32 s62, 0
	s_cselect_b32 s15, s61, s15
	s_cselect_b32 s14, s48, s14
	s_cbranch_execnz .LBB84_180
.LBB84_179:                             ;   in Loop: Header=BB84_11 Depth=1
	v_cvt_f32_u32_e32 v6, s38
	s_sub_co_i32 s15, 0, s38
	s_delay_alu instid0(VALU_DEP_1) | instskip(NEXT) | instid1(TRANS32_DEP_1)
	v_rcp_iflag_f32_e32 v6, v6
	v_mul_f32_e32 v6, 0x4f7ffffe, v6
	s_delay_alu instid0(VALU_DEP_1) | instskip(NEXT) | instid1(VALU_DEP_1)
	v_cvt_u32_f32_e32 v6, v6
	v_readfirstlane_b32 s14, v6
	s_wait_alu 0xfffe
	s_mul_i32 s15, s15, s14
	s_wait_alu 0xfffe
	s_mul_hi_u32 s15, s14, s15
	s_wait_alu 0xfffe
	s_add_co_i32 s14, s14, s15
	s_wait_alu 0xfffe
	s_mul_hi_u32 s14, s12, s14
	s_wait_alu 0xfffe
	s_mul_i32 s14, s14, s38
	s_wait_alu 0xfffe
	s_sub_co_i32 s14, s12, s14
	s_wait_alu 0xfffe
	s_sub_co_i32 s15, s14, s38
	s_cmp_ge_u32 s14, s38
	s_wait_alu 0xfffe
	s_cselect_b32 s14, s15, s14
	s_wait_alu 0xfffe
	s_sub_co_i32 s15, s14, s38
	s_cmp_ge_u32 s14, s38
	s_wait_alu 0xfffe
	s_cselect_b32 s48, s15, s14
	s_wait_alu 0xfffe
	s_mov_b64 s[14:15], s[48:49]
.LBB84_180:                             ;   in Loop: Header=BB84_11 Depth=1
	s_wait_alu 0xfffe
	s_sub_nc_u64 s[12:13], s[12:13], s[14:15]
	s_mov_b32 s15, 0
	s_mov_b32 s14, 0
	s_mov_b32 s48, exec_lo
                                        ; implicit-def: $vgpr40
	s_wait_alu 0xfffe
	v_cmpx_gt_u64_e64 s[12:13], v[0:1]
	s_cbranch_execz .LBB84_191
; %bb.181:                              ;   in Loop: Header=BB84_11 Depth=1
	v_dual_mov_b32 v8, v0 :: v_dual_mov_b32 v7, v1
	v_mov_b32_e32 v6, v0
                                        ; implicit-def: $sgpr61
	s_branch .LBB84_184
.LBB84_182:                             ;   in Loop: Header=BB84_184 Depth=2
	s_wait_alu 0xfffe
	s_or_b32 exec_lo, exec_lo, s62
	s_wait_loadcnt_dscnt 0x0
	s_barrier_signal -1
	s_barrier_wait -1
	global_inv scope:SCOPE_SE
	ds_load_u16 v9, v3 offset:3072
	s_mov_b32 s62, -1
	s_mov_b32 s63, -1
	s_wait_loadcnt_dscnt 0x0
	s_barrier_signal -1
	s_barrier_wait -1
	global_inv scope:SCOPE_SE
	v_and_b32_e32 v10, 0xff, v9
	s_delay_alu instid0(VALU_DEP_1)
	v_cmp_ne_u32_e32 vcc_lo, 0, v10
	s_cbranch_vccz .LBB84_187
.LBB84_183:                             ;   in Loop: Header=BB84_184 Depth=2
	s_wait_alu 0xfffe
	s_and_b32 s62, exec_lo, s62
	s_wait_alu 0xfffe
	s_or_b32 s14, s62, s14
	s_and_not1_b32 s61, s61, exec_lo
	s_and_b32 s62, s63, exec_lo
	s_wait_alu 0xfffe
	s_or_b32 s61, s61, s62
	s_and_not1_b32 exec_lo, exec_lo, s14
	s_cbranch_execz .LBB84_190
.LBB84_184:                             ;   Parent Loop BB84_11 Depth=1
                                        ; =>  This Inner Loop Header: Depth=2
	s_mov_b32 s62, exec_lo
	s_delay_alu instid0(VALU_DEP_1)
	v_cmpx_gt_u64_e64 s[6:7], v[6:7]
	s_cbranch_execz .LBB84_182
; %bb.185:                              ;   in Loop: Header=BB84_184 Depth=2
	ds_load_u8 v9, v8
	s_wait_dscnt 0x0
	v_bfe_i32 v10, v9, 0, 8
	s_delay_alu instid0(VALU_DEP_1) | instskip(NEXT) | instid1(VALU_DEP_1)
	v_add_nc_u32_e32 v10, 0x80, v10
	v_and_b32_e32 v10, v10, v39
	s_delay_alu instid0(VALU_DEP_1)
	v_cmp_eq_u32_e32 vcc_lo, v10, v20
	s_and_b32 exec_lo, exec_lo, vcc_lo
	s_cbranch_execz .LBB84_182
; %bb.186:                              ;   in Loop: Header=BB84_184 Depth=2
	v_lshlrev_b16 v9, 8, v9
	s_delay_alu instid0(VALU_DEP_1)
	v_or_b32_e32 v9, 1, v9
	ds_store_b16 v3, v9 offset:3072
	s_branch .LBB84_182
.LBB84_187:                             ;   in Loop: Header=BB84_184 Depth=2
	v_add_co_u32 v6, vcc_lo, v6, s38
	s_wait_alu 0xfffd
	v_add_co_ci_u32_e64 v7, null, 0, v7, vcc_lo
	v_add_nc_u32_e32 v8, s38, v8
	s_mov_b32 s63, 0
	s_delay_alu instid0(VALU_DEP_2)
	v_cmp_le_u64_e32 vcc_lo, s[12:13], v[6:7]
	s_or_not1_b32 s62, vcc_lo, exec_lo
	s_branch .LBB84_183
.LBB84_188:                             ;   in Loop: Header=BB84_11 Depth=1
                                        ; implicit-def: $sgpr14_sgpr15
	s_branch .LBB84_130
.LBB84_189:                             ;   in Loop: Header=BB84_11 Depth=1
                                        ; implicit-def: $sgpr6_sgpr7
	s_branch .LBB84_149
.LBB84_190:                             ;   in Loop: Header=BB84_11 Depth=1
	s_or_b32 exec_lo, exec_lo, s14
	v_and_b32_e32 v6, 0xffff, v9
	s_wait_alu 0xfffe
	s_and_b32 s14, s61, exec_lo
	s_delay_alu instid0(VALU_DEP_1)
	v_lshrrev_b32_e32 v40, 8, v6
.LBB84_191:                             ;   in Loop: Header=BB84_11 Depth=1
	s_or_b32 exec_lo, exec_lo, s48
.LBB84_192:                             ;   in Loop: Header=BB84_11 Depth=1
	s_wait_alu 0xfffe
	s_and_b32 vcc_lo, exec_lo, s15
	s_wait_alu 0xfffe
	s_cbranch_vccz .LBB84_206
; %bb.193:                              ;   in Loop: Header=BB84_11 Depth=1
	s_mov_b32 s6, s49
	s_mov_b32 s7, s53
	s_wait_alu 0xfffe
	s_cmp_lg_u64 s[6:7], 0
	s_cbranch_scc0 .LBB84_234
; %bb.194:                              ;   in Loop: Header=BB84_11 Depth=1
	s_cvt_f32_u32 s6, s38
	s_sub_nc_u64 s[12:13], 0, s[38:39]
	s_wait_alu 0xfffe
	s_delay_alu instid0(SALU_CYCLE_1) | instskip(SKIP_1) | instid1(SALU_CYCLE_2)
	s_fmamk_f32 s6, s86, 0x0, s6
	s_wait_alu 0xfffe
	v_s_rcp_f32 s6, s6
	s_delay_alu instid0(TRANS32_DEP_1) | instskip(SKIP_1) | instid1(SALU_CYCLE_2)
	s_mul_f32 s6, s6, 0x5f7ffffc
	s_wait_alu 0xfffe
	s_mul_f32 s7, s6, 0x2f800000
	s_wait_alu 0xfffe
	s_delay_alu instid0(SALU_CYCLE_2) | instskip(SKIP_1) | instid1(SALU_CYCLE_2)
	s_trunc_f32 s7, s7
	s_wait_alu 0xfffe
	s_fmamk_f32 s6, s7, 0xcf800000, s6
	s_cvt_u32_f32 s7, s7
	s_wait_alu 0xfffe
	s_delay_alu instid0(SALU_CYCLE_1) | instskip(SKIP_1) | instid1(SALU_CYCLE_2)
	s_cvt_u32_f32 s6, s6
	s_wait_alu 0xfffe
	s_mul_u64 s[62:63], s[12:13], s[6:7]
	s_wait_alu 0xfffe
	s_mul_hi_u32 s65, s6, s63
	s_mul_i32 s64, s6, s63
	s_mul_hi_u32 s48, s6, s62
	s_mul_i32 s25, s7, s62
	s_wait_alu 0xfffe
	s_add_nc_u64 s[64:65], s[48:49], s[64:65]
	s_mul_hi_u32 s15, s7, s62
	s_mul_hi_u32 s58, s7, s63
	s_wait_alu 0xfffe
	s_add_co_u32 s25, s64, s25
	s_add_co_ci_u32 s48, s65, s15
	s_mul_i32 s62, s7, s63
	s_add_co_ci_u32 s63, s58, 0
	s_wait_alu 0xfffe
	s_add_nc_u64 s[62:63], s[48:49], s[62:63]
	s_wait_alu 0xfffe
	s_add_co_u32 s6, s6, s62
	s_cselect_b32 s15, -1, 0
	s_wait_alu 0xfffe
	s_cmp_lg_u32 s15, 0
	s_add_co_ci_u32 s7, s7, s63
	s_wait_alu 0xfffe
	s_mul_u64 s[12:13], s[12:13], s[6:7]
	s_wait_alu 0xfffe
	s_mul_hi_u32 s63, s6, s13
	s_mul_i32 s62, s6, s13
	s_mul_hi_u32 s48, s6, s12
	s_mul_i32 s25, s7, s12
	s_wait_alu 0xfffe
	s_add_nc_u64 s[62:63], s[48:49], s[62:63]
	s_mul_hi_u32 s15, s7, s12
	s_mul_hi_u32 s58, s7, s13
	s_mul_i32 s12, s7, s13
	s_wait_alu 0xfffe
	s_add_co_u32 s13, s62, s25
	s_add_co_ci_u32 s48, s63, s15
	s_add_co_ci_u32 s13, s58, 0
	s_wait_alu 0xfffe
	s_add_nc_u64 s[12:13], s[48:49], s[12:13]
	s_wait_alu 0xfffe
	s_add_co_u32 s6, s6, s12
	s_cselect_b32 s12, -1, 0
	s_wait_alu 0xfffe
	s_mul_hi_u32 s48, s52, s6
	s_cmp_lg_u32 s12, 0
	s_mul_hi_u32 s15, s53, s6
	s_add_co_ci_u32 s12, s7, s13
	s_mul_i32 s13, s53, s6
	s_wait_alu 0xfffe
	s_mul_hi_u32 s7, s52, s12
	s_mul_i32 s6, s52, s12
	s_mul_hi_u32 s25, s53, s12
	s_wait_alu 0xfffe
	s_add_nc_u64 s[6:7], s[48:49], s[6:7]
	s_mul_i32 s12, s53, s12
	s_wait_alu 0xfffe
	s_add_co_u32 s6, s6, s13
	s_add_co_ci_u32 s48, s7, s15
	s_add_co_ci_u32 s13, s25, 0
	s_wait_alu 0xfffe
	s_add_nc_u64 s[6:7], s[48:49], s[12:13]
	s_wait_alu 0xfffe
	s_mul_u64 s[6:7], s[38:39], s[6:7]
	s_wait_alu 0xfffe
	s_sub_co_u32 s6, s52, s6
	s_cselect_b32 s12, -1, 0
	s_wait_alu 0xfffe
	s_cmp_lg_u32 s12, 0
	s_sub_co_ci_u32 s7, s53, s7
	s_sub_co_u32 s12, s6, s38
	s_cselect_b32 s13, -1, 0
	s_wait_alu 0xfffe
	s_cmp_lg_u32 s13, 0
	s_sub_co_ci_u32 s13, s7, 0
	s_sub_co_u32 s15, s12, s38
	s_cselect_b32 s25, -1, 0
	s_delay_alu instid0(SALU_CYCLE_1)
	s_cmp_lg_u32 s25, 0
	s_wait_alu 0xfffe
	s_sub_co_ci_u32 s25, s13, 0
	s_cmp_ge_u32 s12, s38
	s_cselect_b32 s48, -1, 0
	s_cmp_eq_u32 s13, 0
	s_wait_alu 0xfffe
	s_cselect_b32 s48, s48, -1
	s_wait_alu 0xfffe
	s_cmp_lg_u32 s48, 0
	s_cselect_b32 s13, s25, s13
	s_cselect_b32 s12, s15, s12
	s_cmp_ge_u32 s6, s38
	s_cselect_b32 s15, -1, 0
	s_cmp_eq_u32 s7, 0
	s_wait_alu 0xfffe
	s_cselect_b32 s15, s15, -1
	s_wait_alu 0xfffe
	s_cmp_lg_u32 s15, 0
	s_cselect_b32 s7, s13, s7
	s_cselect_b32 s6, s12, s6
	s_cbranch_execnz .LBB84_196
.LBB84_195:                             ;   in Loop: Header=BB84_11 Depth=1
	v_cvt_f32_u32_e32 v6, s38
	s_sub_co_i32 s7, 0, s38
	s_delay_alu instid0(VALU_DEP_1) | instskip(NEXT) | instid1(TRANS32_DEP_1)
	v_rcp_iflag_f32_e32 v6, v6
	v_mul_f32_e32 v6, 0x4f7ffffe, v6
	s_delay_alu instid0(VALU_DEP_1) | instskip(NEXT) | instid1(VALU_DEP_1)
	v_cvt_u32_f32_e32 v6, v6
	v_readfirstlane_b32 s6, v6
	s_wait_alu 0xfffe
	s_mul_i32 s7, s7, s6
	s_wait_alu 0xfffe
	s_mul_hi_u32 s7, s6, s7
	s_wait_alu 0xfffe
	s_add_co_i32 s6, s6, s7
	s_wait_alu 0xfffe
	s_mul_hi_u32 s6, s52, s6
	s_wait_alu 0xfffe
	s_mul_i32 s6, s6, s38
	s_wait_alu 0xfffe
	s_sub_co_i32 s6, s52, s6
	s_wait_alu 0xfffe
	s_sub_co_i32 s7, s6, s38
	s_cmp_ge_u32 s6, s38
	s_wait_alu 0xfffe
	s_cselect_b32 s6, s7, s6
	s_wait_alu 0xfffe
	s_sub_co_i32 s7, s6, s38
	s_cmp_ge_u32 s6, s38
	s_wait_alu 0xfffe
	s_cselect_b32 s48, s7, s6
	s_wait_alu 0xfffe
	s_mov_b64 s[6:7], s[48:49]
.LBB84_196:                             ;   in Loop: Header=BB84_11 Depth=1
	s_wait_alu 0xfffe
	s_sub_nc_u64 s[12:13], s[52:53], s[6:7]
	s_mov_b32 s7, exec_lo
                                        ; implicit-def: $vgpr40
	s_wait_alu 0xfffe
	v_cmpx_gt_u64_e64 s[12:13], v[0:1]
	s_cbranch_execz .LBB84_205
; %bb.197:                              ;   in Loop: Header=BB84_11 Depth=1
	v_dual_mov_b32 v6, v12 :: v_dual_mov_b32 v7, v13
	v_dual_mov_b32 v9, v1 :: v_dual_mov_b32 v8, v0
	s_mov_b32 s15, 0
                                        ; implicit-def: $sgpr25
	s_branch .LBB84_200
.LBB84_198:                             ;   in Loop: Header=BB84_200 Depth=2
	s_wait_alu 0xfffe
	s_or_b32 exec_lo, exec_lo, s6
	s_wait_loadcnt_dscnt 0x0
	s_barrier_signal -1
	s_barrier_wait -1
	global_inv scope:SCOPE_SE
	ds_load_u16 v10, v3 offset:3072
	s_mov_b32 s6, -1
	s_mov_b32 s48, -1
	s_wait_loadcnt_dscnt 0x0
	s_barrier_signal -1
	s_barrier_wait -1
	global_inv scope:SCOPE_SE
	v_and_b32_e32 v11, 0xff, v10
	s_delay_alu instid0(VALU_DEP_1)
	v_cmp_eq_u32_e32 vcc_lo, 0, v11
	s_cbranch_vccnz .LBB84_203
.LBB84_199:                             ;   in Loop: Header=BB84_200 Depth=2
	s_wait_alu 0xfffe
	s_and_b32 s6, exec_lo, s6
	s_wait_alu 0xfffe
	s_or_b32 s15, s6, s15
	s_and_not1_b32 s6, s25, exec_lo
	s_and_b32 s25, s48, exec_lo
	s_wait_alu 0xfffe
	s_or_b32 s25, s6, s25
	s_and_not1_b32 exec_lo, exec_lo, s15
	s_cbranch_execz .LBB84_204
.LBB84_200:                             ;   Parent Loop BB84_11 Depth=1
                                        ; =>  This Inner Loop Header: Depth=2
	s_mov_b32 s6, exec_lo
	s_delay_alu instid0(VALU_DEP_1)
	v_cmpx_gt_u64_e64 s[28:29], v[8:9]
	s_cbranch_execz .LBB84_198
; %bb.201:                              ;   in Loop: Header=BB84_200 Depth=2
	global_load_u8 v10, v[6:7], off
	s_wait_loadcnt 0x0
	v_bfe_i32 v11, v10, 0, 8
	s_delay_alu instid0(VALU_DEP_1) | instskip(NEXT) | instid1(VALU_DEP_1)
	v_add_nc_u32_e32 v11, 0x80, v11
	v_and_b32_e32 v11, v11, v39
	s_delay_alu instid0(VALU_DEP_1)
	v_cmp_eq_u32_e32 vcc_lo, v11, v20
	s_and_b32 exec_lo, exec_lo, vcc_lo
	s_cbranch_execz .LBB84_198
; %bb.202:                              ;   in Loop: Header=BB84_200 Depth=2
	v_lshlrev_b16 v10, 8, v10
	s_delay_alu instid0(VALU_DEP_1)
	v_or_b32_e32 v10, 1, v10
	ds_store_b16 v3, v10 offset:3072
	s_branch .LBB84_198
.LBB84_203:                             ;   in Loop: Header=BB84_200 Depth=2
	v_add_co_u32 v8, vcc_lo, v8, s38
	s_wait_alu 0xfffd
	v_add_co_ci_u32_e64 v9, null, 0, v9, vcc_lo
	v_add_co_u32 v6, s6, v6, s44
	s_wait_alu 0xf1fe
	v_add_co_ci_u32_e64 v7, null, s45, v7, s6
	s_delay_alu instid0(VALU_DEP_3)
	v_cmp_le_u64_e32 vcc_lo, s[12:13], v[8:9]
	s_mov_b32 s48, 0
	s_or_not1_b32 s6, vcc_lo, exec_lo
	s_branch .LBB84_199
.LBB84_204:                             ;   in Loop: Header=BB84_11 Depth=1
	s_or_b32 exec_lo, exec_lo, s15
	v_and_b32_e32 v6, 0xffff, v10
	s_and_not1_b32 s6, s14, exec_lo
	s_and_b32 s12, s25, exec_lo
	s_wait_alu 0xfffe
	s_or_b32 s14, s6, s12
	v_lshrrev_b32_e32 v40, 8, v6
.LBB84_205:                             ;   in Loop: Header=BB84_11 Depth=1
	s_or_b32 exec_lo, exec_lo, s7
	s_mov_b32 s25, 0
	s_mov_b32 s58, -1
.LBB84_206:                             ;   in Loop: Header=BB84_11 Depth=1
	s_wait_alu 0xfffe
	s_or_not1_b32 s6, s14, exec_lo
.LBB84_207:                             ;   in Loop: Header=BB84_11 Depth=1
	s_wait_alu 0xfffe
	s_or_b32 exec_lo, exec_lo, s60
	s_mov_b32 s7, 0
	s_and_saveexec_b32 s14, s6
	s_cbranch_execz .LBB84_265
; %bb.208:                              ;   in Loop: Header=BB84_11 Depth=1
	v_mov_b32_e32 v6, 1
	v_dual_mov_b32 v7, 0 :: v_dual_mov_b32 v2, 1
	s_xor_b32 s12, s59, -1
	s_wait_alu 0xfffe
	s_and_saveexec_b32 s6, s12
	s_cbranch_execz .LBB84_217
; %bb.209:                              ;   in Loop: Header=BB84_11 Depth=1
	s_mov_b32 s7, exec_lo
	v_cmpx_ge_u64_e64 s[10:11], v[4:5]
	s_wait_alu 0xfffe
	s_xor_b32 s7, exec_lo, s7
	s_cbranch_execz .LBB84_214
; %bb.210:                              ;   in Loop: Header=BB84_11 Depth=1
	ds_load_b64 v[6:7], v3 offset:5120
	s_lshl_b32 s12, 2, s84
	v_or_b32_e32 v39, s16, v39
	s_wait_alu 0xfffe
	v_and_or_b32 v20, v20, s20, s12
	s_wait_dscnt 0x0
	v_cmp_ne_u64_e32 vcc_lo, 0, v[6:7]
	s_cbranch_vccnz .LBB84_214
; %bb.211:                              ;   in Loop: Header=BB84_11 Depth=1
	s_and_saveexec_b32 s12, s2
; %bb.212:                              ;   in Loop: Header=BB84_11 Depth=1
	v_dual_mov_b32 v6, s10 :: v_dual_mov_b32 v7, s11
	ds_store_b64 v3, v[6:7] offset:5128
; %bb.213:                              ;   in Loop: Header=BB84_11 Depth=1
	s_wait_alu 0xfffe
	s_or_b32 exec_lo, exec_lo, s12
	s_wait_loadcnt_dscnt 0x0
	s_barrier_signal -1
	s_barrier_wait -1
	global_inv scope:SCOPE_SE
.LBB84_214:                             ;   in Loop: Header=BB84_11 Depth=1
	s_wait_alu 0xfffe
	s_or_saveexec_b32 s7, s7
	v_mov_b32_e32 v2, 8
	s_mov_b32 s12, 0
	s_wait_alu 0xfffe
	s_xor_b32 exec_lo, exec_lo, s7
; %bb.215:                              ;   in Loop: Header=BB84_11 Depth=1
	v_sub_co_u32 v4, vcc_lo, v4, s10
	s_wait_alu 0xfffd
	v_subrev_co_ci_u32_e64 v5, null, s11, v5, vcc_lo
	v_mov_b32_e32 v2, 0
	s_mov_b32 s12, exec_lo
; %bb.216:                              ;   in Loop: Header=BB84_11 Depth=1
	s_or_b32 exec_lo, exec_lo, s7
	s_delay_alu instid0(VALU_DEP_2)
	v_dual_mov_b32 v7, v5 :: v_dual_mov_b32 v6, v4
	s_wait_alu 0xfffe
	s_and_b32 s7, s12, exec_lo
.LBB84_217:                             ;   in Loop: Header=BB84_11 Depth=1
	s_wait_alu 0xfffe
	s_or_b32 exec_lo, exec_lo, s6
	s_mov_b32 s6, -1
                                        ; implicit-def: $sgpr61
                                        ; implicit-def: $sgpr60
	s_and_saveexec_b32 s15, s7
	s_cbranch_execz .LBB84_264
; %bb.218:                              ;   in Loop: Header=BB84_11 Depth=1
	v_cmp_eq_u64_e32 vcc_lo, 1, v[6:7]
	s_cmp_eq_u64 s[8:9], 1
	s_mov_b32 s7, -1
	s_cselect_b32 s6, -1, 0
                                        ; implicit-def: $sgpr61
                                        ; implicit-def: $sgpr60
	s_wait_alu 0xfffe
	s_and_b32 s20, s6, vcc_lo
	s_wait_alu 0xfffe
	s_and_saveexec_b32 s59, s20
	s_cbranch_execz .LBB84_252
; %bb.219:                              ;   in Loop: Header=BB84_11 Depth=1
	ds_load_b64 v[4:5], v3 offset:5120
	s_wait_loadcnt_dscnt 0x0
	s_barrier_signal -1
	s_barrier_wait -1
	global_inv scope:SCOPE_SE
	v_readfirstlane_b32 s6, v4
	v_readfirstlane_b32 s7, v5
	s_and_saveexec_b32 s10, s3
; %bb.220:                              ;   in Loop: Header=BB84_11 Depth=1
	ds_store_b8 v0, v3 offset:3072
; %bb.221:                              ;   in Loop: Header=BB84_11 Depth=1
	s_wait_alu 0xfffe
	s_or_b32 exec_lo, exec_lo, s10
	v_or_b32_e32 v20, s16, v20
	v_or_b32_e32 v39, s16, v39
	s_mov_b32 s60, -1
	s_mov_b32 s61, 0
	s_cmp_eq_u64 s[6:7], 0
	s_mov_b32 s12, 0
	s_mov_b32 s13, -1
	s_wait_loadcnt_dscnt 0x0
	s_barrier_signal -1
	s_barrier_wait -1
	global_inv scope:SCOPE_SE
                                        ; implicit-def: $vgpr40
	s_cbranch_scc1 .LBB84_237
; %bb.222:                              ;   in Loop: Header=BB84_11 Depth=1
	s_add_nc_u64 s[10:11], s[6:7], s[50:51]
	s_mov_b32 s12, s49
	s_wait_alu 0xfffe
	s_mov_b32 s13, s11
	s_wait_alu 0xfffe
	s_cmp_lg_u64 s[12:13], 0
	s_cbranch_scc0 .LBB84_271
; %bb.223:                              ;   in Loop: Header=BB84_11 Depth=1
	s_cvt_f32_u32 s12, s38
	s_sub_nc_u64 s[62:63], 0, s[38:39]
	s_wait_alu 0xfffe
	s_delay_alu instid0(SALU_CYCLE_1) | instskip(SKIP_1) | instid1(SALU_CYCLE_2)
	s_fmamk_f32 s12, s86, 0x0, s12
	s_wait_alu 0xfffe
	v_s_rcp_f32 s12, s12
	s_delay_alu instid0(TRANS32_DEP_1) | instskip(SKIP_1) | instid1(SALU_CYCLE_2)
	s_mul_f32 s12, s12, 0x5f7ffffc
	s_wait_alu 0xfffe
	s_mul_f32 s13, s12, 0x2f800000
	s_wait_alu 0xfffe
	s_delay_alu instid0(SALU_CYCLE_2) | instskip(SKIP_1) | instid1(SALU_CYCLE_2)
	s_trunc_f32 s13, s13
	s_wait_alu 0xfffe
	s_fmamk_f32 s12, s13, 0xcf800000, s12
	s_cvt_u32_f32 s13, s13
	s_wait_alu 0xfffe
	s_delay_alu instid0(SALU_CYCLE_1) | instskip(SKIP_1) | instid1(SALU_CYCLE_2)
	s_cvt_u32_f32 s12, s12
	s_wait_alu 0xfffe
	s_mul_u64 s[64:65], s[62:63], s[12:13]
	s_wait_alu 0xfffe
	s_mul_hi_u32 s67, s12, s65
	s_mul_i32 s66, s12, s65
	s_mul_hi_u32 s48, s12, s64
	s_mul_i32 s69, s13, s64
	s_wait_alu 0xfffe
	s_add_nc_u64 s[66:67], s[48:49], s[66:67]
	s_mul_hi_u32 s68, s13, s64
	s_mul_hi_u32 s70, s13, s65
	s_wait_alu 0xfffe
	s_add_co_u32 s48, s66, s69
	s_add_co_ci_u32 s48, s67, s68
	s_mul_i32 s64, s13, s65
	s_add_co_ci_u32 s65, s70, 0
	s_wait_alu 0xfffe
	s_add_nc_u64 s[64:65], s[48:49], s[64:65]
	s_wait_alu 0xfffe
	s_add_co_u32 s12, s12, s64
	s_cselect_b32 s48, -1, 0
	s_wait_alu 0xfffe
	s_cmp_lg_u32 s48, 0
	s_add_co_ci_u32 s13, s13, s65
	s_wait_alu 0xfffe
	s_mul_u64 s[62:63], s[62:63], s[12:13]
	s_wait_alu 0xfffe
	s_mul_hi_u32 s65, s12, s63
	s_mul_i32 s64, s12, s63
	s_mul_hi_u32 s48, s12, s62
	s_mul_i32 s67, s13, s62
	s_wait_alu 0xfffe
	s_add_nc_u64 s[64:65], s[48:49], s[64:65]
	s_mul_hi_u32 s66, s13, s62
	s_mul_hi_u32 s68, s13, s63
	s_wait_alu 0xfffe
	s_add_co_u32 s48, s64, s67
	s_add_co_ci_u32 s48, s65, s66
	s_mul_i32 s62, s13, s63
	s_add_co_ci_u32 s63, s68, 0
	s_wait_alu 0xfffe
	s_add_nc_u64 s[62:63], s[48:49], s[62:63]
	s_wait_alu 0xfffe
	s_add_co_u32 s12, s12, s62
	s_cselect_b32 s62, -1, 0
	s_wait_alu 0xfffe
	s_mul_hi_u32 s48, s10, s12
	s_cmp_lg_u32 s62, 0
	s_mul_hi_u32 s64, s11, s12
	s_add_co_ci_u32 s62, s13, s63
	s_mul_i32 s63, s11, s12
	s_wait_alu 0xfffe
	s_mul_hi_u32 s13, s10, s62
	s_mul_i32 s12, s10, s62
	s_mul_hi_u32 s65, s11, s62
	s_wait_alu 0xfffe
	s_add_nc_u64 s[12:13], s[48:49], s[12:13]
	s_mul_i32 s62, s11, s62
	s_wait_alu 0xfffe
	s_add_co_u32 s12, s12, s63
	s_add_co_ci_u32 s48, s13, s64
	s_add_co_ci_u32 s63, s65, 0
	s_wait_alu 0xfffe
	s_add_nc_u64 s[12:13], s[48:49], s[62:63]
	s_wait_alu 0xfffe
	s_mul_u64 s[12:13], s[38:39], s[12:13]
	s_wait_alu 0xfffe
	s_sub_co_u32 s12, s10, s12
	s_cselect_b32 s48, -1, 0
	s_wait_alu 0xfffe
	s_cmp_lg_u32 s48, 0
	s_sub_co_ci_u32 s13, s11, s13
	s_sub_co_u32 s48, s12, s38
	s_cselect_b32 s62, -1, 0
	s_wait_alu 0xfffe
	s_cmp_lg_u32 s62, 0
	s_sub_co_ci_u32 s62, s13, 0
	;; [unrolled: 5-line block ×3, first 2 shown]
	s_cmp_ge_u32 s48, s38
	s_cselect_b32 s65, -1, 0
	s_cmp_eq_u32 s62, 0
	s_wait_alu 0xfffe
	s_cselect_b32 s65, s65, -1
	s_wait_alu 0xfffe
	s_cmp_lg_u32 s65, 0
	s_cselect_b32 s62, s64, s62
	s_cselect_b32 s48, s63, s48
	s_cmp_ge_u32 s12, s38
	s_cselect_b32 s63, -1, 0
	s_cmp_eq_u32 s13, 0
	s_wait_alu 0xfffe
	s_cselect_b32 s63, s63, -1
	s_wait_alu 0xfffe
	s_cmp_lg_u32 s63, 0
	s_cselect_b32 s13, s62, s13
	s_cselect_b32 s12, s48, s12
	s_cbranch_execnz .LBB84_225
.LBB84_224:                             ;   in Loop: Header=BB84_11 Depth=1
	v_cvt_f32_u32_e32 v4, s38
	s_sub_co_i32 s13, 0, s38
	s_delay_alu instid0(VALU_DEP_1) | instskip(NEXT) | instid1(TRANS32_DEP_1)
	v_rcp_iflag_f32_e32 v4, v4
	v_mul_f32_e32 v4, 0x4f7ffffe, v4
	s_delay_alu instid0(VALU_DEP_1) | instskip(NEXT) | instid1(VALU_DEP_1)
	v_cvt_u32_f32_e32 v4, v4
	v_readfirstlane_b32 s12, v4
	s_wait_alu 0xfffe
	s_mul_i32 s13, s13, s12
	s_wait_alu 0xfffe
	s_mul_hi_u32 s13, s12, s13
	s_wait_alu 0xfffe
	s_add_co_i32 s12, s12, s13
	s_wait_alu 0xfffe
	s_mul_hi_u32 s12, s10, s12
	s_wait_alu 0xfffe
	s_mul_i32 s12, s12, s38
	s_wait_alu 0xfffe
	s_sub_co_i32 s12, s10, s12
	s_wait_alu 0xfffe
	s_sub_co_i32 s13, s12, s38
	s_cmp_ge_u32 s12, s38
	s_wait_alu 0xfffe
	s_cselect_b32 s12, s13, s12
	s_wait_alu 0xfffe
	s_sub_co_i32 s13, s12, s38
	s_cmp_ge_u32 s12, s38
	s_wait_alu 0xfffe
	s_cselect_b32 s48, s13, s12
	s_wait_alu 0xfffe
	s_mov_b64 s[12:13], s[48:49]
.LBB84_225:                             ;   in Loop: Header=BB84_11 Depth=1
	s_wait_alu 0xfffe
	s_sub_nc_u64 s[10:11], s[10:11], s[12:13]
	s_mov_b32 s13, 0
	s_mov_b32 s12, 0
	s_mov_b32 s48, exec_lo
                                        ; implicit-def: $vgpr40
	s_wait_alu 0xfffe
	v_cmpx_gt_u64_e64 s[10:11], v[0:1]
	s_cbranch_execz .LBB84_236
; %bb.226:                              ;   in Loop: Header=BB84_11 Depth=1
	v_dual_mov_b32 v8, v0 :: v_dual_mov_b32 v5, v1
	v_mov_b32_e32 v4, v0
                                        ; implicit-def: $sgpr62
	s_branch .LBB84_229
.LBB84_227:                             ;   in Loop: Header=BB84_229 Depth=2
	s_wait_alu 0xfffe
	s_or_b32 exec_lo, exec_lo, s63
	s_wait_loadcnt_dscnt 0x0
	s_barrier_signal -1
	s_barrier_wait -1
	global_inv scope:SCOPE_SE
	ds_load_u16 v9, v3 offset:3072
	s_mov_b32 s63, -1
	s_mov_b32 s64, -1
	s_wait_loadcnt_dscnt 0x0
	s_barrier_signal -1
	s_barrier_wait -1
	global_inv scope:SCOPE_SE
	v_and_b32_e32 v10, 0xff, v9
	s_delay_alu instid0(VALU_DEP_1)
	v_cmp_ne_u32_e32 vcc_lo, 0, v10
	s_cbranch_vccz .LBB84_232
.LBB84_228:                             ;   in Loop: Header=BB84_229 Depth=2
	s_wait_alu 0xfffe
	s_and_b32 s63, exec_lo, s63
	s_wait_alu 0xfffe
	s_or_b32 s12, s63, s12
	s_and_not1_b32 s62, s62, exec_lo
	s_and_b32 s63, s64, exec_lo
	s_wait_alu 0xfffe
	s_or_b32 s62, s62, s63
	s_and_not1_b32 exec_lo, exec_lo, s12
	s_cbranch_execz .LBB84_235
.LBB84_229:                             ;   Parent Loop BB84_11 Depth=1
                                        ; =>  This Inner Loop Header: Depth=2
	s_mov_b32 s63, exec_lo
	s_delay_alu instid0(VALU_DEP_1)
	v_cmpx_gt_u64_e64 s[6:7], v[4:5]
	s_cbranch_execz .LBB84_227
; %bb.230:                              ;   in Loop: Header=BB84_229 Depth=2
	ds_load_u8 v9, v8
	s_wait_dscnt 0x0
	v_bfe_i32 v10, v9, 0, 8
	s_delay_alu instid0(VALU_DEP_1) | instskip(NEXT) | instid1(VALU_DEP_1)
	v_add_nc_u32_e32 v10, 0x80, v10
	v_and_b32_e32 v10, v10, v39
	s_delay_alu instid0(VALU_DEP_1)
	v_cmp_eq_u32_e32 vcc_lo, v10, v20
	s_and_b32 exec_lo, exec_lo, vcc_lo
	s_cbranch_execz .LBB84_227
; %bb.231:                              ;   in Loop: Header=BB84_229 Depth=2
	v_lshlrev_b16 v9, 8, v9
	s_delay_alu instid0(VALU_DEP_1)
	v_or_b32_e32 v9, 1, v9
	ds_store_b16 v3, v9 offset:3072
	s_branch .LBB84_227
.LBB84_232:                             ;   in Loop: Header=BB84_229 Depth=2
	v_add_co_u32 v4, vcc_lo, v4, s38
	s_wait_alu 0xfffd
	v_add_co_ci_u32_e64 v5, null, 0, v5, vcc_lo
	v_add_nc_u32_e32 v8, s38, v8
	s_mov_b32 s64, 0
	s_delay_alu instid0(VALU_DEP_2)
	v_cmp_le_u64_e32 vcc_lo, s[10:11], v[4:5]
	s_or_not1_b32 s63, vcc_lo, exec_lo
	s_branch .LBB84_228
.LBB84_233:                             ;   in Loop: Header=BB84_11 Depth=1
                                        ; implicit-def: $sgpr14_sgpr15
	s_branch .LBB84_179
.LBB84_234:                             ;   in Loop: Header=BB84_11 Depth=1
                                        ; implicit-def: $sgpr6_sgpr7
	s_branch .LBB84_195
.LBB84_235:                             ;   in Loop: Header=BB84_11 Depth=1
	s_or_b32 exec_lo, exec_lo, s12
	v_and_b32_e32 v4, 0xffff, v9
	s_wait_alu 0xfffe
	s_and_b32 s12, s62, exec_lo
	s_delay_alu instid0(VALU_DEP_1)
	v_lshrrev_b32_e32 v40, 8, v4
.LBB84_236:                             ;   in Loop: Header=BB84_11 Depth=1
	s_or_b32 exec_lo, exec_lo, s48
.LBB84_237:                             ;   in Loop: Header=BB84_11 Depth=1
	s_wait_alu 0xfffe
	s_and_b32 vcc_lo, exec_lo, s13
	s_wait_alu 0xfffe
	s_cbranch_vccz .LBB84_251
; %bb.238:                              ;   in Loop: Header=BB84_11 Depth=1
	s_mov_b32 s6, s49
	s_mov_b32 s7, s53
	s_wait_alu 0xfffe
	s_cmp_lg_u64 s[6:7], 0
	s_cbranch_scc0 .LBB84_272
; %bb.239:                              ;   in Loop: Header=BB84_11 Depth=1
	s_cvt_f32_u32 s6, s38
	s_sub_nc_u64 s[10:11], 0, s[38:39]
	s_wait_alu 0xfffe
	s_delay_alu instid0(SALU_CYCLE_1) | instskip(SKIP_1) | instid1(SALU_CYCLE_2)
	s_fmamk_f32 s6, s86, 0x0, s6
	s_wait_alu 0xfffe
	v_s_rcp_f32 s6, s6
	s_delay_alu instid0(TRANS32_DEP_1) | instskip(SKIP_1) | instid1(SALU_CYCLE_2)
	s_mul_f32 s6, s6, 0x5f7ffffc
	s_wait_alu 0xfffe
	s_mul_f32 s7, s6, 0x2f800000
	s_wait_alu 0xfffe
	s_delay_alu instid0(SALU_CYCLE_2) | instskip(SKIP_1) | instid1(SALU_CYCLE_2)
	s_trunc_f32 s7, s7
	s_wait_alu 0xfffe
	s_fmamk_f32 s6, s7, 0xcf800000, s6
	s_cvt_u32_f32 s7, s7
	s_wait_alu 0xfffe
	s_delay_alu instid0(SALU_CYCLE_1) | instskip(SKIP_1) | instid1(SALU_CYCLE_2)
	s_cvt_u32_f32 s6, s6
	s_wait_alu 0xfffe
	s_mul_u64 s[60:61], s[10:11], s[6:7]
	s_wait_alu 0xfffe
	s_mul_hi_u32 s63, s6, s61
	s_mul_i32 s62, s6, s61
	s_mul_hi_u32 s48, s6, s60
	s_mul_i32 s64, s7, s60
	s_wait_alu 0xfffe
	s_add_nc_u64 s[62:63], s[48:49], s[62:63]
	s_mul_hi_u32 s13, s7, s60
	s_mul_hi_u32 s65, s7, s61
	s_wait_alu 0xfffe
	s_add_co_u32 s48, s62, s64
	s_add_co_ci_u32 s48, s63, s13
	s_mul_i32 s60, s7, s61
	s_add_co_ci_u32 s61, s65, 0
	s_wait_alu 0xfffe
	s_add_nc_u64 s[60:61], s[48:49], s[60:61]
	s_wait_alu 0xfffe
	s_add_co_u32 s6, s6, s60
	s_cselect_b32 s13, -1, 0
	s_wait_alu 0xfffe
	s_cmp_lg_u32 s13, 0
	s_add_co_ci_u32 s7, s7, s61
	s_wait_alu 0xfffe
	s_mul_u64 s[10:11], s[10:11], s[6:7]
	s_wait_alu 0xfffe
	s_mul_hi_u32 s61, s6, s11
	s_mul_i32 s60, s6, s11
	s_mul_hi_u32 s48, s6, s10
	s_mul_i32 s62, s7, s10
	s_wait_alu 0xfffe
	s_add_nc_u64 s[60:61], s[48:49], s[60:61]
	s_mul_hi_u32 s13, s7, s10
	s_mul_hi_u32 s63, s7, s11
	s_mul_i32 s10, s7, s11
	s_wait_alu 0xfffe
	s_add_co_u32 s11, s60, s62
	s_add_co_ci_u32 s48, s61, s13
	s_add_co_ci_u32 s11, s63, 0
	s_wait_alu 0xfffe
	s_add_nc_u64 s[10:11], s[48:49], s[10:11]
	s_wait_alu 0xfffe
	s_add_co_u32 s6, s6, s10
	s_cselect_b32 s10, -1, 0
	s_wait_alu 0xfffe
	s_mul_hi_u32 s48, s52, s6
	s_cmp_lg_u32 s10, 0
	s_mul_hi_u32 s13, s53, s6
	s_add_co_ci_u32 s10, s7, s11
	s_mul_i32 s11, s53, s6
	s_wait_alu 0xfffe
	s_mul_hi_u32 s7, s52, s10
	s_mul_i32 s6, s52, s10
	s_mul_hi_u32 s60, s53, s10
	s_wait_alu 0xfffe
	s_add_nc_u64 s[6:7], s[48:49], s[6:7]
	s_mul_i32 s10, s53, s10
	s_wait_alu 0xfffe
	s_add_co_u32 s6, s6, s11
	s_add_co_ci_u32 s48, s7, s13
	s_add_co_ci_u32 s11, s60, 0
	s_wait_alu 0xfffe
	s_add_nc_u64 s[6:7], s[48:49], s[10:11]
	s_wait_alu 0xfffe
	s_mul_u64 s[6:7], s[38:39], s[6:7]
	s_wait_alu 0xfffe
	s_sub_co_u32 s6, s52, s6
	s_cselect_b32 s10, -1, 0
	s_wait_alu 0xfffe
	s_cmp_lg_u32 s10, 0
	s_sub_co_ci_u32 s7, s53, s7
	s_sub_co_u32 s10, s6, s38
	s_cselect_b32 s11, -1, 0
	s_wait_alu 0xfffe
	s_cmp_lg_u32 s11, 0
	s_sub_co_ci_u32 s11, s7, 0
	;; [unrolled: 5-line block ×3, first 2 shown]
	s_cmp_ge_u32 s10, s38
	s_cselect_b32 s60, -1, 0
	s_cmp_eq_u32 s11, 0
	s_wait_alu 0xfffe
	s_cselect_b32 s60, s60, -1
	s_wait_alu 0xfffe
	s_cmp_lg_u32 s60, 0
	s_cselect_b32 s11, s48, s11
	s_cselect_b32 s10, s13, s10
	s_cmp_ge_u32 s6, s38
	s_cselect_b32 s13, -1, 0
	s_cmp_eq_u32 s7, 0
	s_wait_alu 0xfffe
	s_cselect_b32 s13, s13, -1
	s_wait_alu 0xfffe
	s_cmp_lg_u32 s13, 0
	s_cselect_b32 s7, s11, s7
	s_cselect_b32 s6, s10, s6
	s_cbranch_execnz .LBB84_241
.LBB84_240:                             ;   in Loop: Header=BB84_11 Depth=1
	v_cvt_f32_u32_e32 v4, s38
	s_sub_co_i32 s7, 0, s38
	s_delay_alu instid0(VALU_DEP_1) | instskip(NEXT) | instid1(TRANS32_DEP_1)
	v_rcp_iflag_f32_e32 v4, v4
	v_mul_f32_e32 v4, 0x4f7ffffe, v4
	s_delay_alu instid0(VALU_DEP_1) | instskip(NEXT) | instid1(VALU_DEP_1)
	v_cvt_u32_f32_e32 v4, v4
	v_readfirstlane_b32 s6, v4
	s_wait_alu 0xfffe
	s_mul_i32 s7, s7, s6
	s_wait_alu 0xfffe
	s_mul_hi_u32 s7, s6, s7
	s_wait_alu 0xfffe
	s_add_co_i32 s6, s6, s7
	s_wait_alu 0xfffe
	s_mul_hi_u32 s6, s52, s6
	s_wait_alu 0xfffe
	s_mul_i32 s6, s6, s38
	s_wait_alu 0xfffe
	s_sub_co_i32 s6, s52, s6
	s_wait_alu 0xfffe
	s_sub_co_i32 s7, s6, s38
	s_cmp_ge_u32 s6, s38
	s_wait_alu 0xfffe
	s_cselect_b32 s6, s7, s6
	s_wait_alu 0xfffe
	s_sub_co_i32 s7, s6, s38
	s_cmp_ge_u32 s6, s38
	s_wait_alu 0xfffe
	s_cselect_b32 s48, s7, s6
	s_wait_alu 0xfffe
	s_mov_b64 s[6:7], s[48:49]
.LBB84_241:                             ;   in Loop: Header=BB84_11 Depth=1
	s_wait_alu 0xfffe
	s_sub_nc_u64 s[10:11], s[52:53], s[6:7]
	s_mov_b32 s7, exec_lo
                                        ; implicit-def: $vgpr40
	s_wait_alu 0xfffe
	v_cmpx_gt_u64_e64 s[10:11], v[0:1]
	s_cbranch_execz .LBB84_250
; %bb.242:                              ;   in Loop: Header=BB84_11 Depth=1
	v_dual_mov_b32 v4, v12 :: v_dual_mov_b32 v5, v13
	v_dual_mov_b32 v9, v1 :: v_dual_mov_b32 v8, v0
	s_mov_b32 s13, 0
                                        ; implicit-def: $sgpr48
	s_branch .LBB84_245
.LBB84_243:                             ;   in Loop: Header=BB84_245 Depth=2
	s_wait_alu 0xfffe
	s_or_b32 exec_lo, exec_lo, s6
	s_wait_loadcnt_dscnt 0x0
	s_barrier_signal -1
	s_barrier_wait -1
	global_inv scope:SCOPE_SE
	ds_load_u16 v10, v3 offset:3072
	s_mov_b32 s6, -1
	s_mov_b32 s60, -1
	s_wait_loadcnt_dscnt 0x0
	s_barrier_signal -1
	s_barrier_wait -1
	global_inv scope:SCOPE_SE
	v_and_b32_e32 v11, 0xff, v10
	s_delay_alu instid0(VALU_DEP_1)
	v_cmp_eq_u32_e32 vcc_lo, 0, v11
	s_cbranch_vccnz .LBB84_248
.LBB84_244:                             ;   in Loop: Header=BB84_245 Depth=2
	s_wait_alu 0xfffe
	s_and_b32 s6, exec_lo, s6
	s_wait_alu 0xfffe
	s_or_b32 s13, s6, s13
	s_and_not1_b32 s6, s48, exec_lo
	s_and_b32 s48, s60, exec_lo
	s_wait_alu 0xfffe
	s_or_b32 s48, s6, s48
	s_and_not1_b32 exec_lo, exec_lo, s13
	s_cbranch_execz .LBB84_249
.LBB84_245:                             ;   Parent Loop BB84_11 Depth=1
                                        ; =>  This Inner Loop Header: Depth=2
	s_mov_b32 s6, exec_lo
	s_delay_alu instid0(VALU_DEP_1)
	v_cmpx_gt_u64_e64 s[28:29], v[8:9]
	s_cbranch_execz .LBB84_243
; %bb.246:                              ;   in Loop: Header=BB84_245 Depth=2
	global_load_u8 v10, v[4:5], off
	s_wait_loadcnt 0x0
	v_bfe_i32 v11, v10, 0, 8
	s_delay_alu instid0(VALU_DEP_1) | instskip(NEXT) | instid1(VALU_DEP_1)
	v_add_nc_u32_e32 v11, 0x80, v11
	v_and_b32_e32 v11, v11, v39
	s_delay_alu instid0(VALU_DEP_1)
	v_cmp_eq_u32_e32 vcc_lo, v11, v20
	s_and_b32 exec_lo, exec_lo, vcc_lo
	s_cbranch_execz .LBB84_243
; %bb.247:                              ;   in Loop: Header=BB84_245 Depth=2
	v_lshlrev_b16 v10, 8, v10
	s_delay_alu instid0(VALU_DEP_1)
	v_or_b32_e32 v10, 1, v10
	ds_store_b16 v3, v10 offset:3072
	s_branch .LBB84_243
.LBB84_248:                             ;   in Loop: Header=BB84_245 Depth=2
	v_add_co_u32 v8, vcc_lo, v8, s38
	s_wait_alu 0xfffd
	v_add_co_ci_u32_e64 v9, null, 0, v9, vcc_lo
	v_add_co_u32 v4, s6, v4, s44
	s_wait_alu 0xf1fe
	v_add_co_ci_u32_e64 v5, null, s45, v5, s6
	s_delay_alu instid0(VALU_DEP_3)
	v_cmp_le_u64_e32 vcc_lo, s[10:11], v[8:9]
	s_mov_b32 s60, 0
	s_or_not1_b32 s6, vcc_lo, exec_lo
	s_branch .LBB84_244
.LBB84_249:                             ;   in Loop: Header=BB84_11 Depth=1
	s_or_b32 exec_lo, exec_lo, s13
	v_and_b32_e32 v4, 0xffff, v10
	s_and_not1_b32 s6, s12, exec_lo
	s_wait_alu 0xfffe
	s_and_b32 s10, s48, exec_lo
	s_wait_alu 0xfffe
	s_or_b32 s12, s6, s10
	v_lshrrev_b32_e32 v40, 8, v4
.LBB84_250:                             ;   in Loop: Header=BB84_11 Depth=1
	s_or_b32 exec_lo, exec_lo, s7
	s_mov_b32 s60, 0
	s_mov_b32 s61, -1
.LBB84_251:                             ;   in Loop: Header=BB84_11 Depth=1
	s_wait_alu 0xfffe
	s_or_not1_b32 s7, s12, exec_lo
.LBB84_252:                             ;   in Loop: Header=BB84_11 Depth=1
	s_wait_alu 0xfffe
	s_or_b32 exec_lo, exec_lo, s59
	s_mov_b32 s10, 0
	s_and_saveexec_b32 s6, s7
	s_cbranch_execz .LBB84_263
; %bb.253:                              ;   in Loop: Header=BB84_11 Depth=1
	v_mov_b32_e32 v4, 1
	v_dual_mov_b32 v5, 0 :: v_dual_mov_b32 v2, 1
	s_xor_b32 s10, s20, -1
	s_wait_alu 0xfffe
	s_and_saveexec_b32 s7, s10
	s_cbranch_execz .LBB84_262
; %bb.254:                              ;   in Loop: Header=BB84_11 Depth=1
	s_mov_b32 s10, exec_lo
	v_cmpx_ge_u64_e64 s[8:9], v[6:7]
	s_wait_alu 0xfffe
	s_xor_b32 s10, exec_lo, s10
	s_cbranch_execz .LBB84_259
; %bb.255:                              ;   in Loop: Header=BB84_11 Depth=1
	ds_load_b64 v[4:5], v3 offset:5120
	v_or_b32_e32 v20, s16, v20
	v_or_b32_e32 v39, s16, v39
	s_wait_dscnt 0x0
	v_cmp_ne_u64_e32 vcc_lo, 0, v[4:5]
	s_cbranch_vccnz .LBB84_259
; %bb.256:                              ;   in Loop: Header=BB84_11 Depth=1
	s_and_saveexec_b32 s11, s2
; %bb.257:                              ;   in Loop: Header=BB84_11 Depth=1
	v_dual_mov_b32 v4, s8 :: v_dual_mov_b32 v5, s9
	ds_store_b64 v3, v[4:5] offset:5128
; %bb.258:                              ;   in Loop: Header=BB84_11 Depth=1
	s_wait_alu 0xfffe
	s_or_b32 exec_lo, exec_lo, s11
	s_wait_loadcnt_dscnt 0x0
	s_barrier_signal -1
	s_barrier_wait -1
	global_inv scope:SCOPE_SE
.LBB84_259:                             ;   in Loop: Header=BB84_11 Depth=1
	s_wait_alu 0xfffe
	s_and_not1_saveexec_b32 s10, s10
; %bb.260:                              ;   in Loop: Header=BB84_11 Depth=1
	v_sub_co_u32 v6, vcc_lo, v6, s8
	s_wait_alu 0xfffd
	v_subrev_co_ci_u32_e64 v7, null, s9, v7, vcc_lo
; %bb.261:                              ;   in Loop: Header=BB84_11 Depth=1
	s_wait_alu 0xfffe
	s_or_b32 exec_lo, exec_lo, s10
	v_mov_b32_e32 v4, v6
	s_delay_alu instid0(VALU_DEP_2)
	v_dual_mov_b32 v2, 8 :: v_dual_mov_b32 v5, v7
.LBB84_262:                             ;   in Loop: Header=BB84_11 Depth=1
	s_wait_alu 0xfffe
	s_or_b32 exec_lo, exec_lo, s7
	s_delay_alu instid0(VALU_DEP_1)
	v_dual_mov_b32 v7, v5 :: v_dual_mov_b32 v6, v4
	s_mov_b32 s10, exec_lo
.LBB84_263:                             ;   in Loop: Header=BB84_11 Depth=1
	s_wait_alu 0xfffe
	s_or_b32 exec_lo, exec_lo, s6
	s_delay_alu instid0(SALU_CYCLE_1)
	s_or_not1_b32 s6, s10, exec_lo
.LBB84_264:                             ;   in Loop: Header=BB84_11 Depth=1
	s_wait_alu 0xfffe
	s_or_b32 exec_lo, exec_lo, s15
	v_dual_mov_b32 v4, v6 :: v_dual_mov_b32 v5, v7
	s_and_not1_b32 s7, s58, exec_lo
	s_and_b32 s8, s61, exec_lo
	s_and_not1_b32 s9, s25, exec_lo
	s_and_b32 s10, s60, exec_lo
	s_wait_alu 0xfffe
	s_or_b32 s58, s7, s8
	s_or_b32 s25, s9, s10
	s_and_b32 s7, s6, exec_lo
.LBB84_265:                             ;   in Loop: Header=BB84_11 Depth=1
	s_wait_alu 0xfffe
	s_or_b32 exec_lo, exec_lo, s14
	s_delay_alu instid0(SALU_CYCLE_1)
	s_or_not1_b32 s6, s7, exec_lo
.LBB84_266:                             ;   in Loop: Header=BB84_11 Depth=1
	s_or_b32 exec_lo, exec_lo, s24
	v_dual_mov_b32 v9, v5 :: v_dual_mov_b32 v8, v4
	s_and_not1_b32 s7, s22, exec_lo
	s_and_b32 s8, s58, exec_lo
	s_and_not1_b32 s9, s21, exec_lo
	s_and_b32 s10, s25, exec_lo
	s_wait_alu 0xfffe
	s_or_b32 s22, s7, s8
	s_or_b32 s21, s9, s10
	s_and_b32 s7, s6, exec_lo
.LBB84_267:                             ;   in Loop: Header=BB84_11 Depth=1
	s_or_b32 exec_lo, exec_lo, s23
	s_wait_alu 0xfffe
	s_or_not1_b32 s6, s7, exec_lo
.LBB84_268:                             ;   in Loop: Header=BB84_11 Depth=1
	s_or_b32 exec_lo, exec_lo, s19
	s_mov_b32 s7, 0
	s_wait_alu 0xfffe
	s_and_saveexec_b32 s8, s6
	s_wait_alu 0xfffe
	s_xor_b32 s6, exec_lo, s8
	s_cbranch_execz .LBB84_9
; %bb.269:                              ;   in Loop: Header=BB84_11 Depth=1
	v_and_b32_e32 v2, 7, v2
	s_mov_b32 s8, -1
	s_mov_b32 s7, -1
	s_mov_b32 s9, exec_lo
	s_delay_alu instid0(VALU_DEP_1)
	v_cmpx_eq_u32_e32 0, v2
	s_cbranch_execz .LBB84_8
; %bb.270:                              ;   in Loop: Header=BB84_11 Depth=1
	s_xor_b32 s87, s87, 1
	s_add_co_i32 s10, s84, -2
	s_cmp_eq_u32 s84, 0
	s_wait_alu 0xfffe
	s_mov_b32 s84, s10
	s_cselect_b32 s8, -1, 0
	s_xor_b32 s7, exec_lo, -1
	s_wait_alu 0xfffe
	s_or_not1_b32 s8, s8, exec_lo
	s_branch .LBB84_8
.LBB84_271:                             ;   in Loop: Header=BB84_11 Depth=1
                                        ; implicit-def: $sgpr12_sgpr13
	s_branch .LBB84_224
.LBB84_272:                             ;   in Loop: Header=BB84_11 Depth=1
                                        ; implicit-def: $sgpr6_sgpr7
	s_branch .LBB84_240
.LBB84_273:
	s_or_b32 exec_lo, exec_lo, s85
	s_xor_b32 s4, s93, -1
	s_xor_b32 s1, s91, -1
	;; [unrolled: 1-line block ×3, first 2 shown]
	s_mov_b32 s2, 0
	s_and_saveexec_b32 s5, s1
	s_wait_alu 0xfffe
	s_xor_b32 s1, exec_lo, s5
	s_cbranch_execnz .LBB84_278
; %bb.274:
	s_and_not1_saveexec_b32 s0, s1
	s_cbranch_execnz .LBB84_291
.LBB84_275:
	s_wait_alu 0xfffe
	s_or_b32 exec_lo, exec_lo, s0
	s_and_saveexec_b32 s0, s2
.LBB84_276:
	; divergent unreachable
.LBB84_277:
	s_endpgm
.LBB84_278:
	s_and_saveexec_b32 s2, s4
	s_delay_alu instid0(SALU_CYCLE_1)
	s_xor_b32 s2, exec_lo, s2
	s_cbranch_execz .LBB84_289
; %bb.279:
	s_and_saveexec_b32 s4, s3
	s_wait_alu 0xfffe
	s_xor_b32 s3, exec_lo, s4
; %bb.280:
	v_xor_b32_e32 v40, 0xffffff80, v20
; %bb.281:
	s_or_b32 exec_lo, exec_lo, s3
	v_mov_b32_e32 v2, 0
	s_mul_u64 s[4:5], s[40:41], s[26:27]
	s_wait_alu 0xfffe
	s_add_nc_u64 s[4:5], s[42:43], s[4:5]
	global_store_b8 v2, v40, s[4:5]
	s_and_saveexec_b32 s3, s0
	s_cbranch_execz .LBB84_288
; %bb.282:
	v_and_b32_e32 v4, 0xff, v40
	s_mov_b32 s4, 0
                                        ; implicit-def: $sgpr5
                                        ; implicit-def: $sgpr7
                                        ; implicit-def: $sgpr6
	s_branch .LBB84_284
.LBB84_283:                             ;   in Loop: Header=BB84_284 Depth=1
	s_wait_alu 0xfffe
	s_or_b32 exec_lo, exec_lo, s8
	s_delay_alu instid0(SALU_CYCLE_1)
	s_and_b32 s0, exec_lo, s7
	s_wait_alu 0xfffe
	s_or_b32 s4, s0, s4
	s_and_not1_b32 s0, s5, exec_lo
	s_and_b32 s5, s6, exec_lo
	s_wait_alu 0xfffe
	s_or_b32 s5, s0, s5
	s_and_not1_b32 exec_lo, exec_lo, s4
	s_cbranch_execz .LBB84_286
.LBB84_284:                             ; =>This Inner Loop Header: Depth=1
	global_load_u8 v5, v[12:13], off
	v_dual_mov_b32 v3, v1 :: v_dual_mov_b32 v2, v0
	s_or_b32 s6, s6, exec_lo
	s_or_b32 s7, s7, exec_lo
	s_mov_b32 s8, exec_lo
                                        ; implicit-def: $vgpr0_vgpr1
	s_wait_loadcnt 0x0
	v_cmpx_ne_u16_e64 v5, v4
	s_cbranch_execz .LBB84_283
; %bb.285:                              ;   in Loop: Header=BB84_284 Depth=1
	v_add_co_u32 v0, vcc_lo, v2, s38
	s_wait_alu 0xfffd
	v_add_co_ci_u32_e64 v1, null, 0, v3, vcc_lo
	v_add_co_u32 v12, s0, v12, s44
	s_wait_alu 0xf1ff
	v_add_co_ci_u32_e64 v13, null, s45, v13, s0
	s_delay_alu instid0(VALU_DEP_3)
	v_cmp_le_u64_e32 vcc_lo, s[28:29], v[0:1]
	s_wait_alu 0xfffe
	s_and_not1_b32 s0, s7, exec_lo
	s_and_not1_b32 s6, s6, exec_lo
	s_and_b32 s7, vcc_lo, exec_lo
	s_wait_alu 0xfffe
	s_or_b32 s7, s0, s7
	s_branch .LBB84_283
.LBB84_286:
	s_or_b32 exec_lo, exec_lo, s4
	s_wait_alu 0xfffe
	s_and_saveexec_b32 s0, s5
	s_wait_alu 0xfffe
	s_xor_b32 s0, exec_lo, s0
	s_cbranch_execz .LBB84_288
; %bb.287:
	s_mul_u64 s[4:5], s[34:35], s[26:27]
	v_mov_b32_e32 v0, 0
	s_wait_alu 0xfffe
	s_lshl_b64 s[4:5], s[4:5], 3
	s_wait_alu 0xfffe
	s_add_nc_u64 s[4:5], s[30:31], s[4:5]
	global_store_b64 v0, v[2:3], s[4:5]
.LBB84_288:
	s_or_b32 exec_lo, exec_lo, s3
.LBB84_289:
	s_or_saveexec_b32 s0, s2
	s_mov_b32 s2, 0
	s_wait_alu 0xfffe
	s_xor_b32 exec_lo, exec_lo, s0
	s_cbranch_execnz .LBB84_292
.LBB84_290:
	s_or_b32 exec_lo, exec_lo, s0
	s_delay_alu instid0(SALU_CYCLE_1)
	s_and_b32 s2, s2, exec_lo
	s_and_not1_saveexec_b32 s0, s1
	s_cbranch_execz .LBB84_275
.LBB84_291:
	s_or_b32 s2, s2, exec_lo
	s_trap 2
	s_wait_alu 0xfffe
	s_or_b32 exec_lo, exec_lo, s0
	s_and_saveexec_b32 s0, s2
	s_cbranch_execnz .LBB84_276
	s_branch .LBB84_277
.LBB84_292:
	s_mov_b32 s2, exec_lo
	s_trap 2
	s_branch .LBB84_290
	.section	.rodata,"a",@progbits
	.p2align	6, 0x0
	.amdhsa_kernel _ZN2at6native12_GLOBAL__N_112gatherMedianIamLi1EEEvNS_4cuda6detail10TensorInfoIT_T0_EENS5_IlS7_EENS5_IKS6_S7_EES7_S7_S7_b
		.amdhsa_group_segment_fixed_size 5152
		.amdhsa_private_segment_fixed_size 0
		.amdhsa_kernarg_size 1536
		.amdhsa_user_sgpr_count 2
		.amdhsa_user_sgpr_dispatch_ptr 0
		.amdhsa_user_sgpr_queue_ptr 0
		.amdhsa_user_sgpr_kernarg_segment_ptr 1
		.amdhsa_user_sgpr_dispatch_id 0
		.amdhsa_user_sgpr_private_segment_size 0
		.amdhsa_wavefront_size32 1
		.amdhsa_uses_dynamic_stack 0
		.amdhsa_enable_private_segment 0
		.amdhsa_system_sgpr_workgroup_id_x 1
		.amdhsa_system_sgpr_workgroup_id_y 1
		.amdhsa_system_sgpr_workgroup_id_z 1
		.amdhsa_system_sgpr_workgroup_info 0
		.amdhsa_system_vgpr_workitem_id 0
		.amdhsa_next_free_vgpr 57
		.amdhsa_next_free_sgpr 94
		.amdhsa_reserve_vcc 1
		.amdhsa_float_round_mode_32 0
		.amdhsa_float_round_mode_16_64 0
		.amdhsa_float_denorm_mode_32 3
		.amdhsa_float_denorm_mode_16_64 3
		.amdhsa_fp16_overflow 0
		.amdhsa_workgroup_processor_mode 1
		.amdhsa_memory_ordered 1
		.amdhsa_forward_progress 1
		.amdhsa_inst_pref_size 144
		.amdhsa_round_robin_scheduling 0
		.amdhsa_exception_fp_ieee_invalid_op 0
		.amdhsa_exception_fp_denorm_src 0
		.amdhsa_exception_fp_ieee_div_zero 0
		.amdhsa_exception_fp_ieee_overflow 0
		.amdhsa_exception_fp_ieee_underflow 0
		.amdhsa_exception_fp_ieee_inexact 0
		.amdhsa_exception_int_div_zero 0
	.end_amdhsa_kernel
	.section	.text._ZN2at6native12_GLOBAL__N_112gatherMedianIamLi1EEEvNS_4cuda6detail10TensorInfoIT_T0_EENS5_IlS7_EENS5_IKS6_S7_EES7_S7_S7_b,"axG",@progbits,_ZN2at6native12_GLOBAL__N_112gatherMedianIamLi1EEEvNS_4cuda6detail10TensorInfoIT_T0_EENS5_IlS7_EENS5_IKS6_S7_EES7_S7_S7_b,comdat
.Lfunc_end84:
	.size	_ZN2at6native12_GLOBAL__N_112gatherMedianIamLi1EEEvNS_4cuda6detail10TensorInfoIT_T0_EENS5_IlS7_EENS5_IKS6_S7_EES7_S7_S7_b, .Lfunc_end84-_ZN2at6native12_GLOBAL__N_112gatherMedianIamLi1EEEvNS_4cuda6detail10TensorInfoIT_T0_EENS5_IlS7_EENS5_IKS6_S7_EES7_S7_S7_b
                                        ; -- End function
	.set _ZN2at6native12_GLOBAL__N_112gatherMedianIamLi1EEEvNS_4cuda6detail10TensorInfoIT_T0_EENS5_IlS7_EENS5_IKS6_S7_EES7_S7_S7_b.num_vgpr, 57
	.set _ZN2at6native12_GLOBAL__N_112gatherMedianIamLi1EEEvNS_4cuda6detail10TensorInfoIT_T0_EENS5_IlS7_EENS5_IKS6_S7_EES7_S7_S7_b.num_agpr, 0
	.set _ZN2at6native12_GLOBAL__N_112gatherMedianIamLi1EEEvNS_4cuda6detail10TensorInfoIT_T0_EENS5_IlS7_EENS5_IKS6_S7_EES7_S7_S7_b.numbered_sgpr, 94
	.set _ZN2at6native12_GLOBAL__N_112gatherMedianIamLi1EEEvNS_4cuda6detail10TensorInfoIT_T0_EENS5_IlS7_EENS5_IKS6_S7_EES7_S7_S7_b.num_named_barrier, 0
	.set _ZN2at6native12_GLOBAL__N_112gatherMedianIamLi1EEEvNS_4cuda6detail10TensorInfoIT_T0_EENS5_IlS7_EENS5_IKS6_S7_EES7_S7_S7_b.private_seg_size, 0
	.set _ZN2at6native12_GLOBAL__N_112gatherMedianIamLi1EEEvNS_4cuda6detail10TensorInfoIT_T0_EENS5_IlS7_EENS5_IKS6_S7_EES7_S7_S7_b.uses_vcc, 1
	.set _ZN2at6native12_GLOBAL__N_112gatherMedianIamLi1EEEvNS_4cuda6detail10TensorInfoIT_T0_EENS5_IlS7_EENS5_IKS6_S7_EES7_S7_S7_b.uses_flat_scratch, 0
	.set _ZN2at6native12_GLOBAL__N_112gatherMedianIamLi1EEEvNS_4cuda6detail10TensorInfoIT_T0_EENS5_IlS7_EENS5_IKS6_S7_EES7_S7_S7_b.has_dyn_sized_stack, 0
	.set _ZN2at6native12_GLOBAL__N_112gatherMedianIamLi1EEEvNS_4cuda6detail10TensorInfoIT_T0_EENS5_IlS7_EENS5_IKS6_S7_EES7_S7_S7_b.has_recursion, 0
	.set _ZN2at6native12_GLOBAL__N_112gatherMedianIamLi1EEEvNS_4cuda6detail10TensorInfoIT_T0_EENS5_IlS7_EENS5_IKS6_S7_EES7_S7_S7_b.has_indirect_call, 0
	.section	.AMDGPU.csdata,"",@progbits
; Kernel info:
; codeLenInByte = 18376
; TotalNumSgprs: 96
; NumVgprs: 57
; ScratchSize: 0
; MemoryBound: 0
; FloatMode: 240
; IeeeMode: 1
; LDSByteSize: 5152 bytes/workgroup (compile time only)
; SGPRBlocks: 0
; VGPRBlocks: 7
; NumSGPRsForWavesPerEU: 96
; NumVGPRsForWavesPerEU: 57
; Occupancy: 16
; WaveLimiterHint : 1
; COMPUTE_PGM_RSRC2:SCRATCH_EN: 0
; COMPUTE_PGM_RSRC2:USER_SGPR: 2
; COMPUTE_PGM_RSRC2:TRAP_HANDLER: 0
; COMPUTE_PGM_RSRC2:TGID_X_EN: 1
; COMPUTE_PGM_RSRC2:TGID_Y_EN: 1
; COMPUTE_PGM_RSRC2:TGID_Z_EN: 1
; COMPUTE_PGM_RSRC2:TIDIG_COMP_CNT: 0
	.section	.text._ZN2at6native12_GLOBAL__N_112gatherMedianIamLi2EEEvNS_4cuda6detail10TensorInfoIT_T0_EENS5_IlS7_EENS5_IKS6_S7_EES7_S7_S7_b,"axG",@progbits,_ZN2at6native12_GLOBAL__N_112gatherMedianIamLi2EEEvNS_4cuda6detail10TensorInfoIT_T0_EENS5_IlS7_EENS5_IKS6_S7_EES7_S7_S7_b,comdat
	.globl	_ZN2at6native12_GLOBAL__N_112gatherMedianIamLi2EEEvNS_4cuda6detail10TensorInfoIT_T0_EENS5_IlS7_EENS5_IKS6_S7_EES7_S7_S7_b ; -- Begin function _ZN2at6native12_GLOBAL__N_112gatherMedianIamLi2EEEvNS_4cuda6detail10TensorInfoIT_T0_EENS5_IlS7_EENS5_IKS6_S7_EES7_S7_S7_b
	.p2align	8
	.type	_ZN2at6native12_GLOBAL__N_112gatherMedianIamLi2EEEvNS_4cuda6detail10TensorInfoIT_T0_EENS5_IlS7_EENS5_IKS6_S7_EES7_S7_S7_b,@function
_ZN2at6native12_GLOBAL__N_112gatherMedianIamLi2EEEvNS_4cuda6detail10TensorInfoIT_T0_EENS5_IlS7_EENS5_IKS6_S7_EES7_S7_S7_b: ; @_ZN2at6native12_GLOBAL__N_112gatherMedianIamLi2EEEvNS_4cuda6detail10TensorInfoIT_T0_EENS5_IlS7_EENS5_IKS6_S7_EES7_S7_S7_b
; %bb.0:
	s_clause 0x1
	s_load_b64 s[8:9], s[0:1], 0x500
	s_load_b128 s[28:31], s[0:1], 0x4e0
	s_lshr_b32 s2, ttmp7, 16
	s_and_b32 s3, ttmp7, 0xffff
	s_mov_b32 s27, 0
	s_wait_kmcnt 0x0
	s_mul_i32 s2, s9, s2
	s_delay_alu instid0(SALU_CYCLE_1) | instskip(NEXT) | instid1(SALU_CYCLE_1)
	s_add_co_i32 s2, s2, s3
	s_mul_i32 s2, s2, s8
	s_delay_alu instid0(SALU_CYCLE_1) | instskip(NEXT) | instid1(SALU_CYCLE_1)
	s_add_co_i32 s26, s2, ttmp9
	v_cmp_le_u64_e64 s2, s[30:31], s[26:27]
	s_and_b32 vcc_lo, exec_lo, s2
	s_cbranch_vccnz .LBB85_281
; %bb.1:
	s_clause 0x1
	s_load_b64 s[46:47], s[0:1], 0x10
	s_load_b64 s[30:31], s[0:1], 0x1b0
	s_mov_b64 s[34:35], 0
	s_mov_b64 s[48:49], 0
	s_wait_kmcnt 0x0
	v_cmp_lt_u64_e64 s2, s[26:27], s[46:47]
	s_and_b32 vcc_lo, exec_lo, s2
	s_cbranch_vccnz .LBB85_3
; %bb.2:
	v_cvt_f32_u32_e32 v1, s46
	s_sub_co_i32 s3, 0, s46
	s_mov_b32 s49, 0
	s_delay_alu instid0(VALU_DEP_1) | instskip(NEXT) | instid1(TRANS32_DEP_1)
	v_rcp_iflag_f32_e32 v1, v1
	v_mul_f32_e32 v1, 0x4f7ffffe, v1
	s_delay_alu instid0(VALU_DEP_1) | instskip(NEXT) | instid1(VALU_DEP_1)
	v_cvt_u32_f32_e32 v1, v1
	v_readfirstlane_b32 s2, v1
	s_mul_i32 s3, s3, s2
	s_delay_alu instid0(SALU_CYCLE_1) | instskip(NEXT) | instid1(SALU_CYCLE_1)
	s_mul_hi_u32 s3, s2, s3
	s_add_co_i32 s2, s2, s3
	s_delay_alu instid0(SALU_CYCLE_1) | instskip(NEXT) | instid1(SALU_CYCLE_1)
	s_mul_hi_u32 s2, s26, s2
	s_mul_i32 s3, s2, s46
	s_add_co_i32 s4, s2, 1
	s_sub_co_i32 s3, s26, s3
	s_delay_alu instid0(SALU_CYCLE_1)
	s_sub_co_i32 s5, s3, s46
	s_cmp_ge_u32 s3, s46
	s_cselect_b32 s2, s4, s2
	s_cselect_b32 s3, s5, s3
	s_add_co_i32 s4, s2, 1
	s_cmp_ge_u32 s3, s46
	s_cselect_b32 s48, s4, s2
.LBB85_3:
	s_clause 0x1
	s_load_b64 s[44:45], s[0:1], 0x4f0
	s_load_b64 s[10:11], s[0:1], 0x350
	v_cmp_lt_u64_e64 s2, s[26:27], s[30:31]
	s_and_b32 vcc_lo, exec_lo, s2
	s_cbranch_vccz .LBB85_282
; %bb.4:
	s_wait_kmcnt 0x0
	v_cmp_lt_u64_e64 s2, s[26:27], s[10:11]
	s_mov_b64 s[14:15], 0
	s_and_b32 vcc_lo, exec_lo, s2
	s_cbranch_vccz .LBB85_283
.LBB85_5:
	v_cmp_eq_u32_e64 s2, 0, v0
	s_and_saveexec_b32 s3, s2
.LBB85_6:
	v_mov_b32_e32 v1, 0
	s_delay_alu instid0(VALU_DEP_1)
	v_mov_b32_e32 v2, v1
	ds_store_b64 v1, v[1:2] offset:5136
.LBB85_7:
	s_or_b32 exec_lo, exec_lo, s3
	v_mov_b32_e32 v1, 0
	v_mov_b32_e32 v19, s28
	s_wait_dscnt 0x0
	s_barrier_signal -1
	s_barrier_wait -1
	global_inv scope:SCOPE_SE
	s_wait_loadcnt 0x0
	s_barrier_signal -1
	s_barrier_wait -1
	global_inv scope:SCOPE_SE
	v_mov_b32_e32 v20, s29
	ds_load_b64 v[1:2], v1 offset:5136
	s_load_b32 s3, s[0:1], 0x4f8
	s_wait_dscnt 0x0
	v_cmp_gt_i64_e32 vcc_lo, 1, v[1:2]
	s_wait_kmcnt 0x0
	s_bitcmp1_b32 s3, 0
	s_cselect_b32 s3, -1, 0
	s_delay_alu instid0(SALU_CYCLE_1) | instskip(NEXT) | instid1(SALU_CYCLE_1)
	s_or_b32 s3, s3, vcc_lo
	s_and_not1_b32 vcc_lo, exec_lo, s3
	s_cbranch_vccnz .LBB85_9
; %bb.8:
	v_not_b32_e32 v1, v1
	v_not_b32_e32 v2, v2
	s_delay_alu instid0(VALU_DEP_2) | instskip(NEXT) | instid1(VALU_DEP_1)
	v_add_co_u32 v1, vcc_lo, s28, v1
	v_add_co_ci_u32_e64 v2, null, s29, v2, vcc_lo
	s_delay_alu instid0(VALU_DEP_1) | instskip(NEXT) | instid1(VALU_DEP_1)
	v_lshrrev_b64 v[1:2], 1, v[1:2]
	v_add_co_u32 v19, vcc_lo, v1, 1
	s_wait_alu 0xfffd
	s_delay_alu instid0(VALU_DEP_2)
	v_add_co_ci_u32_e64 v20, null, 0, v2, vcc_lo
.LBB85_9:
	s_clause 0x1
	s_load_b128 s[4:7], s[0:1], 0x410
	s_load_b64 s[16:17], s[0:1], 0x340
	s_add_nc_u64 s[12:13], s[0:1], 0x500
	s_and_saveexec_b32 s3, s2
	s_cbranch_execz .LBB85_11
; %bb.10:
	v_dual_mov_b32 v1, 0 :: v_dual_mov_b32 v4, s29
	s_delay_alu instid0(VALU_DEP_1)
	v_dual_mov_b32 v3, s28 :: v_dual_mov_b32 v2, v1
	ds_store_b32 v1, v1 offset:5144
	ds_store_b128 v1, v[1:4] offset:5120
.LBB85_11:
	s_or_b32 exec_lo, exec_lo, s3
	s_mul_u64 s[10:11], s[14:15], s[10:11]
	s_wait_kmcnt 0x0
	s_mul_u64 s[4:5], s[14:15], s[4:5]
	s_wait_alu 0xfffe
	s_sub_nc_u64 s[10:11], s[26:27], s[10:11]
	s_add_nc_u64 s[4:5], s[16:17], s[4:5]
	s_wait_alu 0xfffe
	s_mul_u64 s[6:7], s[10:11], s[6:7]
	v_mbcnt_lo_u32_b32 v25, -1, 0
	s_add_nc_u64 s[52:53], s[4:5], s[6:7]
	s_clause 0x1
	s_load_b128 s[36:39], s[0:1], 0x270
	s_load_b64 s[50:51], s[0:1], 0x1a0
	v_mad_co_u64_u32 v[12:13], null, s44, v0, s[52:53]
	v_mov_b32_e32 v3, 0
	s_wait_loadcnt_dscnt 0x0
	s_barrier_signal -1
	s_barrier_wait -1
	global_inv scope:SCOPE_SE
	s_load_b32 s4, s[12:13], 0xc
	s_clause 0x1
	s_load_b128 s[40:43], s[0:1], 0xd0
	s_load_b64 s[56:57], s[0:1], 0x0
	v_dual_mov_b32 v2, v13 :: v_dual_mov_b32 v1, v3
	v_cmp_gt_u32_e32 vcc_lo, 32, v0
	v_cmp_gt_i32_e64 s3, 4, v25
	s_mov_b32 s59, 0
	v_mad_co_u64_u32 v[4:5], null, s45, v0, v[2:3]
	v_add_nc_u32_e32 v2, 2, v0
	s_and_b32 s33, vcc_lo, s3
	v_lshlrev_b64_e64 v[5:6], v25, -1
	v_cmp_gt_u64_e64 s0, s[28:29], v[0:1]
	v_cmp_lt_u64_e64 s76, 0xc00, s[28:29]
	v_cmp_gt_u64_e32 vcc_lo, s[28:29], v[2:3]
	v_dual_mov_b32 v13, v4 :: v_dual_lshlrev_b32 v14, 2, v0
	v_not_b32_e32 v4, v0
	v_not_b32_e32 v26, v5
	s_wait_kmcnt 0x0
	s_and_b32 s54, s4, 0xffff
	s_wait_alu 0xfffd
	v_cndmask_b32_e64 v2, v2, s28, vcc_lo
	v_cndmask_b32_e64 v5, 0, s29, vcc_lo
	s_bfe_u32 s6, s4, 0xb0005
	s_cmp_gt_u32 s54, 31
	s_movk_i32 s4, 0x3e0
	v_add_co_u32 v4, vcc_lo, v2, v4
	s_wait_alu 0xfffd
	v_add_co_ci_u32_e64 v5, null, -1, v5, vcc_lo
	s_cselect_b32 s77, -1, 0
	s_cmp_lt_u32 ttmp9, s8
	v_dual_mov_b32 v15, v3 :: v_dual_and_b32 v16, -4, v4
	s_cselect_b32 s58, 12, 18
	v_dual_mov_b32 v17, v5 :: v_dual_mov_b32 v28, 0
	s_add_co_i32 s5, s6, -1
	s_bfe_u32 s84, s54, 0x30005
	s_and_b32 s5, s5, 0xffff
	s_mov_b32 s55, s59
	s_cmp_gt_u32 s5, 6
	v_and_or_b32 v27, v0, s4, 0xc00
	v_cmp_lt_u64_e64 s4, 3, v[4:5]
	v_cmp_ne_u64_e64 s5, v[4:5], v[16:17]
	v_cmp_eq_u32_e64 s1, 0, v25
	v_cmp_gt_u32_e64 s3, 2, v0
	v_add_co_u32 v18, vcc_lo, v16, v0
	s_cselect_b32 s85, -1, 0
	s_and_b32 s86, s6, 0x7f8
	v_lshl_or_b32 v29, v25, 3, 0xc00
	v_dual_mov_b32 v31, 0 :: v_dual_mov_b32 v30, 0
	s_add_nc_u64 s[60:61], s[54:55], -1
	s_cmp_lg_u32 s84, 0
	s_add_nc_u64 s[62:63], s[60:61], s[28:29]
	s_mov_b32 s78, s44
	s_mov_b32 s79, s45
	;; [unrolled: 1-line block ×7, first 2 shown]
	s_cselect_b32 s87, -1, 0
	s_add_nc_u64 s[64:65], s[12:13], s[58:59]
	s_mov_b32 s90, 0x4f800000
	s_mov_b32 s89, 0
	;; [unrolled: 1-line block ×3, first 2 shown]
	s_wait_alu 0xfffd
	v_add_co_ci_u32_e64 v2, null, 0, v5, vcc_lo
                                        ; implicit-def: $sgpr95
                                        ; implicit-def: $sgpr97
                                        ; implicit-def: $sgpr92
                                        ; implicit-def: $sgpr94
                                        ; implicit-def: $sgpr96
                                        ; implicit-def: $sgpr93
	s_branch .LBB85_15
.LBB85_12:                              ;   in Loop: Header=BB85_15 Depth=1
	s_wait_alu 0xfffe
	s_or_b32 exec_lo, exec_lo, s9
	s_delay_alu instid0(SALU_CYCLE_1)
	s_and_b32 s7, s7, exec_lo
	s_and_not1_b32 s22, s22, exec_lo
	s_and_not1_b32 s21, s21, exec_lo
	s_or_not1_b32 s18, s8, exec_lo
.LBB85_13:                              ;   in Loop: Header=BB85_15 Depth=1
	s_wait_alu 0xfffe
	s_or_b32 exec_lo, exec_lo, s6
	s_delay_alu instid0(SALU_CYCLE_1)
	s_and_not1_b32 s6, s93, exec_lo
	s_and_b32 s7, s7, exec_lo
	s_and_not1_b32 s8, s94, exec_lo
	s_wait_alu 0xfffe
	s_or_b32 s93, s6, s7
	s_and_not1_b32 s6, s96, exec_lo
	s_and_b32 s7, s22, exec_lo
	s_and_b32 s9, s21, exec_lo
	s_wait_alu 0xfffe
	s_or_b32 s96, s6, s7
	s_or_b32 s94, s8, s9
	s_or_not1_b32 s18, s18, exec_lo
.LBB85_14:                              ;   in Loop: Header=BB85_15 Depth=1
	s_wait_alu 0xfffe
	s_or_b32 exec_lo, exec_lo, s17
	s_delay_alu instid0(SALU_CYCLE_1)
	s_and_b32 s6, exec_lo, s18
	v_dual_mov_b32 v20, v9 :: v_dual_mov_b32 v19, v8
	s_wait_alu 0xfffe
	s_or_b32 s89, s6, s89
	s_and_not1_b32 s6, s92, exec_lo
	s_and_b32 s7, s93, exec_lo
	s_and_not1_b32 s8, s97, exec_lo
	s_wait_alu 0xfffe
	s_or_b32 s92, s6, s7
	s_and_b32 s6, s96, exec_lo
	s_and_not1_b32 s7, s95, exec_lo
	s_and_b32 s9, s94, exec_lo
	s_wait_alu 0xfffe
	s_or_b32 s97, s8, s6
	s_or_b32 s95, s7, s9
	s_and_not1_b32 exec_lo, exec_lo, s89
	s_cbranch_execz .LBB85_277
.LBB85_15:                              ; =>This Loop Header: Depth=1
                                        ;     Child Loop BB85_20 Depth 2
                                        ;     Child Loop BB85_34 Depth 2
	;; [unrolled: 1-line block ×17, first 2 shown]
	ds_load_b128 v[4:7], v3 offset:5120
	s_wait_dscnt 0x0
	v_readfirstlane_b32 s67, v5
	v_readfirstlane_b32 s66, v4
	s_cmp_lg_u64 s[66:67], 0
	s_cbranch_scc1 .LBB85_47
; %bb.16:                               ;   in Loop: Header=BB85_15 Depth=1
	s_and_b32 vcc_lo, exec_lo, s76
	s_wait_alu 0xfffe
	s_cbranch_vccz .LBB85_28
; %bb.17:                               ;   in Loop: Header=BB85_15 Depth=1
	v_cmp_gt_u64_e32 vcc_lo, 0xc01, v[6:7]
	s_mov_b32 s8, 0
	s_mov_b32 s6, 0
	s_cbranch_vccz .LBB85_29
; %bb.18:                               ;   in Loop: Header=BB85_15 Depth=1
	global_load_u16 v2, v3, s[64:65]
	global_load_u8 v6, v[12:13], off
	s_mov_b32 s9, 0
	v_dual_mov_b32 v5, v1 :: v_dual_mov_b32 v4, v0
	s_wait_loadcnt 0x1
	v_and_b32_e32 v2, 0xffff, v2
	s_branch .LBB85_20
.LBB85_19:                              ;   in Loop: Header=BB85_20 Depth=2
	s_wait_alu 0xfffe
	s_or_b32 exec_lo, exec_lo, s7
	v_mov_b32_e32 v6, v7
	s_and_not1_b32 exec_lo, exec_lo, s9
	s_cbranch_execz .LBB85_144
.LBB85_20:                              ;   Parent Loop BB85_15 Depth=1
                                        ; =>  This Inner Loop Header: Depth=2
	s_delay_alu instid0(VALU_DEP_1)
	v_add_co_u32 v4, vcc_lo, v4, v2
	s_wait_alu 0xfffd
	v_add_co_ci_u32_e64 v5, null, 0, v5, vcc_lo
	s_wait_dscnt 0x0
	v_dual_mov_b32 v8, 0 :: v_dual_mov_b32 v7, 0
	s_mov_b32 s7, exec_lo
	s_delay_alu instid0(VALU_DEP_2)
	v_cmp_le_u64_e32 vcc_lo, s[28:29], v[4:5]
	v_cmpx_gt_u64_e64 s[28:29], v[4:5]
	s_cbranch_execz .LBB85_22
; %bb.21:                               ;   in Loop: Header=BB85_20 Depth=2
	v_mad_co_u64_u32 v[9:10], null, v4, s44, s[52:53]
	v_mul_lo_u32 v7, v4, s45
	v_mul_lo_u32 v11, v5, s44
	s_delay_alu instid0(VALU_DEP_1)
	v_add3_u32 v10, v11, v10, v7
	global_load_u8 v7, v[9:10], off
.LBB85_22:                              ;   in Loop: Header=BB85_20 Depth=2
	s_wait_alu 0xfffe
	s_or_b32 exec_lo, exec_lo, s7
	s_wait_loadcnt 0x0
	v_bfe_i32 v9, v6, 0, 8
	s_delay_alu instid0(VALU_DEP_1) | instskip(NEXT) | instid1(VALU_DEP_1)
	v_add_nc_u32_e32 v9, 0x80, v9
	v_and_b32_e32 v9, v9, v30
	s_delay_alu instid0(VALU_DEP_1)
	v_cmp_eq_u32_e64 s6, v9, v28
	s_cmp_lg_u32 s6, 0
	s_cselect_b32 s7, -1, 0
	s_wait_alu 0xfffe
	s_and_b32 s7, s1, s7
	s_wait_alu 0xfffe
	s_and_saveexec_b32 s10, s7
	s_cbranch_execz .LBB85_26
; %bb.23:                               ;   in Loop: Header=BB85_20 Depth=2
	s_mov_b32 s13, exec_lo
	s_bcnt1_i32_b32 s11, s6
	s_wait_alu 0xfffe
	v_mbcnt_lo_u32_b32 v8, s13, 0
	s_mov_b32 s12, exec_lo
                                        ; implicit-def: $vgpr9
	s_delay_alu instid0(VALU_DEP_1)
	v_cmpx_eq_u32_e32 0, v8
; %bb.24:                               ;   in Loop: Header=BB85_20 Depth=2
	s_bcnt1_i32_b32 s7, s13
	s_wait_alu 0xfffe
	s_mul_i32 s7, s11, s7
	s_wait_alu 0xfffe
	v_mov_b32_e32 v9, s7
	ds_add_rtn_u32 v9, v3, v9 offset:5144
; %bb.25:                               ;   in Loop: Header=BB85_20 Depth=2
	s_or_b32 exec_lo, exec_lo, s12
	s_wait_dscnt 0x0
	v_readfirstlane_b32 s7, v9
	s_wait_alu 0xf1ff
	s_delay_alu instid0(VALU_DEP_1)
	v_mad_u32_u24 v8, s11, v8, s7
.LBB85_26:                              ;   in Loop: Header=BB85_20 Depth=2
	s_wait_alu 0xfffe
	s_or_b32 exec_lo, exec_lo, s10
	ds_bpermute_b32 v8, v3, v8
	s_and_b32 s7, exec_lo, vcc_lo
	s_wait_alu 0xfffe
	s_or_b32 s9, s7, s9
	s_and_saveexec_b32 s7, s6
	s_cbranch_execz .LBB85_19
; %bb.27:                               ;   in Loop: Header=BB85_20 Depth=2
	v_and_b32_e32 v9, s6, v26
	s_wait_dscnt 0x0
	s_delay_alu instid0(VALU_DEP_1)
	v_bcnt_u32_b32 v8, v9, v8
	ds_store_b8 v8, v6
	s_branch .LBB85_19
.LBB85_28:                              ;   in Loop: Header=BB85_15 Depth=1
	s_mov_b32 s8, -1
	s_mov_b32 s6, 0
.LBB85_29:                              ;   in Loop: Header=BB85_15 Depth=1
	s_wait_alu 0xfffe
	s_and_b32 vcc_lo, exec_lo, s8
	s_wait_alu 0xfffe
	s_cbranch_vccz .LBB85_45
.LBB85_30:                              ;   in Loop: Header=BB85_15 Depth=1
	s_and_saveexec_b32 s10, s0
	s_cbranch_execz .LBB85_42
; %bb.31:                               ;   in Loop: Header=BB85_15 Depth=1
	global_load_u16 v4, v3, s[64:65]
	global_load_u8 v23, v[12:13], off
	v_mov_b32_e32 v6, v0
	s_mov_b32 s11, exec_lo
	s_wait_loadcnt 0x1
	v_and_b32_e32 v2, 0xffff, v4
	v_readfirstlane_b32 s6, v4
	s_delay_alu instid0(VALU_DEP_2) | instskip(NEXT) | instid1(VALU_DEP_1)
	v_add_nc_u32_e32 v2, v2, v0
	v_cmpx_gt_u64_e64 s[28:29], v[2:3]
	s_cbranch_execz .LBB85_41
; %bb.32:                               ;   in Loop: Header=BB85_15 Depth=1
	s_and_b32 s58, s6, 0xffff
	v_dual_mov_b32 v9, v1 :: v_dual_mov_b32 v8, v0
	s_wait_alu 0xfffe
	s_cmp_eq_u32 s58, 1
	v_dual_mov_b32 v5, v3 :: v_dual_mov_b32 v4, v2
	s_cselect_b32 s6, -1, 0
                                        ; implicit-def: $vgpr6_vgpr7
	s_wait_alu 0xfffe
	s_and_b32 s7, s4, s6
	s_mov_b32 s6, -1
	s_wait_alu 0xfffe
	s_and_saveexec_b32 s8, s7
	s_cbranch_execz .LBB85_36
; %bb.33:                               ;   in Loop: Header=BB85_15 Depth=1
	v_add_co_u32 v8, s6, v2, 3
	s_wait_alu 0xf1ff
	v_add_co_ci_u32_e64 v9, null, 0, 0, s6
	v_add_co_u32 v6, s6, v2, 2
	s_wait_alu 0xf1ff
	v_add_co_ci_u32_e64 v7, null, 0, 0, s6
	;; [unrolled: 3-line block ×3, first 2 shown]
	v_dual_mov_b32 v22, v17 :: v_dual_mov_b32 v11, v9
	s_wait_loadcnt 0x0
	v_dual_mov_b32 v21, v16 :: v_dual_lshlrev_b32 v32, 24, v23
	v_mov_b32_e32 v24, v0
	v_dual_mov_b32 v10, v8 :: v_dual_mov_b32 v9, v7
	v_mov_b32_e32 v8, v6
	v_mov_b32_e32 v7, v5
	;; [unrolled: 1-line block ×5, first 2 shown]
	s_mov_b32 s9, 0
.LBB85_34:                              ;   Parent Loop BB85_15 Depth=1
                                        ; =>  This Inner Loop Header: Depth=2
	v_mul_lo_u32 v42, v7, s78
	v_mul_lo_u32 v43, v6, s79
	v_mad_co_u64_u32 v[35:36], null, v6, s78, 0
	v_mul_lo_u32 v23, v9, s80
	v_mul_lo_u32 v41, v8, s81
	v_mad_co_u64_u32 v[33:34], null, v8, s80, 0
	;; [unrolled: 3-line block ×3, first 2 shown]
	v_mad_co_u64_u32 v[39:40], null, v10, s82, s[52:53]
	v_mul_lo_u32 v46, v10, s83
	v_mul_lo_u32 v47, v11, s82
	v_add3_u32 v42, v36, v43, v42
	v_add3_u32 v23, v34, v41, v23
	;; [unrolled: 1-line block ×3, first 2 shown]
	v_add_co_u32 v41, s7, s52, v35
	v_add_co_u32 v36, s6, s52, v33
	v_add3_u32 v40, v47, v40, v46
	v_add_co_u32 v34, vcc_lo, s52, v37
	s_wait_alu 0xf1ff
	v_add_co_ci_u32_e64 v42, null, s53, v42, s7
	v_add_co_ci_u32_e64 v37, null, s53, v23, s6
	s_wait_alu 0xfffd
	v_add_co_ci_u32_e64 v35, null, s53, v38, vcc_lo
	s_clause 0x3
	global_load_u8 v23, v[39:40], off
	global_load_u8 v33, v[41:42], off
	;; [unrolled: 1-line block ×4, first 2 shown]
	v_add_co_u32 v10, vcc_lo, v10, 4
	s_wait_alu 0xfffd
	v_add_co_ci_u32_e64 v11, null, 0, v11, vcc_lo
	v_add_co_u32 v8, vcc_lo, v8, 4
	s_wait_alu 0xfffd
	v_add_co_ci_u32_e64 v9, null, 0, v9, vcc_lo
	;; [unrolled: 3-line block ×3, first 2 shown]
	v_add_co_u32 v21, vcc_lo, v21, -4
	s_wait_alu 0xfffd
	v_add_co_ci_u32_e64 v22, null, -1, v22, vcc_lo
	v_add_co_u32 v4, vcc_lo, v4, 4
	s_wait_alu 0xfffd
	v_add_co_ci_u32_e64 v5, null, 0, v5, vcc_lo
	s_delay_alu instid0(VALU_DEP_3)
	v_cmp_eq_u64_e64 s6, 0, v[21:22]
	s_wait_alu 0xfffe
	s_or_b32 s9, s6, s9
	s_wait_loadcnt 0x0
	v_perm_b32 v35, v34, v33, 0xc0c0004
	v_perm_b32 v33, v33, v36, 0xc0c0004
	;; [unrolled: 1-line block ×4, first 2 shown]
	s_delay_alu instid0(VALU_DEP_2) | instskip(NEXT) | instid1(VALU_DEP_2)
	v_lshl_or_b32 v32, v33, 16, v32
	v_lshl_or_b32 v33, v34, 16, v35
	ds_store_b32 v24, v32
	v_add_nc_u32_e32 v24, 4, v24
	v_mov_b32_e32 v32, v33
	s_wait_alu 0xfffe
	s_and_not1_b32 exec_lo, exec_lo, s9
	s_cbranch_execnz .LBB85_34
; %bb.35:                               ;   in Loop: Header=BB85_15 Depth=1
	s_or_b32 exec_lo, exec_lo, s9
	v_add_co_u32 v4, vcc_lo, v2, v16
	s_wait_alu 0xfffd
	v_add_co_ci_u32_e64 v5, null, 0, v17, vcc_lo
	v_dual_mov_b32 v8, v18 :: v_dual_mov_b32 v9, v19
	s_delay_alu instid0(VALU_DEP_3)
	v_add_co_u32 v6, vcc_lo, v4, -1
	s_or_not1_b32 s6, s5, exec_lo
	s_wait_alu 0xfffd
	v_add_co_ci_u32_e64 v2, null, -1, v5, vcc_lo
.LBB85_36:                              ;   in Loop: Header=BB85_15 Depth=1
	s_wait_alu 0xfffe
	s_or_b32 exec_lo, exec_lo, s8
	s_and_saveexec_b32 s7, s6
	s_cbranch_execz .LBB85_40
; %bb.37:                               ;   in Loop: Header=BB85_15 Depth=1
	s_sub_nc_u64 s[8:9], 0, s[58:59]
	s_mov_b32 s12, 0
.LBB85_38:                              ;   Parent Loop BB85_15 Depth=1
                                        ; =>  This Inner Loop Header: Depth=2
	v_dual_mov_b32 v7, v5 :: v_dual_mov_b32 v6, v4
	s_wait_loadcnt 0x0
	ds_store_b8 v8, v23
	v_mul_lo_u32 v9, v7, s44
	v_mad_co_u64_u32 v[4:5], null, v6, s44, s[52:53]
	v_mul_lo_u32 v2, v6, s45
	s_delay_alu instid0(VALU_DEP_1)
	v_add3_u32 v5, v9, v5, v2
	v_dual_mov_b32 v9, v7 :: v_dual_mov_b32 v8, v6
	global_load_u8 v2, v[4:5], off
	v_add_co_u32 v4, vcc_lo, v6, s58
	s_wait_alu 0xfffd
	v_add_co_ci_u32_e64 v5, null, 0, v7, vcc_lo
	s_wait_alu 0xfffe
	s_delay_alu instid0(VALU_DEP_2) | instskip(NEXT) | instid1(VALU_DEP_2)
	v_add_co_u32 v6, s6, s8, v4
	v_cmp_le_u64_e32 vcc_lo, s[28:29], v[4:5]
	s_wait_alu 0xf1ff
	v_add_co_ci_u32_e64 v7, null, s9, v5, s6
	s_or_b32 s12, vcc_lo, s12
	s_wait_loadcnt 0x0
	v_mov_b32_e32 v23, v2
	s_wait_alu 0xfffe
	s_and_not1_b32 exec_lo, exec_lo, s12
	s_cbranch_execnz .LBB85_38
; %bb.39:                               ;   in Loop: Header=BB85_15 Depth=1
	s_or_b32 exec_lo, exec_lo, s12
	v_mov_b32_e32 v23, v2
.LBB85_40:                              ;   in Loop: Header=BB85_15 Depth=1
	s_wait_alu 0xfffe
	s_or_b32 exec_lo, exec_lo, s7
.LBB85_41:                              ;   in Loop: Header=BB85_15 Depth=1
	s_wait_alu 0xfffe
	s_or_b32 exec_lo, exec_lo, s11
	s_wait_loadcnt 0x0
	ds_store_b8 v6, v23
.LBB85_42:                              ;   in Loop: Header=BB85_15 Depth=1
	s_wait_alu 0xfffe
	s_or_b32 exec_lo, exec_lo, s10
	s_wait_loadcnt_dscnt 0x0
	s_barrier_signal -1
	s_barrier_wait -1
	global_inv scope:SCOPE_SE
	s_and_saveexec_b32 s6, s2
; %bb.43:                               ;   in Loop: Header=BB85_15 Depth=1
	v_dual_mov_b32 v4, s28 :: v_dual_mov_b32 v5, s29
	ds_store_b64 v3, v[4:5] offset:5120
; %bb.44:                               ;   in Loop: Header=BB85_15 Depth=1
	s_wait_alu 0xfffe
	s_or_b32 exec_lo, exec_lo, s6
	s_mov_b32 s6, -1
	s_wait_loadcnt_dscnt 0x0
	s_barrier_signal -1
	s_barrier_wait -1
.LBB85_45:                              ;   in Loop: Header=BB85_15 Depth=1
	s_wait_alu 0xfffe
	s_and_b32 vcc_lo, exec_lo, s6
	s_mov_b64 s[66:67], 0
	s_wait_alu 0xfffe
	s_cbranch_vccz .LBB85_47
; %bb.46:                               ;   in Loop: Header=BB85_15 Depth=1
	s_wait_loadcnt 0x0
	global_inv scope:SCOPE_SE
	ds_load_b64 v[4:5], v3 offset:5120
	s_wait_dscnt 0x0
	v_readfirstlane_b32 s66, v4
.LBB85_47:                              ;   in Loop: Header=BB85_15 Depth=1
	s_delay_alu instid0(VALU_DEP_1)
	s_cmp_lt_i32 s66, 1
	s_mov_b32 s6, -1
                                        ; implicit-def: $vgpr10_vgpr11
                                        ; implicit-def: $vgpr6_vgpr7
	s_cbranch_scc1 .LBB85_57
; %bb.48:                               ;   in Loop: Header=BB85_15 Depth=1
	s_wait_alu 0xfffe
	s_and_b32 vcc_lo, exec_lo, s6
	s_wait_alu 0xfffe
	s_cbranch_vccnz .LBB85_71
.LBB85_49:                              ;   in Loop: Header=BB85_15 Depth=1
	s_lshl_b32 s6, s91, 7
	s_and_saveexec_b32 s7, s1
	s_cbranch_execz .LBB85_51
.LBB85_50:                              ;   in Loop: Header=BB85_15 Depth=1
	s_wait_alu 0xfffe
	v_lshl_add_u32 v2, s6, 3, v27
	ds_store_b128 v2, v[4:7]
	ds_store_b128 v2, v[8:11] offset:16
.LBB85_51:                              ;   in Loop: Header=BB85_15 Depth=1
	s_wait_alu 0xfffe
	s_or_b32 exec_lo, exec_lo, s7
	s_wait_loadcnt_dscnt 0x0
	s_barrier_signal -1
	s_barrier_wait -1
	global_inv scope:SCOPE_SE
	s_and_saveexec_b32 s7, s33
	s_cbranch_execz .LBB85_85
; %bb.52:                               ;   in Loop: Header=BB85_15 Depth=1
	v_mov_b32_e32 v4, 0
	v_mov_b32_e32 v5, 0
	s_and_not1_b32 vcc_lo, exec_lo, s77
	s_wait_alu 0xfffe
	s_cbranch_vccnz .LBB85_84
; %bb.53:                               ;   in Loop: Header=BB85_15 Depth=1
	v_mov_b32_e32 v4, 0
	v_mov_b32_e32 v5, 0
	s_and_not1_b32 vcc_lo, exec_lo, s85
	s_wait_alu 0xfffe
	s_cbranch_vccnz .LBB85_81
; %bb.54:                               ;   in Loop: Header=BB85_15 Depth=1
	v_lshl_add_u32 v2, s91, 10, v29
	s_mov_b32 s8, 0
.LBB85_55:                              ;   Parent Loop BB85_15 Depth=1
                                        ; =>  This Inner Loop Header: Depth=2
	ds_load_2addr_b64 v[6:9], v2 offset1:4
	ds_load_2addr_b64 v[21:24], v2 offset0:8 offset1:12
	ds_load_2addr_b64 v[32:35], v2 offset0:16 offset1:20
	s_wait_alu 0xfffe
	s_add_co_i32 s8, s8, 8
	s_wait_alu 0xfffe
	s_cmp_eq_u32 s86, s8
	s_wait_dscnt 0x2
	v_add_co_u32 v4, vcc_lo, v6, v4
	s_wait_alu 0xfffd
	v_add_co_ci_u32_e64 v5, null, v7, v5, vcc_lo
	s_delay_alu instid0(VALU_DEP_2) | instskip(SKIP_1) | instid1(VALU_DEP_2)
	v_add_co_u32 v8, vcc_lo, v8, v4
	s_wait_alu 0xfffd
	v_add_co_ci_u32_e64 v9, null, v9, v5, vcc_lo
	ds_load_2addr_b64 v[4:7], v2 offset0:24 offset1:28
	s_wait_dscnt 0x2
	v_add_co_u32 v8, vcc_lo, v21, v8
	s_wait_alu 0xfffd
	v_add_co_ci_u32_e64 v9, null, v22, v9, vcc_lo
	v_add_nc_u32_e32 v2, 0x100, v2
	s_delay_alu instid0(VALU_DEP_3) | instskip(SKIP_1) | instid1(VALU_DEP_3)
	v_add_co_u32 v8, vcc_lo, v23, v8
	s_wait_alu 0xfffd
	v_add_co_ci_u32_e64 v9, null, v24, v9, vcc_lo
	s_wait_dscnt 0x1
	s_delay_alu instid0(VALU_DEP_2) | instskip(SKIP_1) | instid1(VALU_DEP_2)
	v_add_co_u32 v8, vcc_lo, v32, v8
	s_wait_alu 0xfffd
	v_add_co_ci_u32_e64 v9, null, v33, v9, vcc_lo
	s_delay_alu instid0(VALU_DEP_2) | instskip(SKIP_1) | instid1(VALU_DEP_2)
	v_add_co_u32 v8, vcc_lo, v34, v8
	s_wait_alu 0xfffd
	v_add_co_ci_u32_e64 v9, null, v35, v9, vcc_lo
	s_wait_dscnt 0x0
	s_delay_alu instid0(VALU_DEP_2) | instskip(SKIP_1) | instid1(VALU_DEP_2)
	v_add_co_u32 v4, vcc_lo, v4, v8
	s_wait_alu 0xfffd
	v_add_co_ci_u32_e64 v5, null, v5, v9, vcc_lo
	s_delay_alu instid0(VALU_DEP_2) | instskip(SKIP_1) | instid1(VALU_DEP_2)
	v_add_co_u32 v4, vcc_lo, v6, v4
	s_wait_alu 0xfffd
	v_add_co_ci_u32_e64 v5, null, v7, v5, vcc_lo
	s_cbranch_scc0 .LBB85_55
; %bb.56:                               ;   in Loop: Header=BB85_15 Depth=1
	s_mov_b32 s8, s86
	s_and_not1_b32 vcc_lo, exec_lo, s87
	s_wait_alu 0xfffe
	s_cbranch_vccz .LBB85_82
	s_branch .LBB85_84
.LBB85_57:                              ;   in Loop: Header=BB85_15 Depth=1
	global_load_u16 v2, v3, s[64:65]
	s_mov_b32 s7, s29
	s_wait_loadcnt 0x0
	v_readfirstlane_b32 s6, v2
	s_wait_alu 0xfffe
	s_and_b32 s8, 0xffff, s6
	s_mov_b32 s6, s59
	s_wait_alu 0xfffe
	s_lshl_b32 s18, s8, 2
	s_cmp_lg_u64 s[6:7], 0
	s_cbranch_scc0 .LBB85_80
; %bb.58:                               ;   in Loop: Header=BB85_15 Depth=1
	s_wait_alu 0xfffe
	s_cvt_f32_u32 s6, s18
	s_mov_b32 s19, s59
	s_wait_alu 0xfffe
	s_sub_nc_u64 s[8:9], 0, s[18:19]
	s_fmamk_f32 s6, s90, 0x0, s6
	s_wait_alu 0xfffe
	s_delay_alu instid0(SALU_CYCLE_2) | instskip(NEXT) | instid1(TRANS32_DEP_1)
	v_s_rcp_f32 s6, s6
	s_mul_f32 s6, s6, 0x5f7ffffc
	s_wait_alu 0xfffe
	s_delay_alu instid0(SALU_CYCLE_2) | instskip(SKIP_1) | instid1(SALU_CYCLE_2)
	s_mul_f32 s7, s6, 0x2f800000
	s_wait_alu 0xfffe
	s_trunc_f32 s7, s7
	s_wait_alu 0xfffe
	s_delay_alu instid0(SALU_CYCLE_2) | instskip(SKIP_2) | instid1(SALU_CYCLE_1)
	s_fmamk_f32 s6, s7, 0xcf800000, s6
	s_cvt_u32_f32 s7, s7
	s_wait_alu 0xfffe
	s_cvt_u32_f32 s6, s6
	s_wait_alu 0xfffe
	s_delay_alu instid0(SALU_CYCLE_2)
	s_mul_u64 s[10:11], s[8:9], s[6:7]
	s_wait_alu 0xfffe
	s_mul_hi_u32 s13, s6, s11
	s_mul_i32 s12, s6, s11
	s_mul_hi_u32 s58, s6, s10
	s_mul_i32 s15, s7, s10
	s_wait_alu 0xfffe
	s_add_nc_u64 s[12:13], s[58:59], s[12:13]
	s_mul_hi_u32 s14, s7, s10
	s_mul_hi_u32 s16, s7, s11
	s_mul_i32 s10, s7, s11
	s_wait_alu 0xfffe
	s_add_co_u32 s11, s12, s15
	s_add_co_ci_u32 s58, s13, s14
	s_add_co_ci_u32 s11, s16, 0
	s_wait_alu 0xfffe
	s_add_nc_u64 s[10:11], s[58:59], s[10:11]
	s_wait_alu 0xfffe
	s_add_co_u32 s6, s6, s10
	s_cselect_b32 s10, -1, 0
	s_wait_alu 0xfffe
	s_cmp_lg_u32 s10, 0
	s_add_co_ci_u32 s7, s7, s11
	s_wait_alu 0xfffe
	s_mul_u64 s[8:9], s[8:9], s[6:7]
	s_wait_alu 0xfffe
	s_mul_hi_u32 s11, s6, s9
	s_mul_i32 s10, s6, s9
	s_mul_hi_u32 s58, s6, s8
	s_mul_i32 s13, s7, s8
	s_wait_alu 0xfffe
	s_add_nc_u64 s[10:11], s[58:59], s[10:11]
	s_mul_hi_u32 s12, s7, s8
	s_mul_hi_u32 s14, s7, s9
	s_mul_i32 s8, s7, s9
	s_wait_alu 0xfffe
	s_add_co_u32 s9, s10, s13
	s_add_co_ci_u32 s58, s11, s12
	s_add_co_ci_u32 s9, s14, 0
	s_wait_alu 0xfffe
	s_add_nc_u64 s[8:9], s[58:59], s[8:9]
	s_wait_alu 0xfffe
	s_add_co_u32 s6, s6, s8
	s_cselect_b32 s8, -1, 0
	s_wait_alu 0xfffe
	s_mul_hi_u32 s58, s28, s6
	s_cmp_lg_u32 s8, 0
	s_mul_hi_u32 s10, s29, s6
	s_add_co_ci_u32 s8, s7, s9
	s_mul_i32 s9, s29, s6
	s_wait_alu 0xfffe
	s_mul_hi_u32 s7, s28, s8
	s_mul_i32 s6, s28, s8
	s_mul_hi_u32 s11, s29, s8
	s_wait_alu 0xfffe
	s_add_nc_u64 s[6:7], s[58:59], s[6:7]
	s_mul_i32 s8, s29, s8
	s_wait_alu 0xfffe
	s_add_co_u32 s6, s6, s9
	s_add_co_ci_u32 s58, s7, s10
	s_add_co_ci_u32 s9, s11, 0
	s_wait_alu 0xfffe
	s_add_nc_u64 s[6:7], s[58:59], s[8:9]
	s_wait_alu 0xfffe
	s_mul_u64 s[6:7], s[18:19], s[6:7]
	s_wait_alu 0xfffe
	s_sub_co_u32 s6, s28, s6
	s_cselect_b32 s8, -1, 0
	s_wait_alu 0xfffe
	s_cmp_lg_u32 s8, 0
	s_sub_co_ci_u32 s7, s29, s7
	s_sub_co_u32 s8, s6, s18
	s_cselect_b32 s9, -1, 0
	s_wait_alu 0xfffe
	s_cmp_lg_u32 s9, 0
	s_sub_co_ci_u32 s9, s7, 0
	;; [unrolled: 5-line block ×3, first 2 shown]
	s_cmp_ge_u32 s8, s18
	s_cselect_b32 s12, -1, 0
	s_cmp_eq_u32 s9, 0
	s_wait_alu 0xfffe
	s_cselect_b32 s12, s12, -1
	s_wait_alu 0xfffe
	s_cmp_lg_u32 s12, 0
	s_cselect_b32 s9, s11, s9
	s_cselect_b32 s8, s10, s8
	s_cmp_ge_u32 s6, s18
	s_cselect_b32 s10, -1, 0
	s_cmp_eq_u32 s7, 0
	s_wait_alu 0xfffe
	s_cselect_b32 s10, s10, -1
	s_wait_alu 0xfffe
	s_cmp_lg_u32 s10, 0
	s_cselect_b32 s7, s9, s7
	s_cselect_b32 s6, s8, s6
	s_cbranch_execnz .LBB85_60
.LBB85_59:                              ;   in Loop: Header=BB85_15 Depth=1
	s_wait_alu 0xfffe
	v_cvt_f32_u32_e32 v4, s18
	s_sub_co_i32 s7, 0, s18
	s_delay_alu instid0(VALU_DEP_1) | instskip(NEXT) | instid1(TRANS32_DEP_1)
	v_rcp_iflag_f32_e32 v4, v4
	v_mul_f32_e32 v4, 0x4f7ffffe, v4
	s_delay_alu instid0(VALU_DEP_1) | instskip(NEXT) | instid1(VALU_DEP_1)
	v_cvt_u32_f32_e32 v4, v4
	v_readfirstlane_b32 s6, v4
	s_wait_alu 0xfffe
	s_mul_i32 s7, s7, s6
	s_wait_alu 0xfffe
	s_mul_hi_u32 s7, s6, s7
	s_wait_alu 0xfffe
	s_add_co_i32 s6, s6, s7
	s_wait_alu 0xfffe
	s_mul_hi_u32 s6, s28, s6
	s_wait_alu 0xfffe
	s_mul_i32 s6, s6, s18
	s_wait_alu 0xfffe
	s_sub_co_i32 s6, s28, s6
	s_wait_alu 0xfffe
	s_sub_co_i32 s7, s6, s18
	s_cmp_ge_u32 s6, s18
	s_wait_alu 0xfffe
	s_cselect_b32 s6, s7, s6
	s_wait_alu 0xfffe
	s_sub_co_i32 s7, s6, s18
	s_cmp_ge_u32 s6, s18
	s_wait_alu 0xfffe
	s_cselect_b32 s58, s7, s6
	s_wait_alu 0xfffe
	s_mov_b64 s[6:7], s[58:59]
.LBB85_60:                              ;   in Loop: Header=BB85_15 Depth=1
	v_mov_b32_e32 v4, 0
	v_dual_mov_b32 v8, 0 :: v_dual_mov_b32 v5, 0
	v_dual_mov_b32 v6, 0 :: v_dual_mov_b32 v9, 0
	;; [unrolled: 1-line block ×3, first 2 shown]
	v_mov_b32_e32 v11, 0
	s_wait_alu 0xfffe
	s_sub_nc_u64 s[20:21], s[28:29], s[6:7]
	s_mov_b32 s17, exec_lo
	s_wait_alu 0xfffe
	v_cmpx_gt_u64_e64 s[20:21], v[14:15]
	s_cbranch_execz .LBB85_64
; %bb.61:                               ;   in Loop: Header=BB85_15 Depth=1
	v_dual_mov_b32 v22, v15 :: v_dual_mov_b32 v21, v14
	s_mov_b64 s[22:23], 0
	s_mov_b32 s19, 0
	s_mov_b64 s[24:25], 0
	s_mov_b64 s[68:69], 0
	s_mov_b64 s[70:71], 0
.LBB85_62:                              ;   Parent Loop BB85_15 Depth=1
                                        ; =>  This Inner Loop Header: Depth=2
	v_mad_co_u64_u32 v[4:5], null, v21, s44, s[52:53]
	v_mul_lo_u32 v6, v21, s45
	v_mul_lo_u32 v7, v22, s44
	s_delay_alu instid0(VALU_DEP_1) | instskip(NEXT) | instid1(VALU_DEP_4)
	v_add3_u32 v5, v7, v5, v6
	v_add_co_u32 v6, vcc_lo, v4, s44
	s_wait_alu 0xfffd
	s_delay_alu instid0(VALU_DEP_2)
	v_add_co_ci_u32_e64 v7, null, s45, v5, vcc_lo
	s_clause 0x1
	global_load_i8 v8, v[4:5], off
	global_load_i8 v9, v[6:7], off
	v_add_co_u32 v4, vcc_lo, v6, s44
	s_wait_alu 0xfffd
	v_add_co_ci_u32_e64 v5, null, s45, v7, vcc_lo
	s_delay_alu instid0(VALU_DEP_2)
	v_add_co_u32 v6, vcc_lo, v4, s44
	global_load_i8 v4, v[4:5], off
	s_wait_alu 0xfffd
	v_add_co_ci_u32_e64 v7, null, s45, v5, vcc_lo
	v_add_co_u32 v21, vcc_lo, v21, s18
	s_wait_alu 0xfffd
	v_add_co_ci_u32_e64 v22, null, 0, v22, vcc_lo
	global_load_i8 v5, v[6:7], off
	v_cmp_le_u64_e32 vcc_lo, s[20:21], v[21:22]
	s_wait_loadcnt 0x3
	v_add_nc_u32_e32 v6, 0x80, v8
	s_wait_loadcnt 0x2
	v_add_nc_u32_e32 v8, 0x80, v9
	s_delay_alu instid0(VALU_DEP_2) | instskip(SKIP_1) | instid1(VALU_DEP_2)
	v_and_b32_e32 v7, v6, v30
	v_bfe_u32 v6, v6, s88, 2
	v_cmp_eq_u32_e64 s6, v7, v28
	s_wait_loadcnt 0x1
	v_add_nc_u32_e32 v4, 0x80, v4
	v_and_b32_e32 v7, v8, v30
	v_bfe_u32 v8, v8, s88, 2
	v_cmp_eq_u32_e64 s7, 0, v6
	v_cmp_eq_u32_e64 s8, 1, v6
	v_cmp_eq_u32_e64 s9, 2, v6
	v_cmp_eq_u32_e64 s10, 3, v6
	s_wait_loadcnt 0x0
	v_add_nc_u32_e32 v5, 0x80, v5
	v_cmp_eq_u32_e64 s11, v7, v28
	v_and_b32_e32 v6, v4, v30
	v_bfe_u32 v4, v4, s88, 2
	v_cmp_eq_u32_e64 s12, 0, v8
	s_and_b32 s7, s6, s7
	s_and_b32 s8, s6, s8
	;; [unrolled: 1-line block ×3, first 2 shown]
	s_wait_alu 0xfffe
	v_cndmask_b32_e64 v7, 0, 1, s7
	v_cmp_eq_u32_e64 s7, 1, v8
	v_cndmask_b32_e64 v9, 0, 1, s8
	v_cmp_eq_u32_e64 s8, 2, v8
	v_cndmask_b32_e64 v10, 0, 1, s9
	v_cmp_eq_u32_e64 s9, 3, v8
	s_and_b32 s6, s6, s10
	v_cmp_eq_u32_e64 s10, 0, v4
	s_wait_alu 0xfffe
	v_cndmask_b32_e64 v8, 0, 1, s6
	v_cmp_eq_u32_e64 s6, v6, v28
	v_and_b32_e32 v6, v5, v30
	v_bfe_u32 v5, v5, s88, 2
	s_and_b32 s12, s11, s12
	v_cmp_ne_u32_e64 s13, 0, v7
	s_wait_alu 0xfffe
	v_cndmask_b32_e64 v7, 0, 1, s12
	v_cmp_eq_u32_e64 s12, 1, v4
	s_and_b32 s7, s11, s7
	s_and_b32 s8, s11, s8
	;; [unrolled: 1-line block ×3, first 2 shown]
	v_cmp_ne_u32_e64 s14, 0, v9
	s_wait_alu 0xfffe
	v_cndmask_b32_e64 v9, 0, 1, s7
	v_cmp_eq_u32_e64 s7, 2, v4
	v_cmp_ne_u32_e64 s15, 0, v10
	v_cndmask_b32_e64 v10, 0, 1, s8
	v_cmp_eq_u32_e64 s8, 3, v4
	v_cndmask_b32_e64 v4, 0, 1, s9
	v_cmp_eq_u32_e64 s9, v6, v28
	v_cmp_eq_u32_e64 s11, 0, v5
	s_and_b32 s10, s6, s10
	v_cmp_ne_u32_e64 s16, 0, v8
	s_wait_alu 0xfffe
	v_cndmask_b32_e64 v6, 0, 1, s10
	v_cmp_eq_u32_e64 s10, 1, v5
	s_and_b32 s12, s6, s12
	s_bcnt1_i32_b32 s58, s13
	v_cmp_ne_u32_e64 s13, 0, v7
	s_wait_alu 0xfffe
	v_cndmask_b32_e64 v7, 0, 1, s12
	v_cmp_eq_u32_e64 s12, 2, v5
	s_and_b32 s7, s6, s7
	s_and_b32 s6, s6, s8
	;; [unrolled: 1-line block ×3, first 2 shown]
	s_wait_alu 0xfffe
	v_cndmask_b32_e64 v8, 0, 1, s7
	v_cmp_eq_u32_e64 s7, 3, v5
	s_bcnt1_i32_b32 s73, s16
	v_cmp_ne_u32_e64 s16, 0, v4
	v_cndmask_b32_e64 v4, 0, 1, s6
	v_cmp_ne_u32_e64 s6, 0, v6
	v_cndmask_b32_e64 v5, 0, 1, s8
	s_and_b32 s10, s9, s10
	s_and_b32 s11, s9, s12
	s_wait_alu 0xfffe
	v_cndmask_b32_e64 v6, 0, 1, s10
	s_bcnt1_i32_b32 s67, s14
	v_cmp_ne_u32_e64 s14, 0, v9
	v_cmp_ne_u32_e64 s8, 0, v7
	v_cndmask_b32_e64 v7, 0, 1, s11
	s_and_b32 s7, s9, s7
	s_bcnt1_i32_b32 s72, s15
	v_cmp_ne_u32_e64 s15, 0, v10
	s_bcnt1_i32_b32 s12, s16
	s_bcnt1_i32_b32 s16, s6
	v_cmp_ne_u32_e64 s6, 0, v5
	s_bcnt1_i32_b32 s13, s13
	v_cmp_ne_u32_e64 s11, 0, v4
	s_wait_alu 0xfffe
	v_cndmask_b32_e64 v4, 0, 1, s7
	v_cmp_ne_u32_e64 s10, 0, v8
	v_cmp_ne_u32_e64 s7, 0, v6
	s_bcnt1_i32_b32 s14, s14
	s_add_co_i32 s13, s13, s58
	s_bcnt1_i32_b32 s58, s8
	v_cmp_ne_u32_e64 s8, 0, v7
	s_bcnt1_i32_b32 s15, s15
	s_wait_alu 0xfffe
	s_add_co_i32 s14, s14, s67
	s_add_co_i32 s13, s13, s16
	s_bcnt1_i32_b32 s6, s6
	v_cmp_ne_u32_e64 s9, 0, v4
	s_add_co_i32 s15, s15, s72
	s_bcnt1_i32_b32 s10, s10
	s_wait_alu 0xfffe
	s_add_co_i32 s14, s14, s58
	s_bcnt1_i32_b32 s7, s7
	s_add_co_i32 s58, s13, s6
	s_add_co_i32 s12, s12, s73
	s_bcnt1_i32_b32 s11, s11
	s_add_co_i32 s10, s15, s10
	s_bcnt1_i32_b32 s8, s8
	s_wait_alu 0xfffe
	s_add_nc_u64 s[70:71], s[70:71], s[58:59]
	s_add_co_i32 s58, s14, s7
	s_add_co_i32 s11, s12, s11
	s_bcnt1_i32_b32 s9, s9
	s_wait_alu 0xfffe
	s_add_nc_u64 s[68:69], s[68:69], s[58:59]
	s_add_co_i32 s58, s10, s8
	v_mov_b32_e32 v4, s70
	s_wait_alu 0xfffe
	s_add_nc_u64 s[24:25], s[24:25], s[58:59]
	s_add_co_i32 s58, s11, s9
	v_mov_b32_e32 v6, s68
	s_wait_alu 0xfffe
	s_add_nc_u64 s[22:23], s[22:23], s[58:59]
	v_mov_b32_e32 v8, s24
	s_wait_alu 0xfffe
	v_dual_mov_b32 v10, s22 :: v_dual_mov_b32 v5, s71
	v_mov_b32_e32 v7, s69
	v_mov_b32_e32 v9, s25
	;; [unrolled: 1-line block ×3, first 2 shown]
	s_or_b32 s19, vcc_lo, s19
	s_wait_alu 0xfffe
	s_and_not1_b32 exec_lo, exec_lo, s19
	s_cbranch_execnz .LBB85_62
; %bb.63:                               ;   in Loop: Header=BB85_15 Depth=1
	s_or_b32 exec_lo, exec_lo, s19
.LBB85_64:                              ;   in Loop: Header=BB85_15 Depth=1
	s_delay_alu instid0(SALU_CYCLE_1)
	s_or_b32 exec_lo, exec_lo, s17
	v_add_co_u32 v21, s6, s20, v0
	v_and_b32_e32 v2, 0xffff, v2
	s_wait_alu 0xf1ff
	v_add_co_ci_u32_e64 v22, null, s21, 0, s6
	s_mov_b32 s10, exec_lo
	v_cmpx_gt_u64_e64 s[28:29], v[21:22]
	s_cbranch_execz .LBB85_70
; %bb.65:                               ;   in Loop: Header=BB85_15 Depth=1
	v_mad_co_u64_u32 v[23:24], null, v21, s44, s[52:53]
	v_mul_lo_u32 v32, v21, s45
	v_mul_lo_u32 v33, v22, s44
	s_mov_b32 s11, 0
	s_delay_alu instid0(VALU_DEP_1)
	v_add3_u32 v24, v33, v24, v32
	global_load_u8 v24, v[23:24], off
	s_branch .LBB85_67
.LBB85_66:                              ;   in Loop: Header=BB85_67 Depth=2
	s_wait_alu 0xfffe
	s_or_b32 exec_lo, exec_lo, s7
	s_wait_loadcnt 0x0
	v_bfe_i32 v24, v24, 0, 8
	s_and_b32 s8, exec_lo, vcc_lo
	s_wait_alu 0xfffe
	s_or_b32 s11, s8, s11
	s_delay_alu instid0(VALU_DEP_1) | instskip(NEXT) | instid1(VALU_DEP_1)
	v_add_nc_u32_e32 v24, 0x80, v24
	v_and_b32_e32 v32, v24, v30
	v_bfe_u32 v24, v24, s88, 2
	s_delay_alu instid0(VALU_DEP_2) | instskip(NEXT) | instid1(VALU_DEP_2)
	v_cmp_eq_u32_e64 s6, v32, v28
	v_cmp_eq_u32_e64 s7, 0, v24
	v_cmp_eq_u32_e32 vcc_lo, 1, v24
	v_cmp_eq_u32_e64 s8, 2, v24
	s_and_b32 s7, s6, s7
	s_wait_alu 0xfffe
	v_cndmask_b32_e64 v32, 0, 1, s7
	s_and_b32 s7, s6, vcc_lo
	v_cmp_eq_u32_e32 vcc_lo, 3, v24
	s_wait_alu 0xfffe
	v_cndmask_b32_e64 v33, 0, 1, s7
	s_and_b32 s7, s6, s8
	s_wait_alu 0xfffe
	v_cndmask_b32_e64 v34, 0, 1, s7
	v_cmp_ne_u32_e64 s7, 0, v32
	v_cmp_ne_u32_e64 s8, 0, v33
	s_and_b32 s6, s6, vcc_lo
	s_wait_alu 0xfffe
	v_cndmask_b32_e64 v24, 0, 1, s6
	s_bcnt1_i32_b32 s6, s7
	v_cmp_ne_u32_e64 s9, 0, v34
	s_bcnt1_i32_b32 s7, s8
	s_wait_alu 0xfffe
	v_add_co_u32 v4, vcc_lo, v4, s6
	s_wait_alu 0xfffd
	v_add_co_ci_u32_e64 v5, null, 0, v5, vcc_lo
	v_add_co_u32 v6, vcc_lo, v6, s7
	s_wait_alu 0xfffd
	v_add_co_ci_u32_e64 v7, null, 0, v7, vcc_lo
	v_cmp_ne_u32_e32 vcc_lo, 0, v24
	s_bcnt1_i32_b32 s8, s9
	v_mov_b32_e32 v24, v23
	s_wait_alu 0xfffe
	v_add_co_u32 v8, s6, v8, s8
	s_wait_alu 0xf1ff
	v_add_co_ci_u32_e64 v9, null, 0, v9, s6
	s_bcnt1_i32_b32 s6, vcc_lo
	s_wait_alu 0xfffe
	v_add_co_u32 v10, vcc_lo, v10, s6
	s_wait_alu 0xfffd
	v_add_co_ci_u32_e64 v11, null, 0, v11, vcc_lo
	s_and_not1_b32 exec_lo, exec_lo, s11
	s_cbranch_execz .LBB85_69
.LBB85_67:                              ;   Parent Loop BB85_15 Depth=1
                                        ; =>  This Inner Loop Header: Depth=2
	v_add_co_u32 v21, vcc_lo, v21, v2
	s_wait_alu 0xfffd
	v_add_co_ci_u32_e64 v22, null, 0, v22, vcc_lo
	v_mov_b32_e32 v23, 0
	s_mov_b32 s7, exec_lo
	s_delay_alu instid0(VALU_DEP_2)
	v_cmp_le_u64_e32 vcc_lo, s[28:29], v[21:22]
	v_cmpx_gt_u64_e64 s[28:29], v[21:22]
	s_cbranch_execz .LBB85_66
; %bb.68:                               ;   in Loop: Header=BB85_67 Depth=2
	v_mad_co_u64_u32 v[32:33], null, v21, s44, s[52:53]
	v_mul_lo_u32 v23, v21, s45
	v_mul_lo_u32 v34, v22, s44
	s_delay_alu instid0(VALU_DEP_1)
	v_add3_u32 v33, v34, v33, v23
	global_load_u8 v23, v[32:33], off
	s_branch .LBB85_66
.LBB85_69:                              ;   in Loop: Header=BB85_15 Depth=1
	s_or_b32 exec_lo, exec_lo, s11
.LBB85_70:                              ;   in Loop: Header=BB85_15 Depth=1
	s_wait_alu 0xfffe
	s_or_b32 exec_lo, exec_lo, s10
	s_branch .LBB85_49
.LBB85_71:                              ;   in Loop: Header=BB85_15 Depth=1
	global_load_u16 v2, v3, s[64:65]
	v_mov_b32_e32 v6, 0
	v_mov_b32_e32 v8, 0
	v_dual_mov_b32 v10, 0 :: v_dual_mov_b32 v9, 0
	v_mov_b32_e32 v11, 0
	s_mov_b32 s100, exec_lo
	v_mov_b32_e32 v7, 0
	s_wait_loadcnt 0x0
	v_readfirstlane_b32 s6, v2
	v_and_b32_e32 v2, 0xffff, v2
	s_and_b32 s67, 0xffff, s6
	s_wait_alu 0xfffe
	s_lshl_b32 s99, s67, 2
	s_wait_alu 0xfffe
	s_cvt_f32_u32 s6, s99
	s_sub_co_i32 s7, 0, s99
	s_wait_alu 0xfffe
	s_delay_alu instid0(SALU_CYCLE_1) | instskip(NEXT) | instid1(TRANS32_DEP_1)
	v_rcp_iflag_f32_e32 v4, s6
	v_readfirstlane_b32 s6, v4
	s_mul_f32 s6, s6, 0x4f7ffffe
	s_wait_alu 0xfffe
	s_delay_alu instid0(SALU_CYCLE_2) | instskip(SKIP_1) | instid1(SALU_CYCLE_2)
	s_cvt_u32_f32 s6, s6
	s_wait_alu 0xfffe
	s_mul_i32 s7, s7, s6
	s_wait_alu 0xfffe
	s_mul_hi_u32 s7, s6, s7
	s_wait_alu 0xfffe
	s_add_co_i32 s6, s6, s7
	s_wait_alu 0xfffe
	s_mul_hi_u32 s6, s66, s6
	s_wait_alu 0xfffe
	s_mul_i32 s7, s6, s99
	s_add_co_i32 s8, s6, 1
	s_wait_alu 0xfffe
	s_sub_co_i32 s7, s66, s7
	s_wait_alu 0xfffe
	s_sub_co_i32 s9, s7, s99
	s_cmp_ge_u32 s7, s99
	s_cselect_b32 s6, s8, s6
	s_wait_alu 0xfffe
	s_cselect_b32 s7, s9, s7
	s_add_co_i32 s8, s6, 1
	s_wait_alu 0xfffe
	s_cmp_ge_u32 s7, s99
	s_cselect_b32 s98, s8, s6
	s_wait_alu 0xfffe
	v_mul_hi_u32 v5, s98, v2
	v_mul_lo_u32 v4, s98, v2
	s_delay_alu instid0(VALU_DEP_1) | instskip(SKIP_2) | instid1(VALU_DEP_3)
	v_lshlrev_b64_e32 v[21:22], 2, v[4:5]
	v_mov_b32_e32 v4, 0
	v_mov_b32_e32 v5, 0
	v_cmpx_gt_u64_e64 v[21:22], v[14:15]
	s_cbranch_execz .LBB85_75
; %bb.72:                               ;   in Loop: Header=BB85_15 Depth=1
	v_mov_b32_e32 v24, v15
	v_dual_mov_b32 v32, v14 :: v_dual_mov_b32 v23, v14
	s_mov_b64 s[68:69], 0
	s_mov_b32 s101, 0
	s_mov_b64 s[70:71], 0
	s_mov_b64 s[72:73], 0
	;; [unrolled: 1-line block ×3, first 2 shown]
.LBB85_73:                              ;   Parent Loop BB85_15 Depth=1
                                        ; =>  This Inner Loop Header: Depth=2
	ds_load_b32 v4, v32
	v_add_co_u32 v23, vcc_lo, v23, s99
	s_wait_alu 0xfffd
	v_add_co_ci_u32_e64 v24, null, 0, v24, vcc_lo
	s_delay_alu instid0(VALU_DEP_1)
	v_cmp_ge_u64_e32 vcc_lo, v[23:24], v[21:22]
	s_wait_dscnt 0x0
	v_bfe_i32 v5, v4, 0, 8
	v_bfe_i32 v6, v4, 8, 8
	;; [unrolled: 1-line block ×3, first 2 shown]
	v_ashrrev_i32_e32 v4, 24, v4
	s_delay_alu instid0(VALU_DEP_4) | instskip(NEXT) | instid1(VALU_DEP_4)
	v_add_nc_u32_e32 v5, 0x80, v5
	v_add_nc_u32_e32 v6, 0x80, v6
	s_delay_alu instid0(VALU_DEP_4) | instskip(NEXT) | instid1(VALU_DEP_4)
	v_add_nc_u32_e32 v7, 0x80, v7
	v_add_nc_u32_e32 v4, 0x80, v4
	s_delay_alu instid0(VALU_DEP_4)
	v_and_b32_e32 v8, v5, v30
	v_bfe_u32 v5, v5, s88, 2
	v_and_b32_e32 v9, v6, v30
	v_bfe_u32 v6, v6, s88, 2
	v_and_b32_e32 v10, v7, v30
	v_bfe_u32 v7, v7, s88, 2
	v_cmp_eq_u32_e64 s6, v8, v28
	v_cmp_eq_u32_e64 s10, 0, v5
	v_and_b32_e32 v11, v4, v30
	v_bfe_u32 v4, v4, s88, 2
	v_cmp_eq_u32_e64 s7, v9, v28
	v_cmp_eq_u32_e64 s11, 0, v6
	;; [unrolled: 1-line block ×4, first 2 shown]
	s_and_b32 s10, s6, s10
	v_cmp_eq_u32_e64 s9, v11, v28
	v_cmp_eq_u32_e64 s13, 0, v4
	;; [unrolled: 1-line block ×5, first 2 shown]
	s_wait_alu 0xfffe
	v_cndmask_b32_e64 v4, 0, 1, s10
	s_and_b32 s10, s7, s11
	v_cmp_eq_u32_e64 s14, 1, v5
	v_cmp_eq_u32_e64 s18, 2, v5
	v_cmp_eq_u32_e64 s22, 3, v5
	s_wait_alu 0xfffe
	v_cndmask_b32_e64 v5, 0, 1, s10
	s_and_b32 s10, s8, s12
	v_cmp_eq_u32_e64 s15, 1, v6
	v_cmp_eq_u32_e64 s19, 2, v6
	v_cmp_eq_u32_e64 s23, 3, v6
	;; [unrolled: 6-line block ×3, first 2 shown]
	s_wait_alu 0xfffe
	v_cndmask_b32_e64 v7, 0, 1, s10
	s_and_b32 s10, s6, s14
	s_wait_alu 0xfffe
	v_cndmask_b32_e64 v8, 0, 1, s10
	s_and_b32 s10, s7, s15
	s_wait_alu 0xfffe
	v_cndmask_b32_e64 v9, 0, 1, s10
	s_and_b32 s10, s8, s16
	s_wait_alu 0xfffe
	v_cndmask_b32_e64 v10, 0, 1, s10
	s_and_b32 s10, s9, s17
	v_cmp_ne_u32_e64 s11, 0, v9
	s_wait_alu 0xfffe
	v_cndmask_b32_e64 v11, 0, 1, s10
	s_and_b32 s10, s6, s18
	s_and_b32 s6, s6, s22
	s_wait_alu 0xfffe
	v_cndmask_b32_e64 v33, 0, 1, s10
	v_cndmask_b32_e64 v37, 0, 1, s6
	s_and_b32 s6, s7, s23
	s_and_b32 s10, s7, s19
	s_wait_alu 0xfffe
	v_cndmask_b32_e64 v38, 0, 1, s6
	s_and_b32 s6, s8, s24
	v_cndmask_b32_e64 v34, 0, 1, s10
	s_and_b32 s10, s8, s20
	s_wait_alu 0xfffe
	v_cndmask_b32_e64 v39, 0, 1, s6
	s_and_b32 s6, s9, s25
	v_cndmask_b32_e64 v35, 0, 1, s10
	s_and_b32 s10, s9, s21
	s_wait_alu 0xfffe
	v_cndmask_b32_e64 v40, 0, 1, s6
	v_cmp_ne_u32_e64 s6, 0, v4
	v_cmp_ne_u32_e64 s7, 0, v5
	v_cndmask_b32_e64 v36, 0, 1, s10
	v_cmp_ne_u32_e64 s8, 0, v6
	v_cmp_ne_u32_e64 s10, 0, v8
	;; [unrolled: 1-line block ×6, first 2 shown]
	s_bcnt1_i32_b32 s6, s6
	s_bcnt1_i32_b32 s7, s7
	v_cmp_ne_u32_e64 s13, 0, v11
	v_cmp_ne_u32_e64 s16, 0, v35
	;; [unrolled: 1-line block ×4, first 2 shown]
	s_bcnt1_i32_b32 s8, s8
	s_bcnt1_i32_b32 s10, s10
	;; [unrolled: 1-line block ×3, first 2 shown]
	s_wait_alu 0xfffe
	s_add_co_i32 s6, s7, s6
	v_cmp_ne_u32_e64 s17, 0, v36
	v_cmp_ne_u32_e64 s20, 0, v39
	s_bcnt1_i32_b32 s9, s9
	s_bcnt1_i32_b32 s12, s12
	;; [unrolled: 1-line block ×4, first 2 shown]
	s_add_co_i32 s7, s11, s10
	s_wait_alu 0xfffe
	s_add_co_i32 s6, s6, s8
	v_cmp_ne_u32_e64 s21, 0, v40
	s_bcnt1_i32_b32 s13, s13
	s_bcnt1_i32_b32 s16, s16
	;; [unrolled: 1-line block ×4, first 2 shown]
	s_add_co_i32 s10, s15, s14
	s_add_co_i32 s7, s7, s12
	s_wait_alu 0xfffe
	s_add_co_i32 s58, s6, s9
	s_bcnt1_i32_b32 s17, s17
	s_bcnt1_i32_b32 s20, s20
	s_add_co_i32 s11, s19, s18
	s_add_co_i32 s8, s10, s16
	s_wait_alu 0xfffe
	s_add_nc_u64 s[74:75], s[74:75], s[58:59]
	s_add_co_i32 s58, s7, s13
	s_bcnt1_i32_b32 s21, s21
	s_add_co_i32 s10, s11, s20
	s_wait_alu 0xfffe
	s_add_nc_u64 s[72:73], s[72:73], s[58:59]
	s_add_co_i32 s58, s8, s17
	v_mov_b32_e32 v4, s74
	s_wait_alu 0xfffe
	s_add_nc_u64 s[70:71], s[70:71], s[58:59]
	s_add_co_i32 s58, s10, s21
	v_mov_b32_e32 v6, s72
	s_wait_alu 0xfffe
	s_add_nc_u64 s[68:69], s[68:69], s[58:59]
	v_mov_b32_e32 v8, s70
	s_wait_alu 0xfffe
	v_mov_b32_e32 v10, s68
	v_dual_mov_b32 v5, s75 :: v_dual_add_nc_u32 v32, s99, v32
	v_mov_b32_e32 v7, s73
	v_mov_b32_e32 v9, s71
	;; [unrolled: 1-line block ×3, first 2 shown]
	s_or_b32 s101, vcc_lo, s101
	s_delay_alu instid0(SALU_CYCLE_1)
	s_and_not1_b32 exec_lo, exec_lo, s101
	s_cbranch_execnz .LBB85_73
; %bb.74:                               ;   in Loop: Header=BB85_15 Depth=1
	s_or_b32 exec_lo, exec_lo, s101
.LBB85_75:                              ;   in Loop: Header=BB85_15 Depth=1
	s_delay_alu instid0(SALU_CYCLE_1)
	s_or_b32 exec_lo, exec_lo, s100
	v_add_co_u32 v21, vcc_lo, v21, v0
	s_wait_alu 0xfffd
	v_add_co_ci_u32_e64 v22, null, 0, v22, vcc_lo
	s_and_b32 s58, s66, 0x7fffffff
	s_mov_b32 s11, exec_lo
	s_wait_alu 0xfffe
	v_cmpx_gt_u64_e64 s[58:59], v[21:22]
	s_cbranch_execz .LBB85_79
; %bb.76:                               ;   in Loop: Header=BB85_15 Depth=1
	s_mul_i32 s98, s98, s67
	s_mov_b32 s12, 0
	s_wait_alu 0xfffe
	v_lshl_add_u32 v23, s98, 2, v0
.LBB85_77:                              ;   Parent Loop BB85_15 Depth=1
                                        ; =>  This Inner Loop Header: Depth=2
	ds_load_i8 v24, v23
	v_add_co_u32 v21, vcc_lo, v21, v2
	s_wait_alu 0xfffd
	v_add_co_ci_u32_e64 v22, null, 0, v22, vcc_lo
	v_add_nc_u32_e32 v23, s67, v23
	s_delay_alu instid0(VALU_DEP_2) | instskip(SKIP_2) | instid1(VALU_DEP_1)
	v_cmp_le_u64_e32 vcc_lo, s[58:59], v[21:22]
	s_wait_dscnt 0x0
	v_add_nc_u32_e32 v24, 0x80, v24
	v_and_b32_e32 v32, v24, v30
	v_bfe_u32 v24, v24, s88, 2
	s_delay_alu instid0(VALU_DEP_2) | instskip(NEXT) | instid1(VALU_DEP_2)
	v_cmp_eq_u32_e64 s6, v32, v28
	v_cmp_eq_u32_e64 s7, 0, v24
	;; [unrolled: 1-line block ×5, first 2 shown]
	s_and_b32 s7, s6, s7
	s_wait_alu 0xfffe
	v_cndmask_b32_e64 v24, 0, 1, s7
	s_and_b32 s7, s6, s8
	s_wait_alu 0xfffe
	v_cndmask_b32_e64 v32, 0, 1, s7
	s_and_b32 s7, s6, s9
	s_and_b32 s6, s6, s10
	s_wait_alu 0xfffe
	v_cndmask_b32_e64 v33, 0, 1, s7
	v_cndmask_b32_e64 v34, 0, 1, s6
	v_cmp_ne_u32_e64 s6, 0, v24
	v_cmp_ne_u32_e64 s7, 0, v32
	s_delay_alu instid0(VALU_DEP_4) | instskip(NEXT) | instid1(VALU_DEP_4)
	v_cmp_ne_u32_e64 s8, 0, v33
	v_cmp_ne_u32_e64 s9, 0, v34
	s_bcnt1_i32_b32 s6, s6
	s_bcnt1_i32_b32 s7, s7
	s_wait_alu 0xfffe
	v_add_co_u32 v4, s6, v4, s6
	s_bcnt1_i32_b32 s8, s8
	v_add_co_ci_u32_e64 v5, null, 0, v5, s6
	v_add_co_u32 v6, s6, v6, s7
	s_bcnt1_i32_b32 s9, s9
	v_add_co_ci_u32_e64 v7, null, 0, v7, s6
	s_wait_alu 0xfffe
	v_add_co_u32 v8, s6, v8, s8
	s_wait_alu 0xf1ff
	v_add_co_ci_u32_e64 v9, null, 0, v9, s6
	v_add_co_u32 v10, s6, v10, s9
	s_wait_alu 0xf1ff
	v_add_co_ci_u32_e64 v11, null, 0, v11, s6
	s_or_b32 s12, vcc_lo, s12
	s_wait_alu 0xfffe
	s_and_not1_b32 exec_lo, exec_lo, s12
	s_cbranch_execnz .LBB85_77
; %bb.78:                               ;   in Loop: Header=BB85_15 Depth=1
	s_or_b32 exec_lo, exec_lo, s12
.LBB85_79:                              ;   in Loop: Header=BB85_15 Depth=1
	s_delay_alu instid0(SALU_CYCLE_1)
	s_or_b32 exec_lo, exec_lo, s11
	s_lshl_b32 s6, s91, 7
	s_and_saveexec_b32 s7, s1
	s_cbranch_execnz .LBB85_50
	s_branch .LBB85_51
.LBB85_80:                              ;   in Loop: Header=BB85_15 Depth=1
                                        ; implicit-def: $sgpr6_sgpr7
	s_branch .LBB85_59
.LBB85_81:                              ;   in Loop: Header=BB85_15 Depth=1
	s_mov_b32 s8, 0
	s_and_not1_b32 vcc_lo, exec_lo, s87
	s_wait_alu 0xfffe
	s_cbranch_vccnz .LBB85_84
.LBB85_82:                              ;   in Loop: Header=BB85_15 Depth=1
	s_lshl_b32 s9, s91, 10
	s_lshl_b32 s8, s8, 5
	s_wait_alu 0xfffe
	v_add3_u32 v2, s9, s8, v29
	s_mov_b32 s8, s84
.LBB85_83:                              ;   Parent Loop BB85_15 Depth=1
                                        ; =>  This Inner Loop Header: Depth=2
	ds_load_b64 v[6:7], v2
	v_add_nc_u32_e32 v2, 32, v2
	s_wait_alu 0xfffe
	s_add_co_i32 s8, s8, -1
	s_wait_alu 0xfffe
	s_cmp_lg_u32 s8, 0
	s_wait_dscnt 0x0
	v_add_co_u32 v4, vcc_lo, v6, v4
	s_wait_alu 0xfffd
	v_add_co_ci_u32_e64 v5, null, v7, v5, vcc_lo
	s_cbranch_scc1 .LBB85_83
.LBB85_84:                              ;   in Loop: Header=BB85_15 Depth=1
	v_add_lshl_u32 v2, s6, v25, 3
	ds_store_b64 v2, v[4:5] offset:3072
.LBB85_85:                              ;   in Loop: Header=BB85_15 Depth=1
	s_wait_alu 0xfffe
	s_or_b32 exec_lo, exec_lo, s7
	s_lshl_b32 s6, s6, 3
	s_wait_loadcnt_dscnt 0x0
	s_wait_alu 0xfffe
	v_mov_b32_e32 v2, s6
	s_barrier_signal -1
	s_barrier_wait -1
	global_inv scope:SCOPE_SE
	v_cmp_eq_u64_e32 vcc_lo, 1, v[19:20]
	ds_load_b128 v[4:7], v2 offset:3072
	ds_load_b128 v[8:11], v2 offset:3088
	s_lshl_b32 s16, 3, s88
	s_mov_b32 s18, -1
	s_wait_alu 0xfffe
	s_not_b32 s20, s16
                                        ; implicit-def: $sgpr22
                                        ; implicit-def: $sgpr21
	s_wait_dscnt 0x1
	v_cmp_eq_u64_e64 s6, 1, v[4:5]
	s_wait_dscnt 0x0
	v_readfirstlane_b32 s10, v8
	v_readfirstlane_b32 s11, v9
	;; [unrolled: 1-line block ×4, first 2 shown]
	s_and_b32 s19, s6, vcc_lo
	s_mov_b32 s6, -1
	s_wait_alu 0xfffe
	s_and_saveexec_b32 s17, s19
	s_cbranch_execz .LBB85_117
; %bb.86:                               ;   in Loop: Header=BB85_15 Depth=1
	ds_load_b64 v[8:9], v3 offset:5120
	s_wait_loadcnt_dscnt 0x0
	s_barrier_signal -1
	s_barrier_wait -1
	global_inv scope:SCOPE_SE
	v_readfirstlane_b32 s6, v8
	v_readfirstlane_b32 s7, v9
	s_and_saveexec_b32 s12, s3
; %bb.87:                               ;   in Loop: Header=BB85_15 Depth=1
	ds_store_b8 v0, v3 offset:3072
; %bb.88:                               ;   in Loop: Header=BB85_15 Depth=1
	s_wait_alu 0xfffe
	s_or_b32 exec_lo, exec_lo, s12
	v_and_b32_e32 v28, s20, v28
	v_or_b32_e32 v30, s16, v30
	s_mov_b32 s21, -1
	s_mov_b32 s22, 0
	s_cmp_eq_u64 s[6:7], 0
	s_mov_b32 s14, 0
	s_mov_b32 s15, -1
	s_wait_loadcnt_dscnt 0x0
	s_barrier_signal -1
	s_barrier_wait -1
	global_inv scope:SCOPE_SE
                                        ; implicit-def: $vgpr31
	s_cbranch_scc1 .LBB85_102
; %bb.89:                               ;   in Loop: Header=BB85_15 Depth=1
	s_add_nc_u64 s[12:13], s[6:7], s[60:61]
	s_mov_b32 s14, s59
	s_wait_alu 0xfffe
	s_mov_b32 s15, s13
	s_wait_alu 0xfffe
	s_cmp_lg_u64 s[14:15], 0
	s_cbranch_scc0 .LBB85_143
; %bb.90:                               ;   in Loop: Header=BB85_15 Depth=1
	s_cvt_f32_u32 s14, s54
	s_sub_nc_u64 s[24:25], 0, s[54:55]
	s_wait_alu 0xfffe
	s_delay_alu instid0(SALU_CYCLE_1) | instskip(SKIP_1) | instid1(SALU_CYCLE_2)
	s_fmamk_f32 s14, s90, 0x0, s14
	s_wait_alu 0xfffe
	v_s_rcp_f32 s14, s14
	s_delay_alu instid0(TRANS32_DEP_1) | instskip(SKIP_1) | instid1(SALU_CYCLE_2)
	s_mul_f32 s14, s14, 0x5f7ffffc
	s_wait_alu 0xfffe
	s_mul_f32 s15, s14, 0x2f800000
	s_wait_alu 0xfffe
	s_delay_alu instid0(SALU_CYCLE_2) | instskip(SKIP_1) | instid1(SALU_CYCLE_2)
	s_trunc_f32 s15, s15
	s_wait_alu 0xfffe
	s_fmamk_f32 s14, s15, 0xcf800000, s14
	s_cvt_u32_f32 s15, s15
	s_wait_alu 0xfffe
	s_delay_alu instid0(SALU_CYCLE_1) | instskip(SKIP_1) | instid1(SALU_CYCLE_2)
	s_cvt_u32_f32 s14, s14
	s_wait_alu 0xfffe
	s_mul_u64 s[66:67], s[24:25], s[14:15]
	s_wait_alu 0xfffe
	s_mul_hi_u32 s69, s14, s67
	s_mul_i32 s68, s14, s67
	s_mul_hi_u32 s58, s14, s66
	s_mul_i32 s70, s15, s66
	s_wait_alu 0xfffe
	s_add_nc_u64 s[68:69], s[58:59], s[68:69]
	s_mul_hi_u32 s23, s15, s66
	s_mul_hi_u32 s71, s15, s67
	s_wait_alu 0xfffe
	s_add_co_u32 s58, s68, s70
	s_add_co_ci_u32 s58, s69, s23
	s_mul_i32 s66, s15, s67
	s_add_co_ci_u32 s67, s71, 0
	s_wait_alu 0xfffe
	s_add_nc_u64 s[66:67], s[58:59], s[66:67]
	s_wait_alu 0xfffe
	s_add_co_u32 s14, s14, s66
	s_cselect_b32 s23, -1, 0
	s_wait_alu 0xfffe
	s_cmp_lg_u32 s23, 0
	s_add_co_ci_u32 s15, s15, s67
	s_wait_alu 0xfffe
	s_mul_u64 s[24:25], s[24:25], s[14:15]
	s_wait_alu 0xfffe
	s_mul_hi_u32 s67, s14, s25
	s_mul_i32 s66, s14, s25
	s_mul_hi_u32 s58, s14, s24
	s_mul_i32 s68, s15, s24
	s_wait_alu 0xfffe
	s_add_nc_u64 s[66:67], s[58:59], s[66:67]
	s_mul_hi_u32 s23, s15, s24
	s_mul_hi_u32 s69, s15, s25
	s_mul_i32 s24, s15, s25
	s_wait_alu 0xfffe
	s_add_co_u32 s25, s66, s68
	s_add_co_ci_u32 s58, s67, s23
	s_add_co_ci_u32 s25, s69, 0
	s_wait_alu 0xfffe
	s_add_nc_u64 s[24:25], s[58:59], s[24:25]
	s_wait_alu 0xfffe
	s_add_co_u32 s14, s14, s24
	s_cselect_b32 s23, -1, 0
	s_wait_alu 0xfffe
	s_mul_hi_u32 s58, s12, s14
	s_cmp_lg_u32 s23, 0
	s_mul_hi_u32 s23, s13, s14
	s_add_co_ci_u32 s24, s15, s25
	s_mul_i32 s25, s13, s14
	s_wait_alu 0xfffe
	s_mul_hi_u32 s15, s12, s24
	s_mul_i32 s14, s12, s24
	s_mul_hi_u32 s66, s13, s24
	s_wait_alu 0xfffe
	s_add_nc_u64 s[14:15], s[58:59], s[14:15]
	s_mul_i32 s24, s13, s24
	s_wait_alu 0xfffe
	s_add_co_u32 s14, s14, s25
	s_add_co_ci_u32 s58, s15, s23
	s_add_co_ci_u32 s25, s66, 0
	s_wait_alu 0xfffe
	s_add_nc_u64 s[14:15], s[58:59], s[24:25]
	s_wait_alu 0xfffe
	s_mul_u64 s[14:15], s[54:55], s[14:15]
	s_wait_alu 0xfffe
	s_sub_co_u32 s14, s12, s14
	s_cselect_b32 s23, -1, 0
	s_wait_alu 0xfffe
	s_cmp_lg_u32 s23, 0
	s_sub_co_ci_u32 s15, s13, s15
	s_sub_co_u32 s23, s14, s54
	s_cselect_b32 s24, -1, 0
	s_wait_alu 0xfffe
	s_cmp_lg_u32 s24, 0
	s_sub_co_ci_u32 s24, s15, 0
	;; [unrolled: 5-line block ×3, first 2 shown]
	s_cmp_ge_u32 s23, s54
	s_cselect_b32 s66, -1, 0
	s_cmp_eq_u32 s24, 0
	s_wait_alu 0xfffe
	s_cselect_b32 s66, s66, -1
	s_wait_alu 0xfffe
	s_cmp_lg_u32 s66, 0
	s_cselect_b32 s24, s58, s24
	s_cselect_b32 s23, s25, s23
	s_cmp_ge_u32 s14, s54
	s_cselect_b32 s25, -1, 0
	s_cmp_eq_u32 s15, 0
	s_wait_alu 0xfffe
	s_cselect_b32 s25, s25, -1
	s_wait_alu 0xfffe
	s_cmp_lg_u32 s25, 0
	s_cselect_b32 s15, s24, s15
	s_cselect_b32 s14, s23, s14
	s_cbranch_execnz .LBB85_92
.LBB85_91:                              ;   in Loop: Header=BB85_15 Depth=1
	v_cvt_f32_u32_e32 v2, s54
	s_sub_co_i32 s15, 0, s54
	s_delay_alu instid0(VALU_DEP_1) | instskip(NEXT) | instid1(TRANS32_DEP_1)
	v_rcp_iflag_f32_e32 v2, v2
	v_mul_f32_e32 v2, 0x4f7ffffe, v2
	s_delay_alu instid0(VALU_DEP_1) | instskip(NEXT) | instid1(VALU_DEP_1)
	v_cvt_u32_f32_e32 v2, v2
	v_readfirstlane_b32 s14, v2
	s_wait_alu 0xfffe
	s_mul_i32 s15, s15, s14
	s_wait_alu 0xfffe
	s_mul_hi_u32 s15, s14, s15
	s_wait_alu 0xfffe
	s_add_co_i32 s14, s14, s15
	s_wait_alu 0xfffe
	s_mul_hi_u32 s14, s12, s14
	s_wait_alu 0xfffe
	s_mul_i32 s14, s14, s54
	s_wait_alu 0xfffe
	s_sub_co_i32 s14, s12, s14
	s_wait_alu 0xfffe
	s_sub_co_i32 s15, s14, s54
	s_cmp_ge_u32 s14, s54
	s_wait_alu 0xfffe
	s_cselect_b32 s14, s15, s14
	s_wait_alu 0xfffe
	s_sub_co_i32 s15, s14, s54
	s_cmp_ge_u32 s14, s54
	s_wait_alu 0xfffe
	s_cselect_b32 s58, s15, s14
	s_wait_alu 0xfffe
	s_mov_b64 s[14:15], s[58:59]
.LBB85_92:                              ;   in Loop: Header=BB85_15 Depth=1
	s_wait_alu 0xfffe
	s_sub_nc_u64 s[12:13], s[12:13], s[14:15]
	s_mov_b32 s15, 0
	s_mov_b32 s14, 0
	s_mov_b32 s23, exec_lo
                                        ; implicit-def: $vgpr31
	s_wait_alu 0xfffe
	v_cmpx_gt_u64_e64 s[12:13], v[0:1]
	s_cbranch_execz .LBB85_101
; %bb.93:                               ;   in Loop: Header=BB85_15 Depth=1
	v_dual_mov_b32 v2, v0 :: v_dual_mov_b32 v9, v1
	v_mov_b32_e32 v8, v0
                                        ; implicit-def: $sgpr24
	s_branch .LBB85_96
.LBB85_94:                              ;   in Loop: Header=BB85_96 Depth=2
	s_wait_alu 0xfffe
	s_or_b32 exec_lo, exec_lo, s25
	s_wait_loadcnt_dscnt 0x0
	s_barrier_signal -1
	s_barrier_wait -1
	global_inv scope:SCOPE_SE
	ds_load_u16 v10, v3 offset:3072
	s_mov_b32 s25, -1
	s_mov_b32 s58, -1
	s_wait_loadcnt_dscnt 0x0
	s_barrier_signal -1
	s_barrier_wait -1
	global_inv scope:SCOPE_SE
	v_and_b32_e32 v11, 0xff, v10
	s_delay_alu instid0(VALU_DEP_1)
	v_cmp_ne_u32_e32 vcc_lo, 0, v11
	s_cbranch_vccz .LBB85_99
.LBB85_95:                              ;   in Loop: Header=BB85_96 Depth=2
	s_wait_alu 0xfffe
	s_and_b32 s25, exec_lo, s25
	s_wait_alu 0xfffe
	s_or_b32 s14, s25, s14
	s_and_not1_b32 s24, s24, exec_lo
	s_and_b32 s25, s58, exec_lo
	s_wait_alu 0xfffe
	s_or_b32 s24, s24, s25
	s_and_not1_b32 exec_lo, exec_lo, s14
	s_cbranch_execz .LBB85_100
.LBB85_96:                              ;   Parent Loop BB85_15 Depth=1
                                        ; =>  This Inner Loop Header: Depth=2
	s_mov_b32 s25, exec_lo
	s_delay_alu instid0(VALU_DEP_1)
	v_cmpx_gt_u64_e64 s[6:7], v[8:9]
	s_cbranch_execz .LBB85_94
; %bb.97:                               ;   in Loop: Header=BB85_96 Depth=2
	ds_load_u8 v10, v2
	s_wait_dscnt 0x0
	v_bfe_i32 v11, v10, 0, 8
	s_delay_alu instid0(VALU_DEP_1) | instskip(NEXT) | instid1(VALU_DEP_1)
	v_add_nc_u32_e32 v11, 0x80, v11
	v_and_b32_e32 v11, v11, v30
	s_delay_alu instid0(VALU_DEP_1)
	v_cmp_eq_u32_e32 vcc_lo, v11, v28
	s_and_b32 exec_lo, exec_lo, vcc_lo
	s_cbranch_execz .LBB85_94
; %bb.98:                               ;   in Loop: Header=BB85_96 Depth=2
	v_lshlrev_b16 v10, 8, v10
	s_delay_alu instid0(VALU_DEP_1)
	v_or_b32_e32 v10, 1, v10
	ds_store_b16 v3, v10 offset:3072
	s_branch .LBB85_94
.LBB85_99:                              ;   in Loop: Header=BB85_96 Depth=2
	v_add_co_u32 v8, vcc_lo, v8, s54
	s_wait_alu 0xfffd
	v_add_co_ci_u32_e64 v9, null, 0, v9, vcc_lo
	v_add_nc_u32_e32 v2, s54, v2
	s_mov_b32 s58, 0
	s_delay_alu instid0(VALU_DEP_2)
	v_cmp_le_u64_e32 vcc_lo, s[12:13], v[8:9]
	s_or_not1_b32 s25, vcc_lo, exec_lo
	s_branch .LBB85_95
.LBB85_100:                             ;   in Loop: Header=BB85_15 Depth=1
	s_or_b32 exec_lo, exec_lo, s14
	v_and_b32_e32 v2, 0xffff, v10
	s_wait_alu 0xfffe
	s_and_b32 s14, s24, exec_lo
	s_delay_alu instid0(VALU_DEP_1)
	v_lshrrev_b32_e32 v31, 8, v2
.LBB85_101:                             ;   in Loop: Header=BB85_15 Depth=1
	s_or_b32 exec_lo, exec_lo, s23
.LBB85_102:                             ;   in Loop: Header=BB85_15 Depth=1
	s_wait_alu 0xfffe
	s_and_b32 vcc_lo, exec_lo, s15
	s_wait_alu 0xfffe
	s_cbranch_vccz .LBB85_116
; %bb.103:                              ;   in Loop: Header=BB85_15 Depth=1
	s_mov_b32 s6, s59
	s_mov_b32 s7, s63
	s_wait_alu 0xfffe
	s_cmp_lg_u64 s[6:7], 0
	s_cbranch_scc0 .LBB85_147
; %bb.104:                              ;   in Loop: Header=BB85_15 Depth=1
	s_cvt_f32_u32 s6, s54
	s_sub_nc_u64 s[12:13], 0, s[54:55]
	s_wait_alu 0xfffe
	s_delay_alu instid0(SALU_CYCLE_1) | instskip(SKIP_1) | instid1(SALU_CYCLE_2)
	s_fmamk_f32 s6, s90, 0x0, s6
	s_wait_alu 0xfffe
	v_s_rcp_f32 s6, s6
	s_delay_alu instid0(TRANS32_DEP_1) | instskip(SKIP_1) | instid1(SALU_CYCLE_2)
	s_mul_f32 s6, s6, 0x5f7ffffc
	s_wait_alu 0xfffe
	s_mul_f32 s7, s6, 0x2f800000
	s_wait_alu 0xfffe
	s_delay_alu instid0(SALU_CYCLE_2) | instskip(SKIP_1) | instid1(SALU_CYCLE_2)
	s_trunc_f32 s7, s7
	s_wait_alu 0xfffe
	s_fmamk_f32 s6, s7, 0xcf800000, s6
	s_cvt_u32_f32 s7, s7
	s_wait_alu 0xfffe
	s_delay_alu instid0(SALU_CYCLE_1) | instskip(SKIP_1) | instid1(SALU_CYCLE_2)
	s_cvt_u32_f32 s6, s6
	s_wait_alu 0xfffe
	s_mul_u64 s[22:23], s[12:13], s[6:7]
	s_wait_alu 0xfffe
	s_mul_hi_u32 s25, s6, s23
	s_mul_i32 s24, s6, s23
	s_mul_hi_u32 s58, s6, s22
	s_mul_i32 s21, s7, s22
	s_wait_alu 0xfffe
	s_add_nc_u64 s[24:25], s[58:59], s[24:25]
	s_mul_hi_u32 s15, s7, s22
	s_mul_hi_u32 s66, s7, s23
	s_wait_alu 0xfffe
	s_add_co_u32 s21, s24, s21
	s_add_co_ci_u32 s58, s25, s15
	s_mul_i32 s22, s7, s23
	s_add_co_ci_u32 s23, s66, 0
	s_wait_alu 0xfffe
	s_add_nc_u64 s[22:23], s[58:59], s[22:23]
	s_wait_alu 0xfffe
	s_add_co_u32 s6, s6, s22
	s_cselect_b32 s15, -1, 0
	s_wait_alu 0xfffe
	s_cmp_lg_u32 s15, 0
	s_add_co_ci_u32 s7, s7, s23
	s_wait_alu 0xfffe
	s_mul_u64 s[12:13], s[12:13], s[6:7]
	s_wait_alu 0xfffe
	s_mul_hi_u32 s23, s6, s13
	s_mul_i32 s22, s6, s13
	s_mul_hi_u32 s58, s6, s12
	s_mul_i32 s21, s7, s12
	s_wait_alu 0xfffe
	s_add_nc_u64 s[22:23], s[58:59], s[22:23]
	s_mul_hi_u32 s15, s7, s12
	s_mul_hi_u32 s24, s7, s13
	s_mul_i32 s12, s7, s13
	s_wait_alu 0xfffe
	s_add_co_u32 s13, s22, s21
	s_add_co_ci_u32 s58, s23, s15
	s_add_co_ci_u32 s13, s24, 0
	s_wait_alu 0xfffe
	s_add_nc_u64 s[12:13], s[58:59], s[12:13]
	s_wait_alu 0xfffe
	s_add_co_u32 s6, s6, s12
	s_cselect_b32 s12, -1, 0
	s_wait_alu 0xfffe
	s_mul_hi_u32 s58, s62, s6
	s_cmp_lg_u32 s12, 0
	s_mul_hi_u32 s15, s63, s6
	s_add_co_ci_u32 s12, s7, s13
	s_mul_i32 s13, s63, s6
	s_wait_alu 0xfffe
	s_mul_hi_u32 s7, s62, s12
	s_mul_i32 s6, s62, s12
	s_mul_hi_u32 s21, s63, s12
	s_wait_alu 0xfffe
	s_add_nc_u64 s[6:7], s[58:59], s[6:7]
	s_mul_i32 s12, s63, s12
	s_wait_alu 0xfffe
	s_add_co_u32 s6, s6, s13
	s_add_co_ci_u32 s58, s7, s15
	s_add_co_ci_u32 s13, s21, 0
	s_wait_alu 0xfffe
	s_add_nc_u64 s[6:7], s[58:59], s[12:13]
	s_wait_alu 0xfffe
	s_mul_u64 s[6:7], s[54:55], s[6:7]
	s_wait_alu 0xfffe
	s_sub_co_u32 s6, s62, s6
	s_cselect_b32 s12, -1, 0
	s_wait_alu 0xfffe
	s_cmp_lg_u32 s12, 0
	s_sub_co_ci_u32 s7, s63, s7
	s_sub_co_u32 s12, s6, s54
	s_cselect_b32 s13, -1, 0
	s_wait_alu 0xfffe
	s_cmp_lg_u32 s13, 0
	s_sub_co_ci_u32 s13, s7, 0
	;; [unrolled: 5-line block ×3, first 2 shown]
	s_cmp_ge_u32 s12, s54
	s_cselect_b32 s22, -1, 0
	s_cmp_eq_u32 s13, 0
	s_wait_alu 0xfffe
	s_cselect_b32 s22, s22, -1
	s_wait_alu 0xfffe
	s_cmp_lg_u32 s22, 0
	s_cselect_b32 s13, s21, s13
	s_cselect_b32 s12, s15, s12
	s_cmp_ge_u32 s6, s54
	s_cselect_b32 s15, -1, 0
	s_cmp_eq_u32 s7, 0
	s_wait_alu 0xfffe
	s_cselect_b32 s15, s15, -1
	s_wait_alu 0xfffe
	s_cmp_lg_u32 s15, 0
	s_cselect_b32 s7, s13, s7
	s_cselect_b32 s6, s12, s6
	s_cbranch_execnz .LBB85_106
.LBB85_105:                             ;   in Loop: Header=BB85_15 Depth=1
	v_cvt_f32_u32_e32 v2, s54
	s_sub_co_i32 s7, 0, s54
	s_delay_alu instid0(VALU_DEP_1) | instskip(NEXT) | instid1(TRANS32_DEP_1)
	v_rcp_iflag_f32_e32 v2, v2
	v_mul_f32_e32 v2, 0x4f7ffffe, v2
	s_delay_alu instid0(VALU_DEP_1) | instskip(NEXT) | instid1(VALU_DEP_1)
	v_cvt_u32_f32_e32 v2, v2
	v_readfirstlane_b32 s6, v2
	s_wait_alu 0xfffe
	s_mul_i32 s7, s7, s6
	s_wait_alu 0xfffe
	s_mul_hi_u32 s7, s6, s7
	s_wait_alu 0xfffe
	s_add_co_i32 s6, s6, s7
	s_wait_alu 0xfffe
	s_mul_hi_u32 s6, s62, s6
	s_wait_alu 0xfffe
	s_mul_i32 s6, s6, s54
	s_wait_alu 0xfffe
	s_sub_co_i32 s6, s62, s6
	s_wait_alu 0xfffe
	s_sub_co_i32 s7, s6, s54
	s_cmp_ge_u32 s6, s54
	s_wait_alu 0xfffe
	s_cselect_b32 s6, s7, s6
	s_wait_alu 0xfffe
	s_sub_co_i32 s7, s6, s54
	s_cmp_ge_u32 s6, s54
	s_wait_alu 0xfffe
	s_cselect_b32 s58, s7, s6
	s_wait_alu 0xfffe
	s_mov_b64 s[6:7], s[58:59]
.LBB85_106:                             ;   in Loop: Header=BB85_15 Depth=1
	s_wait_alu 0xfffe
	s_sub_nc_u64 s[6:7], s[62:63], s[6:7]
	s_mov_b32 s12, exec_lo
                                        ; implicit-def: $vgpr31
	s_wait_alu 0xfffe
	v_cmpx_gt_u64_e64 s[6:7], v[0:1]
	s_cbranch_execz .LBB85_115
; %bb.107:                              ;   in Loop: Header=BB85_15 Depth=1
	v_dual_mov_b32 v9, v1 :: v_dual_mov_b32 v8, v0
	s_mov_b32 s15, 0
                                        ; implicit-def: $sgpr13
	s_branch .LBB85_110
.LBB85_108:                             ;   in Loop: Header=BB85_110 Depth=2
	s_wait_alu 0xfffe
	s_or_b32 exec_lo, exec_lo, s21
	s_wait_loadcnt_dscnt 0x0
	s_barrier_signal -1
	s_barrier_wait -1
	global_inv scope:SCOPE_SE
	ds_load_u16 v2, v3 offset:3072
	s_mov_b32 s22, -1
	s_mov_b32 s21, -1
	s_wait_loadcnt_dscnt 0x0
	s_barrier_signal -1
	s_barrier_wait -1
	global_inv scope:SCOPE_SE
	v_and_b32_e32 v10, 0xff, v2
	s_delay_alu instid0(VALU_DEP_1)
	v_cmp_ne_u32_e32 vcc_lo, 0, v10
	s_cbranch_vccz .LBB85_113
.LBB85_109:                             ;   in Loop: Header=BB85_110 Depth=2
	s_wait_alu 0xfffe
	s_and_b32 s22, exec_lo, s22
	s_wait_alu 0xfffe
	s_or_b32 s15, s22, s15
	s_and_not1_b32 s13, s13, exec_lo
	s_and_b32 s21, s21, exec_lo
	s_wait_alu 0xfffe
	s_or_b32 s13, s13, s21
	s_and_not1_b32 exec_lo, exec_lo, s15
	s_cbranch_execz .LBB85_114
.LBB85_110:                             ;   Parent Loop BB85_15 Depth=1
                                        ; =>  This Inner Loop Header: Depth=2
	s_mov_b32 s21, exec_lo
	s_delay_alu instid0(VALU_DEP_1)
	v_cmpx_gt_u64_e64 s[28:29], v[8:9]
	s_cbranch_execz .LBB85_108
; %bb.111:                              ;   in Loop: Header=BB85_110 Depth=2
	v_mad_co_u64_u32 v[10:11], null, v8, s44, s[52:53]
	v_mul_lo_u32 v2, v8, s45
	v_mul_lo_u32 v21, v9, s44
	s_delay_alu instid0(VALU_DEP_1) | instskip(SKIP_3) | instid1(VALU_DEP_1)
	v_add3_u32 v11, v21, v11, v2
	global_load_u8 v2, v[10:11], off
	s_wait_loadcnt 0x0
	v_bfe_i32 v10, v2, 0, 8
	v_add_nc_u32_e32 v10, 0x80, v10
	s_delay_alu instid0(VALU_DEP_1) | instskip(NEXT) | instid1(VALU_DEP_1)
	v_and_b32_e32 v10, v10, v30
	v_cmp_eq_u32_e32 vcc_lo, v10, v28
	s_and_b32 exec_lo, exec_lo, vcc_lo
	s_cbranch_execz .LBB85_108
; %bb.112:                              ;   in Loop: Header=BB85_110 Depth=2
	v_lshlrev_b16 v2, 8, v2
	s_delay_alu instid0(VALU_DEP_1)
	v_or_b32_e32 v2, 1, v2
	ds_store_b16 v3, v2 offset:3072
	s_branch .LBB85_108
.LBB85_113:                             ;   in Loop: Header=BB85_110 Depth=2
	v_add_co_u32 v8, vcc_lo, v8, s54
	s_wait_alu 0xfffd
	v_add_co_ci_u32_e64 v9, null, 0, v9, vcc_lo
	s_mov_b32 s21, 0
	v_cmp_le_u64_e32 vcc_lo, s[6:7], v[8:9]
	s_or_not1_b32 s22, vcc_lo, exec_lo
	s_branch .LBB85_109
.LBB85_114:                             ;   in Loop: Header=BB85_15 Depth=1
	s_or_b32 exec_lo, exec_lo, s15
	v_and_b32_e32 v2, 0xffff, v2
	s_and_not1_b32 s6, s14, exec_lo
	s_wait_alu 0xfffe
	s_and_b32 s7, s13, exec_lo
	s_wait_alu 0xfffe
	s_or_b32 s14, s6, s7
	v_lshrrev_b32_e32 v31, 8, v2
.LBB85_115:                             ;   in Loop: Header=BB85_15 Depth=1
	s_or_b32 exec_lo, exec_lo, s12
	s_mov_b32 s21, 0
	s_mov_b32 s22, -1
.LBB85_116:                             ;   in Loop: Header=BB85_15 Depth=1
	s_wait_alu 0xfffe
	s_or_not1_b32 s6, s14, exec_lo
.LBB85_117:                             ;   in Loop: Header=BB85_15 Depth=1
	s_wait_alu 0xfffe
	s_or_b32 exec_lo, exec_lo, s17
	s_delay_alu instid0(SALU_CYCLE_1)
	s_and_not1_b32 s7, s96, exec_lo
	s_and_b32 s12, s22, exec_lo
	s_and_not1_b32 s13, s94, exec_lo
	s_and_b32 s14, s21, exec_lo
	s_and_not1_b32 s93, s93, exec_lo
	s_wait_alu 0xfffe
	s_or_b32 s96, s7, s12
	s_or_b32 s94, s13, s14
                                        ; implicit-def: $vgpr8_vgpr9
	s_and_saveexec_b32 s17, s6
	s_cbranch_execz .LBB85_14
; %bb.118:                              ;   in Loop: Header=BB85_15 Depth=1
	v_mov_b32_e32 v8, 1
	v_dual_mov_b32 v9, 0 :: v_dual_mov_b32 v2, 1
	s_xor_b32 s12, s19, -1
	s_mov_b32 s7, 0
	s_wait_alu 0xfffe
	s_and_saveexec_b32 s6, s12
	s_cbranch_execz .LBB85_127
; %bb.119:                              ;   in Loop: Header=BB85_15 Depth=1
	s_mov_b32 s7, exec_lo
	v_cmpx_le_u64_e64 v[19:20], v[4:5]
	s_wait_alu 0xfffe
	s_xor_b32 s7, exec_lo, s7
	s_cbranch_execz .LBB85_124
; %bb.120:                              ;   in Loop: Header=BB85_15 Depth=1
	ds_load_b64 v[8:9], v3 offset:5120
	v_and_b32_e32 v28, s20, v28
	v_or_b32_e32 v30, s16, v30
	s_wait_dscnt 0x0
	v_cmp_ne_u64_e32 vcc_lo, 0, v[8:9]
	s_cbranch_vccnz .LBB85_124
; %bb.121:                              ;   in Loop: Header=BB85_15 Depth=1
	s_and_saveexec_b32 s12, s2
; %bb.122:                              ;   in Loop: Header=BB85_15 Depth=1
	ds_store_b64 v3, v[4:5] offset:5128
; %bb.123:                              ;   in Loop: Header=BB85_15 Depth=1
	s_wait_alu 0xfffe
	s_or_b32 exec_lo, exec_lo, s12
	s_wait_loadcnt_dscnt 0x0
	s_barrier_signal -1
	s_barrier_wait -1
	global_inv scope:SCOPE_SE
.LBB85_124:                             ;   in Loop: Header=BB85_15 Depth=1
	s_wait_alu 0xfffe
	s_or_saveexec_b32 s7, s7
	v_mov_b32_e32 v2, 8
	s_mov_b32 s12, 0
	s_wait_alu 0xfffe
	s_xor_b32 exec_lo, exec_lo, s7
; %bb.125:                              ;   in Loop: Header=BB85_15 Depth=1
	v_sub_co_u32 v19, vcc_lo, v19, v4
	s_wait_alu 0xfffd
	v_sub_co_ci_u32_e64 v20, null, v20, v5, vcc_lo
	v_mov_b32_e32 v2, 0
	s_mov_b32 s12, exec_lo
; %bb.126:                              ;   in Loop: Header=BB85_15 Depth=1
	s_or_b32 exec_lo, exec_lo, s7
	s_delay_alu instid0(VALU_DEP_2)
	v_dual_mov_b32 v8, v19 :: v_dual_mov_b32 v9, v20
	s_wait_alu 0xfffe
	s_and_b32 s7, s12, exec_lo
.LBB85_127:                             ;   in Loop: Header=BB85_15 Depth=1
	s_wait_alu 0xfffe
	s_or_b32 exec_lo, exec_lo, s6
	s_mov_b32 s18, -1
	s_mov_b32 s6, -1
                                        ; implicit-def: $sgpr21
                                        ; implicit-def: $sgpr22
	s_and_saveexec_b32 s12, s7
	s_wait_alu 0xfffe
	s_xor_b32 s19, exec_lo, s12
	s_cbranch_execz .LBB85_272
; %bb.128:                              ;   in Loop: Header=BB85_15 Depth=1
	v_cmp_eq_u64_e32 vcc_lo, 1, v[6:7]
	v_cmp_eq_u64_e64 s6, 1, v[8:9]
                                        ; implicit-def: $sgpr22
                                        ; implicit-def: $sgpr21
	s_and_b32 s24, vcc_lo, s6
	s_mov_b32 s6, -1
	s_wait_alu 0xfffe
	s_and_saveexec_b32 s23, s24
	s_cbranch_execz .LBB85_165
; %bb.129:                              ;   in Loop: Header=BB85_15 Depth=1
	ds_load_b64 v[4:5], v3 offset:5120
	s_wait_loadcnt_dscnt 0x0
	s_barrier_signal -1
	s_barrier_wait -1
	global_inv scope:SCOPE_SE
	v_readfirstlane_b32 s6, v4
	v_readfirstlane_b32 s7, v5
	s_and_saveexec_b32 s12, s3
; %bb.130:                              ;   in Loop: Header=BB85_15 Depth=1
	ds_store_b8 v0, v3 offset:3072
; %bb.131:                              ;   in Loop: Header=BB85_15 Depth=1
	s_wait_alu 0xfffe
	s_or_b32 exec_lo, exec_lo, s12
	s_lshl_b32 s12, 1, s88
	v_or_b32_e32 v30, s16, v30
	s_wait_alu 0xfffe
	v_and_or_b32 v28, v28, s20, s12
	s_mov_b32 s21, -1
	s_mov_b32 s22, 0
	s_cmp_eq_u64 s[6:7], 0
	s_mov_b32 s14, 0
	s_mov_b32 s15, -1
	s_wait_loadcnt_dscnt 0x0
	s_barrier_signal -1
	s_barrier_wait -1
	global_inv scope:SCOPE_SE
                                        ; implicit-def: $vgpr31
	s_cbranch_scc1 .LBB85_150
; %bb.132:                              ;   in Loop: Header=BB85_15 Depth=1
	s_add_nc_u64 s[12:13], s[6:7], s[60:61]
	s_mov_b32 s14, s59
	s_wait_alu 0xfffe
	s_mov_b32 s15, s13
	s_wait_alu 0xfffe
	s_cmp_lg_u64 s[14:15], 0
	s_cbranch_scc0 .LBB85_192
; %bb.133:                              ;   in Loop: Header=BB85_15 Depth=1
	s_cvt_f32_u32 s14, s54
	s_sub_nc_u64 s[66:67], 0, s[54:55]
	s_wait_alu 0xfffe
	s_delay_alu instid0(SALU_CYCLE_1) | instskip(SKIP_1) | instid1(SALU_CYCLE_2)
	s_fmamk_f32 s14, s90, 0x0, s14
	s_wait_alu 0xfffe
	v_s_rcp_f32 s14, s14
	s_delay_alu instid0(TRANS32_DEP_1) | instskip(SKIP_1) | instid1(SALU_CYCLE_2)
	s_mul_f32 s14, s14, 0x5f7ffffc
	s_wait_alu 0xfffe
	s_mul_f32 s15, s14, 0x2f800000
	s_wait_alu 0xfffe
	s_delay_alu instid0(SALU_CYCLE_2) | instskip(SKIP_1) | instid1(SALU_CYCLE_2)
	s_trunc_f32 s15, s15
	s_wait_alu 0xfffe
	s_fmamk_f32 s14, s15, 0xcf800000, s14
	s_cvt_u32_f32 s15, s15
	s_wait_alu 0xfffe
	s_delay_alu instid0(SALU_CYCLE_1) | instskip(SKIP_1) | instid1(SALU_CYCLE_2)
	s_cvt_u32_f32 s14, s14
	s_wait_alu 0xfffe
	s_mul_u64 s[68:69], s[66:67], s[14:15]
	s_wait_alu 0xfffe
	s_mul_hi_u32 s71, s14, s69
	s_mul_i32 s70, s14, s69
	s_mul_hi_u32 s58, s14, s68
	s_mul_i32 s72, s15, s68
	s_wait_alu 0xfffe
	s_add_nc_u64 s[70:71], s[58:59], s[70:71]
	s_mul_hi_u32 s25, s15, s68
	s_mul_hi_u32 s73, s15, s69
	s_wait_alu 0xfffe
	s_add_co_u32 s58, s70, s72
	s_add_co_ci_u32 s58, s71, s25
	s_mul_i32 s68, s15, s69
	s_add_co_ci_u32 s69, s73, 0
	s_wait_alu 0xfffe
	s_add_nc_u64 s[68:69], s[58:59], s[68:69]
	s_wait_alu 0xfffe
	s_add_co_u32 s14, s14, s68
	s_cselect_b32 s25, -1, 0
	s_wait_alu 0xfffe
	s_cmp_lg_u32 s25, 0
	s_add_co_ci_u32 s15, s15, s69
	s_wait_alu 0xfffe
	s_mul_u64 s[66:67], s[66:67], s[14:15]
	s_wait_alu 0xfffe
	s_mul_hi_u32 s69, s14, s67
	s_mul_i32 s68, s14, s67
	s_mul_hi_u32 s58, s14, s66
	s_mul_i32 s70, s15, s66
	s_wait_alu 0xfffe
	s_add_nc_u64 s[68:69], s[58:59], s[68:69]
	s_mul_hi_u32 s25, s15, s66
	s_mul_hi_u32 s71, s15, s67
	s_wait_alu 0xfffe
	s_add_co_u32 s58, s68, s70
	s_add_co_ci_u32 s58, s69, s25
	s_mul_i32 s66, s15, s67
	s_add_co_ci_u32 s67, s71, 0
	s_wait_alu 0xfffe
	s_add_nc_u64 s[66:67], s[58:59], s[66:67]
	s_wait_alu 0xfffe
	s_add_co_u32 s14, s14, s66
	s_cselect_b32 s25, -1, 0
	s_wait_alu 0xfffe
	s_mul_hi_u32 s58, s12, s14
	s_cmp_lg_u32 s25, 0
	s_mul_hi_u32 s25, s13, s14
	s_add_co_ci_u32 s66, s15, s67
	s_mul_i32 s67, s13, s14
	s_wait_alu 0xfffe
	s_mul_hi_u32 s15, s12, s66
	s_mul_i32 s14, s12, s66
	s_mul_hi_u32 s68, s13, s66
	s_wait_alu 0xfffe
	s_add_nc_u64 s[14:15], s[58:59], s[14:15]
	s_mul_i32 s66, s13, s66
	s_wait_alu 0xfffe
	s_add_co_u32 s14, s14, s67
	s_add_co_ci_u32 s58, s15, s25
	s_add_co_ci_u32 s67, s68, 0
	s_wait_alu 0xfffe
	s_add_nc_u64 s[14:15], s[58:59], s[66:67]
	s_wait_alu 0xfffe
	s_mul_u64 s[14:15], s[54:55], s[14:15]
	s_wait_alu 0xfffe
	s_sub_co_u32 s14, s12, s14
	s_cselect_b32 s25, -1, 0
	s_wait_alu 0xfffe
	s_cmp_lg_u32 s25, 0
	s_sub_co_ci_u32 s15, s13, s15
	s_sub_co_u32 s25, s14, s54
	s_cselect_b32 s58, -1, 0
	s_wait_alu 0xfffe
	s_cmp_lg_u32 s58, 0
	s_sub_co_ci_u32 s58, s15, 0
	;; [unrolled: 5-line block ×3, first 2 shown]
	s_cmp_ge_u32 s25, s54
	s_cselect_b32 s68, -1, 0
	s_cmp_eq_u32 s58, 0
	s_wait_alu 0xfffe
	s_cselect_b32 s68, s68, -1
	s_wait_alu 0xfffe
	s_cmp_lg_u32 s68, 0
	s_cselect_b32 s58, s67, s58
	s_cselect_b32 s25, s66, s25
	s_cmp_ge_u32 s14, s54
	s_cselect_b32 s66, -1, 0
	s_cmp_eq_u32 s15, 0
	s_wait_alu 0xfffe
	s_cselect_b32 s66, s66, -1
	s_wait_alu 0xfffe
	s_cmp_lg_u32 s66, 0
	s_cselect_b32 s15, s58, s15
	s_cselect_b32 s14, s25, s14
	s_cbranch_execnz .LBB85_135
.LBB85_134:                             ;   in Loop: Header=BB85_15 Depth=1
	v_cvt_f32_u32_e32 v4, s54
	s_sub_co_i32 s15, 0, s54
	s_delay_alu instid0(VALU_DEP_1) | instskip(NEXT) | instid1(TRANS32_DEP_1)
	v_rcp_iflag_f32_e32 v4, v4
	v_mul_f32_e32 v4, 0x4f7ffffe, v4
	s_delay_alu instid0(VALU_DEP_1) | instskip(NEXT) | instid1(VALU_DEP_1)
	v_cvt_u32_f32_e32 v4, v4
	v_readfirstlane_b32 s14, v4
	s_wait_alu 0xfffe
	s_mul_i32 s15, s15, s14
	s_wait_alu 0xfffe
	s_mul_hi_u32 s15, s14, s15
	s_wait_alu 0xfffe
	s_add_co_i32 s14, s14, s15
	s_wait_alu 0xfffe
	s_mul_hi_u32 s14, s12, s14
	s_wait_alu 0xfffe
	s_mul_i32 s14, s14, s54
	s_wait_alu 0xfffe
	s_sub_co_i32 s14, s12, s14
	s_wait_alu 0xfffe
	s_sub_co_i32 s15, s14, s54
	s_cmp_ge_u32 s14, s54
	s_wait_alu 0xfffe
	s_cselect_b32 s14, s15, s14
	s_wait_alu 0xfffe
	s_sub_co_i32 s15, s14, s54
	s_cmp_ge_u32 s14, s54
	s_wait_alu 0xfffe
	s_cselect_b32 s58, s15, s14
	s_wait_alu 0xfffe
	s_mov_b64 s[14:15], s[58:59]
.LBB85_135:                             ;   in Loop: Header=BB85_15 Depth=1
	s_wait_alu 0xfffe
	s_sub_nc_u64 s[12:13], s[12:13], s[14:15]
	s_mov_b32 s15, 0
	s_mov_b32 s14, 0
	s_mov_b32 s25, exec_lo
                                        ; implicit-def: $vgpr31
	s_wait_alu 0xfffe
	v_cmpx_gt_u64_e64 s[12:13], v[0:1]
	s_cbranch_execz .LBB85_149
; %bb.136:                              ;   in Loop: Header=BB85_15 Depth=1
	v_dual_mov_b32 v10, v0 :: v_dual_mov_b32 v5, v1
	v_mov_b32_e32 v4, v0
                                        ; implicit-def: $sgpr58
	s_branch .LBB85_139
.LBB85_137:                             ;   in Loop: Header=BB85_139 Depth=2
	s_wait_alu 0xfffe
	s_or_b32 exec_lo, exec_lo, s66
	s_wait_loadcnt_dscnt 0x0
	s_barrier_signal -1
	s_barrier_wait -1
	global_inv scope:SCOPE_SE
	ds_load_u16 v11, v3 offset:3072
	s_mov_b32 s66, -1
	s_mov_b32 s67, -1
	s_wait_loadcnt_dscnt 0x0
	s_barrier_signal -1
	s_barrier_wait -1
	global_inv scope:SCOPE_SE
	v_and_b32_e32 v19, 0xff, v11
	s_delay_alu instid0(VALU_DEP_1)
	v_cmp_ne_u32_e32 vcc_lo, 0, v19
	s_cbranch_vccz .LBB85_142
.LBB85_138:                             ;   in Loop: Header=BB85_139 Depth=2
	s_wait_alu 0xfffe
	s_and_b32 s66, exec_lo, s66
	s_wait_alu 0xfffe
	s_or_b32 s14, s66, s14
	s_and_not1_b32 s58, s58, exec_lo
	s_and_b32 s66, s67, exec_lo
	s_wait_alu 0xfffe
	s_or_b32 s58, s58, s66
	s_and_not1_b32 exec_lo, exec_lo, s14
	s_cbranch_execz .LBB85_148
.LBB85_139:                             ;   Parent Loop BB85_15 Depth=1
                                        ; =>  This Inner Loop Header: Depth=2
	s_mov_b32 s66, exec_lo
	s_delay_alu instid0(VALU_DEP_1)
	v_cmpx_gt_u64_e64 s[6:7], v[4:5]
	s_cbranch_execz .LBB85_137
; %bb.140:                              ;   in Loop: Header=BB85_139 Depth=2
	ds_load_u8 v11, v10
	s_wait_dscnt 0x0
	v_bfe_i32 v19, v11, 0, 8
	s_delay_alu instid0(VALU_DEP_1) | instskip(NEXT) | instid1(VALU_DEP_1)
	v_add_nc_u32_e32 v19, 0x80, v19
	v_and_b32_e32 v19, v19, v30
	s_delay_alu instid0(VALU_DEP_1)
	v_cmp_eq_u32_e32 vcc_lo, v19, v28
	s_and_b32 exec_lo, exec_lo, vcc_lo
	s_cbranch_execz .LBB85_137
; %bb.141:                              ;   in Loop: Header=BB85_139 Depth=2
	v_lshlrev_b16 v11, 8, v11
	s_delay_alu instid0(VALU_DEP_1)
	v_or_b32_e32 v11, 1, v11
	ds_store_b16 v3, v11 offset:3072
	s_branch .LBB85_137
.LBB85_142:                             ;   in Loop: Header=BB85_139 Depth=2
	v_add_co_u32 v4, vcc_lo, v4, s54
	s_wait_alu 0xfffd
	v_add_co_ci_u32_e64 v5, null, 0, v5, vcc_lo
	v_add_nc_u32_e32 v10, s54, v10
	s_mov_b32 s67, 0
	s_delay_alu instid0(VALU_DEP_2)
	v_cmp_le_u64_e32 vcc_lo, s[12:13], v[4:5]
	s_or_not1_b32 s66, vcc_lo, exec_lo
	s_branch .LBB85_138
.LBB85_143:                             ;   in Loop: Header=BB85_15 Depth=1
                                        ; implicit-def: $sgpr14_sgpr15
	s_branch .LBB85_91
.LBB85_144:                             ;   in Loop: Header=BB85_15 Depth=1
	s_or_b32 exec_lo, exec_lo, s9
	s_wait_dscnt 0x0
	s_barrier_signal -1
	s_barrier_wait -1
	global_inv scope:SCOPE_SE
	s_and_saveexec_b32 s6, s2
	s_cbranch_execz .LBB85_146
; %bb.145:                              ;   in Loop: Header=BB85_15 Depth=1
	ds_load_b32 v4, v3 offset:5144
	s_wait_dscnt 0x0
	v_ashrrev_i32_e32 v5, 31, v4
	ds_store_b64 v3, v[4:5] offset:5120
.LBB85_146:                             ;   in Loop: Header=BB85_15 Depth=1
	s_wait_alu 0xfffe
	s_or_b32 exec_lo, exec_lo, s6
	s_wait_loadcnt_dscnt 0x0
	s_barrier_signal -1
	s_mov_b32 s6, -1
	s_barrier_wait -1
	s_and_b32 vcc_lo, exec_lo, s8
	s_wait_alu 0xfffe
	s_cbranch_vccnz .LBB85_30
	s_branch .LBB85_45
.LBB85_147:                             ;   in Loop: Header=BB85_15 Depth=1
                                        ; implicit-def: $sgpr6_sgpr7
	s_branch .LBB85_105
.LBB85_148:                             ;   in Loop: Header=BB85_15 Depth=1
	s_or_b32 exec_lo, exec_lo, s14
	v_and_b32_e32 v4, 0xffff, v11
	s_wait_alu 0xfffe
	s_and_b32 s14, s58, exec_lo
	s_delay_alu instid0(VALU_DEP_1)
	v_lshrrev_b32_e32 v31, 8, v4
.LBB85_149:                             ;   in Loop: Header=BB85_15 Depth=1
	s_or_b32 exec_lo, exec_lo, s25
.LBB85_150:                             ;   in Loop: Header=BB85_15 Depth=1
	s_wait_alu 0xfffe
	s_and_b32 vcc_lo, exec_lo, s15
	s_wait_alu 0xfffe
	s_cbranch_vccz .LBB85_164
; %bb.151:                              ;   in Loop: Header=BB85_15 Depth=1
	s_mov_b32 s6, s59
	s_mov_b32 s7, s63
	s_wait_alu 0xfffe
	s_cmp_lg_u64 s[6:7], 0
	s_cbranch_scc0 .LBB85_193
; %bb.152:                              ;   in Loop: Header=BB85_15 Depth=1
	s_cvt_f32_u32 s6, s54
	s_sub_nc_u64 s[12:13], 0, s[54:55]
	s_wait_alu 0xfffe
	s_delay_alu instid0(SALU_CYCLE_1) | instskip(SKIP_1) | instid1(SALU_CYCLE_2)
	s_fmamk_f32 s6, s90, 0x0, s6
	s_wait_alu 0xfffe
	v_s_rcp_f32 s6, s6
	s_delay_alu instid0(TRANS32_DEP_1) | instskip(SKIP_1) | instid1(SALU_CYCLE_2)
	s_mul_f32 s6, s6, 0x5f7ffffc
	s_wait_alu 0xfffe
	s_mul_f32 s7, s6, 0x2f800000
	s_wait_alu 0xfffe
	s_delay_alu instid0(SALU_CYCLE_2) | instskip(SKIP_1) | instid1(SALU_CYCLE_2)
	s_trunc_f32 s7, s7
	s_wait_alu 0xfffe
	s_fmamk_f32 s6, s7, 0xcf800000, s6
	s_cvt_u32_f32 s7, s7
	s_wait_alu 0xfffe
	s_delay_alu instid0(SALU_CYCLE_1) | instskip(SKIP_1) | instid1(SALU_CYCLE_2)
	s_cvt_u32_f32 s6, s6
	s_wait_alu 0xfffe
	s_mul_u64 s[66:67], s[12:13], s[6:7]
	s_wait_alu 0xfffe
	s_mul_hi_u32 s69, s6, s67
	s_mul_i32 s68, s6, s67
	s_mul_hi_u32 s58, s6, s66
	s_mul_i32 s21, s7, s66
	s_wait_alu 0xfffe
	s_add_nc_u64 s[68:69], s[58:59], s[68:69]
	s_mul_hi_u32 s15, s7, s66
	s_mul_hi_u32 s22, s7, s67
	s_wait_alu 0xfffe
	s_add_co_u32 s21, s68, s21
	s_add_co_ci_u32 s58, s69, s15
	s_mul_i32 s66, s7, s67
	s_add_co_ci_u32 s67, s22, 0
	s_wait_alu 0xfffe
	s_add_nc_u64 s[66:67], s[58:59], s[66:67]
	s_wait_alu 0xfffe
	s_add_co_u32 s6, s6, s66
	s_cselect_b32 s15, -1, 0
	s_wait_alu 0xfffe
	s_cmp_lg_u32 s15, 0
	s_add_co_ci_u32 s7, s7, s67
	s_wait_alu 0xfffe
	s_mul_u64 s[12:13], s[12:13], s[6:7]
	s_wait_alu 0xfffe
	s_mul_hi_u32 s67, s6, s13
	s_mul_i32 s66, s6, s13
	s_mul_hi_u32 s58, s6, s12
	s_mul_i32 s21, s7, s12
	s_wait_alu 0xfffe
	s_add_nc_u64 s[66:67], s[58:59], s[66:67]
	s_mul_hi_u32 s15, s7, s12
	s_mul_hi_u32 s22, s7, s13
	s_mul_i32 s12, s7, s13
	s_wait_alu 0xfffe
	s_add_co_u32 s13, s66, s21
	s_add_co_ci_u32 s58, s67, s15
	s_add_co_ci_u32 s13, s22, 0
	s_wait_alu 0xfffe
	s_add_nc_u64 s[12:13], s[58:59], s[12:13]
	s_wait_alu 0xfffe
	s_add_co_u32 s6, s6, s12
	s_cselect_b32 s12, -1, 0
	s_wait_alu 0xfffe
	s_mul_hi_u32 s58, s62, s6
	s_cmp_lg_u32 s12, 0
	s_mul_hi_u32 s15, s63, s6
	s_add_co_ci_u32 s12, s7, s13
	s_mul_i32 s13, s63, s6
	s_wait_alu 0xfffe
	s_mul_hi_u32 s7, s62, s12
	s_mul_i32 s6, s62, s12
	s_mul_hi_u32 s21, s63, s12
	s_wait_alu 0xfffe
	s_add_nc_u64 s[6:7], s[58:59], s[6:7]
	s_mul_i32 s12, s63, s12
	s_wait_alu 0xfffe
	s_add_co_u32 s6, s6, s13
	s_add_co_ci_u32 s58, s7, s15
	s_add_co_ci_u32 s13, s21, 0
	s_wait_alu 0xfffe
	s_add_nc_u64 s[6:7], s[58:59], s[12:13]
	s_wait_alu 0xfffe
	s_mul_u64 s[6:7], s[54:55], s[6:7]
	s_wait_alu 0xfffe
	s_sub_co_u32 s6, s62, s6
	s_cselect_b32 s12, -1, 0
	s_wait_alu 0xfffe
	s_cmp_lg_u32 s12, 0
	s_sub_co_ci_u32 s7, s63, s7
	s_sub_co_u32 s12, s6, s54
	s_cselect_b32 s13, -1, 0
	s_wait_alu 0xfffe
	s_cmp_lg_u32 s13, 0
	s_sub_co_ci_u32 s13, s7, 0
	;; [unrolled: 5-line block ×3, first 2 shown]
	s_cmp_ge_u32 s12, s54
	s_cselect_b32 s22, -1, 0
	s_cmp_eq_u32 s13, 0
	s_wait_alu 0xfffe
	s_cselect_b32 s22, s22, -1
	s_wait_alu 0xfffe
	s_cmp_lg_u32 s22, 0
	s_cselect_b32 s13, s21, s13
	s_cselect_b32 s12, s15, s12
	s_cmp_ge_u32 s6, s54
	s_cselect_b32 s15, -1, 0
	s_cmp_eq_u32 s7, 0
	s_wait_alu 0xfffe
	s_cselect_b32 s15, s15, -1
	s_wait_alu 0xfffe
	s_cmp_lg_u32 s15, 0
	s_cselect_b32 s7, s13, s7
	s_cselect_b32 s6, s12, s6
	s_cbranch_execnz .LBB85_154
.LBB85_153:                             ;   in Loop: Header=BB85_15 Depth=1
	v_cvt_f32_u32_e32 v4, s54
	s_sub_co_i32 s7, 0, s54
	s_delay_alu instid0(VALU_DEP_1) | instskip(NEXT) | instid1(TRANS32_DEP_1)
	v_rcp_iflag_f32_e32 v4, v4
	v_mul_f32_e32 v4, 0x4f7ffffe, v4
	s_delay_alu instid0(VALU_DEP_1) | instskip(NEXT) | instid1(VALU_DEP_1)
	v_cvt_u32_f32_e32 v4, v4
	v_readfirstlane_b32 s6, v4
	s_wait_alu 0xfffe
	s_mul_i32 s7, s7, s6
	s_wait_alu 0xfffe
	s_mul_hi_u32 s7, s6, s7
	s_wait_alu 0xfffe
	s_add_co_i32 s6, s6, s7
	s_wait_alu 0xfffe
	s_mul_hi_u32 s6, s62, s6
	s_wait_alu 0xfffe
	s_mul_i32 s6, s6, s54
	s_wait_alu 0xfffe
	s_sub_co_i32 s6, s62, s6
	s_wait_alu 0xfffe
	s_sub_co_i32 s7, s6, s54
	s_cmp_ge_u32 s6, s54
	s_wait_alu 0xfffe
	s_cselect_b32 s6, s7, s6
	s_wait_alu 0xfffe
	s_sub_co_i32 s7, s6, s54
	s_cmp_ge_u32 s6, s54
	s_wait_alu 0xfffe
	s_cselect_b32 s58, s7, s6
	s_wait_alu 0xfffe
	s_mov_b64 s[6:7], s[58:59]
.LBB85_154:                             ;   in Loop: Header=BB85_15 Depth=1
	s_wait_alu 0xfffe
	s_sub_nc_u64 s[6:7], s[62:63], s[6:7]
	s_mov_b32 s12, exec_lo
                                        ; implicit-def: $vgpr31
	s_wait_alu 0xfffe
	v_cmpx_gt_u64_e64 s[6:7], v[0:1]
	s_cbranch_execz .LBB85_163
; %bb.155:                              ;   in Loop: Header=BB85_15 Depth=1
	v_dual_mov_b32 v5, v1 :: v_dual_mov_b32 v4, v0
	s_mov_b32 s13, 0
                                        ; implicit-def: $sgpr15
	s_branch .LBB85_158
.LBB85_156:                             ;   in Loop: Header=BB85_158 Depth=2
	s_wait_alu 0xfffe
	s_or_b32 exec_lo, exec_lo, s21
	s_wait_loadcnt_dscnt 0x0
	s_barrier_signal -1
	s_barrier_wait -1
	global_inv scope:SCOPE_SE
	ds_load_u16 v10, v3 offset:3072
	s_mov_b32 s22, -1
	s_mov_b32 s21, -1
	s_wait_loadcnt_dscnt 0x0
	s_barrier_signal -1
	s_barrier_wait -1
	global_inv scope:SCOPE_SE
	v_and_b32_e32 v11, 0xff, v10
	s_delay_alu instid0(VALU_DEP_1)
	v_cmp_eq_u32_e32 vcc_lo, 0, v11
	s_cbranch_vccnz .LBB85_161
.LBB85_157:                             ;   in Loop: Header=BB85_158 Depth=2
	s_wait_alu 0xfffe
	s_and_b32 s22, exec_lo, s22
	s_wait_alu 0xfffe
	s_or_b32 s13, s22, s13
	s_and_not1_b32 s15, s15, exec_lo
	s_and_b32 s21, s21, exec_lo
	s_wait_alu 0xfffe
	s_or_b32 s15, s15, s21
	s_and_not1_b32 exec_lo, exec_lo, s13
	s_cbranch_execz .LBB85_162
.LBB85_158:                             ;   Parent Loop BB85_15 Depth=1
                                        ; =>  This Inner Loop Header: Depth=2
	s_mov_b32 s21, exec_lo
	s_delay_alu instid0(VALU_DEP_1)
	v_cmpx_gt_u64_e64 s[28:29], v[4:5]
	s_cbranch_execz .LBB85_156
; %bb.159:                              ;   in Loop: Header=BB85_158 Depth=2
	v_mad_co_u64_u32 v[10:11], null, v4, s44, s[52:53]
	v_mul_lo_u32 v19, v4, s45
	v_mul_lo_u32 v20, v5, s44
	s_delay_alu instid0(VALU_DEP_1) | instskip(SKIP_3) | instid1(VALU_DEP_1)
	v_add3_u32 v11, v20, v11, v19
	global_load_u8 v10, v[10:11], off
	s_wait_loadcnt 0x0
	v_bfe_i32 v11, v10, 0, 8
	v_add_nc_u32_e32 v11, 0x80, v11
	s_delay_alu instid0(VALU_DEP_1) | instskip(NEXT) | instid1(VALU_DEP_1)
	v_and_b32_e32 v11, v11, v30
	v_cmp_eq_u32_e32 vcc_lo, v11, v28
	s_and_b32 exec_lo, exec_lo, vcc_lo
	s_cbranch_execz .LBB85_156
; %bb.160:                              ;   in Loop: Header=BB85_158 Depth=2
	v_lshlrev_b16 v10, 8, v10
	s_delay_alu instid0(VALU_DEP_1)
	v_or_b32_e32 v10, 1, v10
	ds_store_b16 v3, v10 offset:3072
	s_branch .LBB85_156
.LBB85_161:                             ;   in Loop: Header=BB85_158 Depth=2
	v_add_co_u32 v4, vcc_lo, v4, s54
	s_wait_alu 0xfffd
	v_add_co_ci_u32_e64 v5, null, 0, v5, vcc_lo
	s_mov_b32 s21, 0
	v_cmp_le_u64_e32 vcc_lo, s[6:7], v[4:5]
	s_or_not1_b32 s22, vcc_lo, exec_lo
	s_branch .LBB85_157
.LBB85_162:                             ;   in Loop: Header=BB85_15 Depth=1
	s_or_b32 exec_lo, exec_lo, s13
	v_and_b32_e32 v4, 0xffff, v10
	s_and_not1_b32 s6, s14, exec_lo
	s_wait_alu 0xfffe
	s_and_b32 s7, s15, exec_lo
	s_wait_alu 0xfffe
	s_or_b32 s14, s6, s7
	v_lshrrev_b32_e32 v31, 8, v4
.LBB85_163:                             ;   in Loop: Header=BB85_15 Depth=1
	s_or_b32 exec_lo, exec_lo, s12
	s_mov_b32 s21, 0
	s_mov_b32 s22, -1
.LBB85_164:                             ;   in Loop: Header=BB85_15 Depth=1
	s_wait_alu 0xfffe
	s_or_not1_b32 s6, s14, exec_lo
.LBB85_165:                             ;   in Loop: Header=BB85_15 Depth=1
	s_wait_alu 0xfffe
	s_or_b32 exec_lo, exec_lo, s23
	s_mov_b32 s7, 0
	s_and_saveexec_b32 s23, s6
	s_cbranch_execz .LBB85_271
; %bb.166:                              ;   in Loop: Header=BB85_15 Depth=1
	v_mov_b32_e32 v4, 1
	v_dual_mov_b32 v5, 0 :: v_dual_mov_b32 v2, 1
	s_xor_b32 s12, s24, -1
	s_wait_alu 0xfffe
	s_and_saveexec_b32 s6, s12
	s_cbranch_execz .LBB85_176
; %bb.167:                              ;   in Loop: Header=BB85_15 Depth=1
	s_mov_b32 s7, exec_lo
	v_cmpx_le_u64_e64 v[8:9], v[6:7]
	s_wait_alu 0xfffe
	s_xor_b32 s7, exec_lo, s7
	s_cbranch_execz .LBB85_173
; %bb.168:                              ;   in Loop: Header=BB85_15 Depth=1
	ds_load_b64 v[4:5], v3 offset:5120
	s_lshl_b32 s12, 1, s88
	v_or_b32_e32 v30, s16, v30
	s_wait_alu 0xfffe
	v_and_or_b32 v28, v28, s20, s12
	s_wait_dscnt 0x0
	v_cmp_ne_u64_e32 vcc_lo, 0, v[4:5]
	s_cbranch_vccnz .LBB85_172
; %bb.169:                              ;   in Loop: Header=BB85_15 Depth=1
	s_and_saveexec_b32 s12, s2
; %bb.170:                              ;   in Loop: Header=BB85_15 Depth=1
	ds_store_b64 v3, v[6:7] offset:5128
; %bb.171:                              ;   in Loop: Header=BB85_15 Depth=1
	s_wait_alu 0xfffe
	s_or_b32 exec_lo, exec_lo, s12
	s_wait_loadcnt_dscnt 0x0
	s_barrier_signal -1
	s_barrier_wait -1
	global_inv scope:SCOPE_SE
.LBB85_172:                             ;   in Loop: Header=BB85_15 Depth=1
                                        ; implicit-def: $vgpr4_vgpr5_vgpr6_vgpr7
.LBB85_173:                             ;   in Loop: Header=BB85_15 Depth=1
	s_wait_alu 0xfffe
	s_or_saveexec_b32 s7, s7
	v_mov_b32_e32 v2, 8
	s_mov_b32 s12, 0
	s_wait_alu 0xfffe
	s_xor_b32 exec_lo, exec_lo, s7
; %bb.174:                              ;   in Loop: Header=BB85_15 Depth=1
	v_sub_co_u32 v8, vcc_lo, v8, v6
	s_wait_alu 0xfffd
	v_sub_co_ci_u32_e64 v9, null, v9, v7, vcc_lo
	v_mov_b32_e32 v2, 0
	s_mov_b32 s12, exec_lo
; %bb.175:                              ;   in Loop: Header=BB85_15 Depth=1
	s_or_b32 exec_lo, exec_lo, s7
	s_delay_alu instid0(VALU_DEP_2)
	v_dual_mov_b32 v4, v8 :: v_dual_mov_b32 v5, v9
	s_wait_alu 0xfffe
	s_and_b32 s7, s12, exec_lo
.LBB85_176:                             ;   in Loop: Header=BB85_15 Depth=1
	s_wait_alu 0xfffe
	s_or_b32 exec_lo, exec_lo, s6
	s_mov_b32 s6, -1
                                        ; implicit-def: $sgpr25
                                        ; implicit-def: $sgpr66
	s_and_saveexec_b32 s24, s7
	s_cbranch_execz .LBB85_270
; %bb.177:                              ;   in Loop: Header=BB85_15 Depth=1
	v_cmp_eq_u64_e32 vcc_lo, 1, v[4:5]
	s_cmp_eq_u64 s[10:11], 1
                                        ; implicit-def: $sgpr66
                                        ; implicit-def: $sgpr25
	s_cselect_b32 s6, -1, 0
	s_wait_alu 0xfffe
	s_and_b32 s67, s6, vcc_lo
	s_mov_b32 s6, -1
	s_wait_alu 0xfffe
	s_and_saveexec_b32 s68, s67
	s_cbranch_execz .LBB85_211
; %bb.178:                              ;   in Loop: Header=BB85_15 Depth=1
	ds_load_b64 v[6:7], v3 offset:5120
	s_wait_loadcnt_dscnt 0x0
	s_barrier_signal -1
	s_barrier_wait -1
	global_inv scope:SCOPE_SE
	v_readfirstlane_b32 s6, v6
	v_readfirstlane_b32 s7, v7
	s_and_saveexec_b32 s12, s3
; %bb.179:                              ;   in Loop: Header=BB85_15 Depth=1
	ds_store_b8 v0, v3 offset:3072
; %bb.180:                              ;   in Loop: Header=BB85_15 Depth=1
	s_wait_alu 0xfffe
	s_or_b32 exec_lo, exec_lo, s12
	s_lshl_b32 s12, 2, s88
	v_or_b32_e32 v30, s16, v30
	s_wait_alu 0xfffe
	v_and_or_b32 v28, v28, s20, s12
	s_mov_b32 s25, -1
	s_mov_b32 s66, 0
	s_cmp_eq_u64 s[6:7], 0
	s_mov_b32 s14, 0
	s_mov_b32 s15, -1
	s_wait_loadcnt_dscnt 0x0
	s_barrier_signal -1
	s_barrier_wait -1
	global_inv scope:SCOPE_SE
                                        ; implicit-def: $vgpr31
	s_cbranch_scc1 .LBB85_196
; %bb.181:                              ;   in Loop: Header=BB85_15 Depth=1
	s_add_nc_u64 s[12:13], s[6:7], s[60:61]
	s_mov_b32 s14, s59
	s_wait_alu 0xfffe
	s_mov_b32 s15, s13
	s_wait_alu 0xfffe
	s_cmp_lg_u64 s[14:15], 0
	s_cbranch_scc0 .LBB85_237
; %bb.182:                              ;   in Loop: Header=BB85_15 Depth=1
	s_cvt_f32_u32 s14, s54
	s_sub_nc_u64 s[70:71], 0, s[54:55]
	s_wait_alu 0xfffe
	s_delay_alu instid0(SALU_CYCLE_1) | instskip(SKIP_1) | instid1(SALU_CYCLE_2)
	s_fmamk_f32 s14, s90, 0x0, s14
	s_wait_alu 0xfffe
	v_s_rcp_f32 s14, s14
	s_delay_alu instid0(TRANS32_DEP_1) | instskip(SKIP_1) | instid1(SALU_CYCLE_2)
	s_mul_f32 s14, s14, 0x5f7ffffc
	s_wait_alu 0xfffe
	s_mul_f32 s15, s14, 0x2f800000
	s_wait_alu 0xfffe
	s_delay_alu instid0(SALU_CYCLE_2) | instskip(SKIP_1) | instid1(SALU_CYCLE_2)
	s_trunc_f32 s15, s15
	s_wait_alu 0xfffe
	s_fmamk_f32 s14, s15, 0xcf800000, s14
	s_cvt_u32_f32 s15, s15
	s_wait_alu 0xfffe
	s_delay_alu instid0(SALU_CYCLE_1) | instskip(SKIP_1) | instid1(SALU_CYCLE_2)
	s_cvt_u32_f32 s14, s14
	s_wait_alu 0xfffe
	s_mul_u64 s[72:73], s[70:71], s[14:15]
	s_wait_alu 0xfffe
	s_mul_hi_u32 s75, s14, s73
	s_mul_i32 s74, s14, s73
	s_mul_hi_u32 s58, s14, s72
	s_mul_i32 s98, s15, s72
	s_wait_alu 0xfffe
	s_add_nc_u64 s[74:75], s[58:59], s[74:75]
	s_mul_hi_u32 s69, s15, s72
	s_mul_hi_u32 s99, s15, s73
	s_wait_alu 0xfffe
	s_add_co_u32 s58, s74, s98
	s_add_co_ci_u32 s58, s75, s69
	s_mul_i32 s72, s15, s73
	s_add_co_ci_u32 s73, s99, 0
	s_wait_alu 0xfffe
	s_add_nc_u64 s[72:73], s[58:59], s[72:73]
	s_wait_alu 0xfffe
	s_add_co_u32 s14, s14, s72
	s_cselect_b32 s58, -1, 0
	s_wait_alu 0xfffe
	s_cmp_lg_u32 s58, 0
	s_add_co_ci_u32 s15, s15, s73
	s_wait_alu 0xfffe
	s_mul_u64 s[70:71], s[70:71], s[14:15]
	s_wait_alu 0xfffe
	s_mul_hi_u32 s73, s14, s71
	s_mul_i32 s72, s14, s71
	s_mul_hi_u32 s58, s14, s70
	s_mul_i32 s74, s15, s70
	s_wait_alu 0xfffe
	s_add_nc_u64 s[72:73], s[58:59], s[72:73]
	s_mul_hi_u32 s69, s15, s70
	s_mul_hi_u32 s75, s15, s71
	s_wait_alu 0xfffe
	s_add_co_u32 s58, s72, s74
	s_add_co_ci_u32 s58, s73, s69
	s_mul_i32 s70, s15, s71
	s_add_co_ci_u32 s71, s75, 0
	s_wait_alu 0xfffe
	s_add_nc_u64 s[70:71], s[58:59], s[70:71]
	s_wait_alu 0xfffe
	s_add_co_u32 s14, s14, s70
	s_cselect_b32 s69, -1, 0
	s_wait_alu 0xfffe
	s_mul_hi_u32 s58, s12, s14
	s_cmp_lg_u32 s69, 0
	s_mul_hi_u32 s69, s13, s14
	s_add_co_ci_u32 s70, s15, s71
	s_mul_i32 s71, s13, s14
	s_wait_alu 0xfffe
	s_mul_hi_u32 s15, s12, s70
	s_mul_i32 s14, s12, s70
	s_mul_hi_u32 s72, s13, s70
	s_wait_alu 0xfffe
	s_add_nc_u64 s[14:15], s[58:59], s[14:15]
	s_mul_i32 s70, s13, s70
	s_wait_alu 0xfffe
	s_add_co_u32 s14, s14, s71
	s_add_co_ci_u32 s58, s15, s69
	s_add_co_ci_u32 s71, s72, 0
	s_wait_alu 0xfffe
	s_add_nc_u64 s[14:15], s[58:59], s[70:71]
	s_wait_alu 0xfffe
	s_mul_u64 s[14:15], s[54:55], s[14:15]
	s_wait_alu 0xfffe
	s_sub_co_u32 s14, s12, s14
	s_cselect_b32 s58, -1, 0
	s_wait_alu 0xfffe
	s_cmp_lg_u32 s58, 0
	s_sub_co_ci_u32 s15, s13, s15
	s_sub_co_u32 s58, s14, s54
	s_cselect_b32 s69, -1, 0
	s_wait_alu 0xfffe
	s_cmp_lg_u32 s69, 0
	s_sub_co_ci_u32 s69, s15, 0
	;; [unrolled: 5-line block ×3, first 2 shown]
	s_cmp_ge_u32 s58, s54
	s_cselect_b32 s72, -1, 0
	s_cmp_eq_u32 s69, 0
	s_wait_alu 0xfffe
	s_cselect_b32 s72, s72, -1
	s_wait_alu 0xfffe
	s_cmp_lg_u32 s72, 0
	s_cselect_b32 s69, s71, s69
	s_cselect_b32 s58, s70, s58
	s_cmp_ge_u32 s14, s54
	s_cselect_b32 s70, -1, 0
	s_cmp_eq_u32 s15, 0
	s_wait_alu 0xfffe
	s_cselect_b32 s70, s70, -1
	s_wait_alu 0xfffe
	s_cmp_lg_u32 s70, 0
	s_cselect_b32 s15, s69, s15
	s_cselect_b32 s14, s58, s14
	s_cbranch_execnz .LBB85_184
.LBB85_183:                             ;   in Loop: Header=BB85_15 Depth=1
	v_cvt_f32_u32_e32 v6, s54
	s_sub_co_i32 s15, 0, s54
	s_delay_alu instid0(VALU_DEP_1) | instskip(NEXT) | instid1(TRANS32_DEP_1)
	v_rcp_iflag_f32_e32 v6, v6
	v_mul_f32_e32 v6, 0x4f7ffffe, v6
	s_delay_alu instid0(VALU_DEP_1) | instskip(NEXT) | instid1(VALU_DEP_1)
	v_cvt_u32_f32_e32 v6, v6
	v_readfirstlane_b32 s14, v6
	s_wait_alu 0xfffe
	s_mul_i32 s15, s15, s14
	s_wait_alu 0xfffe
	s_mul_hi_u32 s15, s14, s15
	s_wait_alu 0xfffe
	s_add_co_i32 s14, s14, s15
	s_wait_alu 0xfffe
	s_mul_hi_u32 s14, s12, s14
	s_wait_alu 0xfffe
	s_mul_i32 s14, s14, s54
	s_wait_alu 0xfffe
	s_sub_co_i32 s14, s12, s14
	s_wait_alu 0xfffe
	s_sub_co_i32 s15, s14, s54
	s_cmp_ge_u32 s14, s54
	s_wait_alu 0xfffe
	s_cselect_b32 s14, s15, s14
	s_wait_alu 0xfffe
	s_sub_co_i32 s15, s14, s54
	s_cmp_ge_u32 s14, s54
	s_wait_alu 0xfffe
	s_cselect_b32 s58, s15, s14
	s_wait_alu 0xfffe
	s_mov_b64 s[14:15], s[58:59]
.LBB85_184:                             ;   in Loop: Header=BB85_15 Depth=1
	s_wait_alu 0xfffe
	s_sub_nc_u64 s[12:13], s[12:13], s[14:15]
	s_mov_b32 s15, 0
	s_mov_b32 s14, 0
	s_mov_b32 s58, exec_lo
                                        ; implicit-def: $vgpr31
	s_wait_alu 0xfffe
	v_cmpx_gt_u64_e64 s[12:13], v[0:1]
	s_cbranch_execz .LBB85_195
; %bb.185:                              ;   in Loop: Header=BB85_15 Depth=1
	v_dual_mov_b32 v8, v0 :: v_dual_mov_b32 v7, v1
	v_mov_b32_e32 v6, v0
                                        ; implicit-def: $sgpr69
	s_branch .LBB85_188
.LBB85_186:                             ;   in Loop: Header=BB85_188 Depth=2
	s_wait_alu 0xfffe
	s_or_b32 exec_lo, exec_lo, s70
	s_wait_loadcnt_dscnt 0x0
	s_barrier_signal -1
	s_barrier_wait -1
	global_inv scope:SCOPE_SE
	ds_load_u16 v9, v3 offset:3072
	s_mov_b32 s70, -1
	s_mov_b32 s71, -1
	s_wait_loadcnt_dscnt 0x0
	s_barrier_signal -1
	s_barrier_wait -1
	global_inv scope:SCOPE_SE
	v_and_b32_e32 v10, 0xff, v9
	s_delay_alu instid0(VALU_DEP_1)
	v_cmp_ne_u32_e32 vcc_lo, 0, v10
	s_cbranch_vccz .LBB85_191
.LBB85_187:                             ;   in Loop: Header=BB85_188 Depth=2
	s_wait_alu 0xfffe
	s_and_b32 s70, exec_lo, s70
	s_wait_alu 0xfffe
	s_or_b32 s14, s70, s14
	s_and_not1_b32 s69, s69, exec_lo
	s_and_b32 s70, s71, exec_lo
	s_wait_alu 0xfffe
	s_or_b32 s69, s69, s70
	s_and_not1_b32 exec_lo, exec_lo, s14
	s_cbranch_execz .LBB85_194
.LBB85_188:                             ;   Parent Loop BB85_15 Depth=1
                                        ; =>  This Inner Loop Header: Depth=2
	s_mov_b32 s70, exec_lo
	s_delay_alu instid0(VALU_DEP_1)
	v_cmpx_gt_u64_e64 s[6:7], v[6:7]
	s_cbranch_execz .LBB85_186
; %bb.189:                              ;   in Loop: Header=BB85_188 Depth=2
	ds_load_u8 v9, v8
	s_wait_dscnt 0x0
	v_bfe_i32 v10, v9, 0, 8
	s_delay_alu instid0(VALU_DEP_1) | instskip(NEXT) | instid1(VALU_DEP_1)
	v_add_nc_u32_e32 v10, 0x80, v10
	v_and_b32_e32 v10, v10, v30
	s_delay_alu instid0(VALU_DEP_1)
	v_cmp_eq_u32_e32 vcc_lo, v10, v28
	s_and_b32 exec_lo, exec_lo, vcc_lo
	s_cbranch_execz .LBB85_186
; %bb.190:                              ;   in Loop: Header=BB85_188 Depth=2
	v_lshlrev_b16 v9, 8, v9
	s_delay_alu instid0(VALU_DEP_1)
	v_or_b32_e32 v9, 1, v9
	ds_store_b16 v3, v9 offset:3072
	s_branch .LBB85_186
.LBB85_191:                             ;   in Loop: Header=BB85_188 Depth=2
	v_add_co_u32 v6, vcc_lo, v6, s54
	s_wait_alu 0xfffd
	v_add_co_ci_u32_e64 v7, null, 0, v7, vcc_lo
	v_add_nc_u32_e32 v8, s54, v8
	s_mov_b32 s71, 0
	s_delay_alu instid0(VALU_DEP_2)
	v_cmp_le_u64_e32 vcc_lo, s[12:13], v[6:7]
	s_or_not1_b32 s70, vcc_lo, exec_lo
	s_branch .LBB85_187
.LBB85_192:                             ;   in Loop: Header=BB85_15 Depth=1
                                        ; implicit-def: $sgpr14_sgpr15
	s_branch .LBB85_134
.LBB85_193:                             ;   in Loop: Header=BB85_15 Depth=1
                                        ; implicit-def: $sgpr6_sgpr7
	s_branch .LBB85_153
.LBB85_194:                             ;   in Loop: Header=BB85_15 Depth=1
	s_or_b32 exec_lo, exec_lo, s14
	v_and_b32_e32 v6, 0xffff, v9
	s_wait_alu 0xfffe
	s_and_b32 s14, s69, exec_lo
	s_delay_alu instid0(VALU_DEP_1)
	v_lshrrev_b32_e32 v31, 8, v6
.LBB85_195:                             ;   in Loop: Header=BB85_15 Depth=1
	s_or_b32 exec_lo, exec_lo, s58
.LBB85_196:                             ;   in Loop: Header=BB85_15 Depth=1
	s_wait_alu 0xfffe
	s_and_b32 vcc_lo, exec_lo, s15
	s_wait_alu 0xfffe
	s_cbranch_vccz .LBB85_210
; %bb.197:                              ;   in Loop: Header=BB85_15 Depth=1
	s_mov_b32 s6, s59
	s_mov_b32 s7, s63
	s_wait_alu 0xfffe
	s_cmp_lg_u64 s[6:7], 0
	s_cbranch_scc0 .LBB85_238
; %bb.198:                              ;   in Loop: Header=BB85_15 Depth=1
	s_cvt_f32_u32 s6, s54
	s_sub_nc_u64 s[12:13], 0, s[54:55]
	s_wait_alu 0xfffe
	s_delay_alu instid0(SALU_CYCLE_1) | instskip(SKIP_1) | instid1(SALU_CYCLE_2)
	s_fmamk_f32 s6, s90, 0x0, s6
	s_wait_alu 0xfffe
	v_s_rcp_f32 s6, s6
	s_delay_alu instid0(TRANS32_DEP_1) | instskip(SKIP_1) | instid1(SALU_CYCLE_2)
	s_mul_f32 s6, s6, 0x5f7ffffc
	s_wait_alu 0xfffe
	s_mul_f32 s7, s6, 0x2f800000
	s_wait_alu 0xfffe
	s_delay_alu instid0(SALU_CYCLE_2) | instskip(SKIP_1) | instid1(SALU_CYCLE_2)
	s_trunc_f32 s7, s7
	s_wait_alu 0xfffe
	s_fmamk_f32 s6, s7, 0xcf800000, s6
	s_cvt_u32_f32 s7, s7
	s_wait_alu 0xfffe
	s_delay_alu instid0(SALU_CYCLE_1) | instskip(SKIP_1) | instid1(SALU_CYCLE_2)
	s_cvt_u32_f32 s6, s6
	s_wait_alu 0xfffe
	s_mul_u64 s[70:71], s[12:13], s[6:7]
	s_wait_alu 0xfffe
	s_mul_hi_u32 s73, s6, s71
	s_mul_i32 s72, s6, s71
	s_mul_hi_u32 s58, s6, s70
	s_mul_i32 s25, s7, s70
	s_wait_alu 0xfffe
	s_add_nc_u64 s[72:73], s[58:59], s[72:73]
	s_mul_hi_u32 s15, s7, s70
	s_mul_hi_u32 s66, s7, s71
	s_wait_alu 0xfffe
	s_add_co_u32 s25, s72, s25
	s_add_co_ci_u32 s58, s73, s15
	s_mul_i32 s70, s7, s71
	s_add_co_ci_u32 s71, s66, 0
	s_wait_alu 0xfffe
	s_add_nc_u64 s[70:71], s[58:59], s[70:71]
	s_wait_alu 0xfffe
	s_add_co_u32 s6, s6, s70
	s_cselect_b32 s15, -1, 0
	s_wait_alu 0xfffe
	s_cmp_lg_u32 s15, 0
	s_add_co_ci_u32 s7, s7, s71
	s_wait_alu 0xfffe
	s_mul_u64 s[12:13], s[12:13], s[6:7]
	s_wait_alu 0xfffe
	s_mul_hi_u32 s71, s6, s13
	s_mul_i32 s70, s6, s13
	s_mul_hi_u32 s58, s6, s12
	s_mul_i32 s25, s7, s12
	s_wait_alu 0xfffe
	s_add_nc_u64 s[70:71], s[58:59], s[70:71]
	s_mul_hi_u32 s15, s7, s12
	s_mul_hi_u32 s66, s7, s13
	s_mul_i32 s12, s7, s13
	s_wait_alu 0xfffe
	s_add_co_u32 s13, s70, s25
	s_add_co_ci_u32 s58, s71, s15
	s_add_co_ci_u32 s13, s66, 0
	s_wait_alu 0xfffe
	s_add_nc_u64 s[12:13], s[58:59], s[12:13]
	s_wait_alu 0xfffe
	s_add_co_u32 s6, s6, s12
	s_cselect_b32 s12, -1, 0
	s_wait_alu 0xfffe
	s_mul_hi_u32 s58, s62, s6
	s_cmp_lg_u32 s12, 0
	s_mul_hi_u32 s15, s63, s6
	s_add_co_ci_u32 s12, s7, s13
	s_mul_i32 s13, s63, s6
	s_wait_alu 0xfffe
	s_mul_hi_u32 s7, s62, s12
	s_mul_i32 s6, s62, s12
	s_mul_hi_u32 s25, s63, s12
	s_wait_alu 0xfffe
	s_add_nc_u64 s[6:7], s[58:59], s[6:7]
	s_mul_i32 s12, s63, s12
	s_wait_alu 0xfffe
	s_add_co_u32 s6, s6, s13
	s_add_co_ci_u32 s58, s7, s15
	s_add_co_ci_u32 s13, s25, 0
	s_wait_alu 0xfffe
	s_add_nc_u64 s[6:7], s[58:59], s[12:13]
	s_wait_alu 0xfffe
	s_mul_u64 s[6:7], s[54:55], s[6:7]
	s_wait_alu 0xfffe
	s_sub_co_u32 s6, s62, s6
	s_cselect_b32 s12, -1, 0
	s_wait_alu 0xfffe
	s_cmp_lg_u32 s12, 0
	s_sub_co_ci_u32 s7, s63, s7
	s_sub_co_u32 s12, s6, s54
	s_cselect_b32 s13, -1, 0
	s_wait_alu 0xfffe
	s_cmp_lg_u32 s13, 0
	s_sub_co_ci_u32 s13, s7, 0
	;; [unrolled: 5-line block ×3, first 2 shown]
	s_cmp_ge_u32 s12, s54
	s_cselect_b32 s58, -1, 0
	s_cmp_eq_u32 s13, 0
	s_wait_alu 0xfffe
	s_cselect_b32 s58, s58, -1
	s_wait_alu 0xfffe
	s_cmp_lg_u32 s58, 0
	s_cselect_b32 s13, s25, s13
	s_cselect_b32 s12, s15, s12
	s_cmp_ge_u32 s6, s54
	s_cselect_b32 s15, -1, 0
	s_cmp_eq_u32 s7, 0
	s_wait_alu 0xfffe
	s_cselect_b32 s15, s15, -1
	s_wait_alu 0xfffe
	s_cmp_lg_u32 s15, 0
	s_cselect_b32 s7, s13, s7
	s_cselect_b32 s6, s12, s6
	s_cbranch_execnz .LBB85_200
.LBB85_199:                             ;   in Loop: Header=BB85_15 Depth=1
	v_cvt_f32_u32_e32 v6, s54
	s_sub_co_i32 s7, 0, s54
	s_delay_alu instid0(VALU_DEP_1) | instskip(NEXT) | instid1(TRANS32_DEP_1)
	v_rcp_iflag_f32_e32 v6, v6
	v_mul_f32_e32 v6, 0x4f7ffffe, v6
	s_delay_alu instid0(VALU_DEP_1) | instskip(NEXT) | instid1(VALU_DEP_1)
	v_cvt_u32_f32_e32 v6, v6
	v_readfirstlane_b32 s6, v6
	s_wait_alu 0xfffe
	s_mul_i32 s7, s7, s6
	s_wait_alu 0xfffe
	s_mul_hi_u32 s7, s6, s7
	s_wait_alu 0xfffe
	s_add_co_i32 s6, s6, s7
	s_wait_alu 0xfffe
	s_mul_hi_u32 s6, s62, s6
	s_wait_alu 0xfffe
	s_mul_i32 s6, s6, s54
	s_wait_alu 0xfffe
	s_sub_co_i32 s6, s62, s6
	s_wait_alu 0xfffe
	s_sub_co_i32 s7, s6, s54
	s_cmp_ge_u32 s6, s54
	s_wait_alu 0xfffe
	s_cselect_b32 s6, s7, s6
	s_wait_alu 0xfffe
	s_sub_co_i32 s7, s6, s54
	s_cmp_ge_u32 s6, s54
	s_wait_alu 0xfffe
	s_cselect_b32 s58, s7, s6
	s_wait_alu 0xfffe
	s_mov_b64 s[6:7], s[58:59]
.LBB85_200:                             ;   in Loop: Header=BB85_15 Depth=1
	s_wait_alu 0xfffe
	s_sub_nc_u64 s[6:7], s[62:63], s[6:7]
	s_mov_b32 s12, exec_lo
                                        ; implicit-def: $vgpr31
	s_wait_alu 0xfffe
	v_cmpx_gt_u64_e64 s[6:7], v[0:1]
	s_cbranch_execz .LBB85_209
; %bb.201:                              ;   in Loop: Header=BB85_15 Depth=1
	v_dual_mov_b32 v7, v1 :: v_dual_mov_b32 v6, v0
	s_mov_b32 s13, 0
                                        ; implicit-def: $sgpr15
	s_branch .LBB85_204
.LBB85_202:                             ;   in Loop: Header=BB85_204 Depth=2
	s_wait_alu 0xfffe
	s_or_b32 exec_lo, exec_lo, s25
	s_wait_loadcnt_dscnt 0x0
	s_barrier_signal -1
	s_barrier_wait -1
	global_inv scope:SCOPE_SE
	ds_load_u16 v8, v3 offset:3072
	s_mov_b32 s58, -1
	s_mov_b32 s25, -1
	s_wait_loadcnt_dscnt 0x0
	s_barrier_signal -1
	s_barrier_wait -1
	global_inv scope:SCOPE_SE
	v_and_b32_e32 v9, 0xff, v8
	s_delay_alu instid0(VALU_DEP_1)
	v_cmp_eq_u32_e32 vcc_lo, 0, v9
	s_cbranch_vccnz .LBB85_207
.LBB85_203:                             ;   in Loop: Header=BB85_204 Depth=2
	s_wait_alu 0xfffe
	s_and_b32 s58, exec_lo, s58
	s_wait_alu 0xfffe
	s_or_b32 s13, s58, s13
	s_and_not1_b32 s15, s15, exec_lo
	s_and_b32 s25, s25, exec_lo
	s_wait_alu 0xfffe
	s_or_b32 s15, s15, s25
	s_and_not1_b32 exec_lo, exec_lo, s13
	s_cbranch_execz .LBB85_208
.LBB85_204:                             ;   Parent Loop BB85_15 Depth=1
                                        ; =>  This Inner Loop Header: Depth=2
	s_mov_b32 s25, exec_lo
	s_delay_alu instid0(VALU_DEP_1)
	v_cmpx_gt_u64_e64 s[28:29], v[6:7]
	s_cbranch_execz .LBB85_202
; %bb.205:                              ;   in Loop: Header=BB85_204 Depth=2
	v_mad_co_u64_u32 v[8:9], null, v6, s44, s[52:53]
	v_mul_lo_u32 v10, v6, s45
	v_mul_lo_u32 v11, v7, s44
	s_delay_alu instid0(VALU_DEP_1) | instskip(SKIP_3) | instid1(VALU_DEP_1)
	v_add3_u32 v9, v11, v9, v10
	global_load_u8 v8, v[8:9], off
	s_wait_loadcnt 0x0
	v_bfe_i32 v9, v8, 0, 8
	v_add_nc_u32_e32 v9, 0x80, v9
	s_delay_alu instid0(VALU_DEP_1) | instskip(NEXT) | instid1(VALU_DEP_1)
	v_and_b32_e32 v9, v9, v30
	v_cmp_eq_u32_e32 vcc_lo, v9, v28
	s_and_b32 exec_lo, exec_lo, vcc_lo
	s_cbranch_execz .LBB85_202
; %bb.206:                              ;   in Loop: Header=BB85_204 Depth=2
	v_lshlrev_b16 v8, 8, v8
	s_delay_alu instid0(VALU_DEP_1)
	v_or_b32_e32 v8, 1, v8
	ds_store_b16 v3, v8 offset:3072
	s_branch .LBB85_202
.LBB85_207:                             ;   in Loop: Header=BB85_204 Depth=2
	v_add_co_u32 v6, vcc_lo, v6, s54
	s_wait_alu 0xfffd
	v_add_co_ci_u32_e64 v7, null, 0, v7, vcc_lo
	s_mov_b32 s25, 0
	v_cmp_le_u64_e32 vcc_lo, s[6:7], v[6:7]
	s_or_not1_b32 s58, vcc_lo, exec_lo
	s_branch .LBB85_203
.LBB85_208:                             ;   in Loop: Header=BB85_15 Depth=1
	s_or_b32 exec_lo, exec_lo, s13
	v_and_b32_e32 v6, 0xffff, v8
	s_and_not1_b32 s6, s14, exec_lo
	s_wait_alu 0xfffe
	s_and_b32 s7, s15, exec_lo
	s_wait_alu 0xfffe
	s_or_b32 s14, s6, s7
	v_lshrrev_b32_e32 v31, 8, v6
.LBB85_209:                             ;   in Loop: Header=BB85_15 Depth=1
	s_or_b32 exec_lo, exec_lo, s12
	s_mov_b32 s25, 0
	s_mov_b32 s66, -1
.LBB85_210:                             ;   in Loop: Header=BB85_15 Depth=1
	s_wait_alu 0xfffe
	s_or_not1_b32 s6, s14, exec_lo
.LBB85_211:                             ;   in Loop: Header=BB85_15 Depth=1
	s_wait_alu 0xfffe
	s_or_b32 exec_lo, exec_lo, s68
	s_mov_b32 s7, 0
	s_and_saveexec_b32 s14, s6
	s_cbranch_execz .LBB85_269
; %bb.212:                              ;   in Loop: Header=BB85_15 Depth=1
	v_mov_b32_e32 v6, 1
	v_dual_mov_b32 v7, 0 :: v_dual_mov_b32 v2, 1
	s_xor_b32 s12, s67, -1
	s_wait_alu 0xfffe
	s_and_saveexec_b32 s6, s12
	s_cbranch_execz .LBB85_221
; %bb.213:                              ;   in Loop: Header=BB85_15 Depth=1
	s_mov_b32 s7, exec_lo
	v_cmpx_ge_u64_e64 s[10:11], v[4:5]
	s_wait_alu 0xfffe
	s_xor_b32 s7, exec_lo, s7
	s_cbranch_execz .LBB85_218
; %bb.214:                              ;   in Loop: Header=BB85_15 Depth=1
	ds_load_b64 v[6:7], v3 offset:5120
	s_lshl_b32 s12, 2, s88
	v_or_b32_e32 v30, s16, v30
	s_wait_alu 0xfffe
	v_and_or_b32 v28, v28, s20, s12
	s_wait_dscnt 0x0
	v_cmp_ne_u64_e32 vcc_lo, 0, v[6:7]
	s_cbranch_vccnz .LBB85_218
; %bb.215:                              ;   in Loop: Header=BB85_15 Depth=1
	s_and_saveexec_b32 s12, s2
; %bb.216:                              ;   in Loop: Header=BB85_15 Depth=1
	v_dual_mov_b32 v6, s10 :: v_dual_mov_b32 v7, s11
	ds_store_b64 v3, v[6:7] offset:5128
; %bb.217:                              ;   in Loop: Header=BB85_15 Depth=1
	s_wait_alu 0xfffe
	s_or_b32 exec_lo, exec_lo, s12
	s_wait_loadcnt_dscnt 0x0
	s_barrier_signal -1
	s_barrier_wait -1
	global_inv scope:SCOPE_SE
.LBB85_218:                             ;   in Loop: Header=BB85_15 Depth=1
	s_wait_alu 0xfffe
	s_or_saveexec_b32 s7, s7
	v_mov_b32_e32 v2, 8
	s_mov_b32 s12, 0
	s_wait_alu 0xfffe
	s_xor_b32 exec_lo, exec_lo, s7
; %bb.219:                              ;   in Loop: Header=BB85_15 Depth=1
	v_sub_co_u32 v4, vcc_lo, v4, s10
	s_wait_alu 0xfffd
	v_subrev_co_ci_u32_e64 v5, null, s11, v5, vcc_lo
	v_mov_b32_e32 v2, 0
	s_mov_b32 s12, exec_lo
; %bb.220:                              ;   in Loop: Header=BB85_15 Depth=1
	s_or_b32 exec_lo, exec_lo, s7
	s_delay_alu instid0(VALU_DEP_2)
	v_dual_mov_b32 v7, v5 :: v_dual_mov_b32 v6, v4
	s_wait_alu 0xfffe
	s_and_b32 s7, s12, exec_lo
.LBB85_221:                             ;   in Loop: Header=BB85_15 Depth=1
	s_wait_alu 0xfffe
	s_or_b32 exec_lo, exec_lo, s6
	s_mov_b32 s6, -1
                                        ; implicit-def: $sgpr69
                                        ; implicit-def: $sgpr68
	s_and_saveexec_b32 s15, s7
	s_cbranch_execz .LBB85_268
; %bb.222:                              ;   in Loop: Header=BB85_15 Depth=1
	v_cmp_eq_u64_e32 vcc_lo, 1, v[6:7]
	s_cmp_eq_u64 s[8:9], 1
	s_mov_b32 s7, -1
	s_cselect_b32 s6, -1, 0
                                        ; implicit-def: $sgpr69
                                        ; implicit-def: $sgpr68
	s_wait_alu 0xfffe
	s_and_b32 s20, s6, vcc_lo
	s_wait_alu 0xfffe
	s_and_saveexec_b32 s67, s20
	s_cbranch_execz .LBB85_256
; %bb.223:                              ;   in Loop: Header=BB85_15 Depth=1
	ds_load_b64 v[4:5], v3 offset:5120
	s_wait_loadcnt_dscnt 0x0
	s_barrier_signal -1
	s_barrier_wait -1
	global_inv scope:SCOPE_SE
	v_readfirstlane_b32 s6, v4
	v_readfirstlane_b32 s7, v5
	s_and_saveexec_b32 s10, s3
; %bb.224:                              ;   in Loop: Header=BB85_15 Depth=1
	ds_store_b8 v0, v3 offset:3072
; %bb.225:                              ;   in Loop: Header=BB85_15 Depth=1
	s_wait_alu 0xfffe
	s_or_b32 exec_lo, exec_lo, s10
	v_or_b32_e32 v28, s16, v28
	v_or_b32_e32 v30, s16, v30
	s_mov_b32 s68, -1
	s_mov_b32 s69, 0
	s_cmp_eq_u64 s[6:7], 0
	s_mov_b32 s12, 0
	s_mov_b32 s13, -1
	s_wait_loadcnt_dscnt 0x0
	s_barrier_signal -1
	s_barrier_wait -1
	global_inv scope:SCOPE_SE
                                        ; implicit-def: $vgpr31
	s_cbranch_scc1 .LBB85_241
; %bb.226:                              ;   in Loop: Header=BB85_15 Depth=1
	s_add_nc_u64 s[10:11], s[6:7], s[60:61]
	s_mov_b32 s12, s59
	s_wait_alu 0xfffe
	s_mov_b32 s13, s11
	s_wait_alu 0xfffe
	s_cmp_lg_u64 s[12:13], 0
	s_cbranch_scc0 .LBB85_275
; %bb.227:                              ;   in Loop: Header=BB85_15 Depth=1
	s_cvt_f32_u32 s12, s54
	s_sub_nc_u64 s[70:71], 0, s[54:55]
	s_wait_alu 0xfffe
	s_delay_alu instid0(SALU_CYCLE_1) | instskip(SKIP_1) | instid1(SALU_CYCLE_2)
	s_fmamk_f32 s12, s90, 0x0, s12
	s_wait_alu 0xfffe
	v_s_rcp_f32 s12, s12
	s_delay_alu instid0(TRANS32_DEP_1) | instskip(SKIP_1) | instid1(SALU_CYCLE_2)
	s_mul_f32 s12, s12, 0x5f7ffffc
	s_wait_alu 0xfffe
	s_mul_f32 s13, s12, 0x2f800000
	s_wait_alu 0xfffe
	s_delay_alu instid0(SALU_CYCLE_2) | instskip(SKIP_1) | instid1(SALU_CYCLE_2)
	s_trunc_f32 s13, s13
	s_wait_alu 0xfffe
	s_fmamk_f32 s12, s13, 0xcf800000, s12
	s_cvt_u32_f32 s13, s13
	s_wait_alu 0xfffe
	s_delay_alu instid0(SALU_CYCLE_1) | instskip(SKIP_1) | instid1(SALU_CYCLE_2)
	s_cvt_u32_f32 s12, s12
	s_wait_alu 0xfffe
	s_mul_u64 s[72:73], s[70:71], s[12:13]
	s_wait_alu 0xfffe
	s_mul_hi_u32 s75, s12, s73
	s_mul_i32 s74, s12, s73
	s_mul_hi_u32 s58, s12, s72
	s_mul_i32 s99, s13, s72
	s_wait_alu 0xfffe
	s_add_nc_u64 s[74:75], s[58:59], s[74:75]
	s_mul_hi_u32 s98, s13, s72
	s_mul_hi_u32 s100, s13, s73
	s_wait_alu 0xfffe
	s_add_co_u32 s58, s74, s99
	s_add_co_ci_u32 s58, s75, s98
	s_mul_i32 s72, s13, s73
	s_add_co_ci_u32 s73, s100, 0
	s_wait_alu 0xfffe
	s_add_nc_u64 s[72:73], s[58:59], s[72:73]
	s_wait_alu 0xfffe
	s_add_co_u32 s12, s12, s72
	s_cselect_b32 s58, -1, 0
	s_wait_alu 0xfffe
	s_cmp_lg_u32 s58, 0
	s_add_co_ci_u32 s13, s13, s73
	s_wait_alu 0xfffe
	s_mul_u64 s[70:71], s[70:71], s[12:13]
	s_wait_alu 0xfffe
	s_mul_hi_u32 s73, s12, s71
	s_mul_i32 s72, s12, s71
	s_mul_hi_u32 s58, s12, s70
	s_mul_i32 s75, s13, s70
	s_wait_alu 0xfffe
	s_add_nc_u64 s[72:73], s[58:59], s[72:73]
	s_mul_hi_u32 s74, s13, s70
	s_mul_hi_u32 s98, s13, s71
	s_wait_alu 0xfffe
	s_add_co_u32 s58, s72, s75
	s_add_co_ci_u32 s58, s73, s74
	s_mul_i32 s70, s13, s71
	s_add_co_ci_u32 s71, s98, 0
	s_wait_alu 0xfffe
	s_add_nc_u64 s[70:71], s[58:59], s[70:71]
	s_wait_alu 0xfffe
	s_add_co_u32 s12, s12, s70
	s_cselect_b32 s70, -1, 0
	s_wait_alu 0xfffe
	s_mul_hi_u32 s58, s10, s12
	s_cmp_lg_u32 s70, 0
	s_mul_hi_u32 s72, s11, s12
	s_add_co_ci_u32 s70, s13, s71
	s_mul_i32 s71, s11, s12
	s_wait_alu 0xfffe
	s_mul_hi_u32 s13, s10, s70
	s_mul_i32 s12, s10, s70
	s_mul_hi_u32 s73, s11, s70
	s_wait_alu 0xfffe
	s_add_nc_u64 s[12:13], s[58:59], s[12:13]
	s_mul_i32 s70, s11, s70
	s_wait_alu 0xfffe
	s_add_co_u32 s12, s12, s71
	s_add_co_ci_u32 s58, s13, s72
	s_add_co_ci_u32 s71, s73, 0
	s_wait_alu 0xfffe
	s_add_nc_u64 s[12:13], s[58:59], s[70:71]
	s_wait_alu 0xfffe
	s_mul_u64 s[12:13], s[54:55], s[12:13]
	s_wait_alu 0xfffe
	s_sub_co_u32 s12, s10, s12
	s_cselect_b32 s58, -1, 0
	s_wait_alu 0xfffe
	s_cmp_lg_u32 s58, 0
	s_sub_co_ci_u32 s13, s11, s13
	s_sub_co_u32 s58, s12, s54
	s_cselect_b32 s70, -1, 0
	s_wait_alu 0xfffe
	s_cmp_lg_u32 s70, 0
	s_sub_co_ci_u32 s70, s13, 0
	s_sub_co_u32 s71, s58, s54
	s_cselect_b32 s72, -1, 0
	s_wait_alu 0xfffe
	s_cmp_lg_u32 s72, 0
	s_sub_co_ci_u32 s72, s70, 0
	s_cmp_ge_u32 s58, s54
	s_cselect_b32 s73, -1, 0
	s_cmp_eq_u32 s70, 0
	s_wait_alu 0xfffe
	s_cselect_b32 s73, s73, -1
	s_wait_alu 0xfffe
	s_cmp_lg_u32 s73, 0
	s_cselect_b32 s70, s72, s70
	s_cselect_b32 s58, s71, s58
	s_cmp_ge_u32 s12, s54
	s_cselect_b32 s71, -1, 0
	s_cmp_eq_u32 s13, 0
	s_wait_alu 0xfffe
	s_cselect_b32 s71, s71, -1
	s_wait_alu 0xfffe
	s_cmp_lg_u32 s71, 0
	s_cselect_b32 s13, s70, s13
	s_cselect_b32 s12, s58, s12
	s_cbranch_execnz .LBB85_229
.LBB85_228:                             ;   in Loop: Header=BB85_15 Depth=1
	v_cvt_f32_u32_e32 v4, s54
	s_sub_co_i32 s13, 0, s54
	s_delay_alu instid0(VALU_DEP_1) | instskip(NEXT) | instid1(TRANS32_DEP_1)
	v_rcp_iflag_f32_e32 v4, v4
	v_mul_f32_e32 v4, 0x4f7ffffe, v4
	s_delay_alu instid0(VALU_DEP_1) | instskip(NEXT) | instid1(VALU_DEP_1)
	v_cvt_u32_f32_e32 v4, v4
	v_readfirstlane_b32 s12, v4
	s_wait_alu 0xfffe
	s_mul_i32 s13, s13, s12
	s_wait_alu 0xfffe
	s_mul_hi_u32 s13, s12, s13
	s_wait_alu 0xfffe
	s_add_co_i32 s12, s12, s13
	s_wait_alu 0xfffe
	s_mul_hi_u32 s12, s10, s12
	s_wait_alu 0xfffe
	s_mul_i32 s12, s12, s54
	s_wait_alu 0xfffe
	s_sub_co_i32 s12, s10, s12
	s_wait_alu 0xfffe
	s_sub_co_i32 s13, s12, s54
	s_cmp_ge_u32 s12, s54
	s_wait_alu 0xfffe
	s_cselect_b32 s12, s13, s12
	s_wait_alu 0xfffe
	s_sub_co_i32 s13, s12, s54
	s_cmp_ge_u32 s12, s54
	s_wait_alu 0xfffe
	s_cselect_b32 s58, s13, s12
	s_wait_alu 0xfffe
	s_mov_b64 s[12:13], s[58:59]
.LBB85_229:                             ;   in Loop: Header=BB85_15 Depth=1
	s_wait_alu 0xfffe
	s_sub_nc_u64 s[10:11], s[10:11], s[12:13]
	s_mov_b32 s13, 0
	s_mov_b32 s12, 0
	s_mov_b32 s58, exec_lo
                                        ; implicit-def: $vgpr31
	s_wait_alu 0xfffe
	v_cmpx_gt_u64_e64 s[10:11], v[0:1]
	s_cbranch_execz .LBB85_240
; %bb.230:                              ;   in Loop: Header=BB85_15 Depth=1
	v_dual_mov_b32 v8, v0 :: v_dual_mov_b32 v5, v1
	v_mov_b32_e32 v4, v0
                                        ; implicit-def: $sgpr70
	s_branch .LBB85_233
.LBB85_231:                             ;   in Loop: Header=BB85_233 Depth=2
	s_wait_alu 0xfffe
	s_or_b32 exec_lo, exec_lo, s71
	s_wait_loadcnt_dscnt 0x0
	s_barrier_signal -1
	s_barrier_wait -1
	global_inv scope:SCOPE_SE
	ds_load_u16 v9, v3 offset:3072
	s_mov_b32 s71, -1
	s_mov_b32 s72, -1
	s_wait_loadcnt_dscnt 0x0
	s_barrier_signal -1
	s_barrier_wait -1
	global_inv scope:SCOPE_SE
	v_and_b32_e32 v10, 0xff, v9
	s_delay_alu instid0(VALU_DEP_1)
	v_cmp_ne_u32_e32 vcc_lo, 0, v10
	s_cbranch_vccz .LBB85_236
.LBB85_232:                             ;   in Loop: Header=BB85_233 Depth=2
	s_wait_alu 0xfffe
	s_and_b32 s71, exec_lo, s71
	s_wait_alu 0xfffe
	s_or_b32 s12, s71, s12
	s_and_not1_b32 s70, s70, exec_lo
	s_and_b32 s71, s72, exec_lo
	s_wait_alu 0xfffe
	s_or_b32 s70, s70, s71
	s_and_not1_b32 exec_lo, exec_lo, s12
	s_cbranch_execz .LBB85_239
.LBB85_233:                             ;   Parent Loop BB85_15 Depth=1
                                        ; =>  This Inner Loop Header: Depth=2
	s_mov_b32 s71, exec_lo
	s_delay_alu instid0(VALU_DEP_1)
	v_cmpx_gt_u64_e64 s[6:7], v[4:5]
	s_cbranch_execz .LBB85_231
; %bb.234:                              ;   in Loop: Header=BB85_233 Depth=2
	ds_load_u8 v9, v8
	s_wait_dscnt 0x0
	v_bfe_i32 v10, v9, 0, 8
	s_delay_alu instid0(VALU_DEP_1) | instskip(NEXT) | instid1(VALU_DEP_1)
	v_add_nc_u32_e32 v10, 0x80, v10
	v_and_b32_e32 v10, v10, v30
	s_delay_alu instid0(VALU_DEP_1)
	v_cmp_eq_u32_e32 vcc_lo, v10, v28
	s_and_b32 exec_lo, exec_lo, vcc_lo
	s_cbranch_execz .LBB85_231
; %bb.235:                              ;   in Loop: Header=BB85_233 Depth=2
	v_lshlrev_b16 v9, 8, v9
	s_delay_alu instid0(VALU_DEP_1)
	v_or_b32_e32 v9, 1, v9
	ds_store_b16 v3, v9 offset:3072
	s_branch .LBB85_231
.LBB85_236:                             ;   in Loop: Header=BB85_233 Depth=2
	v_add_co_u32 v4, vcc_lo, v4, s54
	s_wait_alu 0xfffd
	v_add_co_ci_u32_e64 v5, null, 0, v5, vcc_lo
	v_add_nc_u32_e32 v8, s54, v8
	s_mov_b32 s72, 0
	s_delay_alu instid0(VALU_DEP_2)
	v_cmp_le_u64_e32 vcc_lo, s[10:11], v[4:5]
	s_or_not1_b32 s71, vcc_lo, exec_lo
	s_branch .LBB85_232
.LBB85_237:                             ;   in Loop: Header=BB85_15 Depth=1
                                        ; implicit-def: $sgpr14_sgpr15
	s_branch .LBB85_183
.LBB85_238:                             ;   in Loop: Header=BB85_15 Depth=1
                                        ; implicit-def: $sgpr6_sgpr7
	s_branch .LBB85_199
.LBB85_239:                             ;   in Loop: Header=BB85_15 Depth=1
	s_or_b32 exec_lo, exec_lo, s12
	v_and_b32_e32 v4, 0xffff, v9
	s_wait_alu 0xfffe
	s_and_b32 s12, s70, exec_lo
	s_delay_alu instid0(VALU_DEP_1)
	v_lshrrev_b32_e32 v31, 8, v4
.LBB85_240:                             ;   in Loop: Header=BB85_15 Depth=1
	s_or_b32 exec_lo, exec_lo, s58
.LBB85_241:                             ;   in Loop: Header=BB85_15 Depth=1
	s_wait_alu 0xfffe
	s_and_b32 vcc_lo, exec_lo, s13
	s_wait_alu 0xfffe
	s_cbranch_vccz .LBB85_255
; %bb.242:                              ;   in Loop: Header=BB85_15 Depth=1
	s_mov_b32 s6, s59
	s_mov_b32 s7, s63
	s_wait_alu 0xfffe
	s_cmp_lg_u64 s[6:7], 0
	s_cbranch_scc0 .LBB85_276
; %bb.243:                              ;   in Loop: Header=BB85_15 Depth=1
	s_cvt_f32_u32 s6, s54
	s_sub_nc_u64 s[10:11], 0, s[54:55]
	s_wait_alu 0xfffe
	s_delay_alu instid0(SALU_CYCLE_1) | instskip(SKIP_1) | instid1(SALU_CYCLE_2)
	s_fmamk_f32 s6, s90, 0x0, s6
	s_wait_alu 0xfffe
	v_s_rcp_f32 s6, s6
	s_delay_alu instid0(TRANS32_DEP_1) | instskip(SKIP_1) | instid1(SALU_CYCLE_2)
	s_mul_f32 s6, s6, 0x5f7ffffc
	s_wait_alu 0xfffe
	s_mul_f32 s7, s6, 0x2f800000
	s_wait_alu 0xfffe
	s_delay_alu instid0(SALU_CYCLE_2) | instskip(SKIP_1) | instid1(SALU_CYCLE_2)
	s_trunc_f32 s7, s7
	s_wait_alu 0xfffe
	s_fmamk_f32 s6, s7, 0xcf800000, s6
	s_cvt_u32_f32 s7, s7
	s_wait_alu 0xfffe
	s_delay_alu instid0(SALU_CYCLE_1) | instskip(SKIP_1) | instid1(SALU_CYCLE_2)
	s_cvt_u32_f32 s6, s6
	s_wait_alu 0xfffe
	s_mul_u64 s[68:69], s[10:11], s[6:7]
	s_wait_alu 0xfffe
	s_mul_hi_u32 s71, s6, s69
	s_mul_i32 s70, s6, s69
	s_mul_hi_u32 s58, s6, s68
	s_mul_i32 s72, s7, s68
	s_wait_alu 0xfffe
	s_add_nc_u64 s[70:71], s[58:59], s[70:71]
	s_mul_hi_u32 s13, s7, s68
	s_mul_hi_u32 s73, s7, s69
	s_wait_alu 0xfffe
	s_add_co_u32 s58, s70, s72
	s_add_co_ci_u32 s58, s71, s13
	s_mul_i32 s68, s7, s69
	s_add_co_ci_u32 s69, s73, 0
	s_wait_alu 0xfffe
	s_add_nc_u64 s[68:69], s[58:59], s[68:69]
	s_wait_alu 0xfffe
	s_add_co_u32 s6, s6, s68
	s_cselect_b32 s13, -1, 0
	s_wait_alu 0xfffe
	s_cmp_lg_u32 s13, 0
	s_add_co_ci_u32 s7, s7, s69
	s_wait_alu 0xfffe
	s_mul_u64 s[10:11], s[10:11], s[6:7]
	s_wait_alu 0xfffe
	s_mul_hi_u32 s69, s6, s11
	s_mul_i32 s68, s6, s11
	s_mul_hi_u32 s58, s6, s10
	s_mul_i32 s70, s7, s10
	s_wait_alu 0xfffe
	s_add_nc_u64 s[68:69], s[58:59], s[68:69]
	s_mul_hi_u32 s13, s7, s10
	s_mul_hi_u32 s71, s7, s11
	s_mul_i32 s10, s7, s11
	s_wait_alu 0xfffe
	s_add_co_u32 s11, s68, s70
	s_add_co_ci_u32 s58, s69, s13
	s_add_co_ci_u32 s11, s71, 0
	s_wait_alu 0xfffe
	s_add_nc_u64 s[10:11], s[58:59], s[10:11]
	s_wait_alu 0xfffe
	s_add_co_u32 s6, s6, s10
	s_cselect_b32 s10, -1, 0
	s_wait_alu 0xfffe
	s_mul_hi_u32 s58, s62, s6
	s_cmp_lg_u32 s10, 0
	s_mul_hi_u32 s13, s63, s6
	s_add_co_ci_u32 s10, s7, s11
	s_mul_i32 s11, s63, s6
	s_wait_alu 0xfffe
	s_mul_hi_u32 s7, s62, s10
	s_mul_i32 s6, s62, s10
	s_mul_hi_u32 s68, s63, s10
	s_wait_alu 0xfffe
	s_add_nc_u64 s[6:7], s[58:59], s[6:7]
	s_mul_i32 s10, s63, s10
	s_wait_alu 0xfffe
	s_add_co_u32 s6, s6, s11
	s_add_co_ci_u32 s58, s7, s13
	s_add_co_ci_u32 s11, s68, 0
	s_wait_alu 0xfffe
	s_add_nc_u64 s[6:7], s[58:59], s[10:11]
	s_wait_alu 0xfffe
	s_mul_u64 s[6:7], s[54:55], s[6:7]
	s_wait_alu 0xfffe
	s_sub_co_u32 s6, s62, s6
	s_cselect_b32 s10, -1, 0
	s_wait_alu 0xfffe
	s_cmp_lg_u32 s10, 0
	s_sub_co_ci_u32 s7, s63, s7
	s_sub_co_u32 s10, s6, s54
	s_cselect_b32 s11, -1, 0
	s_wait_alu 0xfffe
	s_cmp_lg_u32 s11, 0
	s_sub_co_ci_u32 s11, s7, 0
	;; [unrolled: 5-line block ×3, first 2 shown]
	s_cmp_ge_u32 s10, s54
	s_cselect_b32 s68, -1, 0
	s_cmp_eq_u32 s11, 0
	s_wait_alu 0xfffe
	s_cselect_b32 s68, s68, -1
	s_wait_alu 0xfffe
	s_cmp_lg_u32 s68, 0
	s_cselect_b32 s11, s58, s11
	s_cselect_b32 s10, s13, s10
	s_cmp_ge_u32 s6, s54
	s_cselect_b32 s13, -1, 0
	s_cmp_eq_u32 s7, 0
	s_wait_alu 0xfffe
	s_cselect_b32 s13, s13, -1
	s_wait_alu 0xfffe
	s_cmp_lg_u32 s13, 0
	s_cselect_b32 s7, s11, s7
	s_cselect_b32 s6, s10, s6
	s_cbranch_execnz .LBB85_245
.LBB85_244:                             ;   in Loop: Header=BB85_15 Depth=1
	v_cvt_f32_u32_e32 v4, s54
	s_sub_co_i32 s7, 0, s54
	s_delay_alu instid0(VALU_DEP_1) | instskip(NEXT) | instid1(TRANS32_DEP_1)
	v_rcp_iflag_f32_e32 v4, v4
	v_mul_f32_e32 v4, 0x4f7ffffe, v4
	s_delay_alu instid0(VALU_DEP_1) | instskip(NEXT) | instid1(VALU_DEP_1)
	v_cvt_u32_f32_e32 v4, v4
	v_readfirstlane_b32 s6, v4
	s_wait_alu 0xfffe
	s_mul_i32 s7, s7, s6
	s_wait_alu 0xfffe
	s_mul_hi_u32 s7, s6, s7
	s_wait_alu 0xfffe
	s_add_co_i32 s6, s6, s7
	s_wait_alu 0xfffe
	s_mul_hi_u32 s6, s62, s6
	s_wait_alu 0xfffe
	s_mul_i32 s6, s6, s54
	s_wait_alu 0xfffe
	s_sub_co_i32 s6, s62, s6
	s_wait_alu 0xfffe
	s_sub_co_i32 s7, s6, s54
	s_cmp_ge_u32 s6, s54
	s_wait_alu 0xfffe
	s_cselect_b32 s6, s7, s6
	s_wait_alu 0xfffe
	s_sub_co_i32 s7, s6, s54
	s_cmp_ge_u32 s6, s54
	s_wait_alu 0xfffe
	s_cselect_b32 s58, s7, s6
	s_wait_alu 0xfffe
	s_mov_b64 s[6:7], s[58:59]
.LBB85_245:                             ;   in Loop: Header=BB85_15 Depth=1
	s_wait_alu 0xfffe
	s_sub_nc_u64 s[6:7], s[62:63], s[6:7]
	s_mov_b32 s10, exec_lo
                                        ; implicit-def: $vgpr31
	s_wait_alu 0xfffe
	v_cmpx_gt_u64_e64 s[6:7], v[0:1]
	s_cbranch_execz .LBB85_254
; %bb.246:                              ;   in Loop: Header=BB85_15 Depth=1
	v_dual_mov_b32 v5, v1 :: v_dual_mov_b32 v4, v0
	s_mov_b32 s11, 0
                                        ; implicit-def: $sgpr13
	s_branch .LBB85_249
.LBB85_247:                             ;   in Loop: Header=BB85_249 Depth=2
	s_wait_alu 0xfffe
	s_or_b32 exec_lo, exec_lo, s58
	s_wait_loadcnt_dscnt 0x0
	s_barrier_signal -1
	s_barrier_wait -1
	global_inv scope:SCOPE_SE
	ds_load_u16 v8, v3 offset:3072
	s_mov_b32 s68, -1
	s_mov_b32 s58, -1
	s_wait_loadcnt_dscnt 0x0
	s_barrier_signal -1
	s_barrier_wait -1
	global_inv scope:SCOPE_SE
	v_and_b32_e32 v9, 0xff, v8
	s_delay_alu instid0(VALU_DEP_1)
	v_cmp_eq_u32_e32 vcc_lo, 0, v9
	s_cbranch_vccnz .LBB85_252
.LBB85_248:                             ;   in Loop: Header=BB85_249 Depth=2
	s_wait_alu 0xfffe
	s_and_b32 s68, exec_lo, s68
	s_wait_alu 0xfffe
	s_or_b32 s11, s68, s11
	s_and_not1_b32 s13, s13, exec_lo
	s_and_b32 s58, s58, exec_lo
	s_wait_alu 0xfffe
	s_or_b32 s13, s13, s58
	s_and_not1_b32 exec_lo, exec_lo, s11
	s_cbranch_execz .LBB85_253
.LBB85_249:                             ;   Parent Loop BB85_15 Depth=1
                                        ; =>  This Inner Loop Header: Depth=2
	s_mov_b32 s58, exec_lo
	s_delay_alu instid0(VALU_DEP_1)
	v_cmpx_gt_u64_e64 s[28:29], v[4:5]
	s_cbranch_execz .LBB85_247
; %bb.250:                              ;   in Loop: Header=BB85_249 Depth=2
	v_mad_co_u64_u32 v[8:9], null, v4, s44, s[52:53]
	v_mul_lo_u32 v10, v4, s45
	v_mul_lo_u32 v11, v5, s44
	s_delay_alu instid0(VALU_DEP_1) | instskip(SKIP_3) | instid1(VALU_DEP_1)
	v_add3_u32 v9, v11, v9, v10
	global_load_u8 v8, v[8:9], off
	s_wait_loadcnt 0x0
	v_bfe_i32 v9, v8, 0, 8
	v_add_nc_u32_e32 v9, 0x80, v9
	s_delay_alu instid0(VALU_DEP_1) | instskip(NEXT) | instid1(VALU_DEP_1)
	v_and_b32_e32 v9, v9, v30
	v_cmp_eq_u32_e32 vcc_lo, v9, v28
	s_and_b32 exec_lo, exec_lo, vcc_lo
	s_cbranch_execz .LBB85_247
; %bb.251:                              ;   in Loop: Header=BB85_249 Depth=2
	v_lshlrev_b16 v8, 8, v8
	s_delay_alu instid0(VALU_DEP_1)
	v_or_b32_e32 v8, 1, v8
	ds_store_b16 v3, v8 offset:3072
	s_branch .LBB85_247
.LBB85_252:                             ;   in Loop: Header=BB85_249 Depth=2
	v_add_co_u32 v4, vcc_lo, v4, s54
	s_wait_alu 0xfffd
	v_add_co_ci_u32_e64 v5, null, 0, v5, vcc_lo
	s_mov_b32 s58, 0
	v_cmp_le_u64_e32 vcc_lo, s[6:7], v[4:5]
	s_or_not1_b32 s68, vcc_lo, exec_lo
	s_branch .LBB85_248
.LBB85_253:                             ;   in Loop: Header=BB85_15 Depth=1
	s_or_b32 exec_lo, exec_lo, s11
	v_and_b32_e32 v4, 0xffff, v8
	s_and_not1_b32 s6, s12, exec_lo
	s_wait_alu 0xfffe
	s_and_b32 s7, s13, exec_lo
	s_wait_alu 0xfffe
	s_or_b32 s12, s6, s7
	v_lshrrev_b32_e32 v31, 8, v4
.LBB85_254:                             ;   in Loop: Header=BB85_15 Depth=1
	s_or_b32 exec_lo, exec_lo, s10
	s_mov_b32 s68, 0
	s_mov_b32 s69, -1
.LBB85_255:                             ;   in Loop: Header=BB85_15 Depth=1
	s_wait_alu 0xfffe
	s_or_not1_b32 s7, s12, exec_lo
.LBB85_256:                             ;   in Loop: Header=BB85_15 Depth=1
	s_wait_alu 0xfffe
	s_or_b32 exec_lo, exec_lo, s67
	s_mov_b32 s10, 0
	s_and_saveexec_b32 s6, s7
	s_cbranch_execz .LBB85_267
; %bb.257:                              ;   in Loop: Header=BB85_15 Depth=1
	v_mov_b32_e32 v4, 1
	v_dual_mov_b32 v5, 0 :: v_dual_mov_b32 v2, 1
	s_xor_b32 s10, s20, -1
	s_wait_alu 0xfffe
	s_and_saveexec_b32 s7, s10
	s_cbranch_execz .LBB85_266
; %bb.258:                              ;   in Loop: Header=BB85_15 Depth=1
	s_mov_b32 s10, exec_lo
	v_cmpx_ge_u64_e64 s[8:9], v[6:7]
	s_wait_alu 0xfffe
	s_xor_b32 s10, exec_lo, s10
	s_cbranch_execz .LBB85_263
; %bb.259:                              ;   in Loop: Header=BB85_15 Depth=1
	ds_load_b64 v[4:5], v3 offset:5120
	v_or_b32_e32 v28, s16, v28
	v_or_b32_e32 v30, s16, v30
	s_wait_dscnt 0x0
	v_cmp_ne_u64_e32 vcc_lo, 0, v[4:5]
	s_cbranch_vccnz .LBB85_263
; %bb.260:                              ;   in Loop: Header=BB85_15 Depth=1
	s_and_saveexec_b32 s11, s2
; %bb.261:                              ;   in Loop: Header=BB85_15 Depth=1
	v_dual_mov_b32 v4, s8 :: v_dual_mov_b32 v5, s9
	ds_store_b64 v3, v[4:5] offset:5128
; %bb.262:                              ;   in Loop: Header=BB85_15 Depth=1
	s_wait_alu 0xfffe
	s_or_b32 exec_lo, exec_lo, s11
	s_wait_loadcnt_dscnt 0x0
	s_barrier_signal -1
	s_barrier_wait -1
	global_inv scope:SCOPE_SE
.LBB85_263:                             ;   in Loop: Header=BB85_15 Depth=1
	s_wait_alu 0xfffe
	s_and_not1_saveexec_b32 s10, s10
; %bb.264:                              ;   in Loop: Header=BB85_15 Depth=1
	v_sub_co_u32 v6, vcc_lo, v6, s8
	s_wait_alu 0xfffd
	v_subrev_co_ci_u32_e64 v7, null, s9, v7, vcc_lo
; %bb.265:                              ;   in Loop: Header=BB85_15 Depth=1
	s_wait_alu 0xfffe
	s_or_b32 exec_lo, exec_lo, s10
	v_mov_b32_e32 v4, v6
	s_delay_alu instid0(VALU_DEP_2)
	v_dual_mov_b32 v2, 8 :: v_dual_mov_b32 v5, v7
.LBB85_266:                             ;   in Loop: Header=BB85_15 Depth=1
	s_wait_alu 0xfffe
	s_or_b32 exec_lo, exec_lo, s7
	s_delay_alu instid0(VALU_DEP_1)
	v_dual_mov_b32 v7, v5 :: v_dual_mov_b32 v6, v4
	s_mov_b32 s10, exec_lo
.LBB85_267:                             ;   in Loop: Header=BB85_15 Depth=1
	s_wait_alu 0xfffe
	s_or_b32 exec_lo, exec_lo, s6
	s_delay_alu instid0(SALU_CYCLE_1)
	s_or_not1_b32 s6, s10, exec_lo
.LBB85_268:                             ;   in Loop: Header=BB85_15 Depth=1
	s_wait_alu 0xfffe
	s_or_b32 exec_lo, exec_lo, s15
	v_dual_mov_b32 v4, v6 :: v_dual_mov_b32 v5, v7
	s_and_not1_b32 s7, s66, exec_lo
	s_and_b32 s8, s69, exec_lo
	s_and_not1_b32 s9, s25, exec_lo
	s_and_b32 s10, s68, exec_lo
	s_wait_alu 0xfffe
	s_or_b32 s66, s7, s8
	s_or_b32 s25, s9, s10
	s_and_b32 s7, s6, exec_lo
.LBB85_269:                             ;   in Loop: Header=BB85_15 Depth=1
	s_wait_alu 0xfffe
	s_or_b32 exec_lo, exec_lo, s14
	s_delay_alu instid0(SALU_CYCLE_1)
	s_or_not1_b32 s6, s7, exec_lo
.LBB85_270:                             ;   in Loop: Header=BB85_15 Depth=1
	s_wait_alu 0xfffe
	s_or_b32 exec_lo, exec_lo, s24
	v_dual_mov_b32 v9, v5 :: v_dual_mov_b32 v8, v4
	s_and_not1_b32 s7, s22, exec_lo
	s_and_b32 s8, s66, exec_lo
	s_and_not1_b32 s9, s21, exec_lo
	s_and_b32 s10, s25, exec_lo
	s_wait_alu 0xfffe
	s_or_b32 s22, s7, s8
	s_or_b32 s21, s9, s10
	s_and_b32 s7, s6, exec_lo
.LBB85_271:                             ;   in Loop: Header=BB85_15 Depth=1
	s_wait_alu 0xfffe
	s_or_b32 exec_lo, exec_lo, s23
	s_delay_alu instid0(SALU_CYCLE_1)
	s_or_not1_b32 s6, s7, exec_lo
.LBB85_272:                             ;   in Loop: Header=BB85_15 Depth=1
	s_wait_alu 0xfffe
	s_or_b32 exec_lo, exec_lo, s19
	s_mov_b32 s7, 0
	s_and_saveexec_b32 s8, s6
	s_wait_alu 0xfffe
	s_xor_b32 s6, exec_lo, s8
	s_cbranch_execz .LBB85_13
; %bb.273:                              ;   in Loop: Header=BB85_15 Depth=1
	v_and_b32_e32 v2, 7, v2
	s_mov_b32 s8, -1
	s_mov_b32 s7, -1
	s_mov_b32 s9, exec_lo
	s_delay_alu instid0(VALU_DEP_1)
	v_cmpx_eq_u32_e32 0, v2
	s_cbranch_execz .LBB85_12
; %bb.274:                              ;   in Loop: Header=BB85_15 Depth=1
	s_xor_b32 s91, s91, 1
	s_add_co_i32 s10, s88, -2
	s_cmp_eq_u32 s88, 0
	s_wait_alu 0xfffe
	s_mov_b32 s88, s10
	s_cselect_b32 s8, -1, 0
	s_xor_b32 s7, exec_lo, -1
	s_wait_alu 0xfffe
	s_or_not1_b32 s8, s8, exec_lo
	s_branch .LBB85_12
.LBB85_275:                             ;   in Loop: Header=BB85_15 Depth=1
                                        ; implicit-def: $sgpr12_sgpr13
	s_branch .LBB85_228
.LBB85_276:                             ;   in Loop: Header=BB85_15 Depth=1
                                        ; implicit-def: $sgpr6_sgpr7
	s_branch .LBB85_244
.LBB85_277:
	s_or_b32 exec_lo, exec_lo, s89
	s_xor_b32 s4, s97, -1
	s_xor_b32 s1, s95, -1
	;; [unrolled: 1-line block ×3, first 2 shown]
	s_mov_b32 s2, 0
	s_and_saveexec_b32 s5, s1
	s_wait_alu 0xfffe
	s_xor_b32 s1, exec_lo, s5
	s_cbranch_execnz .LBB85_284
; %bb.278:
	s_and_not1_saveexec_b32 s0, s1
	s_cbranch_execnz .LBB85_297
.LBB85_279:
	s_or_b32 exec_lo, exec_lo, s0
	s_and_saveexec_b32 s0, s2
.LBB85_280:
	; divergent unreachable
.LBB85_281:
	s_endpgm
.LBB85_282:
	v_cvt_f32_u32_e32 v1, s30
	s_sub_co_i32 s3, 0, s30
	s_mov_b32 s35, 0
	s_delay_alu instid0(VALU_DEP_1) | instskip(NEXT) | instid1(TRANS32_DEP_1)
	v_rcp_iflag_f32_e32 v1, v1
	v_mul_f32_e32 v1, 0x4f7ffffe, v1
	s_delay_alu instid0(VALU_DEP_1) | instskip(NEXT) | instid1(VALU_DEP_1)
	v_cvt_u32_f32_e32 v1, v1
	v_readfirstlane_b32 s2, v1
	s_mul_i32 s3, s3, s2
	s_delay_alu instid0(SALU_CYCLE_1) | instskip(NEXT) | instid1(SALU_CYCLE_1)
	s_mul_hi_u32 s3, s2, s3
	s_add_co_i32 s2, s2, s3
	s_delay_alu instid0(SALU_CYCLE_1) | instskip(NEXT) | instid1(SALU_CYCLE_1)
	s_mul_hi_u32 s2, s26, s2
	s_mul_i32 s3, s2, s30
	s_add_co_i32 s4, s2, 1
	s_sub_co_i32 s3, s26, s3
	s_delay_alu instid0(SALU_CYCLE_1)
	s_sub_co_i32 s5, s3, s30
	s_cmp_ge_u32 s3, s30
	s_cselect_b32 s2, s4, s2
	s_cselect_b32 s3, s5, s3
	s_add_co_i32 s4, s2, 1
	s_cmp_ge_u32 s3, s30
	s_cselect_b32 s34, s4, s2
	s_wait_kmcnt 0x0
	v_cmp_lt_u64_e64 s2, s[26:27], s[10:11]
	s_mov_b64 s[14:15], 0
	s_and_b32 vcc_lo, exec_lo, s2
	s_cbranch_vccnz .LBB85_5
.LBB85_283:
	v_cvt_f32_u32_e32 v1, s10
	s_sub_co_i32 s3, 0, s10
	s_mov_b32 s15, 0
	s_delay_alu instid0(VALU_DEP_1) | instskip(NEXT) | instid1(TRANS32_DEP_1)
	v_rcp_iflag_f32_e32 v1, v1
	v_mul_f32_e32 v1, 0x4f7ffffe, v1
	s_delay_alu instid0(VALU_DEP_1) | instskip(NEXT) | instid1(VALU_DEP_1)
	v_cvt_u32_f32_e32 v1, v1
	v_readfirstlane_b32 s2, v1
	s_mul_i32 s3, s3, s2
	s_delay_alu instid0(SALU_CYCLE_1) | instskip(NEXT) | instid1(SALU_CYCLE_1)
	s_mul_hi_u32 s3, s2, s3
	s_add_co_i32 s2, s2, s3
	s_delay_alu instid0(SALU_CYCLE_1) | instskip(NEXT) | instid1(SALU_CYCLE_1)
	s_mul_hi_u32 s2, s26, s2
	s_mul_i32 s3, s2, s10
	s_add_co_i32 s4, s2, 1
	s_sub_co_i32 s3, s26, s3
	s_delay_alu instid0(SALU_CYCLE_1)
	s_sub_co_i32 s5, s3, s10
	s_cmp_ge_u32 s3, s10
	s_cselect_b32 s2, s4, s2
	s_cselect_b32 s3, s5, s3
	s_add_co_i32 s4, s2, 1
	s_cmp_ge_u32 s3, s10
	s_cselect_b32 s14, s4, s2
	v_cmp_eq_u32_e64 s2, 0, v0
	s_and_saveexec_b32 s3, s2
	s_cbranch_execnz .LBB85_6
	s_branch .LBB85_7
.LBB85_284:
	s_and_saveexec_b32 s2, s4
	s_delay_alu instid0(SALU_CYCLE_1)
	s_xor_b32 s2, exec_lo, s2
	s_cbranch_execz .LBB85_295
; %bb.285:
	s_and_saveexec_b32 s4, s3
	s_wait_alu 0xfffe
	s_xor_b32 s3, exec_lo, s4
; %bb.286:
	v_xor_b32_e32 v31, 0xffffff80, v28
; %bb.287:
	s_or_b32 exec_lo, exec_lo, s3
	s_mul_u64 s[4:5], s[48:49], s[46:47]
	s_mul_u64 s[6:7], s[48:49], s[40:41]
	s_wait_alu 0xfffe
	s_sub_nc_u64 s[4:5], s[26:27], s[4:5]
	v_mov_b32_e32 v2, 0
	s_wait_alu 0xfffe
	s_mul_u64 s[4:5], s[4:5], s[42:43]
	s_add_nc_u64 s[6:7], s[56:57], s[6:7]
	s_wait_alu 0xfffe
	s_add_nc_u64 s[4:5], s[6:7], s[4:5]
	global_store_b8 v2, v31, s[4:5]
	s_and_saveexec_b32 s3, s0
	s_cbranch_execz .LBB85_294
; %bb.288:
	v_and_b32_e32 v4, 0xff, v31
	s_mov_b32 s0, 0
                                        ; implicit-def: $sgpr4
                                        ; implicit-def: $sgpr6
                                        ; implicit-def: $sgpr5
	s_branch .LBB85_290
.LBB85_289:                             ;   in Loop: Header=BB85_290 Depth=1
	s_wait_alu 0xfffe
	s_or_b32 exec_lo, exec_lo, s7
	s_delay_alu instid0(SALU_CYCLE_1)
	s_and_b32 s7, exec_lo, s6
	s_wait_alu 0xfffe
	s_or_b32 s0, s7, s0
	s_and_not1_b32 s4, s4, exec_lo
	s_and_b32 s7, s5, exec_lo
	s_wait_alu 0xfffe
	s_or_b32 s4, s4, s7
	s_and_not1_b32 exec_lo, exec_lo, s0
	s_cbranch_execz .LBB85_292
.LBB85_290:                             ; =>This Inner Loop Header: Depth=1
	v_dual_mov_b32 v3, v1 :: v_dual_mov_b32 v2, v0
	s_wait_alu 0xfffe
	s_or_b32 s5, s5, exec_lo
	s_or_b32 s6, s6, exec_lo
	s_delay_alu instid0(VALU_DEP_1) | instskip(SKIP_2) | instid1(VALU_DEP_1)
	v_mul_lo_u32 v6, v3, s44
	v_mad_co_u64_u32 v[0:1], null, v2, s44, s[52:53]
	v_mul_lo_u32 v5, v2, s45
	v_add3_u32 v1, v6, v1, v5
	global_load_u8 v0, v[0:1], off
	s_wait_loadcnt 0x0
	v_cmp_ne_u16_e32 vcc_lo, v0, v4
                                        ; implicit-def: $vgpr0_vgpr1
	s_and_saveexec_b32 s7, vcc_lo
	s_cbranch_execz .LBB85_289
; %bb.291:                              ;   in Loop: Header=BB85_290 Depth=1
	v_add_co_u32 v0, vcc_lo, v2, s54
	s_wait_alu 0xfffd
	v_add_co_ci_u32_e64 v1, null, 0, v3, vcc_lo
	s_wait_alu 0xfffe
	s_and_not1_b32 s6, s6, exec_lo
	s_and_not1_b32 s5, s5, exec_lo
	s_delay_alu instid0(VALU_DEP_1)
	v_cmp_le_u64_e32 vcc_lo, s[28:29], v[0:1]
	s_and_b32 s8, vcc_lo, exec_lo
	s_wait_alu 0xfffe
	s_or_b32 s6, s6, s8
	s_branch .LBB85_289
.LBB85_292:
	s_or_b32 exec_lo, exec_lo, s0
	s_wait_alu 0xfffe
	s_and_saveexec_b32 s0, s4
	s_delay_alu instid0(SALU_CYCLE_1)
	s_xor_b32 s0, exec_lo, s0
	s_cbranch_execz .LBB85_294
; %bb.293:
	s_mul_u64 s[4:5], s[34:35], s[30:31]
	s_mul_u64 s[6:7], s[34:35], s[36:37]
	s_wait_alu 0xfffe
	s_sub_nc_u64 s[4:5], s[26:27], s[4:5]
	s_lshl_b64 s[6:7], s[6:7], 3
	s_wait_alu 0xfffe
	s_mul_u64 s[4:5], s[4:5], s[38:39]
	v_mov_b32_e32 v0, 0
	s_add_nc_u64 s[6:7], s[50:51], s[6:7]
	s_wait_alu 0xfffe
	s_lshl_b64 s[4:5], s[4:5], 3
	s_wait_alu 0xfffe
	s_add_nc_u64 s[4:5], s[6:7], s[4:5]
	global_store_b64 v0, v[2:3], s[4:5]
.LBB85_294:
	s_or_b32 exec_lo, exec_lo, s3
.LBB85_295:
	s_or_saveexec_b32 s0, s2
	s_mov_b32 s2, 0
	s_xor_b32 exec_lo, exec_lo, s0
	s_cbranch_execnz .LBB85_298
.LBB85_296:
	s_or_b32 exec_lo, exec_lo, s0
	s_delay_alu instid0(SALU_CYCLE_1)
	s_and_b32 s2, s2, exec_lo
	s_and_not1_saveexec_b32 s0, s1
	s_cbranch_execz .LBB85_279
.LBB85_297:
	s_or_b32 s2, s2, exec_lo
	s_trap 2
	s_or_b32 exec_lo, exec_lo, s0
	s_and_saveexec_b32 s0, s2
	s_cbranch_execnz .LBB85_280
	s_branch .LBB85_281
.LBB85_298:
	s_mov_b32 s2, exec_lo
	s_trap 2
	s_branch .LBB85_296
	.section	.rodata,"a",@progbits
	.p2align	6, 0x0
	.amdhsa_kernel _ZN2at6native12_GLOBAL__N_112gatherMedianIamLi2EEEvNS_4cuda6detail10TensorInfoIT_T0_EENS5_IlS7_EENS5_IKS6_S7_EES7_S7_S7_b
		.amdhsa_group_segment_fixed_size 5152
		.amdhsa_private_segment_fixed_size 0
		.amdhsa_kernarg_size 1536
		.amdhsa_user_sgpr_count 2
		.amdhsa_user_sgpr_dispatch_ptr 0
		.amdhsa_user_sgpr_queue_ptr 0
		.amdhsa_user_sgpr_kernarg_segment_ptr 1
		.amdhsa_user_sgpr_dispatch_id 0
		.amdhsa_user_sgpr_private_segment_size 0
		.amdhsa_wavefront_size32 1
		.amdhsa_uses_dynamic_stack 0
		.amdhsa_enable_private_segment 0
		.amdhsa_system_sgpr_workgroup_id_x 1
		.amdhsa_system_sgpr_workgroup_id_y 1
		.amdhsa_system_sgpr_workgroup_id_z 1
		.amdhsa_system_sgpr_workgroup_info 0
		.amdhsa_system_vgpr_workitem_id 0
		.amdhsa_next_free_vgpr 48
		.amdhsa_next_free_sgpr 102
		.amdhsa_reserve_vcc 1
		.amdhsa_float_round_mode_32 0
		.amdhsa_float_round_mode_16_64 0
		.amdhsa_float_denorm_mode_32 3
		.amdhsa_float_denorm_mode_16_64 3
		.amdhsa_fp16_overflow 0
		.amdhsa_workgroup_processor_mode 1
		.amdhsa_memory_ordered 1
		.amdhsa_forward_progress 1
		.amdhsa_inst_pref_size 146
		.amdhsa_round_robin_scheduling 0
		.amdhsa_exception_fp_ieee_invalid_op 0
		.amdhsa_exception_fp_denorm_src 0
		.amdhsa_exception_fp_ieee_div_zero 0
		.amdhsa_exception_fp_ieee_overflow 0
		.amdhsa_exception_fp_ieee_underflow 0
		.amdhsa_exception_fp_ieee_inexact 0
		.amdhsa_exception_int_div_zero 0
	.end_amdhsa_kernel
	.section	.text._ZN2at6native12_GLOBAL__N_112gatherMedianIamLi2EEEvNS_4cuda6detail10TensorInfoIT_T0_EENS5_IlS7_EENS5_IKS6_S7_EES7_S7_S7_b,"axG",@progbits,_ZN2at6native12_GLOBAL__N_112gatherMedianIamLi2EEEvNS_4cuda6detail10TensorInfoIT_T0_EENS5_IlS7_EENS5_IKS6_S7_EES7_S7_S7_b,comdat
.Lfunc_end85:
	.size	_ZN2at6native12_GLOBAL__N_112gatherMedianIamLi2EEEvNS_4cuda6detail10TensorInfoIT_T0_EENS5_IlS7_EENS5_IKS6_S7_EES7_S7_S7_b, .Lfunc_end85-_ZN2at6native12_GLOBAL__N_112gatherMedianIamLi2EEEvNS_4cuda6detail10TensorInfoIT_T0_EENS5_IlS7_EENS5_IKS6_S7_EES7_S7_S7_b
                                        ; -- End function
	.set _ZN2at6native12_GLOBAL__N_112gatherMedianIamLi2EEEvNS_4cuda6detail10TensorInfoIT_T0_EENS5_IlS7_EENS5_IKS6_S7_EES7_S7_S7_b.num_vgpr, 48
	.set _ZN2at6native12_GLOBAL__N_112gatherMedianIamLi2EEEvNS_4cuda6detail10TensorInfoIT_T0_EENS5_IlS7_EENS5_IKS6_S7_EES7_S7_S7_b.num_agpr, 0
	.set _ZN2at6native12_GLOBAL__N_112gatherMedianIamLi2EEEvNS_4cuda6detail10TensorInfoIT_T0_EENS5_IlS7_EENS5_IKS6_S7_EES7_S7_S7_b.numbered_sgpr, 102
	.set _ZN2at6native12_GLOBAL__N_112gatherMedianIamLi2EEEvNS_4cuda6detail10TensorInfoIT_T0_EENS5_IlS7_EENS5_IKS6_S7_EES7_S7_S7_b.num_named_barrier, 0
	.set _ZN2at6native12_GLOBAL__N_112gatherMedianIamLi2EEEvNS_4cuda6detail10TensorInfoIT_T0_EENS5_IlS7_EENS5_IKS6_S7_EES7_S7_S7_b.private_seg_size, 0
	.set _ZN2at6native12_GLOBAL__N_112gatherMedianIamLi2EEEvNS_4cuda6detail10TensorInfoIT_T0_EENS5_IlS7_EENS5_IKS6_S7_EES7_S7_S7_b.uses_vcc, 1
	.set _ZN2at6native12_GLOBAL__N_112gatherMedianIamLi2EEEvNS_4cuda6detail10TensorInfoIT_T0_EENS5_IlS7_EENS5_IKS6_S7_EES7_S7_S7_b.uses_flat_scratch, 0
	.set _ZN2at6native12_GLOBAL__N_112gatherMedianIamLi2EEEvNS_4cuda6detail10TensorInfoIT_T0_EENS5_IlS7_EENS5_IKS6_S7_EES7_S7_S7_b.has_dyn_sized_stack, 0
	.set _ZN2at6native12_GLOBAL__N_112gatherMedianIamLi2EEEvNS_4cuda6detail10TensorInfoIT_T0_EENS5_IlS7_EENS5_IKS6_S7_EES7_S7_S7_b.has_recursion, 0
	.set _ZN2at6native12_GLOBAL__N_112gatherMedianIamLi2EEEvNS_4cuda6detail10TensorInfoIT_T0_EENS5_IlS7_EENS5_IKS6_S7_EES7_S7_S7_b.has_indirect_call, 0
	.section	.AMDGPU.csdata,"",@progbits
; Kernel info:
; codeLenInByte = 18672
; TotalNumSgprs: 104
; NumVgprs: 48
; ScratchSize: 0
; MemoryBound: 0
; FloatMode: 240
; IeeeMode: 1
; LDSByteSize: 5152 bytes/workgroup (compile time only)
; SGPRBlocks: 0
; VGPRBlocks: 5
; NumSGPRsForWavesPerEU: 104
; NumVGPRsForWavesPerEU: 48
; Occupancy: 16
; WaveLimiterHint : 1
; COMPUTE_PGM_RSRC2:SCRATCH_EN: 0
; COMPUTE_PGM_RSRC2:USER_SGPR: 2
; COMPUTE_PGM_RSRC2:TRAP_HANDLER: 0
; COMPUTE_PGM_RSRC2:TGID_X_EN: 1
; COMPUTE_PGM_RSRC2:TGID_Y_EN: 1
; COMPUTE_PGM_RSRC2:TGID_Z_EN: 1
; COMPUTE_PGM_RSRC2:TIDIG_COMP_CNT: 0
	.section	.text._ZN2at6native12_GLOBAL__N_112gatherMedianIamLi3EEEvNS_4cuda6detail10TensorInfoIT_T0_EENS5_IlS7_EENS5_IKS6_S7_EES7_S7_S7_b,"axG",@progbits,_ZN2at6native12_GLOBAL__N_112gatherMedianIamLi3EEEvNS_4cuda6detail10TensorInfoIT_T0_EENS5_IlS7_EENS5_IKS6_S7_EES7_S7_S7_b,comdat
	.globl	_ZN2at6native12_GLOBAL__N_112gatherMedianIamLi3EEEvNS_4cuda6detail10TensorInfoIT_T0_EENS5_IlS7_EENS5_IKS6_S7_EES7_S7_S7_b ; -- Begin function _ZN2at6native12_GLOBAL__N_112gatherMedianIamLi3EEEvNS_4cuda6detail10TensorInfoIT_T0_EENS5_IlS7_EENS5_IKS6_S7_EES7_S7_S7_b
	.p2align	8
	.type	_ZN2at6native12_GLOBAL__N_112gatherMedianIamLi3EEEvNS_4cuda6detail10TensorInfoIT_T0_EENS5_IlS7_EENS5_IKS6_S7_EES7_S7_S7_b,@function
_ZN2at6native12_GLOBAL__N_112gatherMedianIamLi3EEEvNS_4cuda6detail10TensorInfoIT_T0_EENS5_IlS7_EENS5_IKS6_S7_EES7_S7_S7_b: ; @_ZN2at6native12_GLOBAL__N_112gatherMedianIamLi3EEEvNS_4cuda6detail10TensorInfoIT_T0_EENS5_IlS7_EENS5_IKS6_S7_EES7_S7_S7_b
; %bb.0:
	s_clause 0x1
	s_load_b64 s[12:13], s[0:1], 0x500
	s_load_b128 s[28:31], s[0:1], 0x4e0
	s_lshr_b32 s2, ttmp7, 16
	s_and_b32 s3, ttmp7, 0xffff
	s_mov_b32 s27, 0
	s_wait_kmcnt 0x0
	s_mul_i32 s2, s13, s2
	s_delay_alu instid0(SALU_CYCLE_1) | instskip(NEXT) | instid1(SALU_CYCLE_1)
	s_add_co_i32 s2, s2, s3
	s_mul_i32 s2, s2, s12
	s_delay_alu instid0(SALU_CYCLE_1) | instskip(NEXT) | instid1(SALU_CYCLE_1)
	s_add_co_i32 s26, s2, ttmp9
	v_cmp_le_u64_e64 s2, s[30:31], s[26:27]
	s_and_b32 vcc_lo, exec_lo, s2
	s_cbranch_vccnz .LBB86_289
; %bb.1:
	s_load_b128 s[40:43], s[0:1], 0x10
	s_mov_b64 s[52:53], 0
	s_mov_b64 s[54:55], 0
	s_wait_kmcnt 0x0
	v_cmp_lt_u64_e64 s2, s[26:27], s[42:43]
	s_and_b32 vcc_lo, exec_lo, s2
	s_cbranch_vccnz .LBB86_3
; %bb.2:
	v_cvt_f32_u32_e32 v1, s42
	s_sub_co_i32 s3, 0, s42
	s_mov_b32 s55, 0
	s_delay_alu instid0(VALU_DEP_1) | instskip(NEXT) | instid1(TRANS32_DEP_1)
	v_rcp_iflag_f32_e32 v1, v1
	v_mul_f32_e32 v1, 0x4f7ffffe, v1
	s_delay_alu instid0(VALU_DEP_1) | instskip(NEXT) | instid1(VALU_DEP_1)
	v_cvt_u32_f32_e32 v1, v1
	v_readfirstlane_b32 s2, v1
	s_mul_i32 s3, s3, s2
	s_delay_alu instid0(SALU_CYCLE_1) | instskip(NEXT) | instid1(SALU_CYCLE_1)
	s_mul_hi_u32 s3, s2, s3
	s_add_co_i32 s2, s2, s3
	s_delay_alu instid0(SALU_CYCLE_1) | instskip(NEXT) | instid1(SALU_CYCLE_1)
	s_mul_hi_u32 s2, s26, s2
	s_mul_i32 s3, s2, s42
	s_add_co_i32 s4, s2, 1
	s_sub_co_i32 s3, s26, s3
	s_delay_alu instid0(SALU_CYCLE_1)
	s_sub_co_i32 s5, s3, s42
	s_cmp_ge_u32 s3, s42
	s_cselect_b32 s2, s4, s2
	s_cselect_b32 s3, s5, s3
	s_add_co_i32 s4, s2, 1
	s_cmp_ge_u32 s3, s42
	s_cselect_b32 s54, s4, s2
.LBB86_3:
	s_load_b128 s[36:39], s[0:1], 0x1b0
	v_cmp_lt_u64_e64 s2, s[54:55], s[40:41]
	s_and_b32 vcc_lo, exec_lo, s2
	s_cbranch_vccnz .LBB86_5
; %bb.4:
	v_cvt_f32_u32_e32 v1, s40
	s_sub_co_i32 s3, 0, s40
	s_mov_b32 s53, 0
	s_delay_alu instid0(VALU_DEP_1) | instskip(NEXT) | instid1(TRANS32_DEP_1)
	v_rcp_iflag_f32_e32 v1, v1
	v_mul_f32_e32 v1, 0x4f7ffffe, v1
	s_delay_alu instid0(VALU_DEP_1) | instskip(NEXT) | instid1(VALU_DEP_1)
	v_cvt_u32_f32_e32 v1, v1
	v_readfirstlane_b32 s2, v1
	s_mul_i32 s3, s3, s2
	s_delay_alu instid0(SALU_CYCLE_1) | instskip(NEXT) | instid1(SALU_CYCLE_1)
	s_mul_hi_u32 s3, s2, s3
	s_add_co_i32 s2, s2, s3
	s_delay_alu instid0(SALU_CYCLE_1) | instskip(NEXT) | instid1(SALU_CYCLE_1)
	s_mul_hi_u32 s2, s54, s2
	s_mul_i32 s3, s2, s40
	s_add_co_i32 s4, s2, 1
	s_sub_co_i32 s3, s54, s3
	s_delay_alu instid0(SALU_CYCLE_1)
	s_sub_co_i32 s5, s3, s40
	s_cmp_ge_u32 s3, s40
	s_cselect_b32 s2, s4, s2
	s_cselect_b32 s3, s5, s3
	s_add_co_i32 s4, s2, 1
	s_cmp_ge_u32 s3, s40
	s_cselect_b32 s52, s4, s2
.LBB86_5:
	s_wait_kmcnt 0x0
	v_cmp_lt_u64_e64 s2, s[26:27], s[38:39]
	s_mov_b64 s[34:35], 0
	s_mov_b64 s[30:31], 0
	s_and_b32 vcc_lo, exec_lo, s2
	s_cbranch_vccnz .LBB86_7
; %bb.6:
	v_cvt_f32_u32_e32 v1, s38
	s_sub_co_i32 s3, 0, s38
	s_mov_b32 s31, 0
	s_delay_alu instid0(VALU_DEP_1) | instskip(NEXT) | instid1(TRANS32_DEP_1)
	v_rcp_iflag_f32_e32 v1, v1
	v_mul_f32_e32 v1, 0x4f7ffffe, v1
	s_delay_alu instid0(VALU_DEP_1) | instskip(NEXT) | instid1(VALU_DEP_1)
	v_cvt_u32_f32_e32 v1, v1
	v_readfirstlane_b32 s2, v1
	s_mul_i32 s3, s3, s2
	s_delay_alu instid0(SALU_CYCLE_1) | instskip(NEXT) | instid1(SALU_CYCLE_1)
	s_mul_hi_u32 s3, s2, s3
	s_add_co_i32 s2, s2, s3
	s_delay_alu instid0(SALU_CYCLE_1) | instskip(NEXT) | instid1(SALU_CYCLE_1)
	s_mul_hi_u32 s2, s26, s2
	s_mul_i32 s3, s2, s38
	s_add_co_i32 s4, s2, 1
	s_sub_co_i32 s3, s26, s3
	s_delay_alu instid0(SALU_CYCLE_1)
	s_sub_co_i32 s5, s3, s38
	s_cmp_ge_u32 s3, s38
	s_cselect_b32 s2, s4, s2
	s_cselect_b32 s3, s5, s3
	s_add_co_i32 s4, s2, 1
	s_cmp_ge_u32 s3, s38
	s_cselect_b32 s30, s4, s2
.LBB86_7:
	s_load_b128 s[4:7], s[0:1], 0x350
	v_cmp_lt_u64_e64 s2, s[30:31], s[36:37]
	s_and_b32 vcc_lo, exec_lo, s2
	s_cbranch_vccnz .LBB86_9
; %bb.8:
	v_cvt_f32_u32_e32 v1, s36
	s_sub_co_i32 s3, 0, s36
	s_mov_b32 s35, 0
	s_delay_alu instid0(VALU_DEP_1) | instskip(NEXT) | instid1(TRANS32_DEP_1)
	v_rcp_iflag_f32_e32 v1, v1
	v_mul_f32_e32 v1, 0x4f7ffffe, v1
	s_delay_alu instid0(VALU_DEP_1) | instskip(NEXT) | instid1(VALU_DEP_1)
	v_cvt_u32_f32_e32 v1, v1
	v_readfirstlane_b32 s2, v1
	s_mul_i32 s3, s3, s2
	s_delay_alu instid0(SALU_CYCLE_1) | instskip(NEXT) | instid1(SALU_CYCLE_1)
	s_mul_hi_u32 s3, s2, s3
	s_add_co_i32 s2, s2, s3
	s_delay_alu instid0(SALU_CYCLE_1) | instskip(NEXT) | instid1(SALU_CYCLE_1)
	s_mul_hi_u32 s2, s30, s2
	s_mul_i32 s3, s2, s36
	s_add_co_i32 s8, s2, 1
	s_sub_co_i32 s3, s30, s3
	s_delay_alu instid0(SALU_CYCLE_1)
	s_sub_co_i32 s9, s3, s36
	s_cmp_ge_u32 s3, s36
	s_cselect_b32 s2, s8, s2
	s_cselect_b32 s3, s9, s3
	s_add_co_i32 s8, s2, 1
	s_cmp_ge_u32 s3, s36
	s_cselect_b32 s34, s8, s2
.LBB86_9:
	s_load_b64 s[56:57], s[0:1], 0x4f0
	s_wait_kmcnt 0x0
	v_cmp_lt_u64_e64 s2, s[26:27], s[6:7]
	s_mov_b64 s[16:17], 0
	s_mov_b64 s[18:19], 0
	s_and_b32 vcc_lo, exec_lo, s2
	s_cbranch_vccnz .LBB86_11
; %bb.10:
	v_cvt_f32_u32_e32 v1, s6
	s_sub_co_i32 s3, 0, s6
	s_mov_b32 s19, 0
	s_delay_alu instid0(VALU_DEP_1) | instskip(NEXT) | instid1(TRANS32_DEP_1)
	v_rcp_iflag_f32_e32 v1, v1
	v_mul_f32_e32 v1, 0x4f7ffffe, v1
	s_delay_alu instid0(VALU_DEP_1) | instskip(NEXT) | instid1(VALU_DEP_1)
	v_cvt_u32_f32_e32 v1, v1
	v_readfirstlane_b32 s2, v1
	s_mul_i32 s3, s3, s2
	s_delay_alu instid0(SALU_CYCLE_1) | instskip(NEXT) | instid1(SALU_CYCLE_1)
	s_mul_hi_u32 s3, s2, s3
	s_add_co_i32 s2, s2, s3
	s_delay_alu instid0(SALU_CYCLE_1) | instskip(NEXT) | instid1(SALU_CYCLE_1)
	s_mul_hi_u32 s2, s26, s2
	s_mul_i32 s3, s2, s6
	s_add_co_i32 s8, s2, 1
	s_sub_co_i32 s3, s26, s3
	s_delay_alu instid0(SALU_CYCLE_1)
	s_sub_co_i32 s9, s3, s6
	s_cmp_ge_u32 s3, s6
	s_cselect_b32 s2, s8, s2
	s_cselect_b32 s3, s9, s3
	s_add_co_i32 s8, s2, 1
	s_cmp_ge_u32 s3, s6
	s_cselect_b32 s18, s8, s2
.LBB86_11:
	s_delay_alu instid0(SALU_CYCLE_1)
	v_cmp_lt_u64_e64 s2, s[18:19], s[4:5]
	s_and_b32 vcc_lo, exec_lo, s2
	s_cbranch_vccnz .LBB86_13
; %bb.12:
	v_cvt_f32_u32_e32 v1, s4
	s_sub_co_i32 s3, 0, s4
	s_mov_b32 s17, 0
	s_delay_alu instid0(VALU_DEP_1) | instskip(NEXT) | instid1(TRANS32_DEP_1)
	v_rcp_iflag_f32_e32 v1, v1
	v_mul_f32_e32 v1, 0x4f7ffffe, v1
	s_delay_alu instid0(VALU_DEP_1) | instskip(NEXT) | instid1(VALU_DEP_1)
	v_cvt_u32_f32_e32 v1, v1
	v_readfirstlane_b32 s2, v1
	s_mul_i32 s3, s3, s2
	s_delay_alu instid0(SALU_CYCLE_1) | instskip(NEXT) | instid1(SALU_CYCLE_1)
	s_mul_hi_u32 s3, s2, s3
	s_add_co_i32 s2, s2, s3
	s_delay_alu instid0(SALU_CYCLE_1) | instskip(NEXT) | instid1(SALU_CYCLE_1)
	s_mul_hi_u32 s2, s18, s2
	s_mul_i32 s3, s2, s4
	s_add_co_i32 s8, s2, 1
	s_sub_co_i32 s3, s18, s3
	s_delay_alu instid0(SALU_CYCLE_1)
	s_sub_co_i32 s9, s3, s4
	s_cmp_ge_u32 s3, s4
	s_cselect_b32 s2, s8, s2
	s_cselect_b32 s3, s9, s3
	s_add_co_i32 s8, s2, 1
	s_cmp_ge_u32 s3, s4
	s_cselect_b32 s16, s8, s2
.LBB86_13:
	s_clause 0x1
	s_load_b64 s[20:21], s[0:1], 0x420
	s_load_b128 s[8:11], s[0:1], 0x410
	v_cmp_eq_u32_e64 s2, 0, v0
	s_and_saveexec_b32 s3, s2
; %bb.14:
	v_mov_b32_e32 v1, 0
	s_delay_alu instid0(VALU_DEP_1)
	v_mov_b32_e32 v2, v1
	ds_store_b64 v1, v[1:2] offset:5136
; %bb.15:
	s_or_b32 exec_lo, exec_lo, s3
	v_mov_b32_e32 v1, 0
	v_mov_b32_e32 v19, s28
	s_wait_dscnt 0x0
	s_barrier_signal -1
	s_barrier_wait -1
	global_inv scope:SCOPE_SE
	s_wait_loadcnt 0x0
	s_barrier_signal -1
	s_barrier_wait -1
	global_inv scope:SCOPE_SE
	v_mov_b32_e32 v20, s29
	ds_load_b64 v[1:2], v1 offset:5136
	s_clause 0x4
	s_load_b32 s3, s[0:1], 0x4f8
	s_load_b64 s[14:15], s[0:1], 0x280
	s_load_b128 s[44:47], s[0:1], 0x270
	; meta instruction
	s_load_b64 s[62:63], s[0:1], 0xe0
	s_load_b128 s[48:51], s[0:1], 0xd0
	s_wait_kmcnt 0x0
	s_bitcmp1_b32 s3, 0
	v_writelane_b32 v48, s14, 0
	s_wait_dscnt 0x0
	v_cmp_gt_i64_e32 vcc_lo, 1, v[1:2]
	s_cselect_b32 s3, -1, 0
	v_writelane_b32 v48, s15, 1
	s_or_b32 s3, s3, vcc_lo
	s_delay_alu instid0(SALU_CYCLE_1)
	s_and_not1_b32 vcc_lo, exec_lo, s3
	v_writelane_b32 v48, s44, 2
	v_writelane_b32 v48, s45, 3
	;; [unrolled: 1-line block ×4, first 2 shown]
	s_cbranch_vccnz .LBB86_17
; %bb.16:
	v_not_b32_e32 v1, v1
	v_not_b32_e32 v2, v2
	s_delay_alu instid0(VALU_DEP_2) | instskip(NEXT) | instid1(VALU_DEP_1)
	v_add_co_u32 v1, vcc_lo, s28, v1
	v_add_co_ci_u32_e64 v2, null, s29, v2, vcc_lo
	s_delay_alu instid0(VALU_DEP_1) | instskip(NEXT) | instid1(VALU_DEP_1)
	v_lshrrev_b64 v[1:2], 1, v[1:2]
	v_add_co_u32 v19, vcc_lo, v1, 1
	s_wait_alu 0xfffd
	s_delay_alu instid0(VALU_DEP_2)
	v_add_co_ci_u32_e64 v20, null, 0, v2, vcc_lo
.LBB86_17:
	s_load_b64 s[22:23], s[0:1], 0x340
	s_add_nc_u64 s[14:15], s[0:1], 0x500
	s_and_saveexec_b32 s3, s2
	s_cbranch_execz .LBB86_19
; %bb.18:
	v_dual_mov_b32 v1, 0 :: v_dual_mov_b32 v4, s29
	s_delay_alu instid0(VALU_DEP_1)
	v_dual_mov_b32 v3, s28 :: v_dual_mov_b32 v2, v1
	ds_store_b32 v1, v1 offset:5144
	ds_store_b128 v1, v[1:4] offset:5120
.LBB86_19:
	s_or_b32 exec_lo, exec_lo, s3
	s_mul_u64 s[4:5], s[16:17], s[4:5]
	s_mul_u64 s[6:7], s[18:19], s[6:7]
	s_wait_alu 0xfffe
	s_sub_nc_u64 s[4:5], s[18:19], s[4:5]
	s_mul_u64 s[8:9], s[16:17], s[8:9]
	s_sub_nc_u64 s[6:7], s[26:27], s[6:7]
	s_wait_alu 0xfffe
	s_mul_u64 s[4:5], s[4:5], s[10:11]
	s_wait_kmcnt 0x0
	s_add_nc_u64 s[8:9], s[22:23], s[8:9]
	s_mul_u64 s[6:7], s[6:7], s[20:21]
	s_wait_alu 0xfffe
	s_add_nc_u64 s[4:5], s[8:9], s[4:5]
	s_wait_loadcnt_dscnt 0x0
	s_wait_alu 0xfffe
	s_add_nc_u64 s[60:61], s[4:5], s[6:7]
	s_barrier_signal -1
	v_mad_co_u64_u32 v[12:13], null, s56, v0, s[60:61]
	s_barrier_wait -1
	global_inv scope:SCOPE_SE
	s_load_b32 s4, s[14:15], 0xc
	s_load_b64 s[6:7], s[0:1], 0x1a0
	v_mov_b32_e32 v3, 0
	v_mbcnt_lo_u32_b32 v25, -1, 0
	v_cmp_gt_u32_e32 vcc_lo, 32, v0
	v_mov_b32_e32 v2, v13
	s_load_b64 s[68:69], s[0:1], 0x0
	v_mov_b32_e32 v1, v3
	v_cmp_gt_i32_e64 s3, 4, v25
	s_mov_b32 s71, 0
	v_mad_co_u64_u32 v[4:5], null, s57, v0, v[2:3]
	v_add_nc_u32_e32 v2, 2, v0
	s_and_b32 s33, vcc_lo, s3
	v_lshlrev_b64_e64 v[5:6], v25, -1
	v_cmp_gt_u64_e64 s0, s[28:29], v[0:1]
	v_cmp_lt_u64_e64 s88, 0xc00, s[28:29]
	v_cmp_gt_u64_e32 vcc_lo, s[28:29], v[2:3]
	v_dual_mov_b32 v13, v4 :: v_dual_lshlrev_b32 v14, 2, v0
	v_not_b32_e32 v4, v0
	s_wait_kmcnt 0x0
	v_writelane_b32 v48, s6, 6
	v_not_b32_e32 v26, v5
	s_wait_alu 0xfffd
	v_cndmask_b32_e64 v2, v2, s28, vcc_lo
	v_cndmask_b32_e64 v5, 0, s29, vcc_lo
	s_and_b32 s66, s4, 0xffff
	v_writelane_b32 v48, s7, 7
	s_bfe_u32 s6, s4, 0xb0005
	v_add_co_u32 v4, vcc_lo, v2, v4
	s_wait_alu 0xfffd
	v_add_co_ci_u32_e64 v5, null, -1, v5, vcc_lo
	s_cmp_gt_u32 s66, 31
	v_dual_mov_b32 v15, v3 :: v_dual_and_b32 v16, -4, v4
	s_cselect_b32 s89, -1, 0
	s_cmp_lt_u32 ttmp9, s12
	v_dual_mov_b32 v17, v5 :: v_dual_mov_b32 v28, 0
	s_cselect_b32 s70, 12, 18
	s_wait_alu 0xfffe
	s_add_co_i32 s5, s6, -1
	s_movk_i32 s4, 0x3e0
	s_wait_alu 0xfffe
	s_and_b32 s5, s5, 0xffff
	s_bfe_u32 s96, s66, 0x30005
	s_wait_alu 0xfffe
	s_cmp_gt_u32 s5, 6
	s_mov_b32 s67, s71
	v_and_or_b32 v27, v0, s4, 0xc00
	v_cmp_lt_u64_e64 s4, 3, v[4:5]
	v_cmp_ne_u64_e64 s5, v[4:5], v[16:17]
	v_cmp_eq_u32_e64 s1, 0, v25
	v_cmp_gt_u32_e64 s3, 2, v0
	v_add_co_u32 v18, vcc_lo, v16, v0
	s_cselect_b32 s97, -1, 0
	s_and_b32 s98, s6, 0x7f8
	v_lshl_or_b32 v29, v25, 3, 0xc00
	v_dual_mov_b32 v31, 0 :: v_dual_mov_b32 v30, 0
	s_add_nc_u64 s[72:73], s[66:67], -1
	s_cmp_lg_u32 s96, 0
	s_add_nc_u64 s[74:75], s[72:73], s[28:29]
	s_mov_b32 s90, s56
	s_mov_b32 s91, s57
	;; [unrolled: 1-line block ×7, first 2 shown]
	s_cselect_b32 s99, -1, 0
	s_add_nc_u64 s[76:77], s[14:15], s[70:71]
	s_mov_b32 s102, 0x4f800000
	s_mov_b32 s101, 0
	;; [unrolled: 1-line block ×3, first 2 shown]
	s_wait_alu 0xfffd
	v_add_co_ci_u32_e64 v2, null, 0, v5, vcc_lo
                                        ; implicit-def: $sgpr59
                                        ; implicit-def: $sgpr65
                                        ; implicit-def: $sgpr104
                                        ; implicit-def: $sgpr58
                                        ; implicit-def: $sgpr64
                                        ; implicit-def: $vcc_hi
	s_branch .LBB86_23
.LBB86_20:                              ;   in Loop: Header=BB86_23 Depth=1
	s_wait_alu 0xfffe
	s_or_b32 exec_lo, exec_lo, s9
	s_delay_alu instid0(SALU_CYCLE_1)
	s_and_b32 s7, s7, exec_lo
	s_and_not1_b32 s22, s22, exec_lo
	s_and_not1_b32 s21, s21, exec_lo
	s_or_not1_b32 s18, s8, exec_lo
.LBB86_21:                              ;   in Loop: Header=BB86_23 Depth=1
	s_wait_alu 0xfffe
	s_or_b32 exec_lo, exec_lo, s6
	s_delay_alu instid0(SALU_CYCLE_1)
	s_and_not1_b32 s6, vcc_hi, exec_lo
	s_and_b32 s7, s7, exec_lo
	s_and_not1_b32 s8, s58, exec_lo
	s_wait_alu 0xfffe
	s_or_b32 vcc_hi, s6, s7
	s_and_not1_b32 s6, s64, exec_lo
	s_and_b32 s7, s22, exec_lo
	s_and_b32 s9, s21, exec_lo
	s_wait_alu 0xfffe
	s_or_b32 s64, s6, s7
	s_or_b32 s58, s8, s9
	s_or_not1_b32 s18, s18, exec_lo
.LBB86_22:                              ;   in Loop: Header=BB86_23 Depth=1
	s_wait_alu 0xfffe
	s_or_b32 exec_lo, exec_lo, s17
	s_delay_alu instid0(SALU_CYCLE_1)
	s_and_b32 s6, exec_lo, s18
	v_dual_mov_b32 v20, v9 :: v_dual_mov_b32 v19, v8
	s_wait_alu 0xfffe
	s_or_b32 s101, s6, s101
	s_and_not1_b32 s6, s104, exec_lo
	s_and_b32 s7, vcc_hi, exec_lo
	s_and_not1_b32 s8, s65, exec_lo
	s_wait_alu 0xfffe
	s_or_b32 s104, s6, s7
	s_and_b32 s6, s64, exec_lo
	s_and_not1_b32 s7, s59, exec_lo
	s_and_b32 s9, s58, exec_lo
	s_wait_alu 0xfffe
	s_or_b32 s65, s8, s6
	s_or_b32 s59, s7, s9
	s_and_not1_b32 exec_lo, exec_lo, s101
	s_cbranch_execz .LBB86_285
.LBB86_23:                              ; =>This Loop Header: Depth=1
                                        ;     Child Loop BB86_28 Depth 2
                                        ;     Child Loop BB86_42 Depth 2
	;; [unrolled: 1-line block ×17, first 2 shown]
	ds_load_b128 v[4:7], v3 offset:5120
	s_wait_dscnt 0x0
	v_readfirstlane_b32 s79, v5
	v_readfirstlane_b32 s78, v4
	s_cmp_lg_u64 s[78:79], 0
	s_cbranch_scc1 .LBB86_55
; %bb.24:                               ;   in Loop: Header=BB86_23 Depth=1
	s_and_b32 vcc_lo, exec_lo, s88
	s_wait_alu 0xfffe
	s_cbranch_vccz .LBB86_36
; %bb.25:                               ;   in Loop: Header=BB86_23 Depth=1
	v_cmp_gt_u64_e32 vcc_lo, 0xc01, v[6:7]
	s_mov_b32 s8, 0
	s_mov_b32 s6, 0
	s_cbranch_vccz .LBB86_37
; %bb.26:                               ;   in Loop: Header=BB86_23 Depth=1
	global_load_u16 v2, v3, s[76:77]
	global_load_u8 v6, v[12:13], off
	s_mov_b32 s9, 0
	v_dual_mov_b32 v5, v1 :: v_dual_mov_b32 v4, v0
	s_wait_loadcnt 0x1
	v_and_b32_e32 v2, 0xffff, v2
	s_branch .LBB86_28
.LBB86_27:                              ;   in Loop: Header=BB86_28 Depth=2
	s_wait_alu 0xfffe
	s_or_b32 exec_lo, exec_lo, s7
	v_mov_b32_e32 v6, v7
	s_and_not1_b32 exec_lo, exec_lo, s9
	s_cbranch_execz .LBB86_152
.LBB86_28:                              ;   Parent Loop BB86_23 Depth=1
                                        ; =>  This Inner Loop Header: Depth=2
	s_delay_alu instid0(VALU_DEP_1)
	v_add_co_u32 v4, vcc_lo, v4, v2
	s_wait_alu 0xfffd
	v_add_co_ci_u32_e64 v5, null, 0, v5, vcc_lo
	s_wait_dscnt 0x0
	v_dual_mov_b32 v8, 0 :: v_dual_mov_b32 v7, 0
	s_mov_b32 s7, exec_lo
	s_delay_alu instid0(VALU_DEP_2)
	v_cmp_le_u64_e32 vcc_lo, s[28:29], v[4:5]
	v_cmpx_gt_u64_e64 s[28:29], v[4:5]
	s_cbranch_execz .LBB86_30
; %bb.29:                               ;   in Loop: Header=BB86_28 Depth=2
	v_mad_co_u64_u32 v[9:10], null, v4, s56, s[60:61]
	v_mul_lo_u32 v7, v4, s57
	v_mul_lo_u32 v11, v5, s56
	s_delay_alu instid0(VALU_DEP_1)
	v_add3_u32 v10, v11, v10, v7
	global_load_u8 v7, v[9:10], off
.LBB86_30:                              ;   in Loop: Header=BB86_28 Depth=2
	s_wait_alu 0xfffe
	s_or_b32 exec_lo, exec_lo, s7
	s_wait_loadcnt 0x0
	v_bfe_i32 v9, v6, 0, 8
	s_delay_alu instid0(VALU_DEP_1) | instskip(NEXT) | instid1(VALU_DEP_1)
	v_add_nc_u32_e32 v9, 0x80, v9
	v_and_b32_e32 v9, v9, v30
	s_delay_alu instid0(VALU_DEP_1)
	v_cmp_eq_u32_e64 s6, v9, v28
	s_cmp_lg_u32 s6, 0
	s_cselect_b32 s7, -1, 0
	s_wait_alu 0xfffe
	s_and_b32 s7, s1, s7
	s_wait_alu 0xfffe
	s_and_saveexec_b32 s10, s7
	s_cbranch_execz .LBB86_34
; %bb.31:                               ;   in Loop: Header=BB86_28 Depth=2
	s_mov_b32 s13, exec_lo
	s_bcnt1_i32_b32 s11, s6
	s_wait_alu 0xfffe
	v_mbcnt_lo_u32_b32 v8, s13, 0
	s_mov_b32 s12, exec_lo
                                        ; implicit-def: $vgpr9
	s_delay_alu instid0(VALU_DEP_1)
	v_cmpx_eq_u32_e32 0, v8
; %bb.32:                               ;   in Loop: Header=BB86_28 Depth=2
	s_bcnt1_i32_b32 s7, s13
	s_wait_alu 0xfffe
	s_mul_i32 s7, s11, s7
	s_wait_alu 0xfffe
	v_mov_b32_e32 v9, s7
	ds_add_rtn_u32 v9, v3, v9 offset:5144
; %bb.33:                               ;   in Loop: Header=BB86_28 Depth=2
	s_or_b32 exec_lo, exec_lo, s12
	s_wait_dscnt 0x0
	v_readfirstlane_b32 s7, v9
	s_wait_alu 0xf1ff
	s_delay_alu instid0(VALU_DEP_1)
	v_mad_u32_u24 v8, s11, v8, s7
.LBB86_34:                              ;   in Loop: Header=BB86_28 Depth=2
	s_wait_alu 0xfffe
	s_or_b32 exec_lo, exec_lo, s10
	ds_bpermute_b32 v8, v3, v8
	s_and_b32 s7, exec_lo, vcc_lo
	s_wait_alu 0xfffe
	s_or_b32 s9, s7, s9
	s_and_saveexec_b32 s7, s6
	s_cbranch_execz .LBB86_27
; %bb.35:                               ;   in Loop: Header=BB86_28 Depth=2
	v_and_b32_e32 v9, s6, v26
	s_wait_dscnt 0x0
	s_delay_alu instid0(VALU_DEP_1)
	v_bcnt_u32_b32 v8, v9, v8
	ds_store_b8 v8, v6
	s_branch .LBB86_27
.LBB86_36:                              ;   in Loop: Header=BB86_23 Depth=1
	s_mov_b32 s8, -1
	s_mov_b32 s6, 0
.LBB86_37:                              ;   in Loop: Header=BB86_23 Depth=1
	s_wait_alu 0xfffe
	s_and_b32 vcc_lo, exec_lo, s8
	s_wait_alu 0xfffe
	s_cbranch_vccz .LBB86_53
.LBB86_38:                              ;   in Loop: Header=BB86_23 Depth=1
	s_and_saveexec_b32 s10, s0
	s_cbranch_execz .LBB86_50
; %bb.39:                               ;   in Loop: Header=BB86_23 Depth=1
	global_load_u16 v4, v3, s[76:77]
	global_load_u8 v23, v[12:13], off
	v_mov_b32_e32 v6, v0
	s_mov_b32 s11, exec_lo
	s_wait_loadcnt 0x1
	v_and_b32_e32 v2, 0xffff, v4
	v_readfirstlane_b32 s6, v4
	s_delay_alu instid0(VALU_DEP_2) | instskip(NEXT) | instid1(VALU_DEP_1)
	v_add_nc_u32_e32 v2, v2, v0
	v_cmpx_gt_u64_e64 s[28:29], v[2:3]
	s_cbranch_execz .LBB86_49
; %bb.40:                               ;   in Loop: Header=BB86_23 Depth=1
	s_and_b32 s70, s6, 0xffff
	v_dual_mov_b32 v9, v1 :: v_dual_mov_b32 v8, v0
	s_wait_alu 0xfffe
	s_cmp_eq_u32 s70, 1
	v_dual_mov_b32 v5, v3 :: v_dual_mov_b32 v4, v2
	s_cselect_b32 s6, -1, 0
                                        ; implicit-def: $vgpr6_vgpr7
	s_wait_alu 0xfffe
	s_and_b32 s7, s4, s6
	s_mov_b32 s6, -1
	s_wait_alu 0xfffe
	s_and_saveexec_b32 s8, s7
	s_cbranch_execz .LBB86_44
; %bb.41:                               ;   in Loop: Header=BB86_23 Depth=1
	v_add_co_u32 v8, s6, v2, 3
	s_wait_alu 0xf1ff
	v_add_co_ci_u32_e64 v9, null, 0, 0, s6
	v_add_co_u32 v6, s6, v2, 2
	s_wait_alu 0xf1ff
	v_add_co_ci_u32_e64 v7, null, 0, 0, s6
	;; [unrolled: 3-line block ×3, first 2 shown]
	v_dual_mov_b32 v22, v17 :: v_dual_mov_b32 v11, v9
	s_wait_loadcnt 0x0
	v_dual_mov_b32 v21, v16 :: v_dual_lshlrev_b32 v32, 24, v23
	v_mov_b32_e32 v24, v0
	v_dual_mov_b32 v10, v8 :: v_dual_mov_b32 v9, v7
	v_mov_b32_e32 v8, v6
	v_mov_b32_e32 v7, v5
	;; [unrolled: 1-line block ×5, first 2 shown]
	s_mov_b32 s9, 0
.LBB86_42:                              ;   Parent Loop BB86_23 Depth=1
                                        ; =>  This Inner Loop Header: Depth=2
	v_mul_lo_u32 v42, v7, s90
	v_mul_lo_u32 v43, v6, s91
	v_mad_co_u64_u32 v[35:36], null, v6, s90, 0
	v_mul_lo_u32 v23, v9, s92
	v_mul_lo_u32 v41, v8, s93
	v_mad_co_u64_u32 v[33:34], null, v8, s92, 0
	v_mul_lo_u32 v44, v5, s56
	v_mul_lo_u32 v45, v4, s57
	v_mad_co_u64_u32 v[37:38], null, v4, s56, 0
	v_mad_co_u64_u32 v[39:40], null, v10, s94, s[60:61]
	v_mul_lo_u32 v46, v10, s95
	v_mul_lo_u32 v47, v11, s94
	v_add3_u32 v42, v36, v43, v42
	v_add3_u32 v23, v34, v41, v23
	;; [unrolled: 1-line block ×3, first 2 shown]
	v_add_co_u32 v41, s7, s60, v35
	v_add_co_u32 v36, s6, s60, v33
	v_add3_u32 v40, v47, v40, v46
	v_add_co_u32 v34, vcc_lo, s60, v37
	s_wait_alu 0xf1ff
	v_add_co_ci_u32_e64 v42, null, s61, v42, s7
	v_add_co_ci_u32_e64 v37, null, s61, v23, s6
	s_wait_alu 0xfffd
	v_add_co_ci_u32_e64 v35, null, s61, v38, vcc_lo
	s_clause 0x3
	global_load_u8 v23, v[39:40], off
	global_load_u8 v33, v[41:42], off
	;; [unrolled: 1-line block ×4, first 2 shown]
	v_add_co_u32 v10, vcc_lo, v10, 4
	s_wait_alu 0xfffd
	v_add_co_ci_u32_e64 v11, null, 0, v11, vcc_lo
	v_add_co_u32 v8, vcc_lo, v8, 4
	s_wait_alu 0xfffd
	v_add_co_ci_u32_e64 v9, null, 0, v9, vcc_lo
	;; [unrolled: 3-line block ×3, first 2 shown]
	v_add_co_u32 v21, vcc_lo, v21, -4
	s_wait_alu 0xfffd
	v_add_co_ci_u32_e64 v22, null, -1, v22, vcc_lo
	v_add_co_u32 v4, vcc_lo, v4, 4
	s_wait_alu 0xfffd
	v_add_co_ci_u32_e64 v5, null, 0, v5, vcc_lo
	s_delay_alu instid0(VALU_DEP_3)
	v_cmp_eq_u64_e64 s6, 0, v[21:22]
	s_wait_alu 0xfffe
	s_or_b32 s9, s6, s9
	s_wait_loadcnt 0x0
	v_perm_b32 v35, v34, v33, 0xc0c0004
	v_perm_b32 v33, v33, v36, 0xc0c0004
	;; [unrolled: 1-line block ×4, first 2 shown]
	s_delay_alu instid0(VALU_DEP_2) | instskip(NEXT) | instid1(VALU_DEP_2)
	v_lshl_or_b32 v32, v33, 16, v32
	v_lshl_or_b32 v33, v34, 16, v35
	ds_store_b32 v24, v32
	v_add_nc_u32_e32 v24, 4, v24
	v_mov_b32_e32 v32, v33
	s_wait_alu 0xfffe
	s_and_not1_b32 exec_lo, exec_lo, s9
	s_cbranch_execnz .LBB86_42
; %bb.43:                               ;   in Loop: Header=BB86_23 Depth=1
	s_or_b32 exec_lo, exec_lo, s9
	v_add_co_u32 v4, vcc_lo, v2, v16
	s_wait_alu 0xfffd
	v_add_co_ci_u32_e64 v5, null, 0, v17, vcc_lo
	v_dual_mov_b32 v8, v18 :: v_dual_mov_b32 v9, v19
	s_delay_alu instid0(VALU_DEP_3)
	v_add_co_u32 v6, vcc_lo, v4, -1
	s_or_not1_b32 s6, s5, exec_lo
	s_wait_alu 0xfffd
	v_add_co_ci_u32_e64 v2, null, -1, v5, vcc_lo
.LBB86_44:                              ;   in Loop: Header=BB86_23 Depth=1
	s_wait_alu 0xfffe
	s_or_b32 exec_lo, exec_lo, s8
	s_and_saveexec_b32 s7, s6
	s_cbranch_execz .LBB86_48
; %bb.45:                               ;   in Loop: Header=BB86_23 Depth=1
	s_sub_nc_u64 s[8:9], 0, s[70:71]
	s_mov_b32 s12, 0
.LBB86_46:                              ;   Parent Loop BB86_23 Depth=1
                                        ; =>  This Inner Loop Header: Depth=2
	v_dual_mov_b32 v7, v5 :: v_dual_mov_b32 v6, v4
	s_wait_loadcnt 0x0
	ds_store_b8 v8, v23
	v_mul_lo_u32 v9, v7, s56
	v_mad_co_u64_u32 v[4:5], null, v6, s56, s[60:61]
	v_mul_lo_u32 v2, v6, s57
	s_delay_alu instid0(VALU_DEP_1)
	v_add3_u32 v5, v9, v5, v2
	v_dual_mov_b32 v9, v7 :: v_dual_mov_b32 v8, v6
	global_load_u8 v2, v[4:5], off
	v_add_co_u32 v4, vcc_lo, v6, s70
	s_wait_alu 0xfffd
	v_add_co_ci_u32_e64 v5, null, 0, v7, vcc_lo
	s_wait_alu 0xfffe
	s_delay_alu instid0(VALU_DEP_2) | instskip(NEXT) | instid1(VALU_DEP_2)
	v_add_co_u32 v6, s6, s8, v4
	v_cmp_le_u64_e32 vcc_lo, s[28:29], v[4:5]
	s_wait_alu 0xf1ff
	v_add_co_ci_u32_e64 v7, null, s9, v5, s6
	s_or_b32 s12, vcc_lo, s12
	s_wait_loadcnt 0x0
	v_mov_b32_e32 v23, v2
	s_wait_alu 0xfffe
	s_and_not1_b32 exec_lo, exec_lo, s12
	s_cbranch_execnz .LBB86_46
; %bb.47:                               ;   in Loop: Header=BB86_23 Depth=1
	s_or_b32 exec_lo, exec_lo, s12
	v_mov_b32_e32 v23, v2
.LBB86_48:                              ;   in Loop: Header=BB86_23 Depth=1
	s_wait_alu 0xfffe
	s_or_b32 exec_lo, exec_lo, s7
.LBB86_49:                              ;   in Loop: Header=BB86_23 Depth=1
	s_wait_alu 0xfffe
	s_or_b32 exec_lo, exec_lo, s11
	s_wait_loadcnt 0x0
	ds_store_b8 v6, v23
.LBB86_50:                              ;   in Loop: Header=BB86_23 Depth=1
	s_wait_alu 0xfffe
	s_or_b32 exec_lo, exec_lo, s10
	s_wait_loadcnt_dscnt 0x0
	s_barrier_signal -1
	s_barrier_wait -1
	global_inv scope:SCOPE_SE
	s_and_saveexec_b32 s6, s2
; %bb.51:                               ;   in Loop: Header=BB86_23 Depth=1
	v_dual_mov_b32 v4, s28 :: v_dual_mov_b32 v5, s29
	ds_store_b64 v3, v[4:5] offset:5120
; %bb.52:                               ;   in Loop: Header=BB86_23 Depth=1
	s_wait_alu 0xfffe
	s_or_b32 exec_lo, exec_lo, s6
	s_mov_b32 s6, -1
	s_wait_loadcnt_dscnt 0x0
	s_barrier_signal -1
	s_barrier_wait -1
.LBB86_53:                              ;   in Loop: Header=BB86_23 Depth=1
	s_wait_alu 0xfffe
	s_and_b32 vcc_lo, exec_lo, s6
	s_mov_b64 s[78:79], 0
	s_wait_alu 0xfffe
	s_cbranch_vccz .LBB86_55
; %bb.54:                               ;   in Loop: Header=BB86_23 Depth=1
	s_wait_loadcnt 0x0
	global_inv scope:SCOPE_SE
	ds_load_b64 v[4:5], v3 offset:5120
	s_wait_dscnt 0x0
	v_readfirstlane_b32 s78, v4
.LBB86_55:                              ;   in Loop: Header=BB86_23 Depth=1
	s_delay_alu instid0(VALU_DEP_1)
	s_cmp_lt_i32 s78, 1
	s_mov_b32 s6, -1
                                        ; implicit-def: $vgpr10_vgpr11
                                        ; implicit-def: $vgpr6_vgpr7
	s_cbranch_scc1 .LBB86_65
; %bb.56:                               ;   in Loop: Header=BB86_23 Depth=1
	s_wait_alu 0xfffe
	s_and_b32 vcc_lo, exec_lo, s6
	s_wait_alu 0xfffe
	s_cbranch_vccnz .LBB86_79
.LBB86_57:                              ;   in Loop: Header=BB86_23 Depth=1
	s_lshl_b32 s6, s103, 7
	s_and_saveexec_b32 s7, s1
	s_cbranch_execz .LBB86_59
.LBB86_58:                              ;   in Loop: Header=BB86_23 Depth=1
	s_wait_alu 0xfffe
	v_lshl_add_u32 v2, s6, 3, v27
	ds_store_b128 v2, v[4:7]
	ds_store_b128 v2, v[8:11] offset:16
.LBB86_59:                              ;   in Loop: Header=BB86_23 Depth=1
	s_wait_alu 0xfffe
	s_or_b32 exec_lo, exec_lo, s7
	s_wait_loadcnt_dscnt 0x0
	s_barrier_signal -1
	s_barrier_wait -1
	global_inv scope:SCOPE_SE
	s_and_saveexec_b32 s7, s33
	s_cbranch_execz .LBB86_93
; %bb.60:                               ;   in Loop: Header=BB86_23 Depth=1
	v_mov_b32_e32 v4, 0
	v_mov_b32_e32 v5, 0
	s_and_not1_b32 vcc_lo, exec_lo, s89
	s_wait_alu 0xfffe
	s_cbranch_vccnz .LBB86_92
; %bb.61:                               ;   in Loop: Header=BB86_23 Depth=1
	v_mov_b32_e32 v4, 0
	v_mov_b32_e32 v5, 0
	s_and_not1_b32 vcc_lo, exec_lo, s97
	s_wait_alu 0xfffe
	s_cbranch_vccnz .LBB86_89
; %bb.62:                               ;   in Loop: Header=BB86_23 Depth=1
	v_lshl_add_u32 v2, s103, 10, v29
	s_mov_b32 s8, 0
.LBB86_63:                              ;   Parent Loop BB86_23 Depth=1
                                        ; =>  This Inner Loop Header: Depth=2
	ds_load_2addr_b64 v[6:9], v2 offset1:4
	ds_load_2addr_b64 v[21:24], v2 offset0:8 offset1:12
	ds_load_2addr_b64 v[32:35], v2 offset0:16 offset1:20
	s_wait_alu 0xfffe
	s_add_co_i32 s8, s8, 8
	s_wait_alu 0xfffe
	s_cmp_eq_u32 s98, s8
	s_wait_dscnt 0x2
	v_add_co_u32 v4, vcc_lo, v6, v4
	s_wait_alu 0xfffd
	v_add_co_ci_u32_e64 v5, null, v7, v5, vcc_lo
	s_delay_alu instid0(VALU_DEP_2) | instskip(SKIP_1) | instid1(VALU_DEP_2)
	v_add_co_u32 v8, vcc_lo, v8, v4
	s_wait_alu 0xfffd
	v_add_co_ci_u32_e64 v9, null, v9, v5, vcc_lo
	ds_load_2addr_b64 v[4:7], v2 offset0:24 offset1:28
	s_wait_dscnt 0x2
	v_add_co_u32 v8, vcc_lo, v21, v8
	s_wait_alu 0xfffd
	v_add_co_ci_u32_e64 v9, null, v22, v9, vcc_lo
	v_add_nc_u32_e32 v2, 0x100, v2
	s_delay_alu instid0(VALU_DEP_3) | instskip(SKIP_1) | instid1(VALU_DEP_3)
	v_add_co_u32 v8, vcc_lo, v23, v8
	s_wait_alu 0xfffd
	v_add_co_ci_u32_e64 v9, null, v24, v9, vcc_lo
	s_wait_dscnt 0x1
	s_delay_alu instid0(VALU_DEP_2) | instskip(SKIP_1) | instid1(VALU_DEP_2)
	v_add_co_u32 v8, vcc_lo, v32, v8
	s_wait_alu 0xfffd
	v_add_co_ci_u32_e64 v9, null, v33, v9, vcc_lo
	s_delay_alu instid0(VALU_DEP_2) | instskip(SKIP_1) | instid1(VALU_DEP_2)
	v_add_co_u32 v8, vcc_lo, v34, v8
	s_wait_alu 0xfffd
	v_add_co_ci_u32_e64 v9, null, v35, v9, vcc_lo
	s_wait_dscnt 0x0
	s_delay_alu instid0(VALU_DEP_2) | instskip(SKIP_1) | instid1(VALU_DEP_2)
	v_add_co_u32 v4, vcc_lo, v4, v8
	s_wait_alu 0xfffd
	v_add_co_ci_u32_e64 v5, null, v5, v9, vcc_lo
	s_delay_alu instid0(VALU_DEP_2) | instskip(SKIP_1) | instid1(VALU_DEP_2)
	v_add_co_u32 v4, vcc_lo, v6, v4
	s_wait_alu 0xfffd
	v_add_co_ci_u32_e64 v5, null, v7, v5, vcc_lo
	s_cbranch_scc0 .LBB86_63
; %bb.64:                               ;   in Loop: Header=BB86_23 Depth=1
	s_mov_b32 s8, s98
	s_and_not1_b32 vcc_lo, exec_lo, s99
	s_wait_alu 0xfffe
	s_cbranch_vccz .LBB86_90
	s_branch .LBB86_92
.LBB86_65:                              ;   in Loop: Header=BB86_23 Depth=1
	global_load_u16 v2, v3, s[76:77]
	s_mov_b32 s7, s29
	s_wait_loadcnt 0x0
	v_readfirstlane_b32 s6, v2
	s_wait_alu 0xfffe
	s_and_b32 s8, 0xffff, s6
	s_mov_b32 s6, s71
	s_wait_alu 0xfffe
	s_lshl_b32 s18, s8, 2
	s_cmp_lg_u64 s[6:7], 0
	s_cbranch_scc0 .LBB86_88
; %bb.66:                               ;   in Loop: Header=BB86_23 Depth=1
	s_wait_alu 0xfffe
	s_cvt_f32_u32 s6, s18
	s_mov_b32 s19, s71
	s_wait_alu 0xfffe
	s_sub_nc_u64 s[8:9], 0, s[18:19]
	s_fmamk_f32 s6, s102, 0x0, s6
	s_wait_alu 0xfffe
	s_delay_alu instid0(SALU_CYCLE_2) | instskip(NEXT) | instid1(TRANS32_DEP_1)
	v_s_rcp_f32 s6, s6
	s_mul_f32 s6, s6, 0x5f7ffffc
	s_wait_alu 0xfffe
	s_delay_alu instid0(SALU_CYCLE_2) | instskip(SKIP_1) | instid1(SALU_CYCLE_2)
	s_mul_f32 s7, s6, 0x2f800000
	s_wait_alu 0xfffe
	s_trunc_f32 s7, s7
	s_wait_alu 0xfffe
	s_delay_alu instid0(SALU_CYCLE_2) | instskip(SKIP_2) | instid1(SALU_CYCLE_1)
	s_fmamk_f32 s6, s7, 0xcf800000, s6
	s_cvt_u32_f32 s7, s7
	s_wait_alu 0xfffe
	s_cvt_u32_f32 s6, s6
	s_wait_alu 0xfffe
	s_delay_alu instid0(SALU_CYCLE_2)
	s_mul_u64 s[10:11], s[8:9], s[6:7]
	s_wait_alu 0xfffe
	s_mul_hi_u32 s13, s6, s11
	s_mul_i32 s12, s6, s11
	s_mul_hi_u32 s70, s6, s10
	s_mul_i32 s15, s7, s10
	s_wait_alu 0xfffe
	s_add_nc_u64 s[12:13], s[70:71], s[12:13]
	s_mul_hi_u32 s14, s7, s10
	s_mul_hi_u32 s16, s7, s11
	s_mul_i32 s10, s7, s11
	s_wait_alu 0xfffe
	s_add_co_u32 s11, s12, s15
	s_add_co_ci_u32 s70, s13, s14
	s_add_co_ci_u32 s11, s16, 0
	s_wait_alu 0xfffe
	s_add_nc_u64 s[10:11], s[70:71], s[10:11]
	s_wait_alu 0xfffe
	s_add_co_u32 s6, s6, s10
	s_cselect_b32 s10, -1, 0
	s_wait_alu 0xfffe
	s_cmp_lg_u32 s10, 0
	s_add_co_ci_u32 s7, s7, s11
	s_wait_alu 0xfffe
	s_mul_u64 s[8:9], s[8:9], s[6:7]
	s_wait_alu 0xfffe
	s_mul_hi_u32 s11, s6, s9
	s_mul_i32 s10, s6, s9
	s_mul_hi_u32 s70, s6, s8
	s_mul_i32 s13, s7, s8
	s_wait_alu 0xfffe
	s_add_nc_u64 s[10:11], s[70:71], s[10:11]
	s_mul_hi_u32 s12, s7, s8
	s_mul_hi_u32 s14, s7, s9
	s_mul_i32 s8, s7, s9
	s_wait_alu 0xfffe
	s_add_co_u32 s9, s10, s13
	s_add_co_ci_u32 s70, s11, s12
	s_add_co_ci_u32 s9, s14, 0
	s_wait_alu 0xfffe
	s_add_nc_u64 s[8:9], s[70:71], s[8:9]
	s_wait_alu 0xfffe
	s_add_co_u32 s6, s6, s8
	s_cselect_b32 s8, -1, 0
	s_wait_alu 0xfffe
	s_mul_hi_u32 s70, s28, s6
	s_cmp_lg_u32 s8, 0
	s_mul_hi_u32 s10, s29, s6
	s_add_co_ci_u32 s8, s7, s9
	s_mul_i32 s9, s29, s6
	s_wait_alu 0xfffe
	s_mul_hi_u32 s7, s28, s8
	s_mul_i32 s6, s28, s8
	s_mul_hi_u32 s11, s29, s8
	s_wait_alu 0xfffe
	s_add_nc_u64 s[6:7], s[70:71], s[6:7]
	s_mul_i32 s8, s29, s8
	s_wait_alu 0xfffe
	s_add_co_u32 s6, s6, s9
	s_add_co_ci_u32 s70, s7, s10
	s_add_co_ci_u32 s9, s11, 0
	s_wait_alu 0xfffe
	s_add_nc_u64 s[6:7], s[70:71], s[8:9]
	s_wait_alu 0xfffe
	s_mul_u64 s[6:7], s[18:19], s[6:7]
	s_wait_alu 0xfffe
	s_sub_co_u32 s6, s28, s6
	s_cselect_b32 s8, -1, 0
	s_wait_alu 0xfffe
	s_cmp_lg_u32 s8, 0
	s_sub_co_ci_u32 s7, s29, s7
	s_sub_co_u32 s8, s6, s18
	s_cselect_b32 s9, -1, 0
	s_wait_alu 0xfffe
	s_cmp_lg_u32 s9, 0
	s_sub_co_ci_u32 s9, s7, 0
	;; [unrolled: 5-line block ×3, first 2 shown]
	s_cmp_ge_u32 s8, s18
	s_cselect_b32 s12, -1, 0
	s_cmp_eq_u32 s9, 0
	s_wait_alu 0xfffe
	s_cselect_b32 s12, s12, -1
	s_wait_alu 0xfffe
	s_cmp_lg_u32 s12, 0
	s_cselect_b32 s9, s11, s9
	s_cselect_b32 s8, s10, s8
	s_cmp_ge_u32 s6, s18
	s_cselect_b32 s10, -1, 0
	s_cmp_eq_u32 s7, 0
	s_wait_alu 0xfffe
	s_cselect_b32 s10, s10, -1
	s_wait_alu 0xfffe
	s_cmp_lg_u32 s10, 0
	s_cselect_b32 s7, s9, s7
	s_cselect_b32 s6, s8, s6
	s_cbranch_execnz .LBB86_68
.LBB86_67:                              ;   in Loop: Header=BB86_23 Depth=1
	s_wait_alu 0xfffe
	v_cvt_f32_u32_e32 v4, s18
	s_sub_co_i32 s7, 0, s18
	s_delay_alu instid0(VALU_DEP_1) | instskip(NEXT) | instid1(TRANS32_DEP_1)
	v_rcp_iflag_f32_e32 v4, v4
	v_mul_f32_e32 v4, 0x4f7ffffe, v4
	s_delay_alu instid0(VALU_DEP_1) | instskip(NEXT) | instid1(VALU_DEP_1)
	v_cvt_u32_f32_e32 v4, v4
	v_readfirstlane_b32 s6, v4
	s_wait_alu 0xfffe
	s_mul_i32 s7, s7, s6
	s_wait_alu 0xfffe
	s_mul_hi_u32 s7, s6, s7
	s_wait_alu 0xfffe
	s_add_co_i32 s6, s6, s7
	s_wait_alu 0xfffe
	s_mul_hi_u32 s6, s28, s6
	s_wait_alu 0xfffe
	s_mul_i32 s6, s6, s18
	s_wait_alu 0xfffe
	s_sub_co_i32 s6, s28, s6
	s_wait_alu 0xfffe
	s_sub_co_i32 s7, s6, s18
	s_cmp_ge_u32 s6, s18
	s_wait_alu 0xfffe
	s_cselect_b32 s6, s7, s6
	s_wait_alu 0xfffe
	s_sub_co_i32 s7, s6, s18
	s_cmp_ge_u32 s6, s18
	s_wait_alu 0xfffe
	s_cselect_b32 s70, s7, s6
	s_wait_alu 0xfffe
	s_mov_b64 s[6:7], s[70:71]
.LBB86_68:                              ;   in Loop: Header=BB86_23 Depth=1
	v_mov_b32_e32 v4, 0
	v_dual_mov_b32 v8, 0 :: v_dual_mov_b32 v5, 0
	v_dual_mov_b32 v6, 0 :: v_dual_mov_b32 v9, 0
	;; [unrolled: 1-line block ×3, first 2 shown]
	v_mov_b32_e32 v11, 0
	s_wait_alu 0xfffe
	s_sub_nc_u64 s[20:21], s[28:29], s[6:7]
	s_mov_b32 s17, exec_lo
	s_wait_alu 0xfffe
	v_cmpx_gt_u64_e64 s[20:21], v[14:15]
	s_cbranch_execz .LBB86_72
; %bb.69:                               ;   in Loop: Header=BB86_23 Depth=1
	v_dual_mov_b32 v22, v15 :: v_dual_mov_b32 v21, v14
	s_mov_b64 s[22:23], 0
	s_mov_b32 s19, 0
	s_mov_b64 s[24:25], 0
	s_mov_b64 s[80:81], 0
	;; [unrolled: 1-line block ×3, first 2 shown]
.LBB86_70:                              ;   Parent Loop BB86_23 Depth=1
                                        ; =>  This Inner Loop Header: Depth=2
	v_mad_co_u64_u32 v[4:5], null, v21, s56, s[60:61]
	v_mul_lo_u32 v6, v21, s57
	v_mul_lo_u32 v7, v22, s56
	s_delay_alu instid0(VALU_DEP_1) | instskip(NEXT) | instid1(VALU_DEP_4)
	v_add3_u32 v5, v7, v5, v6
	v_add_co_u32 v6, vcc_lo, v4, s56
	s_wait_alu 0xfffd
	s_delay_alu instid0(VALU_DEP_2)
	v_add_co_ci_u32_e64 v7, null, s57, v5, vcc_lo
	s_clause 0x1
	global_load_i8 v8, v[4:5], off
	global_load_i8 v9, v[6:7], off
	v_add_co_u32 v4, vcc_lo, v6, s56
	s_wait_alu 0xfffd
	v_add_co_ci_u32_e64 v5, null, s57, v7, vcc_lo
	s_delay_alu instid0(VALU_DEP_2)
	v_add_co_u32 v6, vcc_lo, v4, s56
	global_load_i8 v4, v[4:5], off
	s_wait_alu 0xfffd
	v_add_co_ci_u32_e64 v7, null, s57, v5, vcc_lo
	v_add_co_u32 v21, vcc_lo, v21, s18
	s_wait_alu 0xfffd
	v_add_co_ci_u32_e64 v22, null, 0, v22, vcc_lo
	global_load_i8 v5, v[6:7], off
	v_cmp_le_u64_e32 vcc_lo, s[20:21], v[21:22]
	s_wait_loadcnt 0x3
	v_add_nc_u32_e32 v6, 0x80, v8
	s_wait_loadcnt 0x2
	v_add_nc_u32_e32 v8, 0x80, v9
	s_delay_alu instid0(VALU_DEP_2) | instskip(SKIP_1) | instid1(VALU_DEP_2)
	v_and_b32_e32 v7, v6, v30
	v_bfe_u32 v6, v6, s100, 2
	v_cmp_eq_u32_e64 s6, v7, v28
	s_wait_loadcnt 0x1
	v_add_nc_u32_e32 v4, 0x80, v4
	v_and_b32_e32 v7, v8, v30
	v_bfe_u32 v8, v8, s100, 2
	v_cmp_eq_u32_e64 s7, 0, v6
	v_cmp_eq_u32_e64 s8, 1, v6
	;; [unrolled: 1-line block ×4, first 2 shown]
	s_wait_loadcnt 0x0
	v_add_nc_u32_e32 v5, 0x80, v5
	v_cmp_eq_u32_e64 s11, v7, v28
	v_and_b32_e32 v6, v4, v30
	v_bfe_u32 v4, v4, s100, 2
	v_cmp_eq_u32_e64 s12, 0, v8
	s_and_b32 s13, s6, s7
	v_cmp_eq_u32_e64 s7, 1, v8
	s_and_b32 s14, s6, s8
	;; [unrolled: 2-line block ×4, first 2 shown]
	s_wait_alu 0xfffe
	v_cndmask_b32_e64 v7, 0, 1, s13
	v_cndmask_b32_e64 v8, 0, 1, s14
	;; [unrolled: 1-line block ×4, first 2 shown]
	v_cmp_eq_u32_e64 s6, v6, v28
	v_and_b32_e32 v6, v5, v30
	v_bfe_u32 v5, v5, s100, 2
	v_cmp_eq_u32_e64 s10, 0, v4
	s_and_b32 s13, s11, s12
	v_cmp_eq_u32_e64 s12, 1, v4
	s_and_b32 s14, s11, s7
	;; [unrolled: 2-line block ×3, first 2 shown]
	v_cmp_eq_u32_e64 s8, 3, v4
	s_wait_alu 0xfffe
	v_cndmask_b32_e64 v4, 0, 1, s13
	s_and_b32 s16, s11, s9
	v_cmp_ne_u32_e64 s9, 0, v7
	v_cmp_ne_u32_e64 s11, 0, v8
	;; [unrolled: 1-line block ×3, first 2 shown]
	v_cndmask_b32_e64 v8, 0, 1, s15
	s_wait_alu 0xfffe
	v_cndmask_b32_e64 v9, 0, 1, s16
	v_cmp_eq_u32_e64 s15, v6, v28
	v_cmp_eq_u32_e64 s16, 0, v5
	s_and_b32 s44, s6, s10
	v_cndmask_b32_e64 v7, 0, 1, s14
	v_cmp_eq_u32_e64 s10, 1, v5
	s_and_b32 s45, s6, s12
	s_and_b32 s46, s6, s7
	;; [unrolled: 1-line block ×3, first 2 shown]
	v_cmp_ne_u32_e64 s6, 0, v4
	s_wait_alu 0xfffe
	v_cndmask_b32_e64 v4, 0, 1, s44
	v_cmp_eq_u32_e64 s12, 2, v5
	v_cmp_eq_u32_e64 s7, 3, v5
	v_cndmask_b32_e64 v5, 0, 1, s45
	s_bcnt1_i32_b32 s70, s9
	v_cmp_ne_u32_e64 s9, 0, v8
	s_and_b32 s16, s15, s16
	v_cmp_ne_u32_e64 s8, 0, v7
	v_cndmask_b32_e64 v6, 0, 1, s46
	v_cmp_ne_u32_e64 s14, 0, v10
	s_bcnt1_i32_b32 s44, s11
	v_cmp_ne_u32_e64 s11, 0, v9
	s_and_b32 s10, s15, s10
	s_bcnt1_i32_b32 s45, s6
	v_cmp_ne_u32_e64 s6, 0, v4
	s_wait_alu 0xfffe
	v_cndmask_b32_e64 v4, 0, 1, s16
	v_cndmask_b32_e64 v7, 0, 1, s47
	s_and_b32 s12, s15, s12
	s_and_b32 s15, s15, s7
	v_cmp_ne_u32_e64 s7, 0, v5
	v_cndmask_b32_e64 v5, 0, 1, s10
	s_bcnt1_i32_b32 s13, s13
	s_bcnt1_i32_b32 s10, s9
	;; [unrolled: 1-line block ×3, first 2 shown]
	v_cmp_ne_u32_e64 s8, 0, v6
	s_wait_alu 0xfffe
	v_cndmask_b32_e64 v6, 0, 1, s12
	s_bcnt1_i32_b32 s14, s14
	s_bcnt1_i32_b32 s11, s11
	s_add_co_i32 s10, s10, s13
	s_bcnt1_i32_b32 s13, s6
	v_cmp_ne_u32_e64 s6, 0, v4
	v_cmp_ne_u32_e64 s9, 0, v7
	v_cndmask_b32_e64 v7, 0, 1, s15
	s_wait_alu 0xfffe
	s_add_co_i32 s11, s11, s14
	s_bcnt1_i32_b32 s14, s7
	v_cmp_ne_u32_e64 s7, 0, v5
	s_add_co_i32 s12, s45, s70
	s_add_co_i32 s15, s16, s44
	s_bcnt1_i32_b32 s16, s8
	v_cmp_ne_u32_e64 s8, 0, v6
	s_wait_alu 0xfffe
	s_add_co_i32 s12, s12, s13
	s_bcnt1_i32_b32 s6, s6
	s_bcnt1_i32_b32 s44, s9
	v_cmp_ne_u32_e64 s9, 0, v7
	s_add_co_i32 s13, s15, s14
	s_bcnt1_i32_b32 s7, s7
	s_wait_alu 0xfffe
	s_add_co_i32 s70, s12, s6
	s_add_co_i32 s10, s10, s16
	s_bcnt1_i32_b32 s8, s8
	s_wait_alu 0xfffe
	s_add_nc_u64 s[82:83], s[82:83], s[70:71]
	s_add_co_i32 s70, s13, s7
	s_add_co_i32 s11, s11, s44
	s_bcnt1_i32_b32 s9, s9
	s_wait_alu 0xfffe
	s_add_nc_u64 s[80:81], s[80:81], s[70:71]
	s_add_co_i32 s70, s10, s8
	v_mov_b32_e32 v4, s82
	s_wait_alu 0xfffe
	s_add_nc_u64 s[24:25], s[24:25], s[70:71]
	s_add_co_i32 s70, s11, s9
	v_mov_b32_e32 v6, s80
	s_wait_alu 0xfffe
	s_add_nc_u64 s[22:23], s[22:23], s[70:71]
	v_mov_b32_e32 v8, s24
	s_wait_alu 0xfffe
	v_dual_mov_b32 v10, s22 :: v_dual_mov_b32 v5, s83
	v_mov_b32_e32 v7, s81
	v_mov_b32_e32 v9, s25
	;; [unrolled: 1-line block ×3, first 2 shown]
	s_or_b32 s19, vcc_lo, s19
	s_wait_alu 0xfffe
	s_and_not1_b32 exec_lo, exec_lo, s19
	s_cbranch_execnz .LBB86_70
; %bb.71:                               ;   in Loop: Header=BB86_23 Depth=1
	s_or_b32 exec_lo, exec_lo, s19
.LBB86_72:                              ;   in Loop: Header=BB86_23 Depth=1
	s_delay_alu instid0(SALU_CYCLE_1)
	s_or_b32 exec_lo, exec_lo, s17
	v_add_co_u32 v21, s6, s20, v0
	v_and_b32_e32 v2, 0xffff, v2
	s_wait_alu 0xf1ff
	v_add_co_ci_u32_e64 v22, null, s21, 0, s6
	s_mov_b32 s10, exec_lo
	v_cmpx_gt_u64_e64 s[28:29], v[21:22]
	s_cbranch_execz .LBB86_78
; %bb.73:                               ;   in Loop: Header=BB86_23 Depth=1
	v_mad_co_u64_u32 v[23:24], null, v21, s56, s[60:61]
	v_mul_lo_u32 v32, v21, s57
	v_mul_lo_u32 v33, v22, s56
	s_mov_b32 s11, 0
	s_delay_alu instid0(VALU_DEP_1)
	v_add3_u32 v24, v33, v24, v32
	global_load_u8 v24, v[23:24], off
	s_branch .LBB86_75
.LBB86_74:                              ;   in Loop: Header=BB86_75 Depth=2
	s_wait_alu 0xfffe
	s_or_b32 exec_lo, exec_lo, s7
	s_wait_loadcnt 0x0
	v_bfe_i32 v24, v24, 0, 8
	s_and_b32 s8, exec_lo, vcc_lo
	s_wait_alu 0xfffe
	s_or_b32 s11, s8, s11
	s_delay_alu instid0(VALU_DEP_1) | instskip(NEXT) | instid1(VALU_DEP_1)
	v_add_nc_u32_e32 v24, 0x80, v24
	v_and_b32_e32 v32, v24, v30
	v_bfe_u32 v24, v24, s100, 2
	s_delay_alu instid0(VALU_DEP_2) | instskip(NEXT) | instid1(VALU_DEP_2)
	v_cmp_eq_u32_e64 s6, v32, v28
	v_cmp_eq_u32_e64 s7, 0, v24
	v_cmp_eq_u32_e32 vcc_lo, 1, v24
	v_cmp_eq_u32_e64 s8, 2, v24
	s_and_b32 s7, s6, s7
	s_wait_alu 0xfffe
	v_cndmask_b32_e64 v32, 0, 1, s7
	s_and_b32 s7, s6, vcc_lo
	v_cmp_eq_u32_e32 vcc_lo, 3, v24
	s_wait_alu 0xfffe
	v_cndmask_b32_e64 v33, 0, 1, s7
	s_and_b32 s7, s6, s8
	s_wait_alu 0xfffe
	v_cndmask_b32_e64 v34, 0, 1, s7
	v_cmp_ne_u32_e64 s7, 0, v32
	v_cmp_ne_u32_e64 s8, 0, v33
	s_and_b32 s6, s6, vcc_lo
	s_wait_alu 0xfffe
	v_cndmask_b32_e64 v24, 0, 1, s6
	s_bcnt1_i32_b32 s6, s7
	v_cmp_ne_u32_e64 s9, 0, v34
	s_bcnt1_i32_b32 s7, s8
	s_wait_alu 0xfffe
	v_add_co_u32 v4, vcc_lo, v4, s6
	s_wait_alu 0xfffd
	v_add_co_ci_u32_e64 v5, null, 0, v5, vcc_lo
	v_add_co_u32 v6, vcc_lo, v6, s7
	s_wait_alu 0xfffd
	v_add_co_ci_u32_e64 v7, null, 0, v7, vcc_lo
	v_cmp_ne_u32_e32 vcc_lo, 0, v24
	s_bcnt1_i32_b32 s8, s9
	v_mov_b32_e32 v24, v23
	s_wait_alu 0xfffe
	v_add_co_u32 v8, s6, v8, s8
	s_wait_alu 0xf1ff
	v_add_co_ci_u32_e64 v9, null, 0, v9, s6
	s_bcnt1_i32_b32 s6, vcc_lo
	s_wait_alu 0xfffe
	v_add_co_u32 v10, vcc_lo, v10, s6
	s_wait_alu 0xfffd
	v_add_co_ci_u32_e64 v11, null, 0, v11, vcc_lo
	s_and_not1_b32 exec_lo, exec_lo, s11
	s_cbranch_execz .LBB86_77
.LBB86_75:                              ;   Parent Loop BB86_23 Depth=1
                                        ; =>  This Inner Loop Header: Depth=2
	v_add_co_u32 v21, vcc_lo, v21, v2
	s_wait_alu 0xfffd
	v_add_co_ci_u32_e64 v22, null, 0, v22, vcc_lo
	v_mov_b32_e32 v23, 0
	s_mov_b32 s7, exec_lo
	s_delay_alu instid0(VALU_DEP_2)
	v_cmp_le_u64_e32 vcc_lo, s[28:29], v[21:22]
	v_cmpx_gt_u64_e64 s[28:29], v[21:22]
	s_cbranch_execz .LBB86_74
; %bb.76:                               ;   in Loop: Header=BB86_75 Depth=2
	v_mad_co_u64_u32 v[32:33], null, v21, s56, s[60:61]
	v_mul_lo_u32 v23, v21, s57
	v_mul_lo_u32 v34, v22, s56
	s_delay_alu instid0(VALU_DEP_1)
	v_add3_u32 v33, v34, v33, v23
	global_load_u8 v23, v[32:33], off
	s_branch .LBB86_74
.LBB86_77:                              ;   in Loop: Header=BB86_23 Depth=1
	s_or_b32 exec_lo, exec_lo, s11
.LBB86_78:                              ;   in Loop: Header=BB86_23 Depth=1
	s_wait_alu 0xfffe
	s_or_b32 exec_lo, exec_lo, s10
	s_branch .LBB86_57
.LBB86_79:                              ;   in Loop: Header=BB86_23 Depth=1
	global_load_u16 v2, v3, s[76:77]
	v_mov_b32_e32 v6, 0
	v_mov_b32_e32 v8, 0
	v_dual_mov_b32 v10, 0 :: v_dual_mov_b32 v9, 0
	v_mov_b32_e32 v11, 0
	s_mov_b32 s46, exec_lo
	v_mov_b32_e32 v7, 0
	s_wait_loadcnt 0x0
	v_readfirstlane_b32 s6, v2
	v_and_b32_e32 v2, 0xffff, v2
	s_and_b32 s79, 0xffff, s6
	s_wait_alu 0xfffe
	s_lshl_b32 s45, s79, 2
	s_wait_alu 0xfffe
	s_cvt_f32_u32 s6, s45
	s_sub_co_i32 s7, 0, s45
	s_wait_alu 0xfffe
	s_delay_alu instid0(SALU_CYCLE_1) | instskip(NEXT) | instid1(TRANS32_DEP_1)
	v_rcp_iflag_f32_e32 v4, s6
	v_readfirstlane_b32 s6, v4
	s_mul_f32 s6, s6, 0x4f7ffffe
	s_wait_alu 0xfffe
	s_delay_alu instid0(SALU_CYCLE_2) | instskip(SKIP_1) | instid1(SALU_CYCLE_2)
	s_cvt_u32_f32 s6, s6
	s_wait_alu 0xfffe
	s_mul_i32 s7, s7, s6
	s_wait_alu 0xfffe
	s_mul_hi_u32 s7, s6, s7
	s_wait_alu 0xfffe
	s_add_co_i32 s6, s6, s7
	s_wait_alu 0xfffe
	s_mul_hi_u32 s6, s78, s6
	s_wait_alu 0xfffe
	s_mul_i32 s7, s6, s45
	s_add_co_i32 s8, s6, 1
	s_wait_alu 0xfffe
	s_sub_co_i32 s7, s78, s7
	s_wait_alu 0xfffe
	s_sub_co_i32 s9, s7, s45
	s_cmp_ge_u32 s7, s45
	s_cselect_b32 s6, s8, s6
	s_wait_alu 0xfffe
	s_cselect_b32 s7, s9, s7
	s_add_co_i32 s8, s6, 1
	s_wait_alu 0xfffe
	s_cmp_ge_u32 s7, s45
	s_cselect_b32 s44, s8, s6
	s_wait_alu 0xfffe
	v_mul_hi_u32 v5, s44, v2
	v_mul_lo_u32 v4, s44, v2
	s_delay_alu instid0(VALU_DEP_1) | instskip(SKIP_2) | instid1(VALU_DEP_3)
	v_lshlrev_b64_e32 v[21:22], 2, v[4:5]
	v_mov_b32_e32 v4, 0
	v_mov_b32_e32 v5, 0
	v_cmpx_gt_u64_e64 v[21:22], v[14:15]
	s_cbranch_execz .LBB86_83
; %bb.80:                               ;   in Loop: Header=BB86_23 Depth=1
	v_mov_b32_e32 v24, v15
	v_dual_mov_b32 v32, v14 :: v_dual_mov_b32 v23, v14
	s_mov_b64 s[80:81], 0
	s_mov_b32 s47, 0
	s_mov_b64 s[82:83], 0
	s_mov_b64 s[84:85], 0
	;; [unrolled: 1-line block ×3, first 2 shown]
.LBB86_81:                              ;   Parent Loop BB86_23 Depth=1
                                        ; =>  This Inner Loop Header: Depth=2
	ds_load_b32 v4, v32
	v_add_co_u32 v23, vcc_lo, v23, s45
	s_wait_alu 0xfffd
	v_add_co_ci_u32_e64 v24, null, 0, v24, vcc_lo
	s_delay_alu instid0(VALU_DEP_1)
	v_cmp_ge_u64_e32 vcc_lo, v[23:24], v[21:22]
	s_wait_dscnt 0x0
	v_bfe_i32 v5, v4, 0, 8
	v_bfe_i32 v6, v4, 8, 8
	;; [unrolled: 1-line block ×3, first 2 shown]
	v_ashrrev_i32_e32 v4, 24, v4
	s_delay_alu instid0(VALU_DEP_4) | instskip(NEXT) | instid1(VALU_DEP_4)
	v_add_nc_u32_e32 v5, 0x80, v5
	v_add_nc_u32_e32 v6, 0x80, v6
	s_delay_alu instid0(VALU_DEP_4) | instskip(NEXT) | instid1(VALU_DEP_4)
	v_add_nc_u32_e32 v7, 0x80, v7
	v_add_nc_u32_e32 v4, 0x80, v4
	s_delay_alu instid0(VALU_DEP_4) | instskip(NEXT) | instid1(VALU_DEP_4)
	v_and_b32_e32 v8, v5, v30
	v_and_b32_e32 v9, v6, v30
	v_bfe_u32 v5, v5, s100, 2
	v_bfe_u32 v6, v6, s100, 2
	s_delay_alu instid0(VALU_DEP_4)
	v_cmp_eq_u32_e64 s6, v8, v28
	v_and_b32_e32 v8, v7, v30
	v_bfe_u32 v7, v7, s100, 2
	v_cmp_eq_u32_e64 s7, v9, v28
	v_and_b32_e32 v9, v4, v30
	v_bfe_u32 v4, v4, s100, 2
	v_cmp_eq_u32_e64 s10, 0, v5
	v_cmp_eq_u32_e64 s11, 0, v6
	;; [unrolled: 1-line block ×9, first 2 shown]
	s_and_b32 s10, s6, s10
	s_and_b32 s11, s7, s11
	v_cmp_eq_u32_e64 s15, 1, v6
	v_cmp_eq_u32_e64 s18, 2, v5
	;; [unrolled: 1-line block ×7, first 2 shown]
	s_and_b32 s12, s8, s12
	s_wait_alu 0xfffe
	v_cndmask_b32_e64 v4, 0, 1, s10
	v_cndmask_b32_e64 v5, 0, 1, s11
	s_and_b32 s13, s9, s13
	v_cmp_eq_u32_e64 s20, 2, v7
	v_cmp_eq_u32_e64 s24, 3, v7
	v_cndmask_b32_e64 v6, 0, 1, s12
	s_and_b32 s14, s6, s14
	s_and_b32 s16, s8, s16
	;; [unrolled: 1-line block ×3, first 2 shown]
	s_wait_alu 0xfffe
	v_cndmask_b32_e64 v7, 0, 1, s13
	s_and_b32 s15, s7, s15
	s_and_b32 s18, s6, s18
	;; [unrolled: 1-line block ×5, first 2 shown]
	v_cndmask_b32_e64 v8, 0, 1, s14
	v_cmp_ne_u32_e64 s6, 0, v4
	v_cndmask_b32_e64 v4, 0, 1, s16
	v_cmp_ne_u32_e64 s7, 0, v5
	v_cndmask_b32_e64 v5, 0, 1, s17
	s_wait_alu 0xfffe
	v_cndmask_b32_e64 v9, 0, 1, s15
	s_and_b32 s20, s8, s20
	s_and_b32 s24, s8, s24
	v_cmp_ne_u32_e64 s8, 0, v6
	v_cndmask_b32_e64 v6, 0, 1, s18
	s_and_b32 s21, s9, s21
	s_and_b32 s25, s9, s25
	v_cmp_ne_u32_e64 s9, 0, v7
	v_cndmask_b32_e64 v7, 0, 1, s19
	v_cmp_ne_u32_e64 s10, 0, v8
	s_wait_alu 0xfffe
	v_cndmask_b32_e64 v8, 0, 1, s20
	v_cmp_ne_u32_e64 s12, 0, v4
	v_cndmask_b32_e64 v4, 0, 1, s22
	v_cmp_ne_u32_e64 s13, 0, v5
	;; [unrolled: 2-line block ×5, first 2 shown]
	v_cndmask_b32_e64 v7, 0, 1, s25
	s_bcnt1_i32_b32 s6, s6
	s_bcnt1_i32_b32 s7, s7
	v_cmp_ne_u32_e64 s16, 0, v8
	v_cmp_ne_u32_e64 s18, 0, v4
	;; [unrolled: 1-line block ×3, first 2 shown]
	s_bcnt1_i32_b32 s8, s8
	s_bcnt1_i32_b32 s10, s10
	;; [unrolled: 1-line block ×3, first 2 shown]
	s_wait_alu 0xfffe
	s_add_co_i32 s6, s7, s6
	v_cmp_ne_u32_e64 s17, 0, v9
	v_cmp_ne_u32_e64 s20, 0, v6
	s_bcnt1_i32_b32 s9, s9
	s_bcnt1_i32_b32 s12, s12
	;; [unrolled: 1-line block ×4, first 2 shown]
	s_add_co_i32 s7, s11, s10
	s_wait_alu 0xfffe
	s_add_co_i32 s6, s6, s8
	v_cmp_ne_u32_e64 s21, 0, v7
	s_bcnt1_i32_b32 s13, s13
	s_bcnt1_i32_b32 s16, s16
	;; [unrolled: 1-line block ×4, first 2 shown]
	s_add_co_i32 s10, s15, s14
	s_add_co_i32 s7, s7, s12
	s_wait_alu 0xfffe
	s_add_co_i32 s70, s6, s9
	s_bcnt1_i32_b32 s17, s17
	s_bcnt1_i32_b32 s20, s20
	s_add_co_i32 s11, s19, s18
	s_add_co_i32 s8, s10, s16
	s_wait_alu 0xfffe
	s_add_nc_u64 s[86:87], s[86:87], s[70:71]
	s_add_co_i32 s70, s7, s13
	s_bcnt1_i32_b32 s21, s21
	s_add_co_i32 s10, s11, s20
	s_wait_alu 0xfffe
	s_add_nc_u64 s[84:85], s[84:85], s[70:71]
	s_add_co_i32 s70, s8, s17
	v_mov_b32_e32 v4, s86
	s_wait_alu 0xfffe
	s_add_nc_u64 s[82:83], s[82:83], s[70:71]
	s_add_co_i32 s70, s10, s21
	v_mov_b32_e32 v6, s84
	s_wait_alu 0xfffe
	s_add_nc_u64 s[80:81], s[80:81], s[70:71]
	v_mov_b32_e32 v8, s82
	s_wait_alu 0xfffe
	v_mov_b32_e32 v10, s80
	v_dual_mov_b32 v5, s87 :: v_dual_add_nc_u32 v32, s45, v32
	v_mov_b32_e32 v7, s85
	v_mov_b32_e32 v9, s83
	;; [unrolled: 1-line block ×3, first 2 shown]
	s_or_b32 s47, vcc_lo, s47
	s_wait_alu 0xfffe
	s_and_not1_b32 exec_lo, exec_lo, s47
	s_cbranch_execnz .LBB86_81
; %bb.82:                               ;   in Loop: Header=BB86_23 Depth=1
	s_or_b32 exec_lo, exec_lo, s47
.LBB86_83:                              ;   in Loop: Header=BB86_23 Depth=1
	s_delay_alu instid0(SALU_CYCLE_1)
	s_or_b32 exec_lo, exec_lo, s46
	v_add_co_u32 v21, vcc_lo, v21, v0
	s_wait_alu 0xfffd
	v_add_co_ci_u32_e64 v22, null, 0, v22, vcc_lo
	s_and_b32 s70, s78, 0x7fffffff
	s_mov_b32 s11, exec_lo
	s_wait_alu 0xfffe
	v_cmpx_gt_u64_e64 s[70:71], v[21:22]
	s_cbranch_execz .LBB86_87
; %bb.84:                               ;   in Loop: Header=BB86_23 Depth=1
	s_mul_i32 s44, s44, s79
	s_mov_b32 s12, 0
	s_wait_alu 0xfffe
	v_lshl_add_u32 v23, s44, 2, v0
.LBB86_85:                              ;   Parent Loop BB86_23 Depth=1
                                        ; =>  This Inner Loop Header: Depth=2
	ds_load_i8 v24, v23
	v_add_co_u32 v21, vcc_lo, v21, v2
	s_wait_alu 0xfffd
	v_add_co_ci_u32_e64 v22, null, 0, v22, vcc_lo
	v_add_nc_u32_e32 v23, s79, v23
	s_delay_alu instid0(VALU_DEP_2) | instskip(SKIP_2) | instid1(VALU_DEP_1)
	v_cmp_le_u64_e32 vcc_lo, s[70:71], v[21:22]
	s_wait_dscnt 0x0
	v_add_nc_u32_e32 v24, 0x80, v24
	v_and_b32_e32 v32, v24, v30
	v_bfe_u32 v24, v24, s100, 2
	s_delay_alu instid0(VALU_DEP_2) | instskip(NEXT) | instid1(VALU_DEP_2)
	v_cmp_eq_u32_e64 s6, v32, v28
	v_cmp_eq_u32_e64 s7, 0, v24
	;; [unrolled: 1-line block ×5, first 2 shown]
	s_and_b32 s7, s6, s7
	s_wait_alu 0xfffe
	v_cndmask_b32_e64 v24, 0, 1, s7
	s_and_b32 s7, s6, s8
	s_wait_alu 0xfffe
	v_cndmask_b32_e64 v32, 0, 1, s7
	s_and_b32 s7, s6, s9
	s_and_b32 s6, s6, s10
	s_wait_alu 0xfffe
	v_cndmask_b32_e64 v33, 0, 1, s7
	v_cndmask_b32_e64 v34, 0, 1, s6
	v_cmp_ne_u32_e64 s6, 0, v24
	v_cmp_ne_u32_e64 s7, 0, v32
	s_delay_alu instid0(VALU_DEP_4) | instskip(NEXT) | instid1(VALU_DEP_4)
	v_cmp_ne_u32_e64 s8, 0, v33
	v_cmp_ne_u32_e64 s9, 0, v34
	s_bcnt1_i32_b32 s6, s6
	s_bcnt1_i32_b32 s7, s7
	s_wait_alu 0xfffe
	v_add_co_u32 v4, s6, v4, s6
	s_bcnt1_i32_b32 s8, s8
	v_add_co_ci_u32_e64 v5, null, 0, v5, s6
	v_add_co_u32 v6, s6, v6, s7
	s_bcnt1_i32_b32 s9, s9
	v_add_co_ci_u32_e64 v7, null, 0, v7, s6
	s_wait_alu 0xfffe
	v_add_co_u32 v8, s6, v8, s8
	s_wait_alu 0xf1ff
	v_add_co_ci_u32_e64 v9, null, 0, v9, s6
	v_add_co_u32 v10, s6, v10, s9
	s_wait_alu 0xf1ff
	v_add_co_ci_u32_e64 v11, null, 0, v11, s6
	s_or_b32 s12, vcc_lo, s12
	s_wait_alu 0xfffe
	s_and_not1_b32 exec_lo, exec_lo, s12
	s_cbranch_execnz .LBB86_85
; %bb.86:                               ;   in Loop: Header=BB86_23 Depth=1
	s_or_b32 exec_lo, exec_lo, s12
.LBB86_87:                              ;   in Loop: Header=BB86_23 Depth=1
	s_delay_alu instid0(SALU_CYCLE_1)
	s_or_b32 exec_lo, exec_lo, s11
	s_lshl_b32 s6, s103, 7
	s_and_saveexec_b32 s7, s1
	s_cbranch_execnz .LBB86_58
	s_branch .LBB86_59
.LBB86_88:                              ;   in Loop: Header=BB86_23 Depth=1
                                        ; implicit-def: $sgpr6_sgpr7
	s_branch .LBB86_67
.LBB86_89:                              ;   in Loop: Header=BB86_23 Depth=1
	s_mov_b32 s8, 0
	s_and_not1_b32 vcc_lo, exec_lo, s99
	s_wait_alu 0xfffe
	s_cbranch_vccnz .LBB86_92
.LBB86_90:                              ;   in Loop: Header=BB86_23 Depth=1
	s_lshl_b32 s9, s103, 10
	s_lshl_b32 s8, s8, 5
	s_wait_alu 0xfffe
	v_add3_u32 v2, s9, s8, v29
	s_mov_b32 s8, s96
.LBB86_91:                              ;   Parent Loop BB86_23 Depth=1
                                        ; =>  This Inner Loop Header: Depth=2
	ds_load_b64 v[6:7], v2
	v_add_nc_u32_e32 v2, 32, v2
	s_wait_alu 0xfffe
	s_add_co_i32 s8, s8, -1
	s_wait_alu 0xfffe
	s_cmp_lg_u32 s8, 0
	s_wait_dscnt 0x0
	v_add_co_u32 v4, vcc_lo, v6, v4
	s_wait_alu 0xfffd
	v_add_co_ci_u32_e64 v5, null, v7, v5, vcc_lo
	s_cbranch_scc1 .LBB86_91
.LBB86_92:                              ;   in Loop: Header=BB86_23 Depth=1
	v_add_lshl_u32 v2, s6, v25, 3
	ds_store_b64 v2, v[4:5] offset:3072
.LBB86_93:                              ;   in Loop: Header=BB86_23 Depth=1
	s_wait_alu 0xfffe
	s_or_b32 exec_lo, exec_lo, s7
	s_lshl_b32 s6, s6, 3
	s_wait_loadcnt_dscnt 0x0
	s_wait_alu 0xfffe
	v_mov_b32_e32 v2, s6
	s_barrier_signal -1
	s_barrier_wait -1
	global_inv scope:SCOPE_SE
	v_cmp_eq_u64_e32 vcc_lo, 1, v[19:20]
	ds_load_b128 v[4:7], v2 offset:3072
	ds_load_b128 v[8:11], v2 offset:3088
	s_lshl_b32 s16, 3, s100
	s_mov_b32 s18, -1
	s_wait_alu 0xfffe
	s_not_b32 s20, s16
                                        ; implicit-def: $sgpr22
                                        ; implicit-def: $sgpr21
	s_wait_dscnt 0x1
	v_cmp_eq_u64_e64 s6, 1, v[4:5]
	s_wait_dscnt 0x0
	v_readfirstlane_b32 s10, v8
	v_readfirstlane_b32 s11, v9
	v_readfirstlane_b32 s8, v10
	v_readfirstlane_b32 s9, v11
	s_and_b32 s19, s6, vcc_lo
	s_mov_b32 s6, -1
	s_wait_alu 0xfffe
	s_and_saveexec_b32 s17, s19
	s_cbranch_execz .LBB86_125
; %bb.94:                               ;   in Loop: Header=BB86_23 Depth=1
	ds_load_b64 v[8:9], v3 offset:5120
	s_wait_loadcnt_dscnt 0x0
	s_barrier_signal -1
	s_barrier_wait -1
	global_inv scope:SCOPE_SE
	v_readfirstlane_b32 s6, v8
	v_readfirstlane_b32 s7, v9
	s_and_saveexec_b32 s12, s3
; %bb.95:                               ;   in Loop: Header=BB86_23 Depth=1
	ds_store_b8 v0, v3 offset:3072
; %bb.96:                               ;   in Loop: Header=BB86_23 Depth=1
	s_wait_alu 0xfffe
	s_or_b32 exec_lo, exec_lo, s12
	v_and_b32_e32 v28, s20, v28
	v_or_b32_e32 v30, s16, v30
	s_mov_b32 s21, -1
	s_mov_b32 s22, 0
	s_cmp_eq_u64 s[6:7], 0
	s_mov_b32 s14, 0
	s_mov_b32 s15, -1
	s_wait_loadcnt_dscnt 0x0
	s_barrier_signal -1
	s_barrier_wait -1
	global_inv scope:SCOPE_SE
                                        ; implicit-def: $vgpr31
	s_cbranch_scc1 .LBB86_110
; %bb.97:                               ;   in Loop: Header=BB86_23 Depth=1
	s_add_nc_u64 s[12:13], s[6:7], s[72:73]
	s_mov_b32 s14, s71
	s_wait_alu 0xfffe
	s_mov_b32 s15, s13
	s_wait_alu 0xfffe
	s_cmp_lg_u64 s[14:15], 0
	s_cbranch_scc0 .LBB86_151
; %bb.98:                               ;   in Loop: Header=BB86_23 Depth=1
	s_cvt_f32_u32 s14, s66
	s_sub_nc_u64 s[24:25], 0, s[66:67]
	s_wait_alu 0xfffe
	s_delay_alu instid0(SALU_CYCLE_1) | instskip(SKIP_1) | instid1(SALU_CYCLE_2)
	s_fmamk_f32 s14, s102, 0x0, s14
	s_wait_alu 0xfffe
	v_s_rcp_f32 s14, s14
	s_delay_alu instid0(TRANS32_DEP_1) | instskip(SKIP_1) | instid1(SALU_CYCLE_2)
	s_mul_f32 s14, s14, 0x5f7ffffc
	s_wait_alu 0xfffe
	s_mul_f32 s15, s14, 0x2f800000
	s_wait_alu 0xfffe
	s_delay_alu instid0(SALU_CYCLE_2) | instskip(SKIP_1) | instid1(SALU_CYCLE_2)
	s_trunc_f32 s15, s15
	s_wait_alu 0xfffe
	s_fmamk_f32 s14, s15, 0xcf800000, s14
	s_cvt_u32_f32 s15, s15
	s_wait_alu 0xfffe
	s_delay_alu instid0(SALU_CYCLE_1) | instskip(SKIP_1) | instid1(SALU_CYCLE_2)
	s_cvt_u32_f32 s14, s14
	s_wait_alu 0xfffe
	s_mul_u64 s[44:45], s[24:25], s[14:15]
	s_wait_alu 0xfffe
	s_mul_hi_u32 s47, s14, s45
	s_mul_i32 s46, s14, s45
	s_mul_hi_u32 s70, s14, s44
	s_mul_i32 s78, s15, s44
	s_wait_alu 0xfffe
	s_add_nc_u64 s[46:47], s[70:71], s[46:47]
	s_mul_hi_u32 s23, s15, s44
	s_mul_hi_u32 s79, s15, s45
	s_mul_i32 s44, s15, s45
	s_wait_alu 0xfffe
	s_add_co_u32 s45, s46, s78
	s_add_co_ci_u32 s70, s47, s23
	s_add_co_ci_u32 s45, s79, 0
	s_wait_alu 0xfffe
	s_add_nc_u64 s[44:45], s[70:71], s[44:45]
	s_wait_alu 0xfffe
	s_add_co_u32 s14, s14, s44
	s_cselect_b32 s23, -1, 0
	s_wait_alu 0xfffe
	s_cmp_lg_u32 s23, 0
	s_add_co_ci_u32 s15, s15, s45
	s_wait_alu 0xfffe
	s_mul_u64 s[24:25], s[24:25], s[14:15]
	s_wait_alu 0xfffe
	s_mul_hi_u32 s45, s14, s25
	s_mul_i32 s44, s14, s25
	s_mul_hi_u32 s70, s14, s24
	s_mul_i32 s46, s15, s24
	s_wait_alu 0xfffe
	s_add_nc_u64 s[44:45], s[70:71], s[44:45]
	s_mul_hi_u32 s23, s15, s24
	s_mul_hi_u32 s47, s15, s25
	s_mul_i32 s24, s15, s25
	s_wait_alu 0xfffe
	s_add_co_u32 s25, s44, s46
	s_add_co_ci_u32 s70, s45, s23
	s_add_co_ci_u32 s25, s47, 0
	s_wait_alu 0xfffe
	s_add_nc_u64 s[24:25], s[70:71], s[24:25]
	s_wait_alu 0xfffe
	s_add_co_u32 s14, s14, s24
	s_cselect_b32 s23, -1, 0
	s_wait_alu 0xfffe
	s_mul_hi_u32 s70, s12, s14
	s_cmp_lg_u32 s23, 0
	s_mul_hi_u32 s23, s13, s14
	s_add_co_ci_u32 s24, s15, s25
	s_mul_i32 s25, s13, s14
	s_wait_alu 0xfffe
	s_mul_hi_u32 s15, s12, s24
	s_mul_i32 s14, s12, s24
	s_mul_hi_u32 s44, s13, s24
	s_wait_alu 0xfffe
	s_add_nc_u64 s[14:15], s[70:71], s[14:15]
	s_mul_i32 s24, s13, s24
	s_wait_alu 0xfffe
	s_add_co_u32 s14, s14, s25
	s_add_co_ci_u32 s70, s15, s23
	s_add_co_ci_u32 s25, s44, 0
	s_wait_alu 0xfffe
	s_add_nc_u64 s[14:15], s[70:71], s[24:25]
	s_wait_alu 0xfffe
	s_mul_u64 s[14:15], s[66:67], s[14:15]
	s_wait_alu 0xfffe
	s_sub_co_u32 s14, s12, s14
	s_cselect_b32 s23, -1, 0
	s_wait_alu 0xfffe
	s_cmp_lg_u32 s23, 0
	s_sub_co_ci_u32 s15, s13, s15
	s_sub_co_u32 s23, s14, s66
	s_cselect_b32 s24, -1, 0
	s_wait_alu 0xfffe
	s_cmp_lg_u32 s24, 0
	s_sub_co_ci_u32 s24, s15, 0
	;; [unrolled: 5-line block ×3, first 2 shown]
	s_cmp_ge_u32 s23, s66
	s_cselect_b32 s45, -1, 0
	s_cmp_eq_u32 s24, 0
	s_wait_alu 0xfffe
	s_cselect_b32 s45, s45, -1
	s_wait_alu 0xfffe
	s_cmp_lg_u32 s45, 0
	s_cselect_b32 s24, s44, s24
	s_cselect_b32 s23, s25, s23
	s_cmp_ge_u32 s14, s66
	s_cselect_b32 s25, -1, 0
	s_cmp_eq_u32 s15, 0
	s_wait_alu 0xfffe
	s_cselect_b32 s25, s25, -1
	s_wait_alu 0xfffe
	s_cmp_lg_u32 s25, 0
	s_cselect_b32 s15, s24, s15
	s_cselect_b32 s14, s23, s14
	s_cbranch_execnz .LBB86_100
.LBB86_99:                              ;   in Loop: Header=BB86_23 Depth=1
	v_cvt_f32_u32_e32 v2, s66
	s_sub_co_i32 s15, 0, s66
	s_delay_alu instid0(VALU_DEP_1) | instskip(NEXT) | instid1(TRANS32_DEP_1)
	v_rcp_iflag_f32_e32 v2, v2
	v_mul_f32_e32 v2, 0x4f7ffffe, v2
	s_delay_alu instid0(VALU_DEP_1) | instskip(NEXT) | instid1(VALU_DEP_1)
	v_cvt_u32_f32_e32 v2, v2
	v_readfirstlane_b32 s14, v2
	s_wait_alu 0xfffe
	s_mul_i32 s15, s15, s14
	s_wait_alu 0xfffe
	s_mul_hi_u32 s15, s14, s15
	s_wait_alu 0xfffe
	s_add_co_i32 s14, s14, s15
	s_wait_alu 0xfffe
	s_mul_hi_u32 s14, s12, s14
	s_wait_alu 0xfffe
	s_mul_i32 s14, s14, s66
	s_wait_alu 0xfffe
	s_sub_co_i32 s14, s12, s14
	s_wait_alu 0xfffe
	s_sub_co_i32 s15, s14, s66
	s_cmp_ge_u32 s14, s66
	s_wait_alu 0xfffe
	s_cselect_b32 s14, s15, s14
	s_wait_alu 0xfffe
	s_sub_co_i32 s15, s14, s66
	s_cmp_ge_u32 s14, s66
	s_wait_alu 0xfffe
	s_cselect_b32 s70, s15, s14
	s_wait_alu 0xfffe
	s_mov_b64 s[14:15], s[70:71]
.LBB86_100:                             ;   in Loop: Header=BB86_23 Depth=1
	s_wait_alu 0xfffe
	s_sub_nc_u64 s[12:13], s[12:13], s[14:15]
	s_mov_b32 s15, 0
	s_mov_b32 s14, 0
	s_mov_b32 s23, exec_lo
                                        ; implicit-def: $vgpr31
	s_wait_alu 0xfffe
	v_cmpx_gt_u64_e64 s[12:13], v[0:1]
	s_cbranch_execz .LBB86_109
; %bb.101:                              ;   in Loop: Header=BB86_23 Depth=1
	v_dual_mov_b32 v2, v0 :: v_dual_mov_b32 v9, v1
	v_mov_b32_e32 v8, v0
                                        ; implicit-def: $sgpr24
	s_branch .LBB86_104
.LBB86_102:                             ;   in Loop: Header=BB86_104 Depth=2
	s_wait_alu 0xfffe
	s_or_b32 exec_lo, exec_lo, s25
	s_wait_loadcnt_dscnt 0x0
	s_barrier_signal -1
	s_barrier_wait -1
	global_inv scope:SCOPE_SE
	ds_load_u16 v10, v3 offset:3072
	s_mov_b32 s25, -1
	s_mov_b32 s44, -1
	s_wait_loadcnt_dscnt 0x0
	s_barrier_signal -1
	s_barrier_wait -1
	global_inv scope:SCOPE_SE
	v_and_b32_e32 v11, 0xff, v10
	s_delay_alu instid0(VALU_DEP_1)
	v_cmp_ne_u32_e32 vcc_lo, 0, v11
	s_cbranch_vccz .LBB86_107
.LBB86_103:                             ;   in Loop: Header=BB86_104 Depth=2
	s_wait_alu 0xfffe
	s_and_b32 s25, exec_lo, s25
	s_wait_alu 0xfffe
	s_or_b32 s14, s25, s14
	s_and_not1_b32 s24, s24, exec_lo
	s_and_b32 s25, s44, exec_lo
	s_wait_alu 0xfffe
	s_or_b32 s24, s24, s25
	s_and_not1_b32 exec_lo, exec_lo, s14
	s_cbranch_execz .LBB86_108
.LBB86_104:                             ;   Parent Loop BB86_23 Depth=1
                                        ; =>  This Inner Loop Header: Depth=2
	s_mov_b32 s25, exec_lo
	s_delay_alu instid0(VALU_DEP_1)
	v_cmpx_gt_u64_e64 s[6:7], v[8:9]
	s_cbranch_execz .LBB86_102
; %bb.105:                              ;   in Loop: Header=BB86_104 Depth=2
	ds_load_u8 v10, v2
	s_wait_dscnt 0x0
	v_bfe_i32 v11, v10, 0, 8
	s_delay_alu instid0(VALU_DEP_1) | instskip(NEXT) | instid1(VALU_DEP_1)
	v_add_nc_u32_e32 v11, 0x80, v11
	v_and_b32_e32 v11, v11, v30
	s_delay_alu instid0(VALU_DEP_1)
	v_cmp_eq_u32_e32 vcc_lo, v11, v28
	s_and_b32 exec_lo, exec_lo, vcc_lo
	s_cbranch_execz .LBB86_102
; %bb.106:                              ;   in Loop: Header=BB86_104 Depth=2
	v_lshlrev_b16 v10, 8, v10
	s_delay_alu instid0(VALU_DEP_1)
	v_or_b32_e32 v10, 1, v10
	ds_store_b16 v3, v10 offset:3072
	s_branch .LBB86_102
.LBB86_107:                             ;   in Loop: Header=BB86_104 Depth=2
	v_add_co_u32 v8, vcc_lo, v8, s66
	s_wait_alu 0xfffd
	v_add_co_ci_u32_e64 v9, null, 0, v9, vcc_lo
	v_add_nc_u32_e32 v2, s66, v2
	s_mov_b32 s44, 0
	s_delay_alu instid0(VALU_DEP_2)
	v_cmp_le_u64_e32 vcc_lo, s[12:13], v[8:9]
	s_or_not1_b32 s25, vcc_lo, exec_lo
	s_branch .LBB86_103
.LBB86_108:                             ;   in Loop: Header=BB86_23 Depth=1
	s_or_b32 exec_lo, exec_lo, s14
	v_and_b32_e32 v2, 0xffff, v10
	s_wait_alu 0xfffe
	s_and_b32 s14, s24, exec_lo
	s_delay_alu instid0(VALU_DEP_1)
	v_lshrrev_b32_e32 v31, 8, v2
.LBB86_109:                             ;   in Loop: Header=BB86_23 Depth=1
	s_or_b32 exec_lo, exec_lo, s23
.LBB86_110:                             ;   in Loop: Header=BB86_23 Depth=1
	s_wait_alu 0xfffe
	s_and_b32 vcc_lo, exec_lo, s15
	s_wait_alu 0xfffe
	s_cbranch_vccz .LBB86_124
; %bb.111:                              ;   in Loop: Header=BB86_23 Depth=1
	s_mov_b32 s6, s71
	s_mov_b32 s7, s75
	s_wait_alu 0xfffe
	s_cmp_lg_u64 s[6:7], 0
	s_cbranch_scc0 .LBB86_155
; %bb.112:                              ;   in Loop: Header=BB86_23 Depth=1
	s_cvt_f32_u32 s6, s66
	s_sub_nc_u64 s[12:13], 0, s[66:67]
	s_wait_alu 0xfffe
	s_delay_alu instid0(SALU_CYCLE_1) | instskip(SKIP_1) | instid1(SALU_CYCLE_2)
	s_fmamk_f32 s6, s102, 0x0, s6
	s_wait_alu 0xfffe
	v_s_rcp_f32 s6, s6
	s_delay_alu instid0(TRANS32_DEP_1) | instskip(SKIP_1) | instid1(SALU_CYCLE_2)
	s_mul_f32 s6, s6, 0x5f7ffffc
	s_wait_alu 0xfffe
	s_mul_f32 s7, s6, 0x2f800000
	s_wait_alu 0xfffe
	s_delay_alu instid0(SALU_CYCLE_2) | instskip(SKIP_1) | instid1(SALU_CYCLE_2)
	s_trunc_f32 s7, s7
	s_wait_alu 0xfffe
	s_fmamk_f32 s6, s7, 0xcf800000, s6
	s_cvt_u32_f32 s7, s7
	s_wait_alu 0xfffe
	s_delay_alu instid0(SALU_CYCLE_1) | instskip(SKIP_1) | instid1(SALU_CYCLE_2)
	s_cvt_u32_f32 s6, s6
	s_wait_alu 0xfffe
	s_mul_u64 s[22:23], s[12:13], s[6:7]
	s_wait_alu 0xfffe
	s_mul_hi_u32 s25, s6, s23
	s_mul_i32 s24, s6, s23
	s_mul_hi_u32 s70, s6, s22
	s_mul_i32 s21, s7, s22
	s_wait_alu 0xfffe
	s_add_nc_u64 s[24:25], s[70:71], s[24:25]
	s_mul_hi_u32 s15, s7, s22
	s_mul_hi_u32 s44, s7, s23
	s_wait_alu 0xfffe
	s_add_co_u32 s21, s24, s21
	s_add_co_ci_u32 s70, s25, s15
	s_mul_i32 s22, s7, s23
	s_add_co_ci_u32 s23, s44, 0
	s_wait_alu 0xfffe
	s_add_nc_u64 s[22:23], s[70:71], s[22:23]
	s_wait_alu 0xfffe
	s_add_co_u32 s6, s6, s22
	s_cselect_b32 s15, -1, 0
	s_wait_alu 0xfffe
	s_cmp_lg_u32 s15, 0
	s_add_co_ci_u32 s7, s7, s23
	s_wait_alu 0xfffe
	s_mul_u64 s[12:13], s[12:13], s[6:7]
	s_wait_alu 0xfffe
	s_mul_hi_u32 s23, s6, s13
	s_mul_i32 s22, s6, s13
	s_mul_hi_u32 s70, s6, s12
	s_mul_i32 s21, s7, s12
	s_wait_alu 0xfffe
	s_add_nc_u64 s[22:23], s[70:71], s[22:23]
	s_mul_hi_u32 s15, s7, s12
	s_mul_hi_u32 s24, s7, s13
	s_mul_i32 s12, s7, s13
	s_wait_alu 0xfffe
	s_add_co_u32 s13, s22, s21
	s_add_co_ci_u32 s70, s23, s15
	s_add_co_ci_u32 s13, s24, 0
	s_wait_alu 0xfffe
	s_add_nc_u64 s[12:13], s[70:71], s[12:13]
	s_wait_alu 0xfffe
	s_add_co_u32 s6, s6, s12
	s_cselect_b32 s12, -1, 0
	s_wait_alu 0xfffe
	s_mul_hi_u32 s70, s74, s6
	s_cmp_lg_u32 s12, 0
	s_mul_hi_u32 s15, s75, s6
	s_add_co_ci_u32 s12, s7, s13
	s_mul_i32 s13, s75, s6
	s_wait_alu 0xfffe
	s_mul_hi_u32 s7, s74, s12
	s_mul_i32 s6, s74, s12
	s_mul_hi_u32 s21, s75, s12
	s_wait_alu 0xfffe
	s_add_nc_u64 s[6:7], s[70:71], s[6:7]
	s_mul_i32 s12, s75, s12
	s_wait_alu 0xfffe
	s_add_co_u32 s6, s6, s13
	s_add_co_ci_u32 s70, s7, s15
	s_add_co_ci_u32 s13, s21, 0
	s_wait_alu 0xfffe
	s_add_nc_u64 s[6:7], s[70:71], s[12:13]
	s_wait_alu 0xfffe
	s_mul_u64 s[6:7], s[66:67], s[6:7]
	s_wait_alu 0xfffe
	s_sub_co_u32 s6, s74, s6
	s_cselect_b32 s12, -1, 0
	s_wait_alu 0xfffe
	s_cmp_lg_u32 s12, 0
	s_sub_co_ci_u32 s7, s75, s7
	s_sub_co_u32 s12, s6, s66
	s_cselect_b32 s13, -1, 0
	s_wait_alu 0xfffe
	s_cmp_lg_u32 s13, 0
	s_sub_co_ci_u32 s13, s7, 0
	;; [unrolled: 5-line block ×3, first 2 shown]
	s_cmp_ge_u32 s12, s66
	s_cselect_b32 s22, -1, 0
	s_cmp_eq_u32 s13, 0
	s_wait_alu 0xfffe
	s_cselect_b32 s22, s22, -1
	s_wait_alu 0xfffe
	s_cmp_lg_u32 s22, 0
	s_cselect_b32 s13, s21, s13
	s_cselect_b32 s12, s15, s12
	s_cmp_ge_u32 s6, s66
	s_cselect_b32 s15, -1, 0
	s_cmp_eq_u32 s7, 0
	s_wait_alu 0xfffe
	s_cselect_b32 s15, s15, -1
	s_wait_alu 0xfffe
	s_cmp_lg_u32 s15, 0
	s_cselect_b32 s7, s13, s7
	s_cselect_b32 s6, s12, s6
	s_cbranch_execnz .LBB86_114
.LBB86_113:                             ;   in Loop: Header=BB86_23 Depth=1
	v_cvt_f32_u32_e32 v2, s66
	s_sub_co_i32 s7, 0, s66
	s_delay_alu instid0(VALU_DEP_1) | instskip(NEXT) | instid1(TRANS32_DEP_1)
	v_rcp_iflag_f32_e32 v2, v2
	v_mul_f32_e32 v2, 0x4f7ffffe, v2
	s_delay_alu instid0(VALU_DEP_1) | instskip(NEXT) | instid1(VALU_DEP_1)
	v_cvt_u32_f32_e32 v2, v2
	v_readfirstlane_b32 s6, v2
	s_wait_alu 0xfffe
	s_mul_i32 s7, s7, s6
	s_wait_alu 0xfffe
	s_mul_hi_u32 s7, s6, s7
	s_wait_alu 0xfffe
	s_add_co_i32 s6, s6, s7
	s_wait_alu 0xfffe
	s_mul_hi_u32 s6, s74, s6
	s_wait_alu 0xfffe
	s_mul_i32 s6, s6, s66
	s_wait_alu 0xfffe
	s_sub_co_i32 s6, s74, s6
	s_wait_alu 0xfffe
	s_sub_co_i32 s7, s6, s66
	s_cmp_ge_u32 s6, s66
	s_wait_alu 0xfffe
	s_cselect_b32 s6, s7, s6
	s_wait_alu 0xfffe
	s_sub_co_i32 s7, s6, s66
	s_cmp_ge_u32 s6, s66
	s_wait_alu 0xfffe
	s_cselect_b32 s70, s7, s6
	s_wait_alu 0xfffe
	s_mov_b64 s[6:7], s[70:71]
.LBB86_114:                             ;   in Loop: Header=BB86_23 Depth=1
	s_wait_alu 0xfffe
	s_sub_nc_u64 s[6:7], s[74:75], s[6:7]
	s_mov_b32 s12, exec_lo
                                        ; implicit-def: $vgpr31
	s_wait_alu 0xfffe
	v_cmpx_gt_u64_e64 s[6:7], v[0:1]
	s_cbranch_execz .LBB86_123
; %bb.115:                              ;   in Loop: Header=BB86_23 Depth=1
	v_dual_mov_b32 v9, v1 :: v_dual_mov_b32 v8, v0
	s_mov_b32 s15, 0
                                        ; implicit-def: $sgpr13
	s_branch .LBB86_118
.LBB86_116:                             ;   in Loop: Header=BB86_118 Depth=2
	s_wait_alu 0xfffe
	s_or_b32 exec_lo, exec_lo, s21
	s_wait_loadcnt_dscnt 0x0
	s_barrier_signal -1
	s_barrier_wait -1
	global_inv scope:SCOPE_SE
	ds_load_u16 v2, v3 offset:3072
	s_mov_b32 s22, -1
	s_mov_b32 s21, -1
	s_wait_loadcnt_dscnt 0x0
	s_barrier_signal -1
	s_barrier_wait -1
	global_inv scope:SCOPE_SE
	v_and_b32_e32 v10, 0xff, v2
	s_delay_alu instid0(VALU_DEP_1)
	v_cmp_ne_u32_e32 vcc_lo, 0, v10
	s_cbranch_vccz .LBB86_121
.LBB86_117:                             ;   in Loop: Header=BB86_118 Depth=2
	s_wait_alu 0xfffe
	s_and_b32 s22, exec_lo, s22
	s_wait_alu 0xfffe
	s_or_b32 s15, s22, s15
	s_and_not1_b32 s13, s13, exec_lo
	s_and_b32 s21, s21, exec_lo
	s_wait_alu 0xfffe
	s_or_b32 s13, s13, s21
	s_and_not1_b32 exec_lo, exec_lo, s15
	s_cbranch_execz .LBB86_122
.LBB86_118:                             ;   Parent Loop BB86_23 Depth=1
                                        ; =>  This Inner Loop Header: Depth=2
	s_mov_b32 s21, exec_lo
	s_delay_alu instid0(VALU_DEP_1)
	v_cmpx_gt_u64_e64 s[28:29], v[8:9]
	s_cbranch_execz .LBB86_116
; %bb.119:                              ;   in Loop: Header=BB86_118 Depth=2
	v_mad_co_u64_u32 v[10:11], null, v8, s56, s[60:61]
	v_mul_lo_u32 v2, v8, s57
	v_mul_lo_u32 v21, v9, s56
	s_delay_alu instid0(VALU_DEP_1) | instskip(SKIP_3) | instid1(VALU_DEP_1)
	v_add3_u32 v11, v21, v11, v2
	global_load_u8 v2, v[10:11], off
	s_wait_loadcnt 0x0
	v_bfe_i32 v10, v2, 0, 8
	v_add_nc_u32_e32 v10, 0x80, v10
	s_delay_alu instid0(VALU_DEP_1) | instskip(NEXT) | instid1(VALU_DEP_1)
	v_and_b32_e32 v10, v10, v30
	v_cmp_eq_u32_e32 vcc_lo, v10, v28
	s_and_b32 exec_lo, exec_lo, vcc_lo
	s_cbranch_execz .LBB86_116
; %bb.120:                              ;   in Loop: Header=BB86_118 Depth=2
	v_lshlrev_b16 v2, 8, v2
	s_delay_alu instid0(VALU_DEP_1)
	v_or_b32_e32 v2, 1, v2
	ds_store_b16 v3, v2 offset:3072
	s_branch .LBB86_116
.LBB86_121:                             ;   in Loop: Header=BB86_118 Depth=2
	v_add_co_u32 v8, vcc_lo, v8, s66
	s_wait_alu 0xfffd
	v_add_co_ci_u32_e64 v9, null, 0, v9, vcc_lo
	s_mov_b32 s21, 0
	v_cmp_le_u64_e32 vcc_lo, s[6:7], v[8:9]
	s_or_not1_b32 s22, vcc_lo, exec_lo
	s_branch .LBB86_117
.LBB86_122:                             ;   in Loop: Header=BB86_23 Depth=1
	s_or_b32 exec_lo, exec_lo, s15
	v_and_b32_e32 v2, 0xffff, v2
	s_and_not1_b32 s6, s14, exec_lo
	s_wait_alu 0xfffe
	s_and_b32 s7, s13, exec_lo
	s_wait_alu 0xfffe
	s_or_b32 s14, s6, s7
	v_lshrrev_b32_e32 v31, 8, v2
.LBB86_123:                             ;   in Loop: Header=BB86_23 Depth=1
	s_or_b32 exec_lo, exec_lo, s12
	s_mov_b32 s21, 0
	s_mov_b32 s22, -1
.LBB86_124:                             ;   in Loop: Header=BB86_23 Depth=1
	s_wait_alu 0xfffe
	s_or_not1_b32 s6, s14, exec_lo
.LBB86_125:                             ;   in Loop: Header=BB86_23 Depth=1
	s_wait_alu 0xfffe
	s_or_b32 exec_lo, exec_lo, s17
	s_delay_alu instid0(SALU_CYCLE_1)
	s_and_not1_b32 s7, s64, exec_lo
	s_and_b32 s12, s22, exec_lo
	s_and_not1_b32 s13, s58, exec_lo
	s_and_b32 s14, s21, exec_lo
	s_and_not1_b32 vcc_hi, vcc_hi, exec_lo
	s_wait_alu 0xfffe
	s_or_b32 s64, s7, s12
	s_or_b32 s58, s13, s14
                                        ; implicit-def: $vgpr8_vgpr9
	s_and_saveexec_b32 s17, s6
	s_cbranch_execz .LBB86_22
; %bb.126:                              ;   in Loop: Header=BB86_23 Depth=1
	v_mov_b32_e32 v8, 1
	v_dual_mov_b32 v9, 0 :: v_dual_mov_b32 v2, 1
	s_xor_b32 s12, s19, -1
	s_mov_b32 s7, 0
	s_wait_alu 0xfffe
	s_and_saveexec_b32 s6, s12
	s_cbranch_execz .LBB86_135
; %bb.127:                              ;   in Loop: Header=BB86_23 Depth=1
	s_mov_b32 s7, exec_lo
	v_cmpx_le_u64_e64 v[19:20], v[4:5]
	s_wait_alu 0xfffe
	s_xor_b32 s7, exec_lo, s7
	s_cbranch_execz .LBB86_132
; %bb.128:                              ;   in Loop: Header=BB86_23 Depth=1
	ds_load_b64 v[8:9], v3 offset:5120
	v_and_b32_e32 v28, s20, v28
	v_or_b32_e32 v30, s16, v30
	s_wait_dscnt 0x0
	v_cmp_ne_u64_e32 vcc_lo, 0, v[8:9]
	s_cbranch_vccnz .LBB86_132
; %bb.129:                              ;   in Loop: Header=BB86_23 Depth=1
	s_and_saveexec_b32 s12, s2
; %bb.130:                              ;   in Loop: Header=BB86_23 Depth=1
	ds_store_b64 v3, v[4:5] offset:5128
; %bb.131:                              ;   in Loop: Header=BB86_23 Depth=1
	s_wait_alu 0xfffe
	s_or_b32 exec_lo, exec_lo, s12
	s_wait_loadcnt_dscnt 0x0
	s_barrier_signal -1
	s_barrier_wait -1
	global_inv scope:SCOPE_SE
.LBB86_132:                             ;   in Loop: Header=BB86_23 Depth=1
	s_wait_alu 0xfffe
	s_or_saveexec_b32 s7, s7
	v_mov_b32_e32 v2, 8
	s_mov_b32 s12, 0
	s_wait_alu 0xfffe
	s_xor_b32 exec_lo, exec_lo, s7
; %bb.133:                              ;   in Loop: Header=BB86_23 Depth=1
	v_sub_co_u32 v19, vcc_lo, v19, v4
	s_wait_alu 0xfffd
	v_sub_co_ci_u32_e64 v20, null, v20, v5, vcc_lo
	v_mov_b32_e32 v2, 0
	s_mov_b32 s12, exec_lo
; %bb.134:                              ;   in Loop: Header=BB86_23 Depth=1
	s_or_b32 exec_lo, exec_lo, s7
	s_delay_alu instid0(VALU_DEP_2)
	v_dual_mov_b32 v8, v19 :: v_dual_mov_b32 v9, v20
	s_wait_alu 0xfffe
	s_and_b32 s7, s12, exec_lo
.LBB86_135:                             ;   in Loop: Header=BB86_23 Depth=1
	s_wait_alu 0xfffe
	s_or_b32 exec_lo, exec_lo, s6
	s_mov_b32 s18, -1
	s_mov_b32 s6, -1
                                        ; implicit-def: $sgpr21
                                        ; implicit-def: $sgpr22
	s_and_saveexec_b32 s12, s7
	s_wait_alu 0xfffe
	s_xor_b32 s19, exec_lo, s12
	s_cbranch_execz .LBB86_280
; %bb.136:                              ;   in Loop: Header=BB86_23 Depth=1
	v_cmp_eq_u64_e32 vcc_lo, 1, v[6:7]
	v_cmp_eq_u64_e64 s6, 1, v[8:9]
                                        ; implicit-def: $sgpr22
                                        ; implicit-def: $sgpr21
	s_and_b32 s24, vcc_lo, s6
	s_mov_b32 s6, -1
	s_wait_alu 0xfffe
	s_and_saveexec_b32 s23, s24
	s_cbranch_execz .LBB86_173
; %bb.137:                              ;   in Loop: Header=BB86_23 Depth=1
	ds_load_b64 v[4:5], v3 offset:5120
	s_wait_loadcnt_dscnt 0x0
	s_barrier_signal -1
	s_barrier_wait -1
	global_inv scope:SCOPE_SE
	v_readfirstlane_b32 s6, v4
	v_readfirstlane_b32 s7, v5
	s_and_saveexec_b32 s12, s3
; %bb.138:                              ;   in Loop: Header=BB86_23 Depth=1
	ds_store_b8 v0, v3 offset:3072
; %bb.139:                              ;   in Loop: Header=BB86_23 Depth=1
	s_wait_alu 0xfffe
	s_or_b32 exec_lo, exec_lo, s12
	s_lshl_b32 s12, 1, s100
	v_or_b32_e32 v30, s16, v30
	s_wait_alu 0xfffe
	v_and_or_b32 v28, v28, s20, s12
	s_mov_b32 s21, -1
	s_mov_b32 s22, 0
	s_cmp_eq_u64 s[6:7], 0
	s_mov_b32 s14, 0
	s_mov_b32 s15, -1
	s_wait_loadcnt_dscnt 0x0
	s_barrier_signal -1
	s_barrier_wait -1
	global_inv scope:SCOPE_SE
                                        ; implicit-def: $vgpr31
	s_cbranch_scc1 .LBB86_158
; %bb.140:                              ;   in Loop: Header=BB86_23 Depth=1
	s_add_nc_u64 s[12:13], s[6:7], s[72:73]
	s_mov_b32 s14, s71
	s_wait_alu 0xfffe
	s_mov_b32 s15, s13
	s_wait_alu 0xfffe
	s_cmp_lg_u64 s[14:15], 0
	s_cbranch_scc0 .LBB86_200
; %bb.141:                              ;   in Loop: Header=BB86_23 Depth=1
	s_cvt_f32_u32 s14, s66
	s_sub_nc_u64 s[44:45], 0, s[66:67]
	s_wait_alu 0xfffe
	s_delay_alu instid0(SALU_CYCLE_1) | instskip(SKIP_1) | instid1(SALU_CYCLE_2)
	s_fmamk_f32 s14, s102, 0x0, s14
	s_wait_alu 0xfffe
	v_s_rcp_f32 s14, s14
	s_delay_alu instid0(TRANS32_DEP_1) | instskip(SKIP_1) | instid1(SALU_CYCLE_2)
	s_mul_f32 s14, s14, 0x5f7ffffc
	s_wait_alu 0xfffe
	s_mul_f32 s15, s14, 0x2f800000
	s_wait_alu 0xfffe
	s_delay_alu instid0(SALU_CYCLE_2) | instskip(SKIP_1) | instid1(SALU_CYCLE_2)
	s_trunc_f32 s15, s15
	s_wait_alu 0xfffe
	s_fmamk_f32 s14, s15, 0xcf800000, s14
	s_cvt_u32_f32 s15, s15
	s_wait_alu 0xfffe
	s_delay_alu instid0(SALU_CYCLE_1) | instskip(SKIP_1) | instid1(SALU_CYCLE_2)
	s_cvt_u32_f32 s14, s14
	s_wait_alu 0xfffe
	s_mul_u64 s[46:47], s[44:45], s[14:15]
	s_wait_alu 0xfffe
	s_mul_hi_u32 s79, s14, s47
	s_mul_i32 s78, s14, s47
	s_mul_hi_u32 s70, s14, s46
	s_mul_i32 s80, s15, s46
	s_wait_alu 0xfffe
	s_add_nc_u64 s[78:79], s[70:71], s[78:79]
	s_mul_hi_u32 s25, s15, s46
	s_mul_hi_u32 s81, s15, s47
	s_mul_i32 s46, s15, s47
	s_wait_alu 0xfffe
	s_add_co_u32 s47, s78, s80
	s_add_co_ci_u32 s70, s79, s25
	s_add_co_ci_u32 s47, s81, 0
	s_wait_alu 0xfffe
	s_add_nc_u64 s[46:47], s[70:71], s[46:47]
	s_wait_alu 0xfffe
	s_add_co_u32 s14, s14, s46
	s_cselect_b32 s25, -1, 0
	s_wait_alu 0xfffe
	s_cmp_lg_u32 s25, 0
	s_add_co_ci_u32 s15, s15, s47
	s_wait_alu 0xfffe
	s_mul_u64 s[44:45], s[44:45], s[14:15]
	s_wait_alu 0xfffe
	s_mul_hi_u32 s47, s14, s45
	s_mul_i32 s46, s14, s45
	s_mul_hi_u32 s70, s14, s44
	s_mul_i32 s78, s15, s44
	s_wait_alu 0xfffe
	s_add_nc_u64 s[46:47], s[70:71], s[46:47]
	s_mul_hi_u32 s25, s15, s44
	s_mul_hi_u32 s79, s15, s45
	s_mul_i32 s44, s15, s45
	s_wait_alu 0xfffe
	s_add_co_u32 s45, s46, s78
	s_add_co_ci_u32 s70, s47, s25
	s_add_co_ci_u32 s45, s79, 0
	s_wait_alu 0xfffe
	s_add_nc_u64 s[44:45], s[70:71], s[44:45]
	s_wait_alu 0xfffe
	s_add_co_u32 s14, s14, s44
	s_cselect_b32 s25, -1, 0
	s_wait_alu 0xfffe
	s_mul_hi_u32 s70, s12, s14
	s_cmp_lg_u32 s25, 0
	s_mul_hi_u32 s25, s13, s14
	s_add_co_ci_u32 s44, s15, s45
	s_mul_i32 s45, s13, s14
	s_wait_alu 0xfffe
	s_mul_hi_u32 s15, s12, s44
	s_mul_i32 s14, s12, s44
	s_mul_hi_u32 s46, s13, s44
	s_wait_alu 0xfffe
	s_add_nc_u64 s[14:15], s[70:71], s[14:15]
	s_mul_i32 s44, s13, s44
	s_wait_alu 0xfffe
	s_add_co_u32 s14, s14, s45
	s_add_co_ci_u32 s70, s15, s25
	s_add_co_ci_u32 s45, s46, 0
	s_wait_alu 0xfffe
	s_add_nc_u64 s[14:15], s[70:71], s[44:45]
	s_wait_alu 0xfffe
	s_mul_u64 s[14:15], s[66:67], s[14:15]
	s_wait_alu 0xfffe
	s_sub_co_u32 s14, s12, s14
	s_cselect_b32 s25, -1, 0
	s_wait_alu 0xfffe
	s_cmp_lg_u32 s25, 0
	s_sub_co_ci_u32 s15, s13, s15
	s_sub_co_u32 s25, s14, s66
	s_cselect_b32 s44, -1, 0
	s_wait_alu 0xfffe
	s_cmp_lg_u32 s44, 0
	s_sub_co_ci_u32 s44, s15, 0
	;; [unrolled: 5-line block ×3, first 2 shown]
	s_cmp_ge_u32 s25, s66
	s_cselect_b32 s47, -1, 0
	s_cmp_eq_u32 s44, 0
	s_wait_alu 0xfffe
	s_cselect_b32 s47, s47, -1
	s_wait_alu 0xfffe
	s_cmp_lg_u32 s47, 0
	s_cselect_b32 s44, s46, s44
	s_cselect_b32 s25, s45, s25
	s_cmp_ge_u32 s14, s66
	s_cselect_b32 s45, -1, 0
	s_cmp_eq_u32 s15, 0
	s_wait_alu 0xfffe
	s_cselect_b32 s45, s45, -1
	s_wait_alu 0xfffe
	s_cmp_lg_u32 s45, 0
	s_cselect_b32 s15, s44, s15
	s_cselect_b32 s14, s25, s14
	s_cbranch_execnz .LBB86_143
.LBB86_142:                             ;   in Loop: Header=BB86_23 Depth=1
	v_cvt_f32_u32_e32 v4, s66
	s_sub_co_i32 s15, 0, s66
	s_delay_alu instid0(VALU_DEP_1) | instskip(NEXT) | instid1(TRANS32_DEP_1)
	v_rcp_iflag_f32_e32 v4, v4
	v_mul_f32_e32 v4, 0x4f7ffffe, v4
	s_delay_alu instid0(VALU_DEP_1) | instskip(NEXT) | instid1(VALU_DEP_1)
	v_cvt_u32_f32_e32 v4, v4
	v_readfirstlane_b32 s14, v4
	s_wait_alu 0xfffe
	s_mul_i32 s15, s15, s14
	s_wait_alu 0xfffe
	s_mul_hi_u32 s15, s14, s15
	s_wait_alu 0xfffe
	s_add_co_i32 s14, s14, s15
	s_wait_alu 0xfffe
	s_mul_hi_u32 s14, s12, s14
	s_wait_alu 0xfffe
	s_mul_i32 s14, s14, s66
	s_wait_alu 0xfffe
	s_sub_co_i32 s14, s12, s14
	s_wait_alu 0xfffe
	s_sub_co_i32 s15, s14, s66
	s_cmp_ge_u32 s14, s66
	s_wait_alu 0xfffe
	s_cselect_b32 s14, s15, s14
	s_wait_alu 0xfffe
	s_sub_co_i32 s15, s14, s66
	s_cmp_ge_u32 s14, s66
	s_wait_alu 0xfffe
	s_cselect_b32 s70, s15, s14
	s_wait_alu 0xfffe
	s_mov_b64 s[14:15], s[70:71]
.LBB86_143:                             ;   in Loop: Header=BB86_23 Depth=1
	s_wait_alu 0xfffe
	s_sub_nc_u64 s[12:13], s[12:13], s[14:15]
	s_mov_b32 s15, 0
	s_mov_b32 s14, 0
	s_mov_b32 s25, exec_lo
                                        ; implicit-def: $vgpr31
	s_wait_alu 0xfffe
	v_cmpx_gt_u64_e64 s[12:13], v[0:1]
	s_cbranch_execz .LBB86_157
; %bb.144:                              ;   in Loop: Header=BB86_23 Depth=1
	v_dual_mov_b32 v10, v0 :: v_dual_mov_b32 v5, v1
	v_mov_b32_e32 v4, v0
                                        ; implicit-def: $sgpr44
	s_branch .LBB86_147
.LBB86_145:                             ;   in Loop: Header=BB86_147 Depth=2
	s_wait_alu 0xfffe
	s_or_b32 exec_lo, exec_lo, s45
	s_wait_loadcnt_dscnt 0x0
	s_barrier_signal -1
	s_barrier_wait -1
	global_inv scope:SCOPE_SE
	ds_load_u16 v11, v3 offset:3072
	s_mov_b32 s45, -1
	s_mov_b32 s46, -1
	s_wait_loadcnt_dscnt 0x0
	s_barrier_signal -1
	s_barrier_wait -1
	global_inv scope:SCOPE_SE
	v_and_b32_e32 v19, 0xff, v11
	s_delay_alu instid0(VALU_DEP_1)
	v_cmp_ne_u32_e32 vcc_lo, 0, v19
	s_cbranch_vccz .LBB86_150
.LBB86_146:                             ;   in Loop: Header=BB86_147 Depth=2
	s_wait_alu 0xfffe
	s_and_b32 s45, exec_lo, s45
	s_wait_alu 0xfffe
	s_or_b32 s14, s45, s14
	s_and_not1_b32 s44, s44, exec_lo
	s_and_b32 s45, s46, exec_lo
	s_wait_alu 0xfffe
	s_or_b32 s44, s44, s45
	s_and_not1_b32 exec_lo, exec_lo, s14
	s_cbranch_execz .LBB86_156
.LBB86_147:                             ;   Parent Loop BB86_23 Depth=1
                                        ; =>  This Inner Loop Header: Depth=2
	s_mov_b32 s45, exec_lo
	s_delay_alu instid0(VALU_DEP_1)
	v_cmpx_gt_u64_e64 s[6:7], v[4:5]
	s_cbranch_execz .LBB86_145
; %bb.148:                              ;   in Loop: Header=BB86_147 Depth=2
	ds_load_u8 v11, v10
	s_wait_dscnt 0x0
	v_bfe_i32 v19, v11, 0, 8
	s_delay_alu instid0(VALU_DEP_1) | instskip(NEXT) | instid1(VALU_DEP_1)
	v_add_nc_u32_e32 v19, 0x80, v19
	v_and_b32_e32 v19, v19, v30
	s_delay_alu instid0(VALU_DEP_1)
	v_cmp_eq_u32_e32 vcc_lo, v19, v28
	s_and_b32 exec_lo, exec_lo, vcc_lo
	s_cbranch_execz .LBB86_145
; %bb.149:                              ;   in Loop: Header=BB86_147 Depth=2
	v_lshlrev_b16 v11, 8, v11
	s_delay_alu instid0(VALU_DEP_1)
	v_or_b32_e32 v11, 1, v11
	ds_store_b16 v3, v11 offset:3072
	s_branch .LBB86_145
.LBB86_150:                             ;   in Loop: Header=BB86_147 Depth=2
	v_add_co_u32 v4, vcc_lo, v4, s66
	s_wait_alu 0xfffd
	v_add_co_ci_u32_e64 v5, null, 0, v5, vcc_lo
	v_add_nc_u32_e32 v10, s66, v10
	s_mov_b32 s46, 0
	s_delay_alu instid0(VALU_DEP_2)
	v_cmp_le_u64_e32 vcc_lo, s[12:13], v[4:5]
	s_or_not1_b32 s45, vcc_lo, exec_lo
	s_branch .LBB86_146
.LBB86_151:                             ;   in Loop: Header=BB86_23 Depth=1
                                        ; implicit-def: $sgpr14_sgpr15
	s_branch .LBB86_99
.LBB86_152:                             ;   in Loop: Header=BB86_23 Depth=1
	s_or_b32 exec_lo, exec_lo, s9
	s_wait_dscnt 0x0
	s_barrier_signal -1
	s_barrier_wait -1
	global_inv scope:SCOPE_SE
	s_and_saveexec_b32 s6, s2
	s_cbranch_execz .LBB86_154
; %bb.153:                              ;   in Loop: Header=BB86_23 Depth=1
	ds_load_b32 v4, v3 offset:5144
	s_wait_dscnt 0x0
	v_ashrrev_i32_e32 v5, 31, v4
	ds_store_b64 v3, v[4:5] offset:5120
.LBB86_154:                             ;   in Loop: Header=BB86_23 Depth=1
	s_wait_alu 0xfffe
	s_or_b32 exec_lo, exec_lo, s6
	s_wait_loadcnt_dscnt 0x0
	s_barrier_signal -1
	s_mov_b32 s6, -1
	s_barrier_wait -1
	s_and_b32 vcc_lo, exec_lo, s8
	s_wait_alu 0xfffe
	s_cbranch_vccnz .LBB86_38
	s_branch .LBB86_53
.LBB86_155:                             ;   in Loop: Header=BB86_23 Depth=1
                                        ; implicit-def: $sgpr6_sgpr7
	s_branch .LBB86_113
.LBB86_156:                             ;   in Loop: Header=BB86_23 Depth=1
	s_or_b32 exec_lo, exec_lo, s14
	v_and_b32_e32 v4, 0xffff, v11
	s_wait_alu 0xfffe
	s_and_b32 s14, s44, exec_lo
	s_delay_alu instid0(VALU_DEP_1)
	v_lshrrev_b32_e32 v31, 8, v4
.LBB86_157:                             ;   in Loop: Header=BB86_23 Depth=1
	s_or_b32 exec_lo, exec_lo, s25
.LBB86_158:                             ;   in Loop: Header=BB86_23 Depth=1
	s_wait_alu 0xfffe
	s_and_b32 vcc_lo, exec_lo, s15
	s_wait_alu 0xfffe
	s_cbranch_vccz .LBB86_172
; %bb.159:                              ;   in Loop: Header=BB86_23 Depth=1
	s_mov_b32 s6, s71
	s_mov_b32 s7, s75
	s_wait_alu 0xfffe
	s_cmp_lg_u64 s[6:7], 0
	s_cbranch_scc0 .LBB86_201
; %bb.160:                              ;   in Loop: Header=BB86_23 Depth=1
	s_cvt_f32_u32 s6, s66
	s_sub_nc_u64 s[12:13], 0, s[66:67]
	s_wait_alu 0xfffe
	s_delay_alu instid0(SALU_CYCLE_1) | instskip(SKIP_1) | instid1(SALU_CYCLE_2)
	s_fmamk_f32 s6, s102, 0x0, s6
	s_wait_alu 0xfffe
	v_s_rcp_f32 s6, s6
	s_delay_alu instid0(TRANS32_DEP_1) | instskip(SKIP_1) | instid1(SALU_CYCLE_2)
	s_mul_f32 s6, s6, 0x5f7ffffc
	s_wait_alu 0xfffe
	s_mul_f32 s7, s6, 0x2f800000
	s_wait_alu 0xfffe
	s_delay_alu instid0(SALU_CYCLE_2) | instskip(SKIP_1) | instid1(SALU_CYCLE_2)
	s_trunc_f32 s7, s7
	s_wait_alu 0xfffe
	s_fmamk_f32 s6, s7, 0xcf800000, s6
	s_cvt_u32_f32 s7, s7
	s_wait_alu 0xfffe
	s_delay_alu instid0(SALU_CYCLE_1) | instskip(SKIP_1) | instid1(SALU_CYCLE_2)
	s_cvt_u32_f32 s6, s6
	s_wait_alu 0xfffe
	s_mul_u64 s[44:45], s[12:13], s[6:7]
	s_wait_alu 0xfffe
	s_mul_hi_u32 s47, s6, s45
	s_mul_i32 s46, s6, s45
	s_mul_hi_u32 s70, s6, s44
	s_mul_i32 s21, s7, s44
	s_wait_alu 0xfffe
	s_add_nc_u64 s[46:47], s[70:71], s[46:47]
	s_mul_hi_u32 s15, s7, s44
	s_mul_hi_u32 s22, s7, s45
	s_wait_alu 0xfffe
	s_add_co_u32 s21, s46, s21
	s_add_co_ci_u32 s70, s47, s15
	s_mul_i32 s44, s7, s45
	s_add_co_ci_u32 s45, s22, 0
	s_wait_alu 0xfffe
	s_add_nc_u64 s[44:45], s[70:71], s[44:45]
	s_wait_alu 0xfffe
	s_add_co_u32 s6, s6, s44
	s_cselect_b32 s15, -1, 0
	s_wait_alu 0xfffe
	s_cmp_lg_u32 s15, 0
	s_add_co_ci_u32 s7, s7, s45
	s_wait_alu 0xfffe
	s_mul_u64 s[12:13], s[12:13], s[6:7]
	s_wait_alu 0xfffe
	s_mul_hi_u32 s45, s6, s13
	s_mul_i32 s44, s6, s13
	s_mul_hi_u32 s70, s6, s12
	s_mul_i32 s21, s7, s12
	s_wait_alu 0xfffe
	s_add_nc_u64 s[44:45], s[70:71], s[44:45]
	s_mul_hi_u32 s15, s7, s12
	s_mul_hi_u32 s22, s7, s13
	s_mul_i32 s12, s7, s13
	s_wait_alu 0xfffe
	s_add_co_u32 s13, s44, s21
	s_add_co_ci_u32 s70, s45, s15
	s_add_co_ci_u32 s13, s22, 0
	s_wait_alu 0xfffe
	s_add_nc_u64 s[12:13], s[70:71], s[12:13]
	s_wait_alu 0xfffe
	s_add_co_u32 s6, s6, s12
	s_cselect_b32 s12, -1, 0
	s_wait_alu 0xfffe
	s_mul_hi_u32 s70, s74, s6
	s_cmp_lg_u32 s12, 0
	s_mul_hi_u32 s15, s75, s6
	s_add_co_ci_u32 s12, s7, s13
	s_mul_i32 s13, s75, s6
	s_wait_alu 0xfffe
	s_mul_hi_u32 s7, s74, s12
	s_mul_i32 s6, s74, s12
	s_mul_hi_u32 s21, s75, s12
	s_wait_alu 0xfffe
	s_add_nc_u64 s[6:7], s[70:71], s[6:7]
	s_mul_i32 s12, s75, s12
	s_wait_alu 0xfffe
	s_add_co_u32 s6, s6, s13
	s_add_co_ci_u32 s70, s7, s15
	s_add_co_ci_u32 s13, s21, 0
	s_wait_alu 0xfffe
	s_add_nc_u64 s[6:7], s[70:71], s[12:13]
	s_wait_alu 0xfffe
	s_mul_u64 s[6:7], s[66:67], s[6:7]
	s_wait_alu 0xfffe
	s_sub_co_u32 s6, s74, s6
	s_cselect_b32 s12, -1, 0
	s_wait_alu 0xfffe
	s_cmp_lg_u32 s12, 0
	s_sub_co_ci_u32 s7, s75, s7
	s_sub_co_u32 s12, s6, s66
	s_cselect_b32 s13, -1, 0
	s_wait_alu 0xfffe
	s_cmp_lg_u32 s13, 0
	s_sub_co_ci_u32 s13, s7, 0
	s_sub_co_u32 s15, s12, s66
	s_cselect_b32 s21, -1, 0
	s_wait_alu 0xfffe
	s_cmp_lg_u32 s21, 0
	s_sub_co_ci_u32 s21, s13, 0
	s_cmp_ge_u32 s12, s66
	s_cselect_b32 s22, -1, 0
	s_cmp_eq_u32 s13, 0
	s_wait_alu 0xfffe
	s_cselect_b32 s22, s22, -1
	s_wait_alu 0xfffe
	s_cmp_lg_u32 s22, 0
	s_cselect_b32 s13, s21, s13
	s_cselect_b32 s12, s15, s12
	s_cmp_ge_u32 s6, s66
	s_cselect_b32 s15, -1, 0
	s_cmp_eq_u32 s7, 0
	s_wait_alu 0xfffe
	s_cselect_b32 s15, s15, -1
	s_wait_alu 0xfffe
	s_cmp_lg_u32 s15, 0
	s_cselect_b32 s7, s13, s7
	s_cselect_b32 s6, s12, s6
	s_cbranch_execnz .LBB86_162
.LBB86_161:                             ;   in Loop: Header=BB86_23 Depth=1
	v_cvt_f32_u32_e32 v4, s66
	s_sub_co_i32 s7, 0, s66
	s_delay_alu instid0(VALU_DEP_1) | instskip(NEXT) | instid1(TRANS32_DEP_1)
	v_rcp_iflag_f32_e32 v4, v4
	v_mul_f32_e32 v4, 0x4f7ffffe, v4
	s_delay_alu instid0(VALU_DEP_1) | instskip(NEXT) | instid1(VALU_DEP_1)
	v_cvt_u32_f32_e32 v4, v4
	v_readfirstlane_b32 s6, v4
	s_wait_alu 0xfffe
	s_mul_i32 s7, s7, s6
	s_wait_alu 0xfffe
	s_mul_hi_u32 s7, s6, s7
	s_wait_alu 0xfffe
	s_add_co_i32 s6, s6, s7
	s_wait_alu 0xfffe
	s_mul_hi_u32 s6, s74, s6
	s_wait_alu 0xfffe
	s_mul_i32 s6, s6, s66
	s_wait_alu 0xfffe
	s_sub_co_i32 s6, s74, s6
	s_wait_alu 0xfffe
	s_sub_co_i32 s7, s6, s66
	s_cmp_ge_u32 s6, s66
	s_wait_alu 0xfffe
	s_cselect_b32 s6, s7, s6
	s_wait_alu 0xfffe
	s_sub_co_i32 s7, s6, s66
	s_cmp_ge_u32 s6, s66
	s_wait_alu 0xfffe
	s_cselect_b32 s70, s7, s6
	s_wait_alu 0xfffe
	s_mov_b64 s[6:7], s[70:71]
.LBB86_162:                             ;   in Loop: Header=BB86_23 Depth=1
	s_wait_alu 0xfffe
	s_sub_nc_u64 s[6:7], s[74:75], s[6:7]
	s_mov_b32 s12, exec_lo
                                        ; implicit-def: $vgpr31
	s_wait_alu 0xfffe
	v_cmpx_gt_u64_e64 s[6:7], v[0:1]
	s_cbranch_execz .LBB86_171
; %bb.163:                              ;   in Loop: Header=BB86_23 Depth=1
	v_dual_mov_b32 v5, v1 :: v_dual_mov_b32 v4, v0
	s_mov_b32 s13, 0
                                        ; implicit-def: $sgpr15
	s_branch .LBB86_166
.LBB86_164:                             ;   in Loop: Header=BB86_166 Depth=2
	s_wait_alu 0xfffe
	s_or_b32 exec_lo, exec_lo, s21
	s_wait_loadcnt_dscnt 0x0
	s_barrier_signal -1
	s_barrier_wait -1
	global_inv scope:SCOPE_SE
	ds_load_u16 v10, v3 offset:3072
	s_mov_b32 s22, -1
	s_mov_b32 s21, -1
	s_wait_loadcnt_dscnt 0x0
	s_barrier_signal -1
	s_barrier_wait -1
	global_inv scope:SCOPE_SE
	v_and_b32_e32 v11, 0xff, v10
	s_delay_alu instid0(VALU_DEP_1)
	v_cmp_eq_u32_e32 vcc_lo, 0, v11
	s_cbranch_vccnz .LBB86_169
.LBB86_165:                             ;   in Loop: Header=BB86_166 Depth=2
	s_wait_alu 0xfffe
	s_and_b32 s22, exec_lo, s22
	s_wait_alu 0xfffe
	s_or_b32 s13, s22, s13
	s_and_not1_b32 s15, s15, exec_lo
	s_and_b32 s21, s21, exec_lo
	s_wait_alu 0xfffe
	s_or_b32 s15, s15, s21
	s_and_not1_b32 exec_lo, exec_lo, s13
	s_cbranch_execz .LBB86_170
.LBB86_166:                             ;   Parent Loop BB86_23 Depth=1
                                        ; =>  This Inner Loop Header: Depth=2
	s_mov_b32 s21, exec_lo
	s_delay_alu instid0(VALU_DEP_1)
	v_cmpx_gt_u64_e64 s[28:29], v[4:5]
	s_cbranch_execz .LBB86_164
; %bb.167:                              ;   in Loop: Header=BB86_166 Depth=2
	v_mad_co_u64_u32 v[10:11], null, v4, s56, s[60:61]
	v_mul_lo_u32 v19, v4, s57
	v_mul_lo_u32 v20, v5, s56
	s_delay_alu instid0(VALU_DEP_1) | instskip(SKIP_3) | instid1(VALU_DEP_1)
	v_add3_u32 v11, v20, v11, v19
	global_load_u8 v10, v[10:11], off
	s_wait_loadcnt 0x0
	v_bfe_i32 v11, v10, 0, 8
	v_add_nc_u32_e32 v11, 0x80, v11
	s_delay_alu instid0(VALU_DEP_1) | instskip(NEXT) | instid1(VALU_DEP_1)
	v_and_b32_e32 v11, v11, v30
	v_cmp_eq_u32_e32 vcc_lo, v11, v28
	s_and_b32 exec_lo, exec_lo, vcc_lo
	s_cbranch_execz .LBB86_164
; %bb.168:                              ;   in Loop: Header=BB86_166 Depth=2
	v_lshlrev_b16 v10, 8, v10
	s_delay_alu instid0(VALU_DEP_1)
	v_or_b32_e32 v10, 1, v10
	ds_store_b16 v3, v10 offset:3072
	s_branch .LBB86_164
.LBB86_169:                             ;   in Loop: Header=BB86_166 Depth=2
	v_add_co_u32 v4, vcc_lo, v4, s66
	s_wait_alu 0xfffd
	v_add_co_ci_u32_e64 v5, null, 0, v5, vcc_lo
	s_mov_b32 s21, 0
	v_cmp_le_u64_e32 vcc_lo, s[6:7], v[4:5]
	s_or_not1_b32 s22, vcc_lo, exec_lo
	s_branch .LBB86_165
.LBB86_170:                             ;   in Loop: Header=BB86_23 Depth=1
	s_or_b32 exec_lo, exec_lo, s13
	v_and_b32_e32 v4, 0xffff, v10
	s_and_not1_b32 s6, s14, exec_lo
	s_wait_alu 0xfffe
	s_and_b32 s7, s15, exec_lo
	s_wait_alu 0xfffe
	s_or_b32 s14, s6, s7
	v_lshrrev_b32_e32 v31, 8, v4
.LBB86_171:                             ;   in Loop: Header=BB86_23 Depth=1
	s_or_b32 exec_lo, exec_lo, s12
	s_mov_b32 s21, 0
	s_mov_b32 s22, -1
.LBB86_172:                             ;   in Loop: Header=BB86_23 Depth=1
	s_wait_alu 0xfffe
	s_or_not1_b32 s6, s14, exec_lo
.LBB86_173:                             ;   in Loop: Header=BB86_23 Depth=1
	s_wait_alu 0xfffe
	s_or_b32 exec_lo, exec_lo, s23
	s_mov_b32 s7, 0
	s_and_saveexec_b32 s23, s6
	s_cbranch_execz .LBB86_279
; %bb.174:                              ;   in Loop: Header=BB86_23 Depth=1
	v_mov_b32_e32 v4, 1
	v_dual_mov_b32 v5, 0 :: v_dual_mov_b32 v2, 1
	s_xor_b32 s12, s24, -1
	s_wait_alu 0xfffe
	s_and_saveexec_b32 s6, s12
	s_cbranch_execz .LBB86_184
; %bb.175:                              ;   in Loop: Header=BB86_23 Depth=1
	s_mov_b32 s7, exec_lo
	v_cmpx_le_u64_e64 v[8:9], v[6:7]
	s_wait_alu 0xfffe
	s_xor_b32 s7, exec_lo, s7
	s_cbranch_execz .LBB86_181
; %bb.176:                              ;   in Loop: Header=BB86_23 Depth=1
	ds_load_b64 v[4:5], v3 offset:5120
	s_lshl_b32 s12, 1, s100
	v_or_b32_e32 v30, s16, v30
	s_wait_alu 0xfffe
	v_and_or_b32 v28, v28, s20, s12
	s_wait_dscnt 0x0
	v_cmp_ne_u64_e32 vcc_lo, 0, v[4:5]
	s_cbranch_vccnz .LBB86_180
; %bb.177:                              ;   in Loop: Header=BB86_23 Depth=1
	s_and_saveexec_b32 s12, s2
; %bb.178:                              ;   in Loop: Header=BB86_23 Depth=1
	ds_store_b64 v3, v[6:7] offset:5128
; %bb.179:                              ;   in Loop: Header=BB86_23 Depth=1
	s_wait_alu 0xfffe
	s_or_b32 exec_lo, exec_lo, s12
	s_wait_loadcnt_dscnt 0x0
	s_barrier_signal -1
	s_barrier_wait -1
	global_inv scope:SCOPE_SE
.LBB86_180:                             ;   in Loop: Header=BB86_23 Depth=1
                                        ; implicit-def: $vgpr4_vgpr5_vgpr6_vgpr7
.LBB86_181:                             ;   in Loop: Header=BB86_23 Depth=1
	s_wait_alu 0xfffe
	s_or_saveexec_b32 s7, s7
	v_mov_b32_e32 v2, 8
	s_mov_b32 s12, 0
	s_wait_alu 0xfffe
	s_xor_b32 exec_lo, exec_lo, s7
; %bb.182:                              ;   in Loop: Header=BB86_23 Depth=1
	v_sub_co_u32 v8, vcc_lo, v8, v6
	s_wait_alu 0xfffd
	v_sub_co_ci_u32_e64 v9, null, v9, v7, vcc_lo
	v_mov_b32_e32 v2, 0
	s_mov_b32 s12, exec_lo
; %bb.183:                              ;   in Loop: Header=BB86_23 Depth=1
	s_or_b32 exec_lo, exec_lo, s7
	s_delay_alu instid0(VALU_DEP_2)
	v_dual_mov_b32 v4, v8 :: v_dual_mov_b32 v5, v9
	s_wait_alu 0xfffe
	s_and_b32 s7, s12, exec_lo
.LBB86_184:                             ;   in Loop: Header=BB86_23 Depth=1
	s_wait_alu 0xfffe
	s_or_b32 exec_lo, exec_lo, s6
	s_mov_b32 s6, -1
                                        ; implicit-def: $sgpr25
                                        ; implicit-def: $sgpr78
	s_and_saveexec_b32 s24, s7
	s_cbranch_execz .LBB86_278
; %bb.185:                              ;   in Loop: Header=BB86_23 Depth=1
	v_cmp_eq_u64_e32 vcc_lo, 1, v[4:5]
	s_cmp_eq_u64 s[10:11], 1
                                        ; implicit-def: $sgpr78
                                        ; implicit-def: $sgpr25
	s_cselect_b32 s6, -1, 0
	s_wait_alu 0xfffe
	s_and_b32 s79, s6, vcc_lo
	s_mov_b32 s6, -1
	s_wait_alu 0xfffe
	s_and_saveexec_b32 s80, s79
	s_cbranch_execz .LBB86_219
; %bb.186:                              ;   in Loop: Header=BB86_23 Depth=1
	ds_load_b64 v[6:7], v3 offset:5120
	s_wait_loadcnt_dscnt 0x0
	s_barrier_signal -1
	s_barrier_wait -1
	global_inv scope:SCOPE_SE
	v_readfirstlane_b32 s6, v6
	v_readfirstlane_b32 s7, v7
	s_and_saveexec_b32 s12, s3
; %bb.187:                              ;   in Loop: Header=BB86_23 Depth=1
	ds_store_b8 v0, v3 offset:3072
; %bb.188:                              ;   in Loop: Header=BB86_23 Depth=1
	s_wait_alu 0xfffe
	s_or_b32 exec_lo, exec_lo, s12
	s_lshl_b32 s12, 2, s100
	v_or_b32_e32 v30, s16, v30
	s_wait_alu 0xfffe
	v_and_or_b32 v28, v28, s20, s12
	s_mov_b32 s25, -1
	s_mov_b32 s78, 0
	s_cmp_eq_u64 s[6:7], 0
	s_mov_b32 s14, 0
	s_mov_b32 s15, -1
	s_wait_loadcnt_dscnt 0x0
	s_barrier_signal -1
	s_barrier_wait -1
	global_inv scope:SCOPE_SE
                                        ; implicit-def: $vgpr31
	s_cbranch_scc1 .LBB86_204
; %bb.189:                              ;   in Loop: Header=BB86_23 Depth=1
	s_add_nc_u64 s[12:13], s[6:7], s[72:73]
	s_mov_b32 s14, s71
	s_wait_alu 0xfffe
	s_mov_b32 s15, s13
	s_wait_alu 0xfffe
	s_cmp_lg_u64 s[14:15], 0
	s_cbranch_scc0 .LBB86_245
; %bb.190:                              ;   in Loop: Header=BB86_23 Depth=1
	s_cvt_f32_u32 s14, s66
	s_sub_nc_u64 s[44:45], 0, s[66:67]
	s_wait_alu 0xfffe
	s_delay_alu instid0(SALU_CYCLE_1) | instskip(SKIP_1) | instid1(SALU_CYCLE_2)
	s_fmamk_f32 s14, s102, 0x0, s14
	s_wait_alu 0xfffe
	v_s_rcp_f32 s14, s14
	s_delay_alu instid0(TRANS32_DEP_1) | instskip(SKIP_1) | instid1(SALU_CYCLE_2)
	s_mul_f32 s14, s14, 0x5f7ffffc
	s_wait_alu 0xfffe
	s_mul_f32 s15, s14, 0x2f800000
	s_wait_alu 0xfffe
	s_delay_alu instid0(SALU_CYCLE_2) | instskip(SKIP_1) | instid1(SALU_CYCLE_2)
	s_trunc_f32 s15, s15
	s_wait_alu 0xfffe
	s_fmamk_f32 s14, s15, 0xcf800000, s14
	s_cvt_u32_f32 s15, s15
	s_wait_alu 0xfffe
	s_delay_alu instid0(SALU_CYCLE_1) | instskip(SKIP_1) | instid1(SALU_CYCLE_2)
	s_cvt_u32_f32 s14, s14
	s_wait_alu 0xfffe
	s_mul_u64 s[46:47], s[44:45], s[14:15]
	s_wait_alu 0xfffe
	s_mul_hi_u32 s83, s14, s47
	s_mul_i32 s82, s14, s47
	s_mul_hi_u32 s70, s14, s46
	s_mul_i32 s84, s15, s46
	s_wait_alu 0xfffe
	s_add_nc_u64 s[82:83], s[70:71], s[82:83]
	s_mul_hi_u32 s81, s15, s46
	s_mul_hi_u32 s85, s15, s47
	s_mul_i32 s46, s15, s47
	s_wait_alu 0xfffe
	s_add_co_u32 s47, s82, s84
	s_add_co_ci_u32 s70, s83, s81
	s_add_co_ci_u32 s47, s85, 0
	s_wait_alu 0xfffe
	s_add_nc_u64 s[46:47], s[70:71], s[46:47]
	s_wait_alu 0xfffe
	s_add_co_u32 s14, s14, s46
	s_cselect_b32 s46, -1, 0
	s_wait_alu 0xfffe
	s_cmp_lg_u32 s46, 0
	s_add_co_ci_u32 s15, s15, s47
	s_wait_alu 0xfffe
	s_mul_u64 s[44:45], s[44:45], s[14:15]
	s_wait_alu 0xfffe
	s_mul_hi_u32 s47, s14, s45
	s_mul_i32 s46, s14, s45
	s_mul_hi_u32 s70, s14, s44
	s_mul_i32 s82, s15, s44
	s_wait_alu 0xfffe
	s_add_nc_u64 s[46:47], s[70:71], s[46:47]
	s_mul_hi_u32 s81, s15, s44
	s_mul_hi_u32 s83, s15, s45
	s_mul_i32 s44, s15, s45
	s_wait_alu 0xfffe
	s_add_co_u32 s45, s46, s82
	s_add_co_ci_u32 s70, s47, s81
	s_add_co_ci_u32 s45, s83, 0
	s_wait_alu 0xfffe
	s_add_nc_u64 s[44:45], s[70:71], s[44:45]
	s_wait_alu 0xfffe
	s_add_co_u32 s14, s14, s44
	s_cselect_b32 s44, -1, 0
	s_wait_alu 0xfffe
	s_mul_hi_u32 s70, s12, s14
	s_cmp_lg_u32 s44, 0
	s_mul_hi_u32 s46, s13, s14
	s_add_co_ci_u32 s44, s15, s45
	s_mul_i32 s45, s13, s14
	s_wait_alu 0xfffe
	s_mul_hi_u32 s15, s12, s44
	s_mul_i32 s14, s12, s44
	s_mul_hi_u32 s47, s13, s44
	s_wait_alu 0xfffe
	s_add_nc_u64 s[14:15], s[70:71], s[14:15]
	s_mul_i32 s44, s13, s44
	s_wait_alu 0xfffe
	s_add_co_u32 s14, s14, s45
	s_add_co_ci_u32 s70, s15, s46
	s_add_co_ci_u32 s45, s47, 0
	s_wait_alu 0xfffe
	s_add_nc_u64 s[14:15], s[70:71], s[44:45]
	s_wait_alu 0xfffe
	s_mul_u64 s[14:15], s[66:67], s[14:15]
	s_wait_alu 0xfffe
	s_sub_co_u32 s14, s12, s14
	s_cselect_b32 s44, -1, 0
	s_wait_alu 0xfffe
	s_cmp_lg_u32 s44, 0
	s_sub_co_ci_u32 s15, s13, s15
	s_sub_co_u32 s44, s14, s66
	s_cselect_b32 s45, -1, 0
	s_wait_alu 0xfffe
	s_cmp_lg_u32 s45, 0
	s_sub_co_ci_u32 s45, s15, 0
	;; [unrolled: 5-line block ×3, first 2 shown]
	s_cmp_ge_u32 s44, s66
	s_cselect_b32 s70, -1, 0
	s_cmp_eq_u32 s45, 0
	s_wait_alu 0xfffe
	s_cselect_b32 s70, s70, -1
	s_wait_alu 0xfffe
	s_cmp_lg_u32 s70, 0
	s_cselect_b32 s45, s47, s45
	s_cselect_b32 s44, s46, s44
	s_cmp_ge_u32 s14, s66
	s_cselect_b32 s46, -1, 0
	s_cmp_eq_u32 s15, 0
	s_wait_alu 0xfffe
	s_cselect_b32 s46, s46, -1
	s_wait_alu 0xfffe
	s_cmp_lg_u32 s46, 0
	s_cselect_b32 s15, s45, s15
	s_cselect_b32 s14, s44, s14
	s_cbranch_execnz .LBB86_192
.LBB86_191:                             ;   in Loop: Header=BB86_23 Depth=1
	v_cvt_f32_u32_e32 v6, s66
	s_sub_co_i32 s15, 0, s66
	s_delay_alu instid0(VALU_DEP_1) | instskip(NEXT) | instid1(TRANS32_DEP_1)
	v_rcp_iflag_f32_e32 v6, v6
	v_mul_f32_e32 v6, 0x4f7ffffe, v6
	s_delay_alu instid0(VALU_DEP_1) | instskip(NEXT) | instid1(VALU_DEP_1)
	v_cvt_u32_f32_e32 v6, v6
	v_readfirstlane_b32 s14, v6
	s_wait_alu 0xfffe
	s_mul_i32 s15, s15, s14
	s_wait_alu 0xfffe
	s_mul_hi_u32 s15, s14, s15
	s_wait_alu 0xfffe
	s_add_co_i32 s14, s14, s15
	s_wait_alu 0xfffe
	s_mul_hi_u32 s14, s12, s14
	s_wait_alu 0xfffe
	s_mul_i32 s14, s14, s66
	s_wait_alu 0xfffe
	s_sub_co_i32 s14, s12, s14
	s_wait_alu 0xfffe
	s_sub_co_i32 s15, s14, s66
	s_cmp_ge_u32 s14, s66
	s_wait_alu 0xfffe
	s_cselect_b32 s14, s15, s14
	s_wait_alu 0xfffe
	s_sub_co_i32 s15, s14, s66
	s_cmp_ge_u32 s14, s66
	s_wait_alu 0xfffe
	s_cselect_b32 s70, s15, s14
	s_wait_alu 0xfffe
	s_mov_b64 s[14:15], s[70:71]
.LBB86_192:                             ;   in Loop: Header=BB86_23 Depth=1
	s_wait_alu 0xfffe
	s_sub_nc_u64 s[12:13], s[12:13], s[14:15]
	s_mov_b32 s15, 0
	s_mov_b32 s14, 0
	s_mov_b32 s44, exec_lo
                                        ; implicit-def: $vgpr31
	s_wait_alu 0xfffe
	v_cmpx_gt_u64_e64 s[12:13], v[0:1]
	s_cbranch_execz .LBB86_203
; %bb.193:                              ;   in Loop: Header=BB86_23 Depth=1
	v_dual_mov_b32 v8, v0 :: v_dual_mov_b32 v7, v1
	v_mov_b32_e32 v6, v0
                                        ; implicit-def: $sgpr45
	s_branch .LBB86_196
.LBB86_194:                             ;   in Loop: Header=BB86_196 Depth=2
	s_wait_alu 0xfffe
	s_or_b32 exec_lo, exec_lo, s46
	s_wait_loadcnt_dscnt 0x0
	s_barrier_signal -1
	s_barrier_wait -1
	global_inv scope:SCOPE_SE
	ds_load_u16 v9, v3 offset:3072
	s_mov_b32 s46, -1
	s_mov_b32 s47, -1
	s_wait_loadcnt_dscnt 0x0
	s_barrier_signal -1
	s_barrier_wait -1
	global_inv scope:SCOPE_SE
	v_and_b32_e32 v10, 0xff, v9
	s_delay_alu instid0(VALU_DEP_1)
	v_cmp_ne_u32_e32 vcc_lo, 0, v10
	s_cbranch_vccz .LBB86_199
.LBB86_195:                             ;   in Loop: Header=BB86_196 Depth=2
	s_wait_alu 0xfffe
	s_and_b32 s46, exec_lo, s46
	s_wait_alu 0xfffe
	s_or_b32 s14, s46, s14
	s_and_not1_b32 s45, s45, exec_lo
	s_and_b32 s46, s47, exec_lo
	s_wait_alu 0xfffe
	s_or_b32 s45, s45, s46
	s_and_not1_b32 exec_lo, exec_lo, s14
	s_cbranch_execz .LBB86_202
.LBB86_196:                             ;   Parent Loop BB86_23 Depth=1
                                        ; =>  This Inner Loop Header: Depth=2
	s_mov_b32 s46, exec_lo
	s_delay_alu instid0(VALU_DEP_1)
	v_cmpx_gt_u64_e64 s[6:7], v[6:7]
	s_cbranch_execz .LBB86_194
; %bb.197:                              ;   in Loop: Header=BB86_196 Depth=2
	ds_load_u8 v9, v8
	s_wait_dscnt 0x0
	v_bfe_i32 v10, v9, 0, 8
	s_delay_alu instid0(VALU_DEP_1) | instskip(NEXT) | instid1(VALU_DEP_1)
	v_add_nc_u32_e32 v10, 0x80, v10
	v_and_b32_e32 v10, v10, v30
	s_delay_alu instid0(VALU_DEP_1)
	v_cmp_eq_u32_e32 vcc_lo, v10, v28
	s_and_b32 exec_lo, exec_lo, vcc_lo
	s_cbranch_execz .LBB86_194
; %bb.198:                              ;   in Loop: Header=BB86_196 Depth=2
	v_lshlrev_b16 v9, 8, v9
	s_delay_alu instid0(VALU_DEP_1)
	v_or_b32_e32 v9, 1, v9
	ds_store_b16 v3, v9 offset:3072
	s_branch .LBB86_194
.LBB86_199:                             ;   in Loop: Header=BB86_196 Depth=2
	v_add_co_u32 v6, vcc_lo, v6, s66
	s_wait_alu 0xfffd
	v_add_co_ci_u32_e64 v7, null, 0, v7, vcc_lo
	v_add_nc_u32_e32 v8, s66, v8
	s_mov_b32 s47, 0
	s_delay_alu instid0(VALU_DEP_2)
	v_cmp_le_u64_e32 vcc_lo, s[12:13], v[6:7]
	s_or_not1_b32 s46, vcc_lo, exec_lo
	s_branch .LBB86_195
.LBB86_200:                             ;   in Loop: Header=BB86_23 Depth=1
                                        ; implicit-def: $sgpr14_sgpr15
	s_branch .LBB86_142
.LBB86_201:                             ;   in Loop: Header=BB86_23 Depth=1
                                        ; implicit-def: $sgpr6_sgpr7
	s_branch .LBB86_161
.LBB86_202:                             ;   in Loop: Header=BB86_23 Depth=1
	s_or_b32 exec_lo, exec_lo, s14
	v_and_b32_e32 v6, 0xffff, v9
	s_wait_alu 0xfffe
	s_and_b32 s14, s45, exec_lo
	s_delay_alu instid0(VALU_DEP_1)
	v_lshrrev_b32_e32 v31, 8, v6
.LBB86_203:                             ;   in Loop: Header=BB86_23 Depth=1
	s_or_b32 exec_lo, exec_lo, s44
.LBB86_204:                             ;   in Loop: Header=BB86_23 Depth=1
	s_wait_alu 0xfffe
	s_and_b32 vcc_lo, exec_lo, s15
	s_wait_alu 0xfffe
	s_cbranch_vccz .LBB86_218
; %bb.205:                              ;   in Loop: Header=BB86_23 Depth=1
	s_mov_b32 s6, s71
	s_mov_b32 s7, s75
	s_wait_alu 0xfffe
	s_cmp_lg_u64 s[6:7], 0
	s_cbranch_scc0 .LBB86_246
; %bb.206:                              ;   in Loop: Header=BB86_23 Depth=1
	s_cvt_f32_u32 s6, s66
	s_sub_nc_u64 s[12:13], 0, s[66:67]
	s_wait_alu 0xfffe
	s_delay_alu instid0(SALU_CYCLE_1) | instskip(SKIP_1) | instid1(SALU_CYCLE_2)
	s_fmamk_f32 s6, s102, 0x0, s6
	s_wait_alu 0xfffe
	v_s_rcp_f32 s6, s6
	s_delay_alu instid0(TRANS32_DEP_1) | instskip(SKIP_1) | instid1(SALU_CYCLE_2)
	s_mul_f32 s6, s6, 0x5f7ffffc
	s_wait_alu 0xfffe
	s_mul_f32 s7, s6, 0x2f800000
	s_wait_alu 0xfffe
	s_delay_alu instid0(SALU_CYCLE_2) | instskip(SKIP_1) | instid1(SALU_CYCLE_2)
	s_trunc_f32 s7, s7
	s_wait_alu 0xfffe
	s_fmamk_f32 s6, s7, 0xcf800000, s6
	s_cvt_u32_f32 s7, s7
	s_wait_alu 0xfffe
	s_delay_alu instid0(SALU_CYCLE_1) | instskip(SKIP_1) | instid1(SALU_CYCLE_2)
	s_cvt_u32_f32 s6, s6
	s_wait_alu 0xfffe
	s_mul_u64 s[44:45], s[12:13], s[6:7]
	s_wait_alu 0xfffe
	s_mul_hi_u32 s47, s6, s45
	s_mul_i32 s46, s6, s45
	s_mul_hi_u32 s70, s6, s44
	s_mul_i32 s25, s7, s44
	s_wait_alu 0xfffe
	s_add_nc_u64 s[46:47], s[70:71], s[46:47]
	s_mul_hi_u32 s15, s7, s44
	s_mul_hi_u32 s78, s7, s45
	s_wait_alu 0xfffe
	s_add_co_u32 s25, s46, s25
	s_add_co_ci_u32 s70, s47, s15
	s_mul_i32 s44, s7, s45
	s_add_co_ci_u32 s45, s78, 0
	s_wait_alu 0xfffe
	s_add_nc_u64 s[44:45], s[70:71], s[44:45]
	s_wait_alu 0xfffe
	s_add_co_u32 s6, s6, s44
	s_cselect_b32 s15, -1, 0
	s_wait_alu 0xfffe
	s_cmp_lg_u32 s15, 0
	s_add_co_ci_u32 s7, s7, s45
	s_wait_alu 0xfffe
	s_mul_u64 s[12:13], s[12:13], s[6:7]
	s_wait_alu 0xfffe
	s_mul_hi_u32 s45, s6, s13
	s_mul_i32 s44, s6, s13
	s_mul_hi_u32 s70, s6, s12
	s_mul_i32 s25, s7, s12
	s_wait_alu 0xfffe
	s_add_nc_u64 s[44:45], s[70:71], s[44:45]
	s_mul_hi_u32 s15, s7, s12
	s_mul_hi_u32 s46, s7, s13
	s_mul_i32 s12, s7, s13
	s_wait_alu 0xfffe
	s_add_co_u32 s13, s44, s25
	s_add_co_ci_u32 s70, s45, s15
	s_add_co_ci_u32 s13, s46, 0
	s_wait_alu 0xfffe
	s_add_nc_u64 s[12:13], s[70:71], s[12:13]
	s_wait_alu 0xfffe
	s_add_co_u32 s6, s6, s12
	s_cselect_b32 s12, -1, 0
	s_wait_alu 0xfffe
	s_mul_hi_u32 s70, s74, s6
	s_cmp_lg_u32 s12, 0
	s_mul_hi_u32 s15, s75, s6
	s_add_co_ci_u32 s12, s7, s13
	s_mul_i32 s13, s75, s6
	s_wait_alu 0xfffe
	s_mul_hi_u32 s7, s74, s12
	s_mul_i32 s6, s74, s12
	s_mul_hi_u32 s25, s75, s12
	s_wait_alu 0xfffe
	s_add_nc_u64 s[6:7], s[70:71], s[6:7]
	s_mul_i32 s12, s75, s12
	s_wait_alu 0xfffe
	s_add_co_u32 s6, s6, s13
	s_add_co_ci_u32 s70, s7, s15
	s_add_co_ci_u32 s13, s25, 0
	s_wait_alu 0xfffe
	s_add_nc_u64 s[6:7], s[70:71], s[12:13]
	s_wait_alu 0xfffe
	s_mul_u64 s[6:7], s[66:67], s[6:7]
	s_wait_alu 0xfffe
	s_sub_co_u32 s6, s74, s6
	s_cselect_b32 s12, -1, 0
	s_wait_alu 0xfffe
	s_cmp_lg_u32 s12, 0
	s_sub_co_ci_u32 s7, s75, s7
	s_sub_co_u32 s12, s6, s66
	s_cselect_b32 s13, -1, 0
	s_wait_alu 0xfffe
	s_cmp_lg_u32 s13, 0
	s_sub_co_ci_u32 s13, s7, 0
	;; [unrolled: 5-line block ×3, first 2 shown]
	s_cmp_ge_u32 s12, s66
	s_cselect_b32 s44, -1, 0
	s_cmp_eq_u32 s13, 0
	s_wait_alu 0xfffe
	s_cselect_b32 s44, s44, -1
	s_wait_alu 0xfffe
	s_cmp_lg_u32 s44, 0
	s_cselect_b32 s13, s25, s13
	s_cselect_b32 s12, s15, s12
	s_cmp_ge_u32 s6, s66
	s_cselect_b32 s15, -1, 0
	s_cmp_eq_u32 s7, 0
	s_wait_alu 0xfffe
	s_cselect_b32 s15, s15, -1
	s_wait_alu 0xfffe
	s_cmp_lg_u32 s15, 0
	s_cselect_b32 s7, s13, s7
	s_cselect_b32 s6, s12, s6
	s_cbranch_execnz .LBB86_208
.LBB86_207:                             ;   in Loop: Header=BB86_23 Depth=1
	v_cvt_f32_u32_e32 v6, s66
	s_sub_co_i32 s7, 0, s66
	s_delay_alu instid0(VALU_DEP_1) | instskip(NEXT) | instid1(TRANS32_DEP_1)
	v_rcp_iflag_f32_e32 v6, v6
	v_mul_f32_e32 v6, 0x4f7ffffe, v6
	s_delay_alu instid0(VALU_DEP_1) | instskip(NEXT) | instid1(VALU_DEP_1)
	v_cvt_u32_f32_e32 v6, v6
	v_readfirstlane_b32 s6, v6
	s_wait_alu 0xfffe
	s_mul_i32 s7, s7, s6
	s_wait_alu 0xfffe
	s_mul_hi_u32 s7, s6, s7
	s_wait_alu 0xfffe
	s_add_co_i32 s6, s6, s7
	s_wait_alu 0xfffe
	s_mul_hi_u32 s6, s74, s6
	s_wait_alu 0xfffe
	s_mul_i32 s6, s6, s66
	s_wait_alu 0xfffe
	s_sub_co_i32 s6, s74, s6
	s_wait_alu 0xfffe
	s_sub_co_i32 s7, s6, s66
	s_cmp_ge_u32 s6, s66
	s_wait_alu 0xfffe
	s_cselect_b32 s6, s7, s6
	s_wait_alu 0xfffe
	s_sub_co_i32 s7, s6, s66
	s_cmp_ge_u32 s6, s66
	s_wait_alu 0xfffe
	s_cselect_b32 s70, s7, s6
	s_wait_alu 0xfffe
	s_mov_b64 s[6:7], s[70:71]
.LBB86_208:                             ;   in Loop: Header=BB86_23 Depth=1
	s_wait_alu 0xfffe
	s_sub_nc_u64 s[6:7], s[74:75], s[6:7]
	s_mov_b32 s12, exec_lo
                                        ; implicit-def: $vgpr31
	s_wait_alu 0xfffe
	v_cmpx_gt_u64_e64 s[6:7], v[0:1]
	s_cbranch_execz .LBB86_217
; %bb.209:                              ;   in Loop: Header=BB86_23 Depth=1
	v_dual_mov_b32 v7, v1 :: v_dual_mov_b32 v6, v0
	s_mov_b32 s13, 0
                                        ; implicit-def: $sgpr15
	s_branch .LBB86_212
.LBB86_210:                             ;   in Loop: Header=BB86_212 Depth=2
	s_wait_alu 0xfffe
	s_or_b32 exec_lo, exec_lo, s25
	s_wait_loadcnt_dscnt 0x0
	s_barrier_signal -1
	s_barrier_wait -1
	global_inv scope:SCOPE_SE
	ds_load_u16 v8, v3 offset:3072
	s_mov_b32 s44, -1
	s_mov_b32 s25, -1
	s_wait_loadcnt_dscnt 0x0
	s_barrier_signal -1
	s_barrier_wait -1
	global_inv scope:SCOPE_SE
	v_and_b32_e32 v9, 0xff, v8
	s_delay_alu instid0(VALU_DEP_1)
	v_cmp_eq_u32_e32 vcc_lo, 0, v9
	s_cbranch_vccnz .LBB86_215
.LBB86_211:                             ;   in Loop: Header=BB86_212 Depth=2
	s_wait_alu 0xfffe
	s_and_b32 s44, exec_lo, s44
	s_wait_alu 0xfffe
	s_or_b32 s13, s44, s13
	s_and_not1_b32 s15, s15, exec_lo
	s_and_b32 s25, s25, exec_lo
	s_wait_alu 0xfffe
	s_or_b32 s15, s15, s25
	s_and_not1_b32 exec_lo, exec_lo, s13
	s_cbranch_execz .LBB86_216
.LBB86_212:                             ;   Parent Loop BB86_23 Depth=1
                                        ; =>  This Inner Loop Header: Depth=2
	s_mov_b32 s25, exec_lo
	s_delay_alu instid0(VALU_DEP_1)
	v_cmpx_gt_u64_e64 s[28:29], v[6:7]
	s_cbranch_execz .LBB86_210
; %bb.213:                              ;   in Loop: Header=BB86_212 Depth=2
	v_mad_co_u64_u32 v[8:9], null, v6, s56, s[60:61]
	v_mul_lo_u32 v10, v6, s57
	v_mul_lo_u32 v11, v7, s56
	s_delay_alu instid0(VALU_DEP_1) | instskip(SKIP_3) | instid1(VALU_DEP_1)
	v_add3_u32 v9, v11, v9, v10
	global_load_u8 v8, v[8:9], off
	s_wait_loadcnt 0x0
	v_bfe_i32 v9, v8, 0, 8
	v_add_nc_u32_e32 v9, 0x80, v9
	s_delay_alu instid0(VALU_DEP_1) | instskip(NEXT) | instid1(VALU_DEP_1)
	v_and_b32_e32 v9, v9, v30
	v_cmp_eq_u32_e32 vcc_lo, v9, v28
	s_and_b32 exec_lo, exec_lo, vcc_lo
	s_cbranch_execz .LBB86_210
; %bb.214:                              ;   in Loop: Header=BB86_212 Depth=2
	v_lshlrev_b16 v8, 8, v8
	s_delay_alu instid0(VALU_DEP_1)
	v_or_b32_e32 v8, 1, v8
	ds_store_b16 v3, v8 offset:3072
	s_branch .LBB86_210
.LBB86_215:                             ;   in Loop: Header=BB86_212 Depth=2
	v_add_co_u32 v6, vcc_lo, v6, s66
	s_wait_alu 0xfffd
	v_add_co_ci_u32_e64 v7, null, 0, v7, vcc_lo
	s_mov_b32 s25, 0
	v_cmp_le_u64_e32 vcc_lo, s[6:7], v[6:7]
	s_or_not1_b32 s44, vcc_lo, exec_lo
	s_branch .LBB86_211
.LBB86_216:                             ;   in Loop: Header=BB86_23 Depth=1
	s_or_b32 exec_lo, exec_lo, s13
	v_and_b32_e32 v6, 0xffff, v8
	s_and_not1_b32 s6, s14, exec_lo
	s_wait_alu 0xfffe
	s_and_b32 s7, s15, exec_lo
	s_wait_alu 0xfffe
	s_or_b32 s14, s6, s7
	v_lshrrev_b32_e32 v31, 8, v6
.LBB86_217:                             ;   in Loop: Header=BB86_23 Depth=1
	s_or_b32 exec_lo, exec_lo, s12
	s_mov_b32 s25, 0
	s_mov_b32 s78, -1
.LBB86_218:                             ;   in Loop: Header=BB86_23 Depth=1
	s_wait_alu 0xfffe
	s_or_not1_b32 s6, s14, exec_lo
.LBB86_219:                             ;   in Loop: Header=BB86_23 Depth=1
	s_wait_alu 0xfffe
	s_or_b32 exec_lo, exec_lo, s80
	s_mov_b32 s7, 0
	s_and_saveexec_b32 s14, s6
	s_cbranch_execz .LBB86_277
; %bb.220:                              ;   in Loop: Header=BB86_23 Depth=1
	v_mov_b32_e32 v6, 1
	v_dual_mov_b32 v7, 0 :: v_dual_mov_b32 v2, 1
	s_xor_b32 s12, s79, -1
	s_wait_alu 0xfffe
	s_and_saveexec_b32 s6, s12
	s_cbranch_execz .LBB86_229
; %bb.221:                              ;   in Loop: Header=BB86_23 Depth=1
	s_mov_b32 s7, exec_lo
	v_cmpx_ge_u64_e64 s[10:11], v[4:5]
	s_wait_alu 0xfffe
	s_xor_b32 s7, exec_lo, s7
	s_cbranch_execz .LBB86_226
; %bb.222:                              ;   in Loop: Header=BB86_23 Depth=1
	ds_load_b64 v[6:7], v3 offset:5120
	s_lshl_b32 s12, 2, s100
	v_or_b32_e32 v30, s16, v30
	s_wait_alu 0xfffe
	v_and_or_b32 v28, v28, s20, s12
	s_wait_dscnt 0x0
	v_cmp_ne_u64_e32 vcc_lo, 0, v[6:7]
	s_cbranch_vccnz .LBB86_226
; %bb.223:                              ;   in Loop: Header=BB86_23 Depth=1
	s_and_saveexec_b32 s12, s2
; %bb.224:                              ;   in Loop: Header=BB86_23 Depth=1
	v_dual_mov_b32 v6, s10 :: v_dual_mov_b32 v7, s11
	ds_store_b64 v3, v[6:7] offset:5128
; %bb.225:                              ;   in Loop: Header=BB86_23 Depth=1
	s_wait_alu 0xfffe
	s_or_b32 exec_lo, exec_lo, s12
	s_wait_loadcnt_dscnt 0x0
	s_barrier_signal -1
	s_barrier_wait -1
	global_inv scope:SCOPE_SE
.LBB86_226:                             ;   in Loop: Header=BB86_23 Depth=1
	s_wait_alu 0xfffe
	s_or_saveexec_b32 s7, s7
	v_mov_b32_e32 v2, 8
	s_mov_b32 s12, 0
	s_wait_alu 0xfffe
	s_xor_b32 exec_lo, exec_lo, s7
; %bb.227:                              ;   in Loop: Header=BB86_23 Depth=1
	v_sub_co_u32 v4, vcc_lo, v4, s10
	s_wait_alu 0xfffd
	v_subrev_co_ci_u32_e64 v5, null, s11, v5, vcc_lo
	v_mov_b32_e32 v2, 0
	s_mov_b32 s12, exec_lo
; %bb.228:                              ;   in Loop: Header=BB86_23 Depth=1
	s_or_b32 exec_lo, exec_lo, s7
	s_delay_alu instid0(VALU_DEP_2)
	v_dual_mov_b32 v7, v5 :: v_dual_mov_b32 v6, v4
	s_wait_alu 0xfffe
	s_and_b32 s7, s12, exec_lo
.LBB86_229:                             ;   in Loop: Header=BB86_23 Depth=1
	s_wait_alu 0xfffe
	s_or_b32 exec_lo, exec_lo, s6
	s_mov_b32 s6, -1
                                        ; implicit-def: $sgpr81
                                        ; implicit-def: $sgpr80
	s_and_saveexec_b32 s15, s7
	s_cbranch_execz .LBB86_276
; %bb.230:                              ;   in Loop: Header=BB86_23 Depth=1
	v_cmp_eq_u64_e32 vcc_lo, 1, v[6:7]
	s_cmp_eq_u64 s[8:9], 1
	s_mov_b32 s7, -1
	s_cselect_b32 s6, -1, 0
                                        ; implicit-def: $sgpr81
                                        ; implicit-def: $sgpr80
	s_wait_alu 0xfffe
	s_and_b32 s20, s6, vcc_lo
	s_wait_alu 0xfffe
	s_and_saveexec_b32 s79, s20
	s_cbranch_execz .LBB86_264
; %bb.231:                              ;   in Loop: Header=BB86_23 Depth=1
	ds_load_b64 v[4:5], v3 offset:5120
	s_wait_loadcnt_dscnt 0x0
	s_barrier_signal -1
	s_barrier_wait -1
	global_inv scope:SCOPE_SE
	v_readfirstlane_b32 s6, v4
	v_readfirstlane_b32 s7, v5
	s_and_saveexec_b32 s10, s3
; %bb.232:                              ;   in Loop: Header=BB86_23 Depth=1
	ds_store_b8 v0, v3 offset:3072
; %bb.233:                              ;   in Loop: Header=BB86_23 Depth=1
	s_wait_alu 0xfffe
	s_or_b32 exec_lo, exec_lo, s10
	v_or_b32_e32 v28, s16, v28
	v_or_b32_e32 v30, s16, v30
	s_mov_b32 s80, -1
	s_mov_b32 s81, 0
	s_cmp_eq_u64 s[6:7], 0
	s_mov_b32 s12, 0
	s_mov_b32 s13, -1
	s_wait_loadcnt_dscnt 0x0
	s_barrier_signal -1
	s_barrier_wait -1
	global_inv scope:SCOPE_SE
                                        ; implicit-def: $vgpr31
	s_cbranch_scc1 .LBB86_249
; %bb.234:                              ;   in Loop: Header=BB86_23 Depth=1
	s_add_nc_u64 s[10:11], s[6:7], s[72:73]
	s_mov_b32 s12, s71
	s_wait_alu 0xfffe
	s_mov_b32 s13, s11
	s_wait_alu 0xfffe
	s_cmp_lg_u64 s[12:13], 0
	s_cbranch_scc0 .LBB86_283
; %bb.235:                              ;   in Loop: Header=BB86_23 Depth=1
	s_cvt_f32_u32 s12, s66
	s_sub_nc_u64 s[44:45], 0, s[66:67]
	s_wait_alu 0xfffe
	s_delay_alu instid0(SALU_CYCLE_1) | instskip(SKIP_1) | instid1(SALU_CYCLE_2)
	s_fmamk_f32 s12, s102, 0x0, s12
	s_wait_alu 0xfffe
	v_s_rcp_f32 s12, s12
	s_delay_alu instid0(TRANS32_DEP_1) | instskip(SKIP_1) | instid1(SALU_CYCLE_2)
	s_mul_f32 s12, s12, 0x5f7ffffc
	s_wait_alu 0xfffe
	s_mul_f32 s13, s12, 0x2f800000
	s_wait_alu 0xfffe
	s_delay_alu instid0(SALU_CYCLE_2) | instskip(SKIP_1) | instid1(SALU_CYCLE_2)
	s_trunc_f32 s13, s13
	s_wait_alu 0xfffe
	s_fmamk_f32 s12, s13, 0xcf800000, s12
	s_cvt_u32_f32 s13, s13
	s_wait_alu 0xfffe
	s_delay_alu instid0(SALU_CYCLE_1) | instskip(SKIP_1) | instid1(SALU_CYCLE_2)
	s_cvt_u32_f32 s12, s12
	s_wait_alu 0xfffe
	s_mul_u64 s[46:47], s[44:45], s[12:13]
	s_wait_alu 0xfffe
	s_mul_hi_u32 s83, s12, s47
	s_mul_i32 s82, s12, s47
	s_mul_hi_u32 s70, s12, s46
	s_mul_i32 s85, s13, s46
	s_wait_alu 0xfffe
	s_add_nc_u64 s[82:83], s[70:71], s[82:83]
	s_mul_hi_u32 s84, s13, s46
	s_mul_hi_u32 s86, s13, s47
	s_mul_i32 s46, s13, s47
	s_wait_alu 0xfffe
	s_add_co_u32 s47, s82, s85
	s_add_co_ci_u32 s70, s83, s84
	s_add_co_ci_u32 s47, s86, 0
	s_wait_alu 0xfffe
	s_add_nc_u64 s[46:47], s[70:71], s[46:47]
	s_wait_alu 0xfffe
	s_add_co_u32 s12, s12, s46
	s_cselect_b32 s46, -1, 0
	s_wait_alu 0xfffe
	s_cmp_lg_u32 s46, 0
	s_add_co_ci_u32 s13, s13, s47
	s_wait_alu 0xfffe
	s_mul_u64 s[44:45], s[44:45], s[12:13]
	s_wait_alu 0xfffe
	s_mul_hi_u32 s47, s12, s45
	s_mul_i32 s46, s12, s45
	s_mul_hi_u32 s70, s12, s44
	s_mul_i32 s83, s13, s44
	s_wait_alu 0xfffe
	s_add_nc_u64 s[46:47], s[70:71], s[46:47]
	s_mul_hi_u32 s82, s13, s44
	s_mul_hi_u32 s84, s13, s45
	s_mul_i32 s44, s13, s45
	s_wait_alu 0xfffe
	s_add_co_u32 s45, s46, s83
	s_add_co_ci_u32 s70, s47, s82
	s_add_co_ci_u32 s45, s84, 0
	s_wait_alu 0xfffe
	s_add_nc_u64 s[44:45], s[70:71], s[44:45]
	s_wait_alu 0xfffe
	s_add_co_u32 s12, s12, s44
	s_cselect_b32 s44, -1, 0
	s_wait_alu 0xfffe
	s_mul_hi_u32 s70, s10, s12
	s_cmp_lg_u32 s44, 0
	s_mul_hi_u32 s46, s11, s12
	s_add_co_ci_u32 s44, s13, s45
	s_mul_i32 s45, s11, s12
	s_wait_alu 0xfffe
	s_mul_hi_u32 s13, s10, s44
	s_mul_i32 s12, s10, s44
	s_mul_hi_u32 s47, s11, s44
	s_wait_alu 0xfffe
	s_add_nc_u64 s[12:13], s[70:71], s[12:13]
	s_mul_i32 s44, s11, s44
	s_wait_alu 0xfffe
	s_add_co_u32 s12, s12, s45
	s_add_co_ci_u32 s70, s13, s46
	s_add_co_ci_u32 s45, s47, 0
	s_wait_alu 0xfffe
	s_add_nc_u64 s[12:13], s[70:71], s[44:45]
	s_wait_alu 0xfffe
	s_mul_u64 s[12:13], s[66:67], s[12:13]
	s_wait_alu 0xfffe
	s_sub_co_u32 s12, s10, s12
	s_cselect_b32 s44, -1, 0
	s_wait_alu 0xfffe
	s_cmp_lg_u32 s44, 0
	s_sub_co_ci_u32 s13, s11, s13
	s_sub_co_u32 s44, s12, s66
	s_cselect_b32 s45, -1, 0
	s_wait_alu 0xfffe
	s_cmp_lg_u32 s45, 0
	s_sub_co_ci_u32 s45, s13, 0
	;; [unrolled: 5-line block ×3, first 2 shown]
	s_cmp_ge_u32 s44, s66
	s_cselect_b32 s70, -1, 0
	s_cmp_eq_u32 s45, 0
	s_wait_alu 0xfffe
	s_cselect_b32 s70, s70, -1
	s_wait_alu 0xfffe
	s_cmp_lg_u32 s70, 0
	s_cselect_b32 s45, s47, s45
	s_cselect_b32 s44, s46, s44
	s_cmp_ge_u32 s12, s66
	s_cselect_b32 s46, -1, 0
	s_cmp_eq_u32 s13, 0
	s_wait_alu 0xfffe
	s_cselect_b32 s46, s46, -1
	s_wait_alu 0xfffe
	s_cmp_lg_u32 s46, 0
	s_cselect_b32 s13, s45, s13
	s_cselect_b32 s12, s44, s12
	s_cbranch_execnz .LBB86_237
.LBB86_236:                             ;   in Loop: Header=BB86_23 Depth=1
	v_cvt_f32_u32_e32 v4, s66
	s_sub_co_i32 s13, 0, s66
	s_delay_alu instid0(VALU_DEP_1) | instskip(NEXT) | instid1(TRANS32_DEP_1)
	v_rcp_iflag_f32_e32 v4, v4
	v_mul_f32_e32 v4, 0x4f7ffffe, v4
	s_delay_alu instid0(VALU_DEP_1) | instskip(NEXT) | instid1(VALU_DEP_1)
	v_cvt_u32_f32_e32 v4, v4
	v_readfirstlane_b32 s12, v4
	s_wait_alu 0xfffe
	s_mul_i32 s13, s13, s12
	s_wait_alu 0xfffe
	s_mul_hi_u32 s13, s12, s13
	s_wait_alu 0xfffe
	s_add_co_i32 s12, s12, s13
	s_wait_alu 0xfffe
	s_mul_hi_u32 s12, s10, s12
	s_wait_alu 0xfffe
	s_mul_i32 s12, s12, s66
	s_wait_alu 0xfffe
	s_sub_co_i32 s12, s10, s12
	s_wait_alu 0xfffe
	s_sub_co_i32 s13, s12, s66
	s_cmp_ge_u32 s12, s66
	s_wait_alu 0xfffe
	s_cselect_b32 s12, s13, s12
	s_wait_alu 0xfffe
	s_sub_co_i32 s13, s12, s66
	s_cmp_ge_u32 s12, s66
	s_wait_alu 0xfffe
	s_cselect_b32 s70, s13, s12
	s_wait_alu 0xfffe
	s_mov_b64 s[12:13], s[70:71]
.LBB86_237:                             ;   in Loop: Header=BB86_23 Depth=1
	s_wait_alu 0xfffe
	s_sub_nc_u64 s[10:11], s[10:11], s[12:13]
	s_mov_b32 s13, 0
	s_mov_b32 s12, 0
	s_mov_b32 s44, exec_lo
                                        ; implicit-def: $vgpr31
	s_wait_alu 0xfffe
	v_cmpx_gt_u64_e64 s[10:11], v[0:1]
	s_cbranch_execz .LBB86_248
; %bb.238:                              ;   in Loop: Header=BB86_23 Depth=1
	v_dual_mov_b32 v8, v0 :: v_dual_mov_b32 v5, v1
	v_mov_b32_e32 v4, v0
                                        ; implicit-def: $sgpr45
	s_branch .LBB86_241
.LBB86_239:                             ;   in Loop: Header=BB86_241 Depth=2
	s_wait_alu 0xfffe
	s_or_b32 exec_lo, exec_lo, s46
	s_wait_loadcnt_dscnt 0x0
	s_barrier_signal -1
	s_barrier_wait -1
	global_inv scope:SCOPE_SE
	ds_load_u16 v9, v3 offset:3072
	s_mov_b32 s46, -1
	s_mov_b32 s47, -1
	s_wait_loadcnt_dscnt 0x0
	s_barrier_signal -1
	s_barrier_wait -1
	global_inv scope:SCOPE_SE
	v_and_b32_e32 v10, 0xff, v9
	s_delay_alu instid0(VALU_DEP_1)
	v_cmp_ne_u32_e32 vcc_lo, 0, v10
	s_cbranch_vccz .LBB86_244
.LBB86_240:                             ;   in Loop: Header=BB86_241 Depth=2
	s_wait_alu 0xfffe
	s_and_b32 s46, exec_lo, s46
	s_wait_alu 0xfffe
	s_or_b32 s12, s46, s12
	s_and_not1_b32 s45, s45, exec_lo
	s_and_b32 s46, s47, exec_lo
	s_wait_alu 0xfffe
	s_or_b32 s45, s45, s46
	s_and_not1_b32 exec_lo, exec_lo, s12
	s_cbranch_execz .LBB86_247
.LBB86_241:                             ;   Parent Loop BB86_23 Depth=1
                                        ; =>  This Inner Loop Header: Depth=2
	s_mov_b32 s46, exec_lo
	s_delay_alu instid0(VALU_DEP_1)
	v_cmpx_gt_u64_e64 s[6:7], v[4:5]
	s_cbranch_execz .LBB86_239
; %bb.242:                              ;   in Loop: Header=BB86_241 Depth=2
	ds_load_u8 v9, v8
	s_wait_dscnt 0x0
	v_bfe_i32 v10, v9, 0, 8
	s_delay_alu instid0(VALU_DEP_1) | instskip(NEXT) | instid1(VALU_DEP_1)
	v_add_nc_u32_e32 v10, 0x80, v10
	v_and_b32_e32 v10, v10, v30
	s_delay_alu instid0(VALU_DEP_1)
	v_cmp_eq_u32_e32 vcc_lo, v10, v28
	s_and_b32 exec_lo, exec_lo, vcc_lo
	s_cbranch_execz .LBB86_239
; %bb.243:                              ;   in Loop: Header=BB86_241 Depth=2
	v_lshlrev_b16 v9, 8, v9
	s_delay_alu instid0(VALU_DEP_1)
	v_or_b32_e32 v9, 1, v9
	ds_store_b16 v3, v9 offset:3072
	s_branch .LBB86_239
.LBB86_244:                             ;   in Loop: Header=BB86_241 Depth=2
	v_add_co_u32 v4, vcc_lo, v4, s66
	s_wait_alu 0xfffd
	v_add_co_ci_u32_e64 v5, null, 0, v5, vcc_lo
	v_add_nc_u32_e32 v8, s66, v8
	s_mov_b32 s47, 0
	s_delay_alu instid0(VALU_DEP_2)
	v_cmp_le_u64_e32 vcc_lo, s[10:11], v[4:5]
	s_or_not1_b32 s46, vcc_lo, exec_lo
	s_branch .LBB86_240
.LBB86_245:                             ;   in Loop: Header=BB86_23 Depth=1
                                        ; implicit-def: $sgpr14_sgpr15
	s_branch .LBB86_191
.LBB86_246:                             ;   in Loop: Header=BB86_23 Depth=1
                                        ; implicit-def: $sgpr6_sgpr7
	s_branch .LBB86_207
.LBB86_247:                             ;   in Loop: Header=BB86_23 Depth=1
	s_or_b32 exec_lo, exec_lo, s12
	v_and_b32_e32 v4, 0xffff, v9
	s_wait_alu 0xfffe
	s_and_b32 s12, s45, exec_lo
	s_delay_alu instid0(VALU_DEP_1)
	v_lshrrev_b32_e32 v31, 8, v4
.LBB86_248:                             ;   in Loop: Header=BB86_23 Depth=1
	s_or_b32 exec_lo, exec_lo, s44
.LBB86_249:                             ;   in Loop: Header=BB86_23 Depth=1
	s_wait_alu 0xfffe
	s_and_b32 vcc_lo, exec_lo, s13
	s_wait_alu 0xfffe
	s_cbranch_vccz .LBB86_263
; %bb.250:                              ;   in Loop: Header=BB86_23 Depth=1
	s_mov_b32 s6, s71
	s_mov_b32 s7, s75
	s_wait_alu 0xfffe
	s_cmp_lg_u64 s[6:7], 0
	s_cbranch_scc0 .LBB86_284
; %bb.251:                              ;   in Loop: Header=BB86_23 Depth=1
	s_cvt_f32_u32 s6, s66
	s_sub_nc_u64 s[10:11], 0, s[66:67]
	s_wait_alu 0xfffe
	s_delay_alu instid0(SALU_CYCLE_1) | instskip(SKIP_1) | instid1(SALU_CYCLE_2)
	s_fmamk_f32 s6, s102, 0x0, s6
	s_wait_alu 0xfffe
	v_s_rcp_f32 s6, s6
	s_delay_alu instid0(TRANS32_DEP_1) | instskip(SKIP_1) | instid1(SALU_CYCLE_2)
	s_mul_f32 s6, s6, 0x5f7ffffc
	s_wait_alu 0xfffe
	s_mul_f32 s7, s6, 0x2f800000
	s_wait_alu 0xfffe
	s_delay_alu instid0(SALU_CYCLE_2) | instskip(SKIP_1) | instid1(SALU_CYCLE_2)
	s_trunc_f32 s7, s7
	s_wait_alu 0xfffe
	s_fmamk_f32 s6, s7, 0xcf800000, s6
	s_cvt_u32_f32 s7, s7
	s_wait_alu 0xfffe
	s_delay_alu instid0(SALU_CYCLE_1) | instskip(SKIP_1) | instid1(SALU_CYCLE_2)
	s_cvt_u32_f32 s6, s6
	s_wait_alu 0xfffe
	s_mul_u64 s[44:45], s[10:11], s[6:7]
	s_wait_alu 0xfffe
	s_mul_hi_u32 s47, s6, s45
	s_mul_i32 s46, s6, s45
	s_mul_hi_u32 s70, s6, s44
	s_mul_i32 s80, s7, s44
	s_wait_alu 0xfffe
	s_add_nc_u64 s[46:47], s[70:71], s[46:47]
	s_mul_hi_u32 s13, s7, s44
	s_mul_hi_u32 s81, s7, s45
	s_mul_i32 s44, s7, s45
	s_wait_alu 0xfffe
	s_add_co_u32 s45, s46, s80
	s_add_co_ci_u32 s70, s47, s13
	s_add_co_ci_u32 s45, s81, 0
	s_wait_alu 0xfffe
	s_add_nc_u64 s[44:45], s[70:71], s[44:45]
	s_wait_alu 0xfffe
	s_add_co_u32 s6, s6, s44
	s_cselect_b32 s13, -1, 0
	s_wait_alu 0xfffe
	s_cmp_lg_u32 s13, 0
	s_add_co_ci_u32 s7, s7, s45
	s_wait_alu 0xfffe
	s_mul_u64 s[10:11], s[10:11], s[6:7]
	s_wait_alu 0xfffe
	s_mul_hi_u32 s45, s6, s11
	s_mul_i32 s44, s6, s11
	s_mul_hi_u32 s70, s6, s10
	s_mul_i32 s46, s7, s10
	s_wait_alu 0xfffe
	s_add_nc_u64 s[44:45], s[70:71], s[44:45]
	s_mul_hi_u32 s13, s7, s10
	s_mul_hi_u32 s47, s7, s11
	s_mul_i32 s10, s7, s11
	s_wait_alu 0xfffe
	s_add_co_u32 s11, s44, s46
	s_add_co_ci_u32 s70, s45, s13
	s_add_co_ci_u32 s11, s47, 0
	s_wait_alu 0xfffe
	s_add_nc_u64 s[10:11], s[70:71], s[10:11]
	s_wait_alu 0xfffe
	s_add_co_u32 s6, s6, s10
	s_cselect_b32 s10, -1, 0
	s_wait_alu 0xfffe
	s_mul_hi_u32 s70, s74, s6
	s_cmp_lg_u32 s10, 0
	s_mul_hi_u32 s13, s75, s6
	s_add_co_ci_u32 s10, s7, s11
	s_mul_i32 s11, s75, s6
	s_wait_alu 0xfffe
	s_mul_hi_u32 s7, s74, s10
	s_mul_i32 s6, s74, s10
	s_mul_hi_u32 s44, s75, s10
	s_wait_alu 0xfffe
	s_add_nc_u64 s[6:7], s[70:71], s[6:7]
	s_mul_i32 s10, s75, s10
	s_wait_alu 0xfffe
	s_add_co_u32 s6, s6, s11
	s_add_co_ci_u32 s70, s7, s13
	s_add_co_ci_u32 s11, s44, 0
	s_wait_alu 0xfffe
	s_add_nc_u64 s[6:7], s[70:71], s[10:11]
	s_wait_alu 0xfffe
	s_mul_u64 s[6:7], s[66:67], s[6:7]
	s_wait_alu 0xfffe
	s_sub_co_u32 s6, s74, s6
	s_cselect_b32 s10, -1, 0
	s_wait_alu 0xfffe
	s_cmp_lg_u32 s10, 0
	s_sub_co_ci_u32 s7, s75, s7
	s_sub_co_u32 s10, s6, s66
	s_cselect_b32 s11, -1, 0
	s_wait_alu 0xfffe
	s_cmp_lg_u32 s11, 0
	s_sub_co_ci_u32 s11, s7, 0
	;; [unrolled: 5-line block ×3, first 2 shown]
	s_cmp_ge_u32 s10, s66
	s_cselect_b32 s45, -1, 0
	s_cmp_eq_u32 s11, 0
	s_wait_alu 0xfffe
	s_cselect_b32 s45, s45, -1
	s_wait_alu 0xfffe
	s_cmp_lg_u32 s45, 0
	s_cselect_b32 s11, s44, s11
	s_cselect_b32 s10, s13, s10
	s_cmp_ge_u32 s6, s66
	s_cselect_b32 s13, -1, 0
	s_cmp_eq_u32 s7, 0
	s_wait_alu 0xfffe
	s_cselect_b32 s13, s13, -1
	s_wait_alu 0xfffe
	s_cmp_lg_u32 s13, 0
	s_cselect_b32 s7, s11, s7
	s_cselect_b32 s6, s10, s6
	s_cbranch_execnz .LBB86_253
.LBB86_252:                             ;   in Loop: Header=BB86_23 Depth=1
	v_cvt_f32_u32_e32 v4, s66
	s_sub_co_i32 s7, 0, s66
	s_delay_alu instid0(VALU_DEP_1) | instskip(NEXT) | instid1(TRANS32_DEP_1)
	v_rcp_iflag_f32_e32 v4, v4
	v_mul_f32_e32 v4, 0x4f7ffffe, v4
	s_delay_alu instid0(VALU_DEP_1) | instskip(NEXT) | instid1(VALU_DEP_1)
	v_cvt_u32_f32_e32 v4, v4
	v_readfirstlane_b32 s6, v4
	s_wait_alu 0xfffe
	s_mul_i32 s7, s7, s6
	s_wait_alu 0xfffe
	s_mul_hi_u32 s7, s6, s7
	s_wait_alu 0xfffe
	s_add_co_i32 s6, s6, s7
	s_wait_alu 0xfffe
	s_mul_hi_u32 s6, s74, s6
	s_wait_alu 0xfffe
	s_mul_i32 s6, s6, s66
	s_wait_alu 0xfffe
	s_sub_co_i32 s6, s74, s6
	s_wait_alu 0xfffe
	s_sub_co_i32 s7, s6, s66
	s_cmp_ge_u32 s6, s66
	s_wait_alu 0xfffe
	s_cselect_b32 s6, s7, s6
	s_wait_alu 0xfffe
	s_sub_co_i32 s7, s6, s66
	s_cmp_ge_u32 s6, s66
	s_wait_alu 0xfffe
	s_cselect_b32 s70, s7, s6
	s_wait_alu 0xfffe
	s_mov_b64 s[6:7], s[70:71]
.LBB86_253:                             ;   in Loop: Header=BB86_23 Depth=1
	s_wait_alu 0xfffe
	s_sub_nc_u64 s[6:7], s[74:75], s[6:7]
	s_mov_b32 s10, exec_lo
                                        ; implicit-def: $vgpr31
	s_wait_alu 0xfffe
	v_cmpx_gt_u64_e64 s[6:7], v[0:1]
	s_cbranch_execz .LBB86_262
; %bb.254:                              ;   in Loop: Header=BB86_23 Depth=1
	v_dual_mov_b32 v5, v1 :: v_dual_mov_b32 v4, v0
	s_mov_b32 s11, 0
                                        ; implicit-def: $sgpr13
	s_branch .LBB86_257
.LBB86_255:                             ;   in Loop: Header=BB86_257 Depth=2
	s_wait_alu 0xfffe
	s_or_b32 exec_lo, exec_lo, s44
	s_wait_loadcnt_dscnt 0x0
	s_barrier_signal -1
	s_barrier_wait -1
	global_inv scope:SCOPE_SE
	ds_load_u16 v8, v3 offset:3072
	s_mov_b32 s45, -1
	s_mov_b32 s44, -1
	s_wait_loadcnt_dscnt 0x0
	s_barrier_signal -1
	s_barrier_wait -1
	global_inv scope:SCOPE_SE
	v_and_b32_e32 v9, 0xff, v8
	s_delay_alu instid0(VALU_DEP_1)
	v_cmp_eq_u32_e32 vcc_lo, 0, v9
	s_cbranch_vccnz .LBB86_260
.LBB86_256:                             ;   in Loop: Header=BB86_257 Depth=2
	s_wait_alu 0xfffe
	s_and_b32 s45, exec_lo, s45
	s_wait_alu 0xfffe
	s_or_b32 s11, s45, s11
	s_and_not1_b32 s13, s13, exec_lo
	s_and_b32 s44, s44, exec_lo
	s_wait_alu 0xfffe
	s_or_b32 s13, s13, s44
	s_and_not1_b32 exec_lo, exec_lo, s11
	s_cbranch_execz .LBB86_261
.LBB86_257:                             ;   Parent Loop BB86_23 Depth=1
                                        ; =>  This Inner Loop Header: Depth=2
	s_mov_b32 s44, exec_lo
	s_delay_alu instid0(VALU_DEP_1)
	v_cmpx_gt_u64_e64 s[28:29], v[4:5]
	s_cbranch_execz .LBB86_255
; %bb.258:                              ;   in Loop: Header=BB86_257 Depth=2
	v_mad_co_u64_u32 v[8:9], null, v4, s56, s[60:61]
	v_mul_lo_u32 v10, v4, s57
	v_mul_lo_u32 v11, v5, s56
	s_delay_alu instid0(VALU_DEP_1) | instskip(SKIP_3) | instid1(VALU_DEP_1)
	v_add3_u32 v9, v11, v9, v10
	global_load_u8 v8, v[8:9], off
	s_wait_loadcnt 0x0
	v_bfe_i32 v9, v8, 0, 8
	v_add_nc_u32_e32 v9, 0x80, v9
	s_delay_alu instid0(VALU_DEP_1) | instskip(NEXT) | instid1(VALU_DEP_1)
	v_and_b32_e32 v9, v9, v30
	v_cmp_eq_u32_e32 vcc_lo, v9, v28
	s_and_b32 exec_lo, exec_lo, vcc_lo
	s_cbranch_execz .LBB86_255
; %bb.259:                              ;   in Loop: Header=BB86_257 Depth=2
	v_lshlrev_b16 v8, 8, v8
	s_delay_alu instid0(VALU_DEP_1)
	v_or_b32_e32 v8, 1, v8
	ds_store_b16 v3, v8 offset:3072
	s_branch .LBB86_255
.LBB86_260:                             ;   in Loop: Header=BB86_257 Depth=2
	v_add_co_u32 v4, vcc_lo, v4, s66
	s_wait_alu 0xfffd
	v_add_co_ci_u32_e64 v5, null, 0, v5, vcc_lo
	s_mov_b32 s44, 0
	v_cmp_le_u64_e32 vcc_lo, s[6:7], v[4:5]
	s_or_not1_b32 s45, vcc_lo, exec_lo
	s_branch .LBB86_256
.LBB86_261:                             ;   in Loop: Header=BB86_23 Depth=1
	s_or_b32 exec_lo, exec_lo, s11
	v_and_b32_e32 v4, 0xffff, v8
	s_and_not1_b32 s6, s12, exec_lo
	s_wait_alu 0xfffe
	s_and_b32 s7, s13, exec_lo
	s_wait_alu 0xfffe
	s_or_b32 s12, s6, s7
	v_lshrrev_b32_e32 v31, 8, v4
.LBB86_262:                             ;   in Loop: Header=BB86_23 Depth=1
	s_or_b32 exec_lo, exec_lo, s10
	s_mov_b32 s80, 0
	s_mov_b32 s81, -1
.LBB86_263:                             ;   in Loop: Header=BB86_23 Depth=1
	s_wait_alu 0xfffe
	s_or_not1_b32 s7, s12, exec_lo
.LBB86_264:                             ;   in Loop: Header=BB86_23 Depth=1
	s_wait_alu 0xfffe
	s_or_b32 exec_lo, exec_lo, s79
	s_mov_b32 s10, 0
	s_and_saveexec_b32 s6, s7
	s_cbranch_execz .LBB86_275
; %bb.265:                              ;   in Loop: Header=BB86_23 Depth=1
	v_mov_b32_e32 v4, 1
	v_dual_mov_b32 v5, 0 :: v_dual_mov_b32 v2, 1
	s_xor_b32 s10, s20, -1
	s_wait_alu 0xfffe
	s_and_saveexec_b32 s7, s10
	s_cbranch_execz .LBB86_274
; %bb.266:                              ;   in Loop: Header=BB86_23 Depth=1
	s_mov_b32 s10, exec_lo
	v_cmpx_ge_u64_e64 s[8:9], v[6:7]
	s_wait_alu 0xfffe
	s_xor_b32 s10, exec_lo, s10
	s_cbranch_execz .LBB86_271
; %bb.267:                              ;   in Loop: Header=BB86_23 Depth=1
	ds_load_b64 v[4:5], v3 offset:5120
	v_or_b32_e32 v28, s16, v28
	v_or_b32_e32 v30, s16, v30
	s_wait_dscnt 0x0
	v_cmp_ne_u64_e32 vcc_lo, 0, v[4:5]
	s_cbranch_vccnz .LBB86_271
; %bb.268:                              ;   in Loop: Header=BB86_23 Depth=1
	s_and_saveexec_b32 s11, s2
; %bb.269:                              ;   in Loop: Header=BB86_23 Depth=1
	v_dual_mov_b32 v4, s8 :: v_dual_mov_b32 v5, s9
	ds_store_b64 v3, v[4:5] offset:5128
; %bb.270:                              ;   in Loop: Header=BB86_23 Depth=1
	s_wait_alu 0xfffe
	s_or_b32 exec_lo, exec_lo, s11
	s_wait_loadcnt_dscnt 0x0
	s_barrier_signal -1
	s_barrier_wait -1
	global_inv scope:SCOPE_SE
.LBB86_271:                             ;   in Loop: Header=BB86_23 Depth=1
	s_wait_alu 0xfffe
	s_and_not1_saveexec_b32 s10, s10
; %bb.272:                              ;   in Loop: Header=BB86_23 Depth=1
	v_sub_co_u32 v6, vcc_lo, v6, s8
	s_wait_alu 0xfffd
	v_subrev_co_ci_u32_e64 v7, null, s9, v7, vcc_lo
; %bb.273:                              ;   in Loop: Header=BB86_23 Depth=1
	s_wait_alu 0xfffe
	s_or_b32 exec_lo, exec_lo, s10
	v_mov_b32_e32 v4, v6
	s_delay_alu instid0(VALU_DEP_2)
	v_dual_mov_b32 v2, 8 :: v_dual_mov_b32 v5, v7
.LBB86_274:                             ;   in Loop: Header=BB86_23 Depth=1
	s_wait_alu 0xfffe
	s_or_b32 exec_lo, exec_lo, s7
	s_delay_alu instid0(VALU_DEP_1)
	v_dual_mov_b32 v7, v5 :: v_dual_mov_b32 v6, v4
	s_mov_b32 s10, exec_lo
.LBB86_275:                             ;   in Loop: Header=BB86_23 Depth=1
	s_wait_alu 0xfffe
	s_or_b32 exec_lo, exec_lo, s6
	s_delay_alu instid0(SALU_CYCLE_1)
	s_or_not1_b32 s6, s10, exec_lo
.LBB86_276:                             ;   in Loop: Header=BB86_23 Depth=1
	s_wait_alu 0xfffe
	s_or_b32 exec_lo, exec_lo, s15
	v_dual_mov_b32 v4, v6 :: v_dual_mov_b32 v5, v7
	s_and_not1_b32 s7, s78, exec_lo
	s_and_b32 s8, s81, exec_lo
	s_and_not1_b32 s9, s25, exec_lo
	s_and_b32 s10, s80, exec_lo
	s_wait_alu 0xfffe
	s_or_b32 s78, s7, s8
	s_or_b32 s25, s9, s10
	s_and_b32 s7, s6, exec_lo
.LBB86_277:                             ;   in Loop: Header=BB86_23 Depth=1
	s_wait_alu 0xfffe
	s_or_b32 exec_lo, exec_lo, s14
	s_delay_alu instid0(SALU_CYCLE_1)
	s_or_not1_b32 s6, s7, exec_lo
.LBB86_278:                             ;   in Loop: Header=BB86_23 Depth=1
	s_wait_alu 0xfffe
	s_or_b32 exec_lo, exec_lo, s24
	v_dual_mov_b32 v9, v5 :: v_dual_mov_b32 v8, v4
	s_and_not1_b32 s7, s22, exec_lo
	s_and_b32 s8, s78, exec_lo
	s_and_not1_b32 s9, s21, exec_lo
	s_and_b32 s10, s25, exec_lo
	s_wait_alu 0xfffe
	s_or_b32 s22, s7, s8
	s_or_b32 s21, s9, s10
	s_and_b32 s7, s6, exec_lo
.LBB86_279:                             ;   in Loop: Header=BB86_23 Depth=1
	s_wait_alu 0xfffe
	s_or_b32 exec_lo, exec_lo, s23
	s_delay_alu instid0(SALU_CYCLE_1)
	s_or_not1_b32 s6, s7, exec_lo
.LBB86_280:                             ;   in Loop: Header=BB86_23 Depth=1
	s_wait_alu 0xfffe
	s_or_b32 exec_lo, exec_lo, s19
	s_mov_b32 s7, 0
	s_and_saveexec_b32 s8, s6
	s_wait_alu 0xfffe
	s_xor_b32 s6, exec_lo, s8
	s_cbranch_execz .LBB86_21
; %bb.281:                              ;   in Loop: Header=BB86_23 Depth=1
	v_and_b32_e32 v2, 7, v2
	s_mov_b32 s8, -1
	s_mov_b32 s7, -1
	s_mov_b32 s9, exec_lo
	s_delay_alu instid0(VALU_DEP_1)
	v_cmpx_eq_u32_e32 0, v2
	s_cbranch_execz .LBB86_20
; %bb.282:                              ;   in Loop: Header=BB86_23 Depth=1
	s_xor_b32 s103, s103, 1
	s_add_co_i32 s10, s100, -2
	s_cmp_eq_u32 s100, 0
	s_wait_alu 0xfffe
	s_mov_b32 s100, s10
	s_cselect_b32 s8, -1, 0
	s_xor_b32 s7, exec_lo, -1
	s_wait_alu 0xfffe
	s_or_not1_b32 s8, s8, exec_lo
	s_branch .LBB86_20
.LBB86_283:                             ;   in Loop: Header=BB86_23 Depth=1
                                        ; implicit-def: $sgpr12_sgpr13
	s_branch .LBB86_236
.LBB86_284:                             ;   in Loop: Header=BB86_23 Depth=1
                                        ; implicit-def: $sgpr6_sgpr7
	s_branch .LBB86_252
.LBB86_285:
	s_or_b32 exec_lo, exec_lo, s101
	s_xor_b32 s4, s65, -1
	s_xor_b32 s1, s59, -1
	;; [unrolled: 1-line block ×3, first 2 shown]
	s_mov_b32 s2, 0
	s_and_saveexec_b32 s5, s1
	s_wait_alu 0xfffe
	s_xor_b32 s1, exec_lo, s5
	s_cbranch_execnz .LBB86_290
; %bb.286:
	s_and_not1_saveexec_b32 s0, s1
	s_cbranch_execnz .LBB86_303
.LBB86_287:
	s_or_b32 exec_lo, exec_lo, s0
	s_and_saveexec_b32 s0, s2
.LBB86_288:
	; divergent unreachable
.LBB86_289:
	s_endpgm
.LBB86_290:
	s_and_saveexec_b32 s2, s4
	s_delay_alu instid0(SALU_CYCLE_1)
	s_xor_b32 s2, exec_lo, s2
	s_cbranch_execz .LBB86_301
; %bb.291:
	s_and_saveexec_b32 s4, s3
	s_wait_alu 0xfffe
	s_xor_b32 s3, exec_lo, s4
; %bb.292:
	v_xor_b32_e32 v31, 0xffffff80, v28
; %bb.293:
	s_or_b32 exec_lo, exec_lo, s3
	s_mul_u64 s[4:5], s[52:53], s[40:41]
	s_mul_u64 s[6:7], s[54:55], s[42:43]
	s_wait_alu 0xfffe
	s_sub_nc_u64 s[4:5], s[54:55], s[4:5]
	s_mul_u64 s[8:9], s[52:53], s[48:49]
	s_sub_nc_u64 s[6:7], s[26:27], s[6:7]
	s_wait_alu 0xfffe
	s_mul_u64 s[4:5], s[4:5], s[50:51]
	s_add_nc_u64 s[8:9], s[68:69], s[8:9]
	v_mov_b32_e32 v2, 0
	s_mul_u64 s[6:7], s[6:7], s[62:63]
	s_wait_alu 0xfffe
	s_add_nc_u64 s[4:5], s[8:9], s[4:5]
	s_wait_alu 0xfffe
	s_add_nc_u64 s[4:5], s[4:5], s[6:7]
	global_store_b8 v2, v31, s[4:5]
	s_and_saveexec_b32 s3, s0
	s_cbranch_execz .LBB86_300
; %bb.294:
	v_and_b32_e32 v4, 0xff, v31
	s_mov_b32 s0, 0
                                        ; implicit-def: $sgpr4
                                        ; implicit-def: $sgpr6
                                        ; implicit-def: $sgpr5
	s_branch .LBB86_296
.LBB86_295:                             ;   in Loop: Header=BB86_296 Depth=1
	s_wait_alu 0xfffe
	s_or_b32 exec_lo, exec_lo, s7
	s_delay_alu instid0(SALU_CYCLE_1)
	s_and_b32 s7, exec_lo, s6
	s_wait_alu 0xfffe
	s_or_b32 s0, s7, s0
	s_and_not1_b32 s4, s4, exec_lo
	s_and_b32 s7, s5, exec_lo
	s_wait_alu 0xfffe
	s_or_b32 s4, s4, s7
	s_and_not1_b32 exec_lo, exec_lo, s0
	s_cbranch_execz .LBB86_298
.LBB86_296:                             ; =>This Inner Loop Header: Depth=1
	v_dual_mov_b32 v3, v1 :: v_dual_mov_b32 v2, v0
	s_wait_alu 0xfffe
	s_or_b32 s5, s5, exec_lo
	s_or_b32 s6, s6, exec_lo
	s_delay_alu instid0(VALU_DEP_1) | instskip(SKIP_2) | instid1(VALU_DEP_1)
	v_mul_lo_u32 v6, v3, s56
	v_mad_co_u64_u32 v[0:1], null, v2, s56, s[60:61]
	v_mul_lo_u32 v5, v2, s57
	v_add3_u32 v1, v6, v1, v5
	global_load_u8 v0, v[0:1], off
	s_wait_loadcnt 0x0
	v_cmp_ne_u16_e32 vcc_lo, v0, v4
                                        ; implicit-def: $vgpr0_vgpr1
	s_and_saveexec_b32 s7, vcc_lo
	s_cbranch_execz .LBB86_295
; %bb.297:                              ;   in Loop: Header=BB86_296 Depth=1
	v_add_co_u32 v0, vcc_lo, v2, s66
	s_wait_alu 0xfffd
	v_add_co_ci_u32_e64 v1, null, 0, v3, vcc_lo
	s_wait_alu 0xfffe
	s_and_not1_b32 s6, s6, exec_lo
	s_and_not1_b32 s5, s5, exec_lo
	s_delay_alu instid0(VALU_DEP_1)
	v_cmp_le_u64_e32 vcc_lo, s[28:29], v[0:1]
	s_and_b32 s8, vcc_lo, exec_lo
	s_wait_alu 0xfffe
	s_or_b32 s6, s6, s8
	s_branch .LBB86_295
.LBB86_298:
	s_or_b32 exec_lo, exec_lo, s0
	s_wait_alu 0xfffe
	s_and_saveexec_b32 s0, s4
	s_delay_alu instid0(SALU_CYCLE_1)
	s_xor_b32 s0, exec_lo, s0
	s_cbranch_execz .LBB86_300
; %bb.299:
	v_readlane_b32 s8, v48, 2
	v_readlane_b32 s10, v48, 4
	;; [unrolled: 1-line block ×3, first 2 shown]
	s_mul_u64 s[4:5], s[34:35], s[36:37]
	v_readlane_b32 s9, v48, 3
	s_wait_alu 0xfffe
	s_sub_nc_u64 s[4:5], s[30:31], s[4:5]
	v_mov_b32_e32 v0, 0
	s_wait_alu 0xfffe
	s_mul_u64 s[4:5], s[4:5], s[10:11]
	v_readlane_b32 s10, v48, 6
	v_readlane_b32 s11, v48, 7
	s_mul_u64 s[6:7], s[34:35], s[8:9]
	s_mul_u64 s[8:9], s[30:31], s[38:39]
	s_wait_alu 0xfffe
	s_lshl_b64 s[6:7], s[6:7], 3
	s_sub_nc_u64 s[8:9], s[26:27], s[8:9]
	s_wait_alu 0xfffe
	s_add_nc_u64 s[6:7], s[10:11], s[6:7]
	v_readlane_b32 s10, v48, 0
	v_readlane_b32 s11, v48, 1
	s_lshl_b64 s[4:5], s[4:5], 3
	s_wait_alu 0xfffe
	s_add_nc_u64 s[4:5], s[6:7], s[4:5]
	s_mul_u64 s[8:9], s[8:9], s[10:11]
	s_wait_alu 0xfffe
	s_lshl_b64 s[6:7], s[8:9], 3
	s_wait_alu 0xfffe
	s_add_nc_u64 s[4:5], s[4:5], s[6:7]
	global_store_b64 v0, v[2:3], s[4:5]
.LBB86_300:
	s_or_b32 exec_lo, exec_lo, s3
.LBB86_301:
	s_or_saveexec_b32 s0, s2
	s_mov_b32 s2, 0
	s_xor_b32 exec_lo, exec_lo, s0
	s_cbranch_execnz .LBB86_304
.LBB86_302:
	s_or_b32 exec_lo, exec_lo, s0
	s_delay_alu instid0(SALU_CYCLE_1)
	s_and_b32 s2, s2, exec_lo
	s_and_not1_saveexec_b32 s0, s1
	s_cbranch_execz .LBB86_287
.LBB86_303:
	s_or_b32 s2, s2, exec_lo
	s_trap 2
	s_or_b32 exec_lo, exec_lo, s0
	s_and_saveexec_b32 s0, s2
	s_cbranch_execnz .LBB86_288
	s_branch .LBB86_289
.LBB86_304:
	s_mov_b32 s2, exec_lo
	s_trap 2
	s_branch .LBB86_302
	.section	.rodata,"a",@progbits
	.p2align	6, 0x0
	.amdhsa_kernel _ZN2at6native12_GLOBAL__N_112gatherMedianIamLi3EEEvNS_4cuda6detail10TensorInfoIT_T0_EENS5_IlS7_EENS5_IKS6_S7_EES7_S7_S7_b
		.amdhsa_group_segment_fixed_size 5152
		.amdhsa_private_segment_fixed_size 0
		.amdhsa_kernarg_size 1536
		.amdhsa_user_sgpr_count 2
		.amdhsa_user_sgpr_dispatch_ptr 0
		.amdhsa_user_sgpr_queue_ptr 0
		.amdhsa_user_sgpr_kernarg_segment_ptr 1
		.amdhsa_user_sgpr_dispatch_id 0
		.amdhsa_user_sgpr_private_segment_size 0
		.amdhsa_wavefront_size32 1
		.amdhsa_uses_dynamic_stack 0
		.amdhsa_enable_private_segment 0
		.amdhsa_system_sgpr_workgroup_id_x 1
		.amdhsa_system_sgpr_workgroup_id_y 1
		.amdhsa_system_sgpr_workgroup_id_z 1
		.amdhsa_system_sgpr_workgroup_info 0
		.amdhsa_system_vgpr_workitem_id 0
		.amdhsa_next_free_vgpr 49
		.amdhsa_next_free_sgpr 105
		.amdhsa_reserve_vcc 1
		.amdhsa_float_round_mode_32 0
		.amdhsa_float_round_mode_16_64 0
		.amdhsa_float_denorm_mode_32 3
		.amdhsa_float_denorm_mode_16_64 3
		.amdhsa_fp16_overflow 0
		.amdhsa_workgroup_processor_mode 1
		.amdhsa_memory_ordered 1
		.amdhsa_forward_progress 1
		.amdhsa_inst_pref_size 151
		.amdhsa_round_robin_scheduling 0
		.amdhsa_exception_fp_ieee_invalid_op 0
		.amdhsa_exception_fp_denorm_src 0
		.amdhsa_exception_fp_ieee_div_zero 0
		.amdhsa_exception_fp_ieee_overflow 0
		.amdhsa_exception_fp_ieee_underflow 0
		.amdhsa_exception_fp_ieee_inexact 0
		.amdhsa_exception_int_div_zero 0
	.end_amdhsa_kernel
	.section	.text._ZN2at6native12_GLOBAL__N_112gatherMedianIamLi3EEEvNS_4cuda6detail10TensorInfoIT_T0_EENS5_IlS7_EENS5_IKS6_S7_EES7_S7_S7_b,"axG",@progbits,_ZN2at6native12_GLOBAL__N_112gatherMedianIamLi3EEEvNS_4cuda6detail10TensorInfoIT_T0_EENS5_IlS7_EENS5_IKS6_S7_EES7_S7_S7_b,comdat
.Lfunc_end86:
	.size	_ZN2at6native12_GLOBAL__N_112gatherMedianIamLi3EEEvNS_4cuda6detail10TensorInfoIT_T0_EENS5_IlS7_EENS5_IKS6_S7_EES7_S7_S7_b, .Lfunc_end86-_ZN2at6native12_GLOBAL__N_112gatherMedianIamLi3EEEvNS_4cuda6detail10TensorInfoIT_T0_EENS5_IlS7_EENS5_IKS6_S7_EES7_S7_S7_b
                                        ; -- End function
	.set _ZN2at6native12_GLOBAL__N_112gatherMedianIamLi3EEEvNS_4cuda6detail10TensorInfoIT_T0_EENS5_IlS7_EENS5_IKS6_S7_EES7_S7_S7_b.num_vgpr, 49
	.set _ZN2at6native12_GLOBAL__N_112gatherMedianIamLi3EEEvNS_4cuda6detail10TensorInfoIT_T0_EENS5_IlS7_EENS5_IKS6_S7_EES7_S7_S7_b.num_agpr, 0
	.set _ZN2at6native12_GLOBAL__N_112gatherMedianIamLi3EEEvNS_4cuda6detail10TensorInfoIT_T0_EENS5_IlS7_EENS5_IKS6_S7_EES7_S7_S7_b.numbered_sgpr, 105
	.set _ZN2at6native12_GLOBAL__N_112gatherMedianIamLi3EEEvNS_4cuda6detail10TensorInfoIT_T0_EENS5_IlS7_EENS5_IKS6_S7_EES7_S7_S7_b.num_named_barrier, 0
	.set _ZN2at6native12_GLOBAL__N_112gatherMedianIamLi3EEEvNS_4cuda6detail10TensorInfoIT_T0_EENS5_IlS7_EENS5_IKS6_S7_EES7_S7_S7_b.private_seg_size, 0
	.set _ZN2at6native12_GLOBAL__N_112gatherMedianIamLi3EEEvNS_4cuda6detail10TensorInfoIT_T0_EENS5_IlS7_EENS5_IKS6_S7_EES7_S7_S7_b.uses_vcc, 1
	.set _ZN2at6native12_GLOBAL__N_112gatherMedianIamLi3EEEvNS_4cuda6detail10TensorInfoIT_T0_EENS5_IlS7_EENS5_IKS6_S7_EES7_S7_S7_b.uses_flat_scratch, 0
	.set _ZN2at6native12_GLOBAL__N_112gatherMedianIamLi3EEEvNS_4cuda6detail10TensorInfoIT_T0_EENS5_IlS7_EENS5_IKS6_S7_EES7_S7_S7_b.has_dyn_sized_stack, 0
	.set _ZN2at6native12_GLOBAL__N_112gatherMedianIamLi3EEEvNS_4cuda6detail10TensorInfoIT_T0_EENS5_IlS7_EENS5_IKS6_S7_EES7_S7_S7_b.has_recursion, 0
	.set _ZN2at6native12_GLOBAL__N_112gatherMedianIamLi3EEEvNS_4cuda6detail10TensorInfoIT_T0_EENS5_IlS7_EENS5_IKS6_S7_EES7_S7_S7_b.has_indirect_call, 0
	.section	.AMDGPU.csdata,"",@progbits
; Kernel info:
; codeLenInByte = 19212
; TotalNumSgprs: 107
; NumVgprs: 49
; ScratchSize: 0
; MemoryBound: 0
; FloatMode: 240
; IeeeMode: 1
; LDSByteSize: 5152 bytes/workgroup (compile time only)
; SGPRBlocks: 0
; VGPRBlocks: 6
; NumSGPRsForWavesPerEU: 107
; NumVGPRsForWavesPerEU: 49
; Occupancy: 16
; WaveLimiterHint : 1
; COMPUTE_PGM_RSRC2:SCRATCH_EN: 0
; COMPUTE_PGM_RSRC2:USER_SGPR: 2
; COMPUTE_PGM_RSRC2:TRAP_HANDLER: 0
; COMPUTE_PGM_RSRC2:TGID_X_EN: 1
; COMPUTE_PGM_RSRC2:TGID_Y_EN: 1
; COMPUTE_PGM_RSRC2:TGID_Z_EN: 1
; COMPUTE_PGM_RSRC2:TIDIG_COMP_CNT: 0
	.section	.text._ZN2at6native12_GLOBAL__N_112gatherMedianIamLin1EEEvNS_4cuda6detail10TensorInfoIT_T0_EENS5_IlS7_EENS5_IKS6_S7_EES7_S7_S7_b,"axG",@progbits,_ZN2at6native12_GLOBAL__N_112gatherMedianIamLin1EEEvNS_4cuda6detail10TensorInfoIT_T0_EENS5_IlS7_EENS5_IKS6_S7_EES7_S7_S7_b,comdat
	.globl	_ZN2at6native12_GLOBAL__N_112gatherMedianIamLin1EEEvNS_4cuda6detail10TensorInfoIT_T0_EENS5_IlS7_EENS5_IKS6_S7_EES7_S7_S7_b ; -- Begin function _ZN2at6native12_GLOBAL__N_112gatherMedianIamLin1EEEvNS_4cuda6detail10TensorInfoIT_T0_EENS5_IlS7_EENS5_IKS6_S7_EES7_S7_S7_b
	.p2align	8
	.type	_ZN2at6native12_GLOBAL__N_112gatherMedianIamLin1EEEvNS_4cuda6detail10TensorInfoIT_T0_EENS5_IlS7_EENS5_IKS6_S7_EES7_S7_S7_b,@function
_ZN2at6native12_GLOBAL__N_112gatherMedianIamLin1EEEvNS_4cuda6detail10TensorInfoIT_T0_EENS5_IlS7_EENS5_IKS6_S7_EES7_S7_S7_b: ; @_ZN2at6native12_GLOBAL__N_112gatherMedianIamLin1EEEvNS_4cuda6detail10TensorInfoIT_T0_EENS5_IlS7_EENS5_IKS6_S7_EES7_S7_S7_b
; %bb.0:
	s_clause 0x1
	s_load_b64 s[4:5], s[0:1], 0x500
	s_load_b128 s[28:31], s[0:1], 0x4e0
	s_lshr_b32 s2, ttmp7, 16
	s_and_b32 s3, ttmp7, 0xffff
	s_wait_kmcnt 0x0
	s_mul_i32 s2, s5, s2
	s_delay_alu instid0(SALU_CYCLE_1) | instskip(SKIP_2) | instid1(SALU_CYCLE_1)
	s_add_co_i32 s2, s2, s3
	s_mov_b32 s3, 0
	s_mul_i32 s2, s2, s4
	s_add_co_i32 s2, s2, ttmp9
	s_delay_alu instid0(SALU_CYCLE_1)
	v_cmp_le_u64_e64 s5, s[30:31], s[2:3]
	s_and_b32 vcc_lo, exec_lo, s5
	s_cbranch_vccnz .LBB87_302
; %bb.1:
	s_clause 0x1
	s_load_b32 s5, s[0:1], 0x198
	s_load_b64 s[30:31], s[0:1], 0x4f0
	s_mov_b64 s[26:27], 0
	s_mov_b64 s[36:37], s[2:3]
	s_wait_kmcnt 0x0
	s_cmp_lt_i32 s5, 2
	s_cbranch_scc1 .LBB87_9
; %bb.2:
	s_mov_b32 s6, 0
	s_add_co_i32 s8, s5, -1
	s_mov_b32 s9, s6
	s_add_co_i32 s5, s5, 1
	s_lshl_b64 s[8:9], s[8:9], 3
	s_mov_b64 s[10:11], s[2:3]
	s_add_nc_u64 s[8:9], s[0:1], s[8:9]
	s_delay_alu instid0(SALU_CYCLE_1)
	s_add_nc_u64 s[8:9], s[8:9], 8
.LBB87_3:                               ; =>This Inner Loop Header: Depth=1
	s_load_b64 s[12:13], s[8:9], 0x0
                                        ; implicit-def: $sgpr36_sgpr37
	s_wait_kmcnt 0x0
	s_or_b64 s[14:15], s[10:11], s[12:13]
	s_delay_alu instid0(SALU_CYCLE_1)
	s_mov_b32 s7, s15
	s_wait_alu 0xfffe
	s_cmp_lg_u64 s[6:7], 0
	s_mov_b32 s7, -1
	s_cbranch_scc0 .LBB87_5
; %bb.4:                                ;   in Loop: Header=BB87_3 Depth=1
	s_cvt_f32_u32 s7, s12
	s_cvt_f32_u32 s14, s13
	s_sub_nc_u64 s[16:17], 0, s[12:13]
	s_mov_b32 s19, s6
	s_mov_b32 s23, s6
	s_wait_alu 0xfffe
	s_fmamk_f32 s7, s14, 0x4f800000, s7
	s_wait_alu 0xfffe
	s_delay_alu instid0(SALU_CYCLE_2) | instskip(NEXT) | instid1(TRANS32_DEP_1)
	v_s_rcp_f32 s7, s7
	s_mul_f32 s7, s7, 0x5f7ffffc
	s_wait_alu 0xfffe
	s_delay_alu instid0(SALU_CYCLE_2) | instskip(NEXT) | instid1(SALU_CYCLE_3)
	s_mul_f32 s14, s7, 0x2f800000
	s_trunc_f32 s14, s14
	s_delay_alu instid0(SALU_CYCLE_3) | instskip(SKIP_2) | instid1(SALU_CYCLE_1)
	s_fmamk_f32 s7, s14, 0xcf800000, s7
	s_cvt_u32_f32 s15, s14
	s_wait_alu 0xfffe
	s_cvt_u32_f32 s14, s7
	s_delay_alu instid0(SALU_CYCLE_3) | instskip(NEXT) | instid1(SALU_CYCLE_1)
	s_mul_u64 s[20:21], s[16:17], s[14:15]
	s_mul_hi_u32 s25, s14, s21
	s_mul_i32 s24, s14, s21
	s_mul_hi_u32 s18, s14, s20
	s_mul_i32 s22, s15, s20
	s_add_nc_u64 s[18:19], s[18:19], s[24:25]
	s_mul_hi_u32 s7, s15, s20
	s_mul_hi_u32 s33, s15, s21
	s_add_co_u32 s18, s18, s22
	s_wait_alu 0xfffe
	s_add_co_ci_u32 s22, s19, s7
	s_mul_i32 s20, s15, s21
	s_add_co_ci_u32 s21, s33, 0
	s_delay_alu instid0(SALU_CYCLE_1)
	s_add_nc_u64 s[18:19], s[22:23], s[20:21]
	s_mov_b32 s21, s6
	s_add_co_u32 s14, s14, s18
	s_cselect_b32 s7, -1, 0
	s_wait_alu 0xfffe
	s_cmp_lg_u32 s7, 0
	s_add_co_ci_u32 s15, s15, s19
	s_mov_b32 s19, s6
	s_mul_u64 s[16:17], s[16:17], s[14:15]
	s_delay_alu instid0(SALU_CYCLE_1)
	s_mul_hi_u32 s23, s14, s17
	s_mul_i32 s22, s14, s17
	s_mul_hi_u32 s18, s14, s16
	s_mul_i32 s20, s15, s16
	s_add_nc_u64 s[18:19], s[18:19], s[22:23]
	s_mul_hi_u32 s7, s15, s16
	s_mul_hi_u32 s24, s15, s17
	s_mul_i32 s16, s15, s17
	s_add_co_u32 s17, s18, s20
	s_wait_alu 0xfffe
	s_add_co_ci_u32 s20, s19, s7
	s_add_co_ci_u32 s17, s24, 0
	s_mov_b32 s19, s6
	s_add_nc_u64 s[16:17], s[20:21], s[16:17]
	s_delay_alu instid0(SALU_CYCLE_1)
	s_add_co_u32 s7, s14, s16
	s_cselect_b32 s14, -1, 0
	s_wait_alu 0xfffe
	s_mul_hi_u32 s18, s10, s7
	s_cmp_lg_u32 s14, 0
	s_mul_hi_u32 s20, s11, s7
	s_add_co_ci_u32 s16, s15, s17
	s_mul_i32 s7, s11, s7
	s_mul_hi_u32 s15, s10, s16
	s_mul_i32 s14, s10, s16
	s_mul_hi_u32 s17, s11, s16
	s_add_nc_u64 s[14:15], s[18:19], s[14:15]
	s_mul_i32 s16, s11, s16
	s_wait_alu 0xfffe
	s_add_co_u32 s7, s14, s7
	s_add_co_ci_u32 s20, s15, s20
	s_add_co_ci_u32 s17, s17, 0
	s_delay_alu instid0(SALU_CYCLE_1) | instskip(NEXT) | instid1(SALU_CYCLE_1)
	s_add_nc_u64 s[14:15], s[20:21], s[16:17]
	s_mul_u64 s[16:17], s[12:13], s[14:15]
	s_delay_alu instid0(SALU_CYCLE_1)
	s_sub_co_u32 s7, s10, s16
	s_cselect_b32 s16, -1, 0
	s_sub_co_i32 s18, s11, s17
	s_cmp_lg_u32 s16, 0
	s_sub_co_ci_u32 s18, s18, s13
	s_wait_alu 0xfffe
	s_sub_co_u32 s19, s7, s12
	s_cselect_b32 s20, -1, 0
	s_delay_alu instid0(SALU_CYCLE_1) | instskip(SKIP_1) | instid1(SALU_CYCLE_1)
	s_cmp_lg_u32 s20, 0
	s_sub_co_ci_u32 s18, s18, 0
	s_cmp_ge_u32 s18, s13
	s_cselect_b32 s20, -1, 0
	s_cmp_ge_u32 s19, s12
	s_cselect_b32 s21, -1, 0
	s_cmp_eq_u32 s18, s13
	s_add_nc_u64 s[18:19], s[14:15], 1
	s_cselect_b32 s22, s21, s20
	s_add_nc_u64 s[20:21], s[14:15], 2
	s_cmp_lg_u32 s22, 0
	s_cselect_b32 s18, s20, s18
	s_cselect_b32 s19, s21, s19
	s_cmp_lg_u32 s16, 0
	s_sub_co_ci_u32 s16, s11, s17
	s_delay_alu instid0(SALU_CYCLE_1)
	s_cmp_ge_u32 s16, s13
	s_cselect_b32 s17, -1, 0
	s_cmp_ge_u32 s7, s12
	s_cselect_b32 s7, -1, 0
	s_cmp_eq_u32 s16, s13
	s_wait_alu 0xfffe
	s_cselect_b32 s7, s7, s17
	s_wait_alu 0xfffe
	s_cmp_lg_u32 s7, 0
	s_mov_b32 s7, 0
	s_cselect_b32 s37, s19, s15
	s_cselect_b32 s36, s18, s14
.LBB87_5:                               ;   in Loop: Header=BB87_3 Depth=1
	s_wait_alu 0xfffe
	s_and_not1_b32 vcc_lo, exec_lo, s7
	s_cbranch_vccnz .LBB87_7
; %bb.6:                                ;   in Loop: Header=BB87_3 Depth=1
	v_cvt_f32_u32_e32 v1, s12
	s_sub_co_i32 s14, 0, s12
	s_mov_b32 s37, s6
	s_delay_alu instid0(VALU_DEP_1) | instskip(NEXT) | instid1(TRANS32_DEP_1)
	v_rcp_iflag_f32_e32 v1, v1
	v_mul_f32_e32 v1, 0x4f7ffffe, v1
	s_delay_alu instid0(VALU_DEP_1) | instskip(NEXT) | instid1(VALU_DEP_1)
	v_cvt_u32_f32_e32 v1, v1
	v_readfirstlane_b32 s7, v1
	s_mul_i32 s14, s14, s7
	s_delay_alu instid0(SALU_CYCLE_1) | instskip(NEXT) | instid1(SALU_CYCLE_1)
	s_mul_hi_u32 s14, s7, s14
	s_add_co_i32 s7, s7, s14
	s_wait_alu 0xfffe
	s_mul_hi_u32 s7, s10, s7
	s_wait_alu 0xfffe
	s_mul_i32 s14, s7, s12
	s_add_co_i32 s15, s7, 1
	s_sub_co_i32 s14, s10, s14
	s_delay_alu instid0(SALU_CYCLE_1)
	s_sub_co_i32 s16, s14, s12
	s_cmp_ge_u32 s14, s12
	s_cselect_b32 s7, s15, s7
	s_cselect_b32 s14, s16, s14
	s_wait_alu 0xfffe
	s_add_co_i32 s15, s7, 1
	s_cmp_ge_u32 s14, s12
	s_cselect_b32 s36, s15, s7
.LBB87_7:                               ;   in Loop: Header=BB87_3 Depth=1
	s_load_b64 s[14:15], s[8:9], 0xc8
	s_mul_u64 s[12:13], s[36:37], s[12:13]
	s_add_co_i32 s5, s5, -1
	s_wait_alu 0xfffe
	s_sub_nc_u64 s[10:11], s[10:11], s[12:13]
	s_cmp_gt_u32 s5, 2
	s_add_nc_u64 s[8:9], s[8:9], -8
	s_wait_kmcnt 0x0
	s_mul_u64 s[10:11], s[14:15], s[10:11]
	s_delay_alu instid0(SALU_CYCLE_1)
	s_add_nc_u64 s[26:27], s[10:11], s[26:27]
	s_cbranch_scc0 .LBB87_9
; %bb.8:                                ;   in Loop: Header=BB87_3 Depth=1
	s_mov_b64 s[10:11], s[36:37]
	s_branch .LBB87_3
.LBB87_9:
	s_load_b32 s5, s[0:1], 0x338
	s_add_nc_u64 s[6:7], s[0:1], 0x500
	s_add_nc_u64 s[8:9], s[0:1], 0x1a0
	s_mov_b64 s[34:35], 0
	s_mov_b64 s[38:39], s[2:3]
	s_wait_kmcnt 0x0
	s_cmp_lt_i32 s5, 2
	s_cbranch_scc1 .LBB87_17
; %bb.10:
	s_mov_b32 s10, 0
	s_add_co_i32 s12, s5, -1
	s_mov_b32 s13, s10
	s_add_co_i32 s5, s5, 1
	s_wait_alu 0xfffe
	s_lshl_b64 s[12:13], s[12:13], 3
	s_mov_b64 s[14:15], s[2:3]
	s_wait_alu 0xfffe
	s_add_nc_u64 s[12:13], s[8:9], s[12:13]
	s_wait_alu 0xfffe
	s_add_nc_u64 s[12:13], s[12:13], 8
.LBB87_11:                              ; =>This Inner Loop Header: Depth=1
	s_load_b64 s[16:17], s[12:13], 0x0
                                        ; implicit-def: $sgpr38_sgpr39
	s_wait_kmcnt 0x0
	s_or_b64 s[18:19], s[14:15], s[16:17]
	s_delay_alu instid0(SALU_CYCLE_1)
	s_mov_b32 s11, s19
	s_wait_alu 0xfffe
	s_cmp_lg_u64 s[10:11], 0
	s_mov_b32 s11, -1
	s_cbranch_scc0 .LBB87_13
; %bb.12:                               ;   in Loop: Header=BB87_11 Depth=1
	s_cvt_f32_u32 s11, s16
	s_cvt_f32_u32 s18, s17
	s_sub_nc_u64 s[20:21], 0, s[16:17]
	s_mov_b32 s23, s10
	s_mov_b32 s39, s10
	s_wait_alu 0xfffe
	s_fmamk_f32 s11, s18, 0x4f800000, s11
	s_wait_alu 0xfffe
	s_delay_alu instid0(SALU_CYCLE_2) | instskip(NEXT) | instid1(TRANS32_DEP_1)
	v_s_rcp_f32 s11, s11
	s_mul_f32 s11, s11, 0x5f7ffffc
	s_wait_alu 0xfffe
	s_delay_alu instid0(SALU_CYCLE_2) | instskip(NEXT) | instid1(SALU_CYCLE_3)
	s_mul_f32 s18, s11, 0x2f800000
	s_trunc_f32 s18, s18
	s_delay_alu instid0(SALU_CYCLE_3) | instskip(SKIP_2) | instid1(SALU_CYCLE_1)
	s_fmamk_f32 s11, s18, 0xcf800000, s11
	s_cvt_u32_f32 s19, s18
	s_wait_alu 0xfffe
	s_cvt_u32_f32 s18, s11
	s_delay_alu instid0(SALU_CYCLE_3) | instskip(NEXT) | instid1(SALU_CYCLE_1)
	s_mul_u64 s[24:25], s[20:21], s[18:19]
	s_mul_hi_u32 s41, s18, s25
	s_mul_i32 s40, s18, s25
	s_mul_hi_u32 s22, s18, s24
	s_mul_i32 s33, s19, s24
	s_add_nc_u64 s[22:23], s[22:23], s[40:41]
	s_mul_hi_u32 s11, s19, s24
	s_mul_hi_u32 s42, s19, s25
	s_add_co_u32 s22, s22, s33
	s_wait_alu 0xfffe
	s_add_co_ci_u32 s38, s23, s11
	s_mul_i32 s24, s19, s25
	s_add_co_ci_u32 s25, s42, 0
	s_delay_alu instid0(SALU_CYCLE_1)
	s_add_nc_u64 s[22:23], s[38:39], s[24:25]
	s_mov_b32 s25, s10
	s_add_co_u32 s18, s18, s22
	s_cselect_b32 s11, -1, 0
	s_wait_alu 0xfffe
	s_cmp_lg_u32 s11, 0
	s_add_co_ci_u32 s19, s19, s23
	s_mov_b32 s23, s10
	s_mul_u64 s[20:21], s[20:21], s[18:19]
	s_delay_alu instid0(SALU_CYCLE_1)
	s_mul_hi_u32 s39, s18, s21
	s_mul_i32 s38, s18, s21
	s_mul_hi_u32 s22, s18, s20
	s_mul_i32 s24, s19, s20
	s_add_nc_u64 s[22:23], s[22:23], s[38:39]
	s_mul_hi_u32 s11, s19, s20
	s_mul_hi_u32 s33, s19, s21
	s_mul_i32 s20, s19, s21
	s_add_co_u32 s21, s22, s24
	s_wait_alu 0xfffe
	s_add_co_ci_u32 s24, s23, s11
	s_add_co_ci_u32 s21, s33, 0
	s_mov_b32 s23, s10
	s_add_nc_u64 s[20:21], s[24:25], s[20:21]
	s_delay_alu instid0(SALU_CYCLE_1)
	s_add_co_u32 s11, s18, s20
	s_cselect_b32 s18, -1, 0
	s_wait_alu 0xfffe
	s_mul_hi_u32 s22, s14, s11
	s_cmp_lg_u32 s18, 0
	s_mul_hi_u32 s24, s15, s11
	s_add_co_ci_u32 s20, s19, s21
	s_mul_i32 s11, s15, s11
	s_mul_hi_u32 s19, s14, s20
	s_mul_i32 s18, s14, s20
	s_mul_hi_u32 s21, s15, s20
	s_add_nc_u64 s[18:19], s[22:23], s[18:19]
	s_mul_i32 s20, s15, s20
	s_wait_alu 0xfffe
	s_add_co_u32 s11, s18, s11
	s_add_co_ci_u32 s24, s19, s24
	s_add_co_ci_u32 s21, s21, 0
	s_delay_alu instid0(SALU_CYCLE_1) | instskip(NEXT) | instid1(SALU_CYCLE_1)
	s_add_nc_u64 s[18:19], s[24:25], s[20:21]
	s_mul_u64 s[20:21], s[16:17], s[18:19]
	s_delay_alu instid0(SALU_CYCLE_1)
	s_sub_co_u32 s11, s14, s20
	s_cselect_b32 s20, -1, 0
	s_sub_co_i32 s22, s15, s21
	s_cmp_lg_u32 s20, 0
	s_sub_co_ci_u32 s22, s22, s17
	s_wait_alu 0xfffe
	s_sub_co_u32 s23, s11, s16
	s_cselect_b32 s24, -1, 0
	s_delay_alu instid0(SALU_CYCLE_1) | instskip(SKIP_1) | instid1(SALU_CYCLE_1)
	s_cmp_lg_u32 s24, 0
	s_sub_co_ci_u32 s22, s22, 0
	s_cmp_ge_u32 s22, s17
	s_cselect_b32 s24, -1, 0
	s_cmp_ge_u32 s23, s16
	s_cselect_b32 s25, -1, 0
	s_cmp_eq_u32 s22, s17
	s_add_nc_u64 s[22:23], s[18:19], 1
	s_cselect_b32 s33, s25, s24
	s_add_nc_u64 s[24:25], s[18:19], 2
	s_cmp_lg_u32 s33, 0
	s_cselect_b32 s22, s24, s22
	s_cselect_b32 s23, s25, s23
	s_cmp_lg_u32 s20, 0
	s_sub_co_ci_u32 s20, s15, s21
	s_delay_alu instid0(SALU_CYCLE_1)
	s_cmp_ge_u32 s20, s17
	s_cselect_b32 s21, -1, 0
	s_cmp_ge_u32 s11, s16
	s_cselect_b32 s11, -1, 0
	s_cmp_eq_u32 s20, s17
	s_wait_alu 0xfffe
	s_cselect_b32 s11, s11, s21
	s_wait_alu 0xfffe
	s_cmp_lg_u32 s11, 0
	s_mov_b32 s11, 0
	s_cselect_b32 s39, s23, s19
	s_cselect_b32 s38, s22, s18
.LBB87_13:                              ;   in Loop: Header=BB87_11 Depth=1
	s_wait_alu 0xfffe
	s_and_not1_b32 vcc_lo, exec_lo, s11
	s_cbranch_vccnz .LBB87_15
; %bb.14:                               ;   in Loop: Header=BB87_11 Depth=1
	v_cvt_f32_u32_e32 v1, s16
	s_sub_co_i32 s18, 0, s16
	s_mov_b32 s39, s10
	s_delay_alu instid0(VALU_DEP_1) | instskip(NEXT) | instid1(TRANS32_DEP_1)
	v_rcp_iflag_f32_e32 v1, v1
	v_mul_f32_e32 v1, 0x4f7ffffe, v1
	s_delay_alu instid0(VALU_DEP_1) | instskip(NEXT) | instid1(VALU_DEP_1)
	v_cvt_u32_f32_e32 v1, v1
	v_readfirstlane_b32 s11, v1
	s_mul_i32 s18, s18, s11
	s_delay_alu instid0(SALU_CYCLE_1) | instskip(NEXT) | instid1(SALU_CYCLE_1)
	s_mul_hi_u32 s18, s11, s18
	s_add_co_i32 s11, s11, s18
	s_wait_alu 0xfffe
	s_mul_hi_u32 s11, s14, s11
	s_wait_alu 0xfffe
	s_mul_i32 s18, s11, s16
	s_add_co_i32 s19, s11, 1
	s_sub_co_i32 s18, s14, s18
	s_delay_alu instid0(SALU_CYCLE_1)
	s_sub_co_i32 s20, s18, s16
	s_cmp_ge_u32 s18, s16
	s_cselect_b32 s11, s19, s11
	s_cselect_b32 s18, s20, s18
	s_wait_alu 0xfffe
	s_add_co_i32 s19, s11, 1
	s_cmp_ge_u32 s18, s16
	s_cselect_b32 s38, s19, s11
.LBB87_15:                              ;   in Loop: Header=BB87_11 Depth=1
	s_load_b64 s[18:19], s[12:13], 0xc8
	s_mul_u64 s[16:17], s[38:39], s[16:17]
	s_add_co_i32 s5, s5, -1
	s_wait_alu 0xfffe
	s_sub_nc_u64 s[14:15], s[14:15], s[16:17]
	s_cmp_gt_u32 s5, 2
	s_add_nc_u64 s[12:13], s[12:13], -8
	s_wait_kmcnt 0x0
	s_mul_u64 s[14:15], s[18:19], s[14:15]
	s_delay_alu instid0(SALU_CYCLE_1)
	s_add_nc_u64 s[34:35], s[14:15], s[34:35]
	s_cbranch_scc0 .LBB87_17
; %bb.16:                               ;   in Loop: Header=BB87_11 Depth=1
	s_mov_b64 s[14:15], s[38:39]
	s_branch .LBB87_11
.LBB87_17:
	s_clause 0x1
	s_load_b64 s[40:41], s[0:1], 0xd0
	s_load_b32 s5, s[0:1], 0x4d8
	s_mov_b64 s[10:11], 0
	s_wait_kmcnt 0x0
	s_cmp_lt_i32 s5, 2
	s_cbranch_scc1 .LBB87_25
; %bb.18:
	s_mov_b32 s12, 0
	s_add_co_i32 s10, s5, -1
	s_wait_alu 0xfffe
	s_mov_b32 s11, s12
	s_add_nc_u64 s[14:15], s[0:1], 0x340
	s_wait_alu 0xfffe
	s_lshl_b64 s[10:11], s[10:11], 3
	s_add_co_i32 s5, s5, 1
	s_wait_alu 0xfffe
	s_add_nc_u64 s[10:11], s[14:15], s[10:11]
	s_wait_alu 0xfffe
	s_add_nc_u64 s[14:15], s[10:11], 8
	s_mov_b64 s[10:11], 0
.LBB87_19:                              ; =>This Inner Loop Header: Depth=1
	s_load_b64 s[16:17], s[14:15], 0x0
	s_wait_kmcnt 0x0
	s_or_b64 s[18:19], s[2:3], s[16:17]
	s_delay_alu instid0(SALU_CYCLE_1)
	s_mov_b32 s13, s19
                                        ; implicit-def: $sgpr18_sgpr19
	s_wait_alu 0xfffe
	s_cmp_lg_u64 s[12:13], 0
	s_mov_b32 s13, -1
	s_cbranch_scc0 .LBB87_21
; %bb.20:                               ;   in Loop: Header=BB87_19 Depth=1
	s_cvt_f32_u32 s13, s16
	s_cvt_f32_u32 s18, s17
	s_sub_nc_u64 s[20:21], 0, s[16:17]
	s_mov_b32 s23, s12
	s_mov_b32 s43, s12
	s_wait_alu 0xfffe
	s_fmamk_f32 s13, s18, 0x4f800000, s13
	s_wait_alu 0xfffe
	s_delay_alu instid0(SALU_CYCLE_2) | instskip(NEXT) | instid1(TRANS32_DEP_1)
	v_s_rcp_f32 s13, s13
	s_mul_f32 s13, s13, 0x5f7ffffc
	s_wait_alu 0xfffe
	s_delay_alu instid0(SALU_CYCLE_2) | instskip(NEXT) | instid1(SALU_CYCLE_3)
	s_mul_f32 s18, s13, 0x2f800000
	s_trunc_f32 s18, s18
	s_delay_alu instid0(SALU_CYCLE_3) | instskip(SKIP_2) | instid1(SALU_CYCLE_1)
	s_fmamk_f32 s13, s18, 0xcf800000, s13
	s_cvt_u32_f32 s19, s18
	s_wait_alu 0xfffe
	s_cvt_u32_f32 s18, s13
	s_delay_alu instid0(SALU_CYCLE_3) | instskip(NEXT) | instid1(SALU_CYCLE_1)
	s_mul_u64 s[24:25], s[20:21], s[18:19]
	s_mul_hi_u32 s45, s18, s25
	s_mul_i32 s44, s18, s25
	s_mul_hi_u32 s22, s18, s24
	s_mul_i32 s33, s19, s24
	s_add_nc_u64 s[22:23], s[22:23], s[44:45]
	s_mul_hi_u32 s13, s19, s24
	s_mul_hi_u32 s46, s19, s25
	s_add_co_u32 s22, s22, s33
	s_wait_alu 0xfffe
	s_add_co_ci_u32 s42, s23, s13
	s_mul_i32 s24, s19, s25
	s_add_co_ci_u32 s25, s46, 0
	s_delay_alu instid0(SALU_CYCLE_1)
	s_add_nc_u64 s[22:23], s[42:43], s[24:25]
	s_mov_b32 s25, s12
	s_add_co_u32 s18, s18, s22
	s_cselect_b32 s13, -1, 0
	s_wait_alu 0xfffe
	s_cmp_lg_u32 s13, 0
	s_add_co_ci_u32 s19, s19, s23
	s_mov_b32 s23, s12
	s_mul_u64 s[20:21], s[20:21], s[18:19]
	s_delay_alu instid0(SALU_CYCLE_1)
	s_mul_hi_u32 s43, s18, s21
	s_mul_i32 s42, s18, s21
	s_mul_hi_u32 s22, s18, s20
	s_mul_i32 s24, s19, s20
	s_add_nc_u64 s[22:23], s[22:23], s[42:43]
	s_mul_hi_u32 s13, s19, s20
	s_mul_hi_u32 s33, s19, s21
	s_mul_i32 s20, s19, s21
	s_add_co_u32 s21, s22, s24
	s_wait_alu 0xfffe
	s_add_co_ci_u32 s24, s23, s13
	s_add_co_ci_u32 s21, s33, 0
	s_mov_b32 s23, s12
	s_add_nc_u64 s[20:21], s[24:25], s[20:21]
	s_delay_alu instid0(SALU_CYCLE_1)
	s_add_co_u32 s13, s18, s20
	s_cselect_b32 s18, -1, 0
	s_wait_alu 0xfffe
	s_mul_hi_u32 s22, s2, s13
	s_cmp_lg_u32 s18, 0
	s_mul_hi_u32 s24, s3, s13
	s_add_co_ci_u32 s20, s19, s21
	s_mul_i32 s13, s3, s13
	s_mul_hi_u32 s19, s2, s20
	s_mul_i32 s18, s2, s20
	s_mul_hi_u32 s21, s3, s20
	s_add_nc_u64 s[18:19], s[22:23], s[18:19]
	s_mul_i32 s20, s3, s20
	s_wait_alu 0xfffe
	s_add_co_u32 s13, s18, s13
	s_add_co_ci_u32 s24, s19, s24
	s_add_co_ci_u32 s21, s21, 0
	s_delay_alu instid0(SALU_CYCLE_1) | instskip(NEXT) | instid1(SALU_CYCLE_1)
	s_add_nc_u64 s[18:19], s[24:25], s[20:21]
	s_mul_u64 s[20:21], s[16:17], s[18:19]
	s_delay_alu instid0(SALU_CYCLE_1)
	s_sub_co_u32 s13, s2, s20
	s_cselect_b32 s20, -1, 0
	s_sub_co_i32 s22, s3, s21
	s_cmp_lg_u32 s20, 0
	s_sub_co_ci_u32 s22, s22, s17
	s_wait_alu 0xfffe
	s_sub_co_u32 s23, s13, s16
	s_cselect_b32 s24, -1, 0
	s_delay_alu instid0(SALU_CYCLE_1) | instskip(SKIP_1) | instid1(SALU_CYCLE_1)
	s_cmp_lg_u32 s24, 0
	s_sub_co_ci_u32 s22, s22, 0
	s_cmp_ge_u32 s22, s17
	s_cselect_b32 s24, -1, 0
	s_cmp_ge_u32 s23, s16
	s_cselect_b32 s25, -1, 0
	s_cmp_eq_u32 s22, s17
	s_add_nc_u64 s[22:23], s[18:19], 1
	s_cselect_b32 s33, s25, s24
	s_add_nc_u64 s[24:25], s[18:19], 2
	s_cmp_lg_u32 s33, 0
	s_cselect_b32 s22, s24, s22
	s_cselect_b32 s23, s25, s23
	s_cmp_lg_u32 s20, 0
	s_sub_co_ci_u32 s20, s3, s21
	s_delay_alu instid0(SALU_CYCLE_1)
	s_cmp_ge_u32 s20, s17
	s_cselect_b32 s21, -1, 0
	s_cmp_ge_u32 s13, s16
	s_cselect_b32 s13, -1, 0
	s_cmp_eq_u32 s20, s17
	s_wait_alu 0xfffe
	s_cselect_b32 s13, s13, s21
	s_wait_alu 0xfffe
	s_cmp_lg_u32 s13, 0
	s_mov_b32 s13, 0
	s_cselect_b32 s19, s23, s19
	s_cselect_b32 s18, s22, s18
.LBB87_21:                              ;   in Loop: Header=BB87_19 Depth=1
	s_wait_alu 0xfffe
	s_and_not1_b32 vcc_lo, exec_lo, s13
	s_cbranch_vccnz .LBB87_23
; %bb.22:                               ;   in Loop: Header=BB87_19 Depth=1
	v_cvt_f32_u32_e32 v1, s16
	s_sub_co_i32 s18, 0, s16
	s_delay_alu instid0(VALU_DEP_1) | instskip(NEXT) | instid1(TRANS32_DEP_1)
	v_rcp_iflag_f32_e32 v1, v1
	v_mul_f32_e32 v1, 0x4f7ffffe, v1
	s_delay_alu instid0(VALU_DEP_1) | instskip(NEXT) | instid1(VALU_DEP_1)
	v_cvt_u32_f32_e32 v1, v1
	v_readfirstlane_b32 s13, v1
	s_mul_i32 s18, s18, s13
	s_delay_alu instid0(SALU_CYCLE_1) | instskip(NEXT) | instid1(SALU_CYCLE_1)
	s_mul_hi_u32 s18, s13, s18
	s_add_co_i32 s13, s13, s18
	s_wait_alu 0xfffe
	s_mul_hi_u32 s13, s2, s13
	s_wait_alu 0xfffe
	s_mul_i32 s18, s13, s16
	s_add_co_i32 s19, s13, 1
	s_sub_co_i32 s18, s2, s18
	s_delay_alu instid0(SALU_CYCLE_1)
	s_sub_co_i32 s20, s18, s16
	s_cmp_ge_u32 s18, s16
	s_cselect_b32 s13, s19, s13
	s_cselect_b32 s18, s20, s18
	s_wait_alu 0xfffe
	s_add_co_i32 s19, s13, 1
	s_cmp_ge_u32 s18, s16
	s_cselect_b32 s18, s19, s13
	s_mov_b32 s19, s12
.LBB87_23:                              ;   in Loop: Header=BB87_19 Depth=1
	s_load_b64 s[20:21], s[14:15], 0xc8
	s_mul_u64 s[16:17], s[18:19], s[16:17]
	s_add_co_i32 s5, s5, -1
	s_wait_alu 0xfffe
	s_sub_nc_u64 s[2:3], s[2:3], s[16:17]
	s_cmp_gt_u32 s5, 2
	s_add_nc_u64 s[14:15], s[14:15], -8
	s_wait_kmcnt 0x0
	s_wait_alu 0xfffe
	s_mul_u64 s[2:3], s[20:21], s[2:3]
	s_wait_alu 0xfffe
	s_add_nc_u64 s[10:11], s[2:3], s[10:11]
	s_cbranch_scc0 .LBB87_26
; %bb.24:                               ;   in Loop: Header=BB87_19 Depth=1
	s_mov_b64 s[2:3], s[18:19]
	s_branch .LBB87_19
.LBB87_25:
	s_mov_b64 s[18:19], s[2:3]
.LBB87_26:
	s_load_b64 s[42:43], s[8:9], 0xd0
	v_cmp_eq_u32_e64 s2, 0, v0
	s_and_saveexec_b32 s3, s2
; %bb.27:
	v_mov_b32_e32 v1, 0
	s_delay_alu instid0(VALU_DEP_1)
	v_mov_b32_e32 v2, v1
	ds_store_b64 v1, v[1:2] offset:5136
; %bb.28:
	s_wait_alu 0xfffe
	s_or_b32 exec_lo, exec_lo, s3
	v_dual_mov_b32 v1, 0 :: v_dual_mov_b32 v28, s28
	s_wait_dscnt 0x0
	s_barrier_signal -1
	s_barrier_wait -1
	global_inv scope:SCOPE_SE
	s_wait_loadcnt 0x0
	s_barrier_signal -1
	s_barrier_wait -1
	global_inv scope:SCOPE_SE
	ds_load_b64 v[1:2], v1 offset:5136
	s_load_b32 s3, s[0:1], 0x4f8
	v_mov_b32_e32 v29, s29
	s_wait_dscnt 0x0
	v_cmp_gt_i64_e32 vcc_lo, 1, v[1:2]
	s_wait_kmcnt 0x0
	s_bitcmp1_b32 s3, 0
	s_cselect_b32 s3, -1, 0
	s_wait_alu 0xfffe
	s_or_b32 s3, s3, vcc_lo
	s_wait_alu 0xfffe
	s_and_not1_b32 vcc_lo, exec_lo, s3
	s_cbranch_vccnz .LBB87_30
; %bb.29:
	v_not_b32_e32 v1, v1
	v_not_b32_e32 v2, v2
	s_delay_alu instid0(VALU_DEP_2) | instskip(NEXT) | instid1(VALU_DEP_1)
	v_add_co_u32 v1, vcc_lo, s28, v1
	v_add_co_ci_u32_e64 v2, null, s29, v2, vcc_lo
	s_delay_alu instid0(VALU_DEP_1) | instskip(NEXT) | instid1(VALU_DEP_1)
	v_lshrrev_b64 v[1:2], 1, v[1:2]
	v_add_co_u32 v28, vcc_lo, v1, 1
	s_wait_alu 0xfffd
	s_delay_alu instid0(VALU_DEP_2)
	v_add_co_ci_u32_e64 v29, null, 0, v2, vcc_lo
.LBB87_30:
	s_clause 0x1
	s_load_b64 s[12:13], s[0:1], 0x410
	s_load_b64 s[8:9], s[0:1], 0x340
	s_and_saveexec_b32 s3, s2
	s_cbranch_execz .LBB87_32
; %bb.31:
	v_dual_mov_b32 v1, 0 :: v_dual_mov_b32 v4, s29
	s_delay_alu instid0(VALU_DEP_1)
	v_dual_mov_b32 v3, s28 :: v_dual_mov_b32 v2, v1
	ds_store_b32 v1, v1 offset:5144
	ds_store_b128 v1, v[1:4] offset:5120
.LBB87_32:
	s_wait_alu 0xfffe
	s_or_b32 exec_lo, exec_lo, s3
	v_mad_co_u64_u32 v[4:5], null, s30, v0, 0
	v_mov_b32_e32 v3, 0
	v_mbcnt_lo_u32_b32 v34, -1, 0
	s_wait_kmcnt 0x0
	s_mul_u64 s[12:13], s[12:13], s[18:19]
	v_cmp_gt_u32_e32 vcc_lo, 32, v0
	s_clause 0x1
	s_load_b64 s[48:49], s[0:1], 0x0
	s_load_b64 s[44:45], s[0:1], 0x1a0
	s_add_nc_u64 s[0:1], s[8:9], s[12:13]
	v_mov_b32_e32 v2, v5
	v_cmp_gt_i32_e64 s3, 4, v34
	v_mov_b32_e32 v1, v3
	s_add_nc_u64 s[50:51], s[0:1], s[10:11]
	s_wait_loadcnt_dscnt 0x0
	v_mad_co_u64_u32 v[6:7], null, s31, v0, v[2:3]
	v_add_nc_u32_e32 v2, 2, v0
	s_and_b32 s33, vcc_lo, s3
	v_add_co_u32 v14, vcc_lo, s50, v4
	v_lshlrev_b64_e64 v[7:8], v34, -1
	s_barrier_signal -1
	s_wait_alu 0xfffd
	s_delay_alu instid0(VALU_DEP_4)
	v_add_co_ci_u32_e64 v15, null, s51, v6, vcc_lo
	v_cmp_gt_u64_e32 vcc_lo, s[28:29], v[2:3]
	v_dual_mov_b32 v5, v6 :: v_dual_lshlrev_b32 v16, 2, v0
	v_not_b32_e32 v35, v7
	v_not_b32_e32 v7, v0
	s_barrier_wait -1
	s_wait_alu 0xfffd
	v_cndmask_b32_e64 v2, v2, s28, vcc_lo
	global_inv scope:SCOPE_SE
	s_load_b32 s5, s[6:7], 0xc
	v_cndmask_b32_e64 v8, 0, s29, vcc_lo
	v_or_b32_e32 v9, 3, v16
	v_add_co_u32 v7, vcc_lo, v2, v7
	v_mov_b32_e32 v17, v3
	s_wait_alu 0xfffd
	v_add_co_ci_u32_e64 v8, null, -1, v8, vcc_lo
	s_delay_alu instid0(VALU_DEP_3) | instskip(SKIP_2) | instid1(VALU_DEP_4)
	v_and_b32_e32 v18, -4, v7
	v_mad_co_u64_u32 v[21:22], null, s30, v9, 0
	v_or_b32_e32 v11, 2, v16
	v_mov_b32_e32 v19, v8
	s_delay_alu instid0(VALU_DEP_4)
	v_add_co_u32 v20, vcc_lo, v18, v0
	s_wait_alu 0xfffd
	v_add_co_ci_u32_e64 v2, null, 0, v8, vcc_lo
	v_mad_co_u64_u32 v[23:24], null, s30, v11, 0
	v_mad_co_u64_u32 v[25:26], null, s30, v16, s[30:31]
	v_mov_b32_e32 v2, v22
	s_wait_kmcnt 0x0
	s_and_b32 s46, s5, 0xffff
	s_bfe_u32 s14, s5, 0xb0005
	s_cmp_gt_u32 s46, 31
	s_movk_i32 s5, 0x3e0
	v_mad_co_u64_u32 v[9:10], null, s31, v9, v[2:3]
	s_cselect_b32 s81, -1, 0
	v_and_or_b32 v36, v0, s5, 0xc00
	s_cmp_lt_u32 ttmp9, s4
	v_cmp_lt_u64_e64 s4, 3, v[7:8]
	v_cmp_ne_u64_e64 s5, v[7:8], v[18:19]
	v_dual_mov_b32 v7, v24 :: v_dual_mov_b32 v8, v26
	s_cselect_b32 s54, 12, 18
	s_add_co_i32 s15, s14, -1
	s_add_nc_u64 s[10:11], s[10:11], s[12:13]
	s_and_b32 s15, s15, 0xffff
	v_mad_co_u64_u32 v[10:11], null, s31, v11, v[7:8]
	v_mad_co_u64_u32 v[7:8], null, s31, v16, v[8:9]
	s_wait_alu 0xfffe
	s_add_nc_u64 s[60:61], s[8:9], s[10:11]
	s_mov_b32 s55, 0
	s_bfe_u32 s88, s46, 0x30005
	v_mul_lo_u32 v40, 0, s30
	s_cmp_gt_u32 s15, 6
	v_add_co_u32 v12, vcc_lo, s60, v4
	v_cmp_gt_u64_e64 s0, s[28:29], v[0:1]
	v_cmp_lt_u64_e64 s80, 0xc00, s[28:29]
	s_mov_b32 s47, s55
	v_lshlrev_b64_e32 v[26:27], 2, v[4:5]
	v_cmp_eq_u32_e64 s1, 0, v34
	v_cmp_gt_u32_e64 s3, 2, v0
	s_cselect_b32 s89, -1, 0
	s_and_b32 s90, s14, 0x7f8
	v_dual_mov_b32 v24, v9 :: v_dual_mov_b32 v37, v10
	v_dual_mov_b32 v38, v7 :: v_dual_mov_b32 v41, 0
	v_lshl_or_b32 v39, v34, 3, 0xc00
	s_wait_alu 0xfffd
	v_add_co_ci_u32_e64 v13, null, s61, v6, vcc_lo
	v_mov_b32_e32 v42, 0
	v_mov_b32_e32 v22, 0
	s_add_nc_u64 s[56:57], s[46:47], -1
	s_cmp_lg_u32 s88, 0
	s_add_nc_u64 s[58:59], s[56:57], s[28:29]
	s_mov_b32 s82, s30
	s_mov_b32 s83, s31
	s_mov_b32 s84, s30
	s_mov_b32 s85, s31
	s_mov_b32 s86, s30
	s_mov_b32 s87, s31
	s_mov_b32 s91, 6
	s_cselect_b32 s92, -1, 0
	s_lshl_b64 s[62:63], s[30:31], 2
	s_mul_u64 s[52:53], s[30:31], s[46:47]
	s_mov_b32 s93, 0x4f800000
	s_add_nc_u64 s[64:65], s[6:7], s[54:55]
	s_mov_b32 s94, 0
	s_mov_b32 s95, 0
                                        ; implicit-def: $sgpr99
                                        ; implicit-def: $sgpr101
                                        ; implicit-def: $sgpr96
                                        ; implicit-def: $sgpr98
                                        ; implicit-def: $sgpr100
                                        ; implicit-def: $sgpr97
	s_branch .LBB87_36
.LBB87_33:                              ;   in Loop: Header=BB87_36 Depth=1
	s_wait_alu 0xfffe
	s_or_b32 exec_lo, exec_lo, s9
	s_delay_alu instid0(SALU_CYCLE_1)
	s_and_b32 s7, s7, exec_lo
	s_and_not1_b32 s22, s22, exec_lo
	s_and_not1_b32 s21, s21, exec_lo
	s_or_not1_b32 s18, s8, exec_lo
.LBB87_34:                              ;   in Loop: Header=BB87_36 Depth=1
	s_wait_alu 0xfffe
	s_or_b32 exec_lo, exec_lo, s6
	s_delay_alu instid0(SALU_CYCLE_1)
	s_and_not1_b32 s6, s97, exec_lo
	s_and_b32 s7, s7, exec_lo
	s_and_not1_b32 s8, s98, exec_lo
	s_wait_alu 0xfffe
	s_or_b32 s97, s6, s7
	s_and_not1_b32 s6, s100, exec_lo
	s_and_b32 s7, s22, exec_lo
	s_and_b32 s9, s21, exec_lo
	s_wait_alu 0xfffe
	s_or_b32 s100, s6, s7
	s_or_b32 s98, s8, s9
	s_or_not1_b32 s18, s18, exec_lo
.LBB87_35:                              ;   in Loop: Header=BB87_36 Depth=1
	s_wait_alu 0xfffe
	s_or_b32 exec_lo, exec_lo, s17
	s_delay_alu instid0(SALU_CYCLE_1)
	s_and_b32 s6, exec_lo, s18
	v_dual_mov_b32 v29, v9 :: v_dual_mov_b32 v28, v8
	s_wait_alu 0xfffe
	s_or_b32 s94, s6, s94
	s_and_not1_b32 s6, s96, exec_lo
	s_and_b32 s7, s97, exec_lo
	s_and_not1_b32 s8, s101, exec_lo
	s_wait_alu 0xfffe
	s_or_b32 s96, s6, s7
	s_and_b32 s6, s100, exec_lo
	s_and_not1_b32 s7, s99, exec_lo
	s_and_b32 s9, s98, exec_lo
	s_wait_alu 0xfffe
	s_or_b32 s101, s8, s6
	s_or_b32 s99, s7, s9
	s_and_not1_b32 exec_lo, exec_lo, s94
	s_cbranch_execz .LBB87_298
.LBB87_36:                              ; =>This Loop Header: Depth=1
                                        ;     Child Loop BB87_41 Depth 2
                                        ;     Child Loop BB87_55 Depth 2
	;; [unrolled: 1-line block ×17, first 2 shown]
	ds_load_b128 v[4:7], v3 offset:5120
	s_wait_dscnt 0x0
	v_readfirstlane_b32 s67, v5
	v_readfirstlane_b32 s66, v4
	s_cmp_lg_u64 s[66:67], 0
	s_cbranch_scc1 .LBB87_68
; %bb.37:                               ;   in Loop: Header=BB87_36 Depth=1
	s_and_b32 vcc_lo, exec_lo, s80
	s_wait_alu 0xfffe
	s_cbranch_vccz .LBB87_49
; %bb.38:                               ;   in Loop: Header=BB87_36 Depth=1
	v_cmp_gt_u64_e32 vcc_lo, 0xc01, v[6:7]
	s_mov_b32 s8, 0
	s_mov_b32 s6, 0
	s_cbranch_vccz .LBB87_50
; %bb.39:                               ;   in Loop: Header=BB87_36 Depth=1
	global_load_u16 v2, v3, s[64:65]
	global_load_u8 v8, v[14:15], off
	s_mov_b32 s9, 0
	s_wait_loadcnt 0x1
	v_and_b32_e32 v2, 0xffff, v2
	s_delay_alu instid0(VALU_DEP_1) | instskip(SKIP_3) | instid1(VALU_DEP_3)
	v_add_co_u32 v4, s6, v0, v2
	s_wait_alu 0xf1fe
	v_add_co_ci_u32_e64 v5, null, 0, 0, s6
	v_mul_lo_u32 v6, v2, s31
	v_mul_lo_u32 v10, s31, v4
	v_mul_hi_u32 v11, v2, s30
	s_delay_alu instid0(VALU_DEP_4) | instskip(SKIP_2) | instid1(VALU_DEP_2)
	v_mul_lo_u32 v7, s30, v5
	v_mad_co_u64_u32 v[4:5], null, s30, v4, s[60:61]
	v_add_nc_u32_e32 v6, v6, v40
	v_add3_u32 v5, v10, v5, v7
	s_delay_alu instid0(VALU_DEP_2)
	v_dual_mov_b32 v7, v1 :: v_dual_add_nc_u32 v10, v6, v11
	v_mul_lo_u32 v9, v2, s30
	v_mov_b32_e32 v6, v0
	s_branch .LBB87_41
.LBB87_40:                              ;   in Loop: Header=BB87_41 Depth=2
	s_wait_alu 0xfffe
	s_or_b32 exec_lo, exec_lo, s7
	v_add_co_u32 v4, vcc_lo, v4, v9
	s_wait_alu 0xfffd
	v_add_co_ci_u32_e64 v5, null, v5, v10, vcc_lo
	v_mov_b32_e32 v8, v11
	s_and_not1_b32 exec_lo, exec_lo, s9
	s_cbranch_execz .LBB87_165
.LBB87_41:                              ;   Parent Loop BB87_36 Depth=1
                                        ; =>  This Inner Loop Header: Depth=2
	s_delay_alu instid0(VALU_DEP_1)
	v_add_co_u32 v6, vcc_lo, v6, v2
	s_wait_alu 0xfffd
	v_add_co_ci_u32_e64 v7, null, 0, v7, vcc_lo
	s_wait_dscnt 0x0
	v_dual_mov_b32 v30, 0 :: v_dual_mov_b32 v11, 0
	s_mov_b32 s7, exec_lo
	s_delay_alu instid0(VALU_DEP_2)
	v_cmp_le_u64_e32 vcc_lo, s[28:29], v[6:7]
	v_cmpx_gt_u64_e64 s[28:29], v[6:7]
	s_cbranch_execz .LBB87_43
; %bb.42:                               ;   in Loop: Header=BB87_41 Depth=2
	global_load_u8 v11, v[4:5], off
.LBB87_43:                              ;   in Loop: Header=BB87_41 Depth=2
	s_wait_alu 0xfffe
	s_or_b32 exec_lo, exec_lo, s7
	s_wait_loadcnt 0x0
	v_bfe_i32 v31, v8, 0, 8
	s_delay_alu instid0(VALU_DEP_1) | instskip(NEXT) | instid1(VALU_DEP_1)
	v_add_nc_u32_e32 v31, 0x80, v31
	v_and_b32_e32 v31, v31, v41
	s_delay_alu instid0(VALU_DEP_1)
	v_cmp_eq_u32_e64 s6, v31, v22
	s_cmp_lg_u32 s6, 0
	s_cselect_b32 s7, -1, 0
	s_wait_alu 0xfffe
	s_and_b32 s7, s1, s7
	s_wait_alu 0xfffe
	s_and_saveexec_b32 s10, s7
	s_cbranch_execz .LBB87_47
; %bb.44:                               ;   in Loop: Header=BB87_41 Depth=2
	s_mov_b32 s13, exec_lo
	s_bcnt1_i32_b32 s11, s6
	s_wait_alu 0xfffe
	v_mbcnt_lo_u32_b32 v30, s13, 0
	s_mov_b32 s12, exec_lo
                                        ; implicit-def: $vgpr31
	s_delay_alu instid0(VALU_DEP_1)
	v_cmpx_eq_u32_e32 0, v30
; %bb.45:                               ;   in Loop: Header=BB87_41 Depth=2
	s_bcnt1_i32_b32 s7, s13
	s_wait_alu 0xfffe
	s_mul_i32 s7, s11, s7
	s_wait_alu 0xfffe
	v_mov_b32_e32 v31, s7
	ds_add_rtn_u32 v31, v3, v31 offset:5144
; %bb.46:                               ;   in Loop: Header=BB87_41 Depth=2
	s_or_b32 exec_lo, exec_lo, s12
	s_wait_dscnt 0x0
	v_readfirstlane_b32 s7, v31
	s_wait_alu 0xf1ff
	s_delay_alu instid0(VALU_DEP_1)
	v_mad_u32_u24 v30, s11, v30, s7
.LBB87_47:                              ;   in Loop: Header=BB87_41 Depth=2
	s_wait_alu 0xfffe
	s_or_b32 exec_lo, exec_lo, s10
	ds_bpermute_b32 v30, v3, v30
	s_and_b32 s7, exec_lo, vcc_lo
	s_wait_alu 0xfffe
	s_or_b32 s9, s7, s9
	s_and_saveexec_b32 s7, s6
	s_cbranch_execz .LBB87_40
; %bb.48:                               ;   in Loop: Header=BB87_41 Depth=2
	v_and_b32_e32 v31, s6, v35
	s_wait_dscnt 0x0
	s_delay_alu instid0(VALU_DEP_1)
	v_bcnt_u32_b32 v30, v31, v30
	ds_store_b8 v30, v8
	s_branch .LBB87_40
.LBB87_49:                              ;   in Loop: Header=BB87_36 Depth=1
	s_mov_b32 s8, -1
	s_mov_b32 s6, 0
.LBB87_50:                              ;   in Loop: Header=BB87_36 Depth=1
	s_wait_alu 0xfffe
	s_and_b32 vcc_lo, exec_lo, s8
	s_wait_alu 0xfffe
	s_cbranch_vccz .LBB87_66
.LBB87_51:                              ;   in Loop: Header=BB87_36 Depth=1
	s_and_saveexec_b32 s12, s0
	s_cbranch_execz .LBB87_63
; %bb.52:                               ;   in Loop: Header=BB87_36 Depth=1
	global_load_u16 v4, v3, s[64:65]
	global_load_u8 v32, v[14:15], off
	v_mov_b32_e32 v8, v0
	s_mov_b32 s13, exec_lo
	s_wait_loadcnt 0x1
	v_and_b32_e32 v2, 0xffff, v4
	v_readfirstlane_b32 s6, v4
	s_delay_alu instid0(VALU_DEP_2) | instskip(NEXT) | instid1(VALU_DEP_1)
	v_add_nc_u32_e32 v2, v2, v0
	v_cmpx_gt_u64_e64 s[28:29], v[2:3]
	s_cbranch_execz .LBB87_62
; %bb.53:                               ;   in Loop: Header=BB87_36 Depth=1
	s_and_b32 s54, s6, 0xffff
	v_dual_mov_b32 v7, v1 :: v_dual_mov_b32 v6, v0
	s_wait_alu 0xfffe
	s_cmp_eq_u32 s54, 1
	v_dual_mov_b32 v5, v3 :: v_dual_mov_b32 v4, v2
	s_cselect_b32 s6, -1, 0
                                        ; implicit-def: $vgpr8_vgpr9
	s_wait_alu 0xfffe
	s_and_b32 s7, s4, s6
	s_mov_b32 s6, -1
	s_wait_alu 0xfffe
	s_and_saveexec_b32 s8, s7
	s_cbranch_execz .LBB87_57
; %bb.54:                               ;   in Loop: Header=BB87_36 Depth=1
	v_add_co_u32 v8, s6, v2, 3
	s_wait_alu 0xf1ff
	v_add_co_ci_u32_e64 v9, null, 0, 0, s6
	v_add_co_u32 v6, s6, v2, 2
	s_wait_alu 0xf1ff
	v_add_co_ci_u32_e64 v7, null, 0, 0, s6
	;; [unrolled: 3-line block ×3, first 2 shown]
	v_mov_b32_e32 v11, v9
	v_dual_mov_b32 v31, v19 :: v_dual_mov_b32 v10, v8
	s_wait_loadcnt 0x0
	v_dual_mov_b32 v30, v18 :: v_dual_lshlrev_b32 v43, 24, v32
	v_mov_b32_e32 v9, v7
	v_dual_mov_b32 v33, v0 :: v_dual_mov_b32 v8, v6
	v_mov_b32_e32 v7, v5
	v_mov_b32_e32 v6, v4
	;; [unrolled: 1-line block ×4, first 2 shown]
	s_mov_b32 s9, 0
.LBB87_55:                              ;   Parent Loop BB87_36 Depth=1
                                        ; =>  This Inner Loop Header: Depth=2
	v_mul_lo_u32 v53, v7, s82
	v_mul_lo_u32 v54, v6, s83
	v_mad_co_u64_u32 v[46:47], null, v6, s82, 0
	v_mul_lo_u32 v32, v9, s84
	v_mul_lo_u32 v52, v8, s85
	v_mad_co_u64_u32 v[44:45], null, v8, s84, 0
	;; [unrolled: 3-line block ×3, first 2 shown]
	v_mad_co_u64_u32 v[50:51], null, v10, s86, s[50:51]
	v_mul_lo_u32 v57, v10, s87
	v_mul_lo_u32 v58, v11, s86
	v_add3_u32 v53, v47, v54, v53
	v_add3_u32 v32, v45, v52, v32
	;; [unrolled: 1-line block ×3, first 2 shown]
	v_add_co_u32 v52, s7, s50, v46
	v_add_co_u32 v47, s6, s50, v44
	v_add3_u32 v51, v58, v51, v57
	v_add_co_u32 v45, vcc_lo, s50, v48
	s_wait_alu 0xf1ff
	v_add_co_ci_u32_e64 v53, null, s51, v53, s7
	v_add_co_ci_u32_e64 v48, null, s51, v32, s6
	s_wait_alu 0xfffd
	v_add_co_ci_u32_e64 v46, null, s51, v49, vcc_lo
	s_clause 0x3
	global_load_u8 v32, v[50:51], off
	global_load_u8 v44, v[52:53], off
	;; [unrolled: 1-line block ×4, first 2 shown]
	v_add_co_u32 v10, vcc_lo, v10, 4
	s_wait_alu 0xfffd
	v_add_co_ci_u32_e64 v11, null, 0, v11, vcc_lo
	v_add_co_u32 v8, vcc_lo, v8, 4
	s_wait_alu 0xfffd
	v_add_co_ci_u32_e64 v9, null, 0, v9, vcc_lo
	;; [unrolled: 3-line block ×3, first 2 shown]
	v_add_co_u32 v30, vcc_lo, v30, -4
	s_wait_alu 0xfffd
	v_add_co_ci_u32_e64 v31, null, -1, v31, vcc_lo
	v_add_co_u32 v4, vcc_lo, v4, 4
	s_wait_alu 0xfffd
	v_add_co_ci_u32_e64 v5, null, 0, v5, vcc_lo
	s_delay_alu instid0(VALU_DEP_3)
	v_cmp_eq_u64_e64 s6, 0, v[30:31]
	s_wait_alu 0xfffe
	s_or_b32 s9, s6, s9
	s_wait_loadcnt 0x0
	v_perm_b32 v46, v45, v44, 0xc0c0004
	v_perm_b32 v44, v44, v47, 0xc0c0004
	;; [unrolled: 1-line block ×4, first 2 shown]
	s_delay_alu instid0(VALU_DEP_2) | instskip(NEXT) | instid1(VALU_DEP_2)
	v_lshl_or_b32 v43, v44, 16, v43
	v_lshl_or_b32 v44, v45, 16, v46
	ds_store_b32 v33, v43
	v_add_nc_u32_e32 v33, 4, v33
	v_mov_b32_e32 v43, v44
	s_wait_alu 0xfffe
	s_and_not1_b32 exec_lo, exec_lo, s9
	s_cbranch_execnz .LBB87_55
; %bb.56:                               ;   in Loop: Header=BB87_36 Depth=1
	s_or_b32 exec_lo, exec_lo, s9
	v_add_co_u32 v4, vcc_lo, v2, v18
	s_wait_alu 0xfffd
	v_add_co_ci_u32_e64 v5, null, 0, v19, vcc_lo
	v_dual_mov_b32 v6, v20 :: v_dual_mov_b32 v7, v21
	s_delay_alu instid0(VALU_DEP_3)
	v_add_co_u32 v8, vcc_lo, v4, -1
	s_or_not1_b32 s6, s5, exec_lo
	s_wait_alu 0xfffd
	v_add_co_ci_u32_e64 v2, null, -1, v5, vcc_lo
.LBB87_57:                              ;   in Loop: Header=BB87_36 Depth=1
	s_wait_alu 0xfffe
	s_or_b32 exec_lo, exec_lo, s8
	s_and_saveexec_b32 s7, s6
	s_cbranch_execz .LBB87_61
; %bb.58:                               ;   in Loop: Header=BB87_36 Depth=1
	v_mad_co_u64_u32 v[9:10], null, s30, v4, s[60:61]
	v_mul_lo_u32 v2, s30, v5
	v_mul_lo_u32 v7, s31, v4
	s_sub_nc_u64 s[8:9], 0, s[54:55]
	s_mul_u64 s[10:11], s[30:31], s[54:55]
	s_mov_b32 s14, 0
	s_delay_alu instid0(VALU_DEP_1)
	v_add3_u32 v10, v7, v10, v2
.LBB87_59:                              ;   Parent Loop BB87_36 Depth=1
                                        ; =>  This Inner Loop Header: Depth=2
	global_load_u8 v2, v[9:10], off
	v_dual_mov_b32 v8, v5 :: v_dual_mov_b32 v7, v4
	s_wait_alu 0xfffe
	v_add_co_u32 v9, vcc_lo, v9, s10
	s_wait_alu 0xfffd
	v_add_co_ci_u32_e64 v10, null, s11, v10, vcc_lo
	v_add_co_u32 v4, s6, v7, s54
	s_wait_alu 0xf1ff
	v_add_co_ci_u32_e64 v5, null, 0, v8, s6
	s_wait_loadcnt 0x1
	ds_store_b8 v6, v32
	v_mov_b32_e32 v6, v7
	v_mov_b32_e32 v7, v8
	v_cmp_le_u64_e32 vcc_lo, s[28:29], v[4:5]
	v_add_co_u32 v8, s6, s8, v4
	s_wait_alu 0xf1ff
	v_add_co_ci_u32_e64 v7, null, s9, v5, s6
	s_or_b32 s14, vcc_lo, s14
	s_wait_loadcnt 0x0
	v_mov_b32_e32 v32, v2
	s_wait_alu 0xfffe
	s_and_not1_b32 exec_lo, exec_lo, s14
	s_cbranch_execnz .LBB87_59
; %bb.60:                               ;   in Loop: Header=BB87_36 Depth=1
	s_or_b32 exec_lo, exec_lo, s14
	v_mov_b32_e32 v32, v2
.LBB87_61:                              ;   in Loop: Header=BB87_36 Depth=1
	s_wait_alu 0xfffe
	s_or_b32 exec_lo, exec_lo, s7
.LBB87_62:                              ;   in Loop: Header=BB87_36 Depth=1
	s_wait_alu 0xfffe
	s_or_b32 exec_lo, exec_lo, s13
	s_wait_loadcnt 0x0
	ds_store_b8 v8, v32
.LBB87_63:                              ;   in Loop: Header=BB87_36 Depth=1
	s_wait_alu 0xfffe
	s_or_b32 exec_lo, exec_lo, s12
	s_wait_loadcnt_dscnt 0x0
	s_barrier_signal -1
	s_barrier_wait -1
	global_inv scope:SCOPE_SE
	s_and_saveexec_b32 s6, s2
; %bb.64:                               ;   in Loop: Header=BB87_36 Depth=1
	v_dual_mov_b32 v4, s28 :: v_dual_mov_b32 v5, s29
	ds_store_b64 v3, v[4:5] offset:5120
; %bb.65:                               ;   in Loop: Header=BB87_36 Depth=1
	s_wait_alu 0xfffe
	s_or_b32 exec_lo, exec_lo, s6
	s_wait_loadcnt_dscnt 0x0
	s_barrier_signal -1
	s_mov_b32 s6, -1
	s_barrier_wait -1
.LBB87_66:                              ;   in Loop: Header=BB87_36 Depth=1
	s_wait_alu 0xfffe
	s_and_b32 vcc_lo, exec_lo, s6
	s_mov_b64 s[66:67], 0
	s_wait_alu 0xfffe
	s_cbranch_vccz .LBB87_68
; %bb.67:                               ;   in Loop: Header=BB87_36 Depth=1
	s_wait_loadcnt 0x0
	global_inv scope:SCOPE_SE
	ds_load_b64 v[4:5], v3 offset:5120
	s_wait_dscnt 0x0
	v_readfirstlane_b32 s66, v4
.LBB87_68:                              ;   in Loop: Header=BB87_36 Depth=1
	s_delay_alu instid0(VALU_DEP_1)
	s_cmp_lt_i32 s66, 1
	s_mov_b32 s6, -1
                                        ; implicit-def: $vgpr10_vgpr11
                                        ; implicit-def: $vgpr6_vgpr7
	s_cbranch_scc1 .LBB87_78
; %bb.69:                               ;   in Loop: Header=BB87_36 Depth=1
	s_wait_alu 0xfffe
	s_and_b32 vcc_lo, exec_lo, s6
	s_wait_alu 0xfffe
	s_cbranch_vccnz .LBB87_92
.LBB87_70:                              ;   in Loop: Header=BB87_36 Depth=1
	s_lshl_b32 s6, s95, 7
	s_and_saveexec_b32 s7, s1
	s_cbranch_execz .LBB87_72
.LBB87_71:                              ;   in Loop: Header=BB87_36 Depth=1
	s_wait_alu 0xfffe
	v_lshl_add_u32 v2, s6, 3, v36
	ds_store_b128 v2, v[4:7]
	ds_store_b128 v2, v[8:11] offset:16
.LBB87_72:                              ;   in Loop: Header=BB87_36 Depth=1
	s_wait_alu 0xfffe
	s_or_b32 exec_lo, exec_lo, s7
	s_wait_loadcnt_dscnt 0x0
	s_barrier_signal -1
	s_barrier_wait -1
	global_inv scope:SCOPE_SE
	s_and_saveexec_b32 s7, s33
	s_cbranch_execz .LBB87_106
; %bb.73:                               ;   in Loop: Header=BB87_36 Depth=1
	v_mov_b32_e32 v4, 0
	v_mov_b32_e32 v5, 0
	s_and_not1_b32 vcc_lo, exec_lo, s81
	s_wait_alu 0xfffe
	s_cbranch_vccnz .LBB87_105
; %bb.74:                               ;   in Loop: Header=BB87_36 Depth=1
	v_mov_b32_e32 v4, 0
	v_mov_b32_e32 v5, 0
	s_and_not1_b32 vcc_lo, exec_lo, s89
	s_wait_alu 0xfffe
	s_cbranch_vccnz .LBB87_102
; %bb.75:                               ;   in Loop: Header=BB87_36 Depth=1
	v_lshl_add_u32 v2, s95, 10, v39
	s_mov_b32 s8, 0
.LBB87_76:                              ;   Parent Loop BB87_36 Depth=1
                                        ; =>  This Inner Loop Header: Depth=2
	ds_load_2addr_b64 v[6:9], v2 offset1:4
	ds_load_2addr_b64 v[30:33], v2 offset0:8 offset1:12
	ds_load_2addr_b64 v[43:46], v2 offset0:16 offset1:20
	s_wait_alu 0xfffe
	s_add_co_i32 s8, s8, 8
	s_wait_alu 0xfffe
	s_cmp_eq_u32 s90, s8
	s_wait_dscnt 0x2
	v_add_co_u32 v4, vcc_lo, v6, v4
	s_wait_alu 0xfffd
	v_add_co_ci_u32_e64 v5, null, v7, v5, vcc_lo
	s_delay_alu instid0(VALU_DEP_2) | instskip(SKIP_1) | instid1(VALU_DEP_2)
	v_add_co_u32 v8, vcc_lo, v8, v4
	s_wait_alu 0xfffd
	v_add_co_ci_u32_e64 v9, null, v9, v5, vcc_lo
	ds_load_2addr_b64 v[4:7], v2 offset0:24 offset1:28
	s_wait_dscnt 0x2
	v_add_co_u32 v8, vcc_lo, v30, v8
	s_wait_alu 0xfffd
	v_add_co_ci_u32_e64 v9, null, v31, v9, vcc_lo
	v_add_nc_u32_e32 v2, 0x100, v2
	s_delay_alu instid0(VALU_DEP_3) | instskip(SKIP_1) | instid1(VALU_DEP_3)
	v_add_co_u32 v8, vcc_lo, v32, v8
	s_wait_alu 0xfffd
	v_add_co_ci_u32_e64 v9, null, v33, v9, vcc_lo
	s_wait_dscnt 0x1
	s_delay_alu instid0(VALU_DEP_2) | instskip(SKIP_1) | instid1(VALU_DEP_2)
	v_add_co_u32 v8, vcc_lo, v43, v8
	s_wait_alu 0xfffd
	v_add_co_ci_u32_e64 v9, null, v44, v9, vcc_lo
	s_delay_alu instid0(VALU_DEP_2) | instskip(SKIP_1) | instid1(VALU_DEP_2)
	v_add_co_u32 v8, vcc_lo, v45, v8
	s_wait_alu 0xfffd
	v_add_co_ci_u32_e64 v9, null, v46, v9, vcc_lo
	s_wait_dscnt 0x0
	s_delay_alu instid0(VALU_DEP_2) | instskip(SKIP_1) | instid1(VALU_DEP_2)
	v_add_co_u32 v4, vcc_lo, v4, v8
	s_wait_alu 0xfffd
	v_add_co_ci_u32_e64 v5, null, v5, v9, vcc_lo
	s_delay_alu instid0(VALU_DEP_2) | instskip(SKIP_1) | instid1(VALU_DEP_2)
	v_add_co_u32 v4, vcc_lo, v6, v4
	s_wait_alu 0xfffd
	v_add_co_ci_u32_e64 v5, null, v7, v5, vcc_lo
	s_cbranch_scc0 .LBB87_76
; %bb.77:                               ;   in Loop: Header=BB87_36 Depth=1
	s_mov_b32 s8, s90
	s_and_not1_b32 vcc_lo, exec_lo, s92
	s_wait_alu 0xfffe
	s_cbranch_vccz .LBB87_103
	s_branch .LBB87_105
.LBB87_78:                              ;   in Loop: Header=BB87_36 Depth=1
	global_load_u16 v2, v3, s[64:65]
	s_mov_b32 s7, s29
	s_wait_loadcnt 0x0
	v_readfirstlane_b32 s6, v2
	s_wait_alu 0xfffe
	s_and_b32 s8, 0xffff, s6
	s_mov_b32 s6, s55
	s_wait_alu 0xfffe
	s_lshl_b32 s68, s8, 2
	s_cmp_lg_u64 s[6:7], 0
	s_cbranch_scc0 .LBB87_101
; %bb.79:                               ;   in Loop: Header=BB87_36 Depth=1
	s_wait_alu 0xfffe
	s_cvt_f32_u32 s6, s68
	s_mov_b32 s69, s55
	s_wait_alu 0xfffe
	s_sub_nc_u64 s[8:9], 0, s[68:69]
	s_fmamk_f32 s6, s93, 0x0, s6
	s_wait_alu 0xfffe
	s_delay_alu instid0(SALU_CYCLE_2) | instskip(NEXT) | instid1(TRANS32_DEP_1)
	v_s_rcp_f32 s6, s6
	s_mul_f32 s6, s6, 0x5f7ffffc
	s_wait_alu 0xfffe
	s_delay_alu instid0(SALU_CYCLE_2) | instskip(SKIP_1) | instid1(SALU_CYCLE_2)
	s_mul_f32 s7, s6, 0x2f800000
	s_wait_alu 0xfffe
	s_trunc_f32 s7, s7
	s_wait_alu 0xfffe
	s_delay_alu instid0(SALU_CYCLE_2) | instskip(SKIP_2) | instid1(SALU_CYCLE_1)
	s_fmamk_f32 s6, s7, 0xcf800000, s6
	s_cvt_u32_f32 s7, s7
	s_wait_alu 0xfffe
	s_cvt_u32_f32 s6, s6
	s_wait_alu 0xfffe
	s_delay_alu instid0(SALU_CYCLE_2)
	s_mul_u64 s[10:11], s[8:9], s[6:7]
	s_wait_alu 0xfffe
	s_mul_hi_u32 s13, s6, s11
	s_mul_i32 s12, s6, s11
	s_mul_hi_u32 s54, s6, s10
	s_mul_i32 s15, s7, s10
	s_wait_alu 0xfffe
	s_add_nc_u64 s[12:13], s[54:55], s[12:13]
	s_mul_hi_u32 s14, s7, s10
	s_mul_hi_u32 s16, s7, s11
	s_mul_i32 s10, s7, s11
	s_wait_alu 0xfffe
	s_add_co_u32 s11, s12, s15
	s_add_co_ci_u32 s54, s13, s14
	s_add_co_ci_u32 s11, s16, 0
	s_wait_alu 0xfffe
	s_add_nc_u64 s[10:11], s[54:55], s[10:11]
	s_wait_alu 0xfffe
	s_add_co_u32 s6, s6, s10
	s_cselect_b32 s10, -1, 0
	s_wait_alu 0xfffe
	s_cmp_lg_u32 s10, 0
	s_add_co_ci_u32 s7, s7, s11
	s_wait_alu 0xfffe
	s_mul_u64 s[8:9], s[8:9], s[6:7]
	s_wait_alu 0xfffe
	s_mul_hi_u32 s11, s6, s9
	s_mul_i32 s10, s6, s9
	s_mul_hi_u32 s54, s6, s8
	s_mul_i32 s13, s7, s8
	s_wait_alu 0xfffe
	s_add_nc_u64 s[10:11], s[54:55], s[10:11]
	s_mul_hi_u32 s12, s7, s8
	s_mul_hi_u32 s14, s7, s9
	s_mul_i32 s8, s7, s9
	s_wait_alu 0xfffe
	s_add_co_u32 s9, s10, s13
	s_add_co_ci_u32 s54, s11, s12
	s_add_co_ci_u32 s9, s14, 0
	s_wait_alu 0xfffe
	s_add_nc_u64 s[8:9], s[54:55], s[8:9]
	s_wait_alu 0xfffe
	s_add_co_u32 s6, s6, s8
	s_cselect_b32 s8, -1, 0
	s_wait_alu 0xfffe
	s_mul_hi_u32 s54, s28, s6
	s_cmp_lg_u32 s8, 0
	s_mul_hi_u32 s10, s29, s6
	s_add_co_ci_u32 s8, s7, s9
	s_mul_i32 s9, s29, s6
	s_wait_alu 0xfffe
	s_mul_hi_u32 s7, s28, s8
	s_mul_i32 s6, s28, s8
	s_mul_hi_u32 s11, s29, s8
	s_wait_alu 0xfffe
	s_add_nc_u64 s[6:7], s[54:55], s[6:7]
	s_mul_i32 s8, s29, s8
	s_wait_alu 0xfffe
	s_add_co_u32 s6, s6, s9
	s_add_co_ci_u32 s54, s7, s10
	s_add_co_ci_u32 s9, s11, 0
	s_wait_alu 0xfffe
	s_add_nc_u64 s[6:7], s[54:55], s[8:9]
	s_wait_alu 0xfffe
	s_mul_u64 s[6:7], s[68:69], s[6:7]
	s_wait_alu 0xfffe
	s_sub_co_u32 s6, s28, s6
	s_cselect_b32 s8, -1, 0
	s_wait_alu 0xfffe
	s_cmp_lg_u32 s8, 0
	s_sub_co_ci_u32 s7, s29, s7
	s_sub_co_u32 s8, s6, s68
	s_cselect_b32 s9, -1, 0
	s_wait_alu 0xfffe
	s_cmp_lg_u32 s9, 0
	s_sub_co_ci_u32 s9, s7, 0
	;; [unrolled: 5-line block ×3, first 2 shown]
	s_cmp_ge_u32 s8, s68
	s_cselect_b32 s12, -1, 0
	s_cmp_eq_u32 s9, 0
	s_wait_alu 0xfffe
	s_cselect_b32 s12, s12, -1
	s_wait_alu 0xfffe
	s_cmp_lg_u32 s12, 0
	s_cselect_b32 s9, s11, s9
	s_cselect_b32 s8, s10, s8
	s_cmp_ge_u32 s6, s68
	s_cselect_b32 s10, -1, 0
	s_cmp_eq_u32 s7, 0
	s_wait_alu 0xfffe
	s_cselect_b32 s10, s10, -1
	s_wait_alu 0xfffe
	s_cmp_lg_u32 s10, 0
	s_cselect_b32 s7, s9, s7
	s_cselect_b32 s6, s8, s6
	s_cbranch_execnz .LBB87_81
.LBB87_80:                              ;   in Loop: Header=BB87_36 Depth=1
	s_wait_alu 0xfffe
	v_cvt_f32_u32_e32 v4, s68
	s_sub_co_i32 s7, 0, s68
	s_delay_alu instid0(VALU_DEP_1) | instskip(NEXT) | instid1(TRANS32_DEP_1)
	v_rcp_iflag_f32_e32 v4, v4
	v_mul_f32_e32 v4, 0x4f7ffffe, v4
	s_delay_alu instid0(VALU_DEP_1) | instskip(NEXT) | instid1(VALU_DEP_1)
	v_cvt_u32_f32_e32 v4, v4
	v_readfirstlane_b32 s6, v4
	s_wait_alu 0xfffe
	s_mul_i32 s7, s7, s6
	s_wait_alu 0xfffe
	s_mul_hi_u32 s7, s6, s7
	s_wait_alu 0xfffe
	s_add_co_i32 s6, s6, s7
	s_wait_alu 0xfffe
	s_mul_hi_u32 s6, s28, s6
	s_wait_alu 0xfffe
	s_mul_i32 s6, s6, s68
	s_wait_alu 0xfffe
	s_sub_co_i32 s6, s28, s6
	s_wait_alu 0xfffe
	s_sub_co_i32 s7, s6, s68
	s_cmp_ge_u32 s6, s68
	s_wait_alu 0xfffe
	s_cselect_b32 s6, s7, s6
	s_wait_alu 0xfffe
	s_sub_co_i32 s7, s6, s68
	s_cmp_ge_u32 s6, s68
	s_wait_alu 0xfffe
	s_cselect_b32 s54, s7, s6
	s_wait_alu 0xfffe
	s_mov_b64 s[6:7], s[54:55]
.LBB87_81:                              ;   in Loop: Header=BB87_36 Depth=1
	v_mov_b32_e32 v4, 0
	v_dual_mov_b32 v8, 0 :: v_dual_mov_b32 v5, 0
	v_dual_mov_b32 v6, 0 :: v_dual_mov_b32 v9, 0
	;; [unrolled: 1-line block ×3, first 2 shown]
	v_dual_mov_b32 v11, 0 :: v_dual_and_b32 v2, 0xffff, v2
	s_wait_alu 0xfffe
	s_sub_nc_u64 s[70:71], s[28:29], s[6:7]
	s_mov_b32 s67, exec_lo
	s_wait_alu 0xfffe
	v_cmpx_gt_u64_e64 s[70:71], v[16:17]
	s_cbranch_execz .LBB87_85
; %bb.82:                               ;   in Loop: Header=BB87_36 Depth=1
	v_mul_lo_u32 v4, v2, s63
	v_mul_lo_u32 v5, 0, s62
	v_mul_hi_u32 v6, v2, s62
	v_mul_lo_u32 v43, v2, s62
	v_dual_mov_b32 v30, s50 :: v_dual_mov_b32 v33, v17
	v_mov_b32_e32 v32, v16
	s_mov_b64 s[72:73], 0
	v_dual_mov_b32 v31, s51 :: v_dual_add_nc_u32 v4, v4, v5
	s_mov_b32 s69, 0
	s_mov_b64 s[74:75], 0
	s_mov_b64 s[76:77], 0
	;; [unrolled: 1-line block ×3, first 2 shown]
	v_add_nc_u32_e32 v44, v4, v6
.LBB87_83:                              ;   Parent Loop BB87_36 Depth=1
                                        ; =>  This Inner Loop Header: Depth=2
	v_add_co_u32 v4, vcc_lo, v30, v26
	s_wait_alu 0xfffd
	v_add_co_ci_u32_e64 v5, null, v31, v27, vcc_lo
	v_add_co_u32 v6, vcc_lo, v30, v25
	s_wait_alu 0xfffd
	v_add_co_ci_u32_e64 v7, null, v31, v38, vcc_lo
	;; [unrolled: 3-line block ×4, first 2 shown]
	s_clause 0x3
	global_load_i8 v4, v[4:5], off
	global_load_i8 v5, v[6:7], off
	;; [unrolled: 1-line block ×4, first 2 shown]
	v_add_co_u32 v32, vcc_lo, v32, s68
	s_wait_alu 0xfffd
	v_add_co_ci_u32_e64 v33, null, 0, v33, vcc_lo
	v_add_co_u32 v30, vcc_lo, v30, v43
	s_wait_alu 0xfffd
	v_add_co_ci_u32_e64 v31, null, v31, v44, vcc_lo
	s_delay_alu instid0(VALU_DEP_3)
	v_cmp_le_u64_e32 vcc_lo, s[70:71], v[32:33]
	s_wait_loadcnt 0x3
	v_add_nc_u32_e32 v4, 0x80, v4
	s_wait_loadcnt 0x2
	v_add_nc_u32_e32 v5, 0x80, v5
	s_wait_loadcnt 0x1
	v_add_nc_u32_e32 v6, 0x80, v6
	s_wait_loadcnt 0x0
	v_add_nc_u32_e32 v7, 0x80, v7
	v_and_b32_e32 v8, v4, v41
	v_bfe_u32 v4, v4, s91, 2
	v_and_b32_e32 v9, v5, v41
	v_bfe_u32 v5, v5, s91, 2
	;; [unrolled: 2-line block ×3, first 2 shown]
	v_cmp_eq_u32_e64 s6, v8, v22
	v_cmp_eq_u32_e64 s10, 0, v4
	v_and_b32_e32 v11, v7, v41
	v_bfe_u32 v7, v7, s91, 2
	v_cmp_eq_u32_e64 s7, v9, v22
	v_cmp_eq_u32_e64 s11, 0, v5
	;; [unrolled: 1-line block ×4, first 2 shown]
	s_and_b32 s10, s6, s10
	v_cmp_eq_u32_e64 s9, v11, v22
	v_cmp_eq_u32_e64 s13, 0, v7
	;; [unrolled: 1-line block ×5, first 2 shown]
	s_wait_alu 0xfffe
	v_cndmask_b32_e64 v4, 0, 1, s10
	s_and_b32 s10, s7, s11
	v_cmp_eq_u32_e64 s15, 1, v5
	v_cmp_eq_u32_e64 s19, 2, v5
	v_cmp_eq_u32_e64 s23, 3, v5
	s_wait_alu 0xfffe
	v_cndmask_b32_e64 v5, 0, 1, s10
	s_and_b32 s10, s8, s12
	v_cmp_eq_u32_e64 s16, 1, v6
	v_cmp_eq_u32_e64 s20, 2, v6
	v_cmp_eq_u32_e64 s24, 3, v6
	;; [unrolled: 6-line block ×3, first 2 shown]
	s_wait_alu 0xfffe
	v_cndmask_b32_e64 v7, 0, 1, s10
	s_and_b32 s10, s6, s14
	s_wait_alu 0xfffe
	v_cndmask_b32_e64 v8, 0, 1, s10
	s_and_b32 s10, s7, s15
	;; [unrolled: 3-line block ×4, first 2 shown]
	v_cmp_ne_u32_e64 s11, 0, v9
	s_wait_alu 0xfffe
	v_cndmask_b32_e64 v11, 0, 1, s10
	s_and_b32 s10, s6, s18
	s_and_b32 s6, s6, s22
	s_wait_alu 0xfffe
	v_cndmask_b32_e64 v45, 0, 1, s10
	v_cndmask_b32_e64 v49, 0, 1, s6
	s_and_b32 s6, s7, s23
	s_and_b32 s10, s7, s19
	s_wait_alu 0xfffe
	v_cndmask_b32_e64 v50, 0, 1, s6
	s_and_b32 s6, s8, s24
	v_cndmask_b32_e64 v46, 0, 1, s10
	s_and_b32 s10, s8, s20
	s_wait_alu 0xfffe
	v_cndmask_b32_e64 v51, 0, 1, s6
	s_and_b32 s6, s9, s25
	v_cndmask_b32_e64 v47, 0, 1, s10
	s_and_b32 s10, s9, s21
	s_wait_alu 0xfffe
	v_cndmask_b32_e64 v52, 0, 1, s6
	v_cmp_ne_u32_e64 s6, 0, v4
	v_cmp_ne_u32_e64 s7, 0, v5
	v_cndmask_b32_e64 v48, 0, 1, s10
	v_cmp_ne_u32_e64 s8, 0, v6
	v_cmp_ne_u32_e64 s10, 0, v8
	;; [unrolled: 1-line block ×6, first 2 shown]
	s_bcnt1_i32_b32 s6, s6
	s_bcnt1_i32_b32 s7, s7
	v_cmp_ne_u32_e64 s13, 0, v11
	v_cmp_ne_u32_e64 s16, 0, v47
	;; [unrolled: 1-line block ×4, first 2 shown]
	s_bcnt1_i32_b32 s8, s8
	s_bcnt1_i32_b32 s10, s10
	;; [unrolled: 1-line block ×3, first 2 shown]
	s_wait_alu 0xfffe
	s_add_co_i32 s6, s7, s6
	v_cmp_ne_u32_e64 s17, 0, v48
	v_cmp_ne_u32_e64 s20, 0, v51
	s_bcnt1_i32_b32 s9, s9
	s_bcnt1_i32_b32 s12, s12
	;; [unrolled: 1-line block ×4, first 2 shown]
	s_add_co_i32 s7, s11, s10
	s_wait_alu 0xfffe
	s_add_co_i32 s6, s6, s8
	v_cmp_ne_u32_e64 s21, 0, v52
	s_bcnt1_i32_b32 s13, s13
	s_bcnt1_i32_b32 s16, s16
	;; [unrolled: 1-line block ×4, first 2 shown]
	s_add_co_i32 s10, s15, s14
	s_add_co_i32 s7, s7, s12
	s_wait_alu 0xfffe
	s_add_co_i32 s54, s6, s9
	s_bcnt1_i32_b32 s17, s17
	s_bcnt1_i32_b32 s20, s20
	s_add_co_i32 s11, s19, s18
	s_add_co_i32 s8, s10, s16
	s_wait_alu 0xfffe
	s_add_nc_u64 s[78:79], s[78:79], s[54:55]
	s_add_co_i32 s54, s7, s13
	s_bcnt1_i32_b32 s21, s21
	s_add_co_i32 s10, s11, s20
	s_wait_alu 0xfffe
	s_add_nc_u64 s[76:77], s[76:77], s[54:55]
	s_add_co_i32 s54, s8, s17
	v_mov_b32_e32 v4, s78
	s_wait_alu 0xfffe
	s_add_nc_u64 s[74:75], s[74:75], s[54:55]
	s_add_co_i32 s54, s10, s21
	v_mov_b32_e32 v6, s76
	s_wait_alu 0xfffe
	s_add_nc_u64 s[72:73], s[72:73], s[54:55]
	v_mov_b32_e32 v8, s74
	s_wait_alu 0xfffe
	v_dual_mov_b32 v10, s72 :: v_dual_mov_b32 v5, s79
	v_mov_b32_e32 v7, s77
	v_mov_b32_e32 v9, s75
	;; [unrolled: 1-line block ×3, first 2 shown]
	s_or_b32 s69, vcc_lo, s69
	s_wait_alu 0xfffe
	s_and_not1_b32 exec_lo, exec_lo, s69
	s_cbranch_execnz .LBB87_83
; %bb.84:                               ;   in Loop: Header=BB87_36 Depth=1
	s_or_b32 exec_lo, exec_lo, s69
.LBB87_85:                              ;   in Loop: Header=BB87_36 Depth=1
	s_delay_alu instid0(SALU_CYCLE_1)
	s_or_b32 exec_lo, exec_lo, s67
	v_add_co_u32 v30, s6, s70, v0
	s_wait_alu 0xf1ff
	v_add_co_ci_u32_e64 v31, null, s71, 0, s6
	s_mov_b32 s10, exec_lo
	v_cmpx_gt_u64_e64 s[28:29], v[30:31]
	s_cbranch_execz .LBB87_91
; %bb.86:                               ;   in Loop: Header=BB87_36 Depth=1
	v_mad_co_u64_u32 v[32:33], null, v30, s30, s[50:51]
	v_mul_lo_u32 v43, v30, s31
	v_mul_lo_u32 v44, v31, s30
	s_mov_b32 s11, 0
	s_delay_alu instid0(VALU_DEP_1)
	v_add3_u32 v33, v44, v33, v43
	global_load_u8 v33, v[32:33], off
	s_branch .LBB87_88
.LBB87_87:                              ;   in Loop: Header=BB87_88 Depth=2
	s_wait_alu 0xfffe
	s_or_b32 exec_lo, exec_lo, s7
	s_wait_loadcnt 0x0
	v_bfe_i32 v33, v33, 0, 8
	s_and_b32 s8, exec_lo, vcc_lo
	s_wait_alu 0xfffe
	s_or_b32 s11, s8, s11
	s_delay_alu instid0(VALU_DEP_1) | instskip(NEXT) | instid1(VALU_DEP_1)
	v_add_nc_u32_e32 v33, 0x80, v33
	v_and_b32_e32 v43, v33, v41
	v_bfe_u32 v33, v33, s91, 2
	s_delay_alu instid0(VALU_DEP_2) | instskip(NEXT) | instid1(VALU_DEP_2)
	v_cmp_eq_u32_e64 s6, v43, v22
	v_cmp_eq_u32_e64 s7, 0, v33
	v_cmp_eq_u32_e32 vcc_lo, 1, v33
	v_cmp_eq_u32_e64 s8, 2, v33
	s_and_b32 s7, s6, s7
	s_wait_alu 0xfffe
	v_cndmask_b32_e64 v43, 0, 1, s7
	s_and_b32 s7, s6, vcc_lo
	v_cmp_eq_u32_e32 vcc_lo, 3, v33
	s_wait_alu 0xfffe
	v_cndmask_b32_e64 v44, 0, 1, s7
	s_and_b32 s7, s6, s8
	s_wait_alu 0xfffe
	v_cndmask_b32_e64 v45, 0, 1, s7
	v_cmp_ne_u32_e64 s7, 0, v43
	v_cmp_ne_u32_e64 s8, 0, v44
	s_and_b32 s6, s6, vcc_lo
	s_wait_alu 0xfffe
	v_cndmask_b32_e64 v33, 0, 1, s6
	s_bcnt1_i32_b32 s6, s7
	v_cmp_ne_u32_e64 s9, 0, v45
	s_bcnt1_i32_b32 s7, s8
	s_wait_alu 0xfffe
	v_add_co_u32 v4, vcc_lo, v4, s6
	s_wait_alu 0xfffd
	v_add_co_ci_u32_e64 v5, null, 0, v5, vcc_lo
	v_add_co_u32 v6, vcc_lo, v6, s7
	s_wait_alu 0xfffd
	v_add_co_ci_u32_e64 v7, null, 0, v7, vcc_lo
	v_cmp_ne_u32_e32 vcc_lo, 0, v33
	s_bcnt1_i32_b32 s8, s9
	v_mov_b32_e32 v33, v32
	s_wait_alu 0xfffe
	v_add_co_u32 v8, s6, v8, s8
	s_wait_alu 0xf1ff
	v_add_co_ci_u32_e64 v9, null, 0, v9, s6
	s_bcnt1_i32_b32 s6, vcc_lo
	s_wait_alu 0xfffe
	v_add_co_u32 v10, vcc_lo, v10, s6
	s_wait_alu 0xfffd
	v_add_co_ci_u32_e64 v11, null, 0, v11, vcc_lo
	s_and_not1_b32 exec_lo, exec_lo, s11
	s_cbranch_execz .LBB87_90
.LBB87_88:                              ;   Parent Loop BB87_36 Depth=1
                                        ; =>  This Inner Loop Header: Depth=2
	v_add_co_u32 v30, vcc_lo, v30, v2
	s_wait_alu 0xfffd
	v_add_co_ci_u32_e64 v31, null, 0, v31, vcc_lo
	v_mov_b32_e32 v32, 0
	s_mov_b32 s7, exec_lo
	s_delay_alu instid0(VALU_DEP_2)
	v_cmp_le_u64_e32 vcc_lo, s[28:29], v[30:31]
	v_cmpx_gt_u64_e64 s[28:29], v[30:31]
	s_cbranch_execz .LBB87_87
; %bb.89:                               ;   in Loop: Header=BB87_88 Depth=2
	v_mad_co_u64_u32 v[43:44], null, v30, s30, s[50:51]
	v_mul_lo_u32 v32, v30, s31
	v_mul_lo_u32 v45, v31, s30
	s_delay_alu instid0(VALU_DEP_1)
	v_add3_u32 v44, v45, v44, v32
	global_load_u8 v32, v[43:44], off
	s_branch .LBB87_87
.LBB87_90:                              ;   in Loop: Header=BB87_36 Depth=1
	s_or_b32 exec_lo, exec_lo, s11
.LBB87_91:                              ;   in Loop: Header=BB87_36 Depth=1
	s_wait_alu 0xfffe
	s_or_b32 exec_lo, exec_lo, s10
	s_branch .LBB87_70
.LBB87_92:                              ;   in Loop: Header=BB87_36 Depth=1
	global_load_u16 v2, v3, s[64:65]
	v_mov_b32_e32 v6, 0
	v_mov_b32_e32 v8, 0
	v_dual_mov_b32 v10, 0 :: v_dual_mov_b32 v9, 0
	v_mov_b32_e32 v11, 0
	s_mov_b32 s78, exec_lo
	v_mov_b32_e32 v7, 0
	s_wait_loadcnt 0x0
	v_readfirstlane_b32 s6, v2
	v_and_b32_e32 v2, 0xffff, v2
	s_and_b32 s67, 0xffff, s6
	s_wait_alu 0xfffe
	s_lshl_b32 s77, s67, 2
	s_wait_alu 0xfffe
	s_cvt_f32_u32 s6, s77
	s_sub_co_i32 s7, 0, s77
	s_wait_alu 0xfffe
	s_delay_alu instid0(SALU_CYCLE_1) | instskip(NEXT) | instid1(TRANS32_DEP_1)
	v_rcp_iflag_f32_e32 v4, s6
	v_readfirstlane_b32 s6, v4
	s_mul_f32 s6, s6, 0x4f7ffffe
	s_wait_alu 0xfffe
	s_delay_alu instid0(SALU_CYCLE_2) | instskip(SKIP_1) | instid1(SALU_CYCLE_2)
	s_cvt_u32_f32 s6, s6
	s_wait_alu 0xfffe
	s_mul_i32 s7, s7, s6
	s_wait_alu 0xfffe
	s_mul_hi_u32 s7, s6, s7
	s_wait_alu 0xfffe
	s_add_co_i32 s6, s6, s7
	s_wait_alu 0xfffe
	s_mul_hi_u32 s6, s66, s6
	s_wait_alu 0xfffe
	s_mul_i32 s7, s6, s77
	s_add_co_i32 s8, s6, 1
	s_wait_alu 0xfffe
	s_sub_co_i32 s7, s66, s7
	s_wait_alu 0xfffe
	s_sub_co_i32 s9, s7, s77
	s_cmp_ge_u32 s7, s77
	s_cselect_b32 s6, s8, s6
	s_wait_alu 0xfffe
	s_cselect_b32 s7, s9, s7
	s_add_co_i32 s8, s6, 1
	s_wait_alu 0xfffe
	s_cmp_ge_u32 s7, s77
	s_cselect_b32 s76, s8, s6
	s_wait_alu 0xfffe
	v_mul_hi_u32 v5, s76, v2
	v_mul_lo_u32 v4, s76, v2
	s_delay_alu instid0(VALU_DEP_1) | instskip(SKIP_2) | instid1(VALU_DEP_3)
	v_lshlrev_b64_e32 v[30:31], 2, v[4:5]
	v_mov_b32_e32 v4, 0
	v_mov_b32_e32 v5, 0
	v_cmpx_gt_u64_e64 v[30:31], v[16:17]
	s_cbranch_execz .LBB87_96
; %bb.93:                               ;   in Loop: Header=BB87_36 Depth=1
	v_mov_b32_e32 v33, v17
	v_dual_mov_b32 v43, v16 :: v_dual_mov_b32 v32, v16
	s_mov_b64 s[68:69], 0
	s_mov_b32 s79, 0
	s_mov_b64 s[70:71], 0
	s_mov_b64 s[72:73], 0
	;; [unrolled: 1-line block ×3, first 2 shown]
.LBB87_94:                              ;   Parent Loop BB87_36 Depth=1
                                        ; =>  This Inner Loop Header: Depth=2
	ds_load_b32 v4, v43
	v_add_co_u32 v32, vcc_lo, v32, s77
	s_wait_alu 0xfffd
	v_add_co_ci_u32_e64 v33, null, 0, v33, vcc_lo
	s_delay_alu instid0(VALU_DEP_1)
	v_cmp_ge_u64_e32 vcc_lo, v[32:33], v[30:31]
	s_wait_dscnt 0x0
	v_bfe_i32 v5, v4, 0, 8
	v_bfe_i32 v6, v4, 8, 8
	;; [unrolled: 1-line block ×3, first 2 shown]
	v_ashrrev_i32_e32 v4, 24, v4
	s_delay_alu instid0(VALU_DEP_4) | instskip(NEXT) | instid1(VALU_DEP_4)
	v_add_nc_u32_e32 v5, 0x80, v5
	v_add_nc_u32_e32 v6, 0x80, v6
	s_delay_alu instid0(VALU_DEP_4) | instskip(NEXT) | instid1(VALU_DEP_4)
	v_add_nc_u32_e32 v7, 0x80, v7
	v_add_nc_u32_e32 v4, 0x80, v4
	s_delay_alu instid0(VALU_DEP_4)
	v_and_b32_e32 v8, v5, v41
	v_bfe_u32 v5, v5, s91, 2
	v_and_b32_e32 v9, v6, v41
	v_bfe_u32 v6, v6, s91, 2
	;; [unrolled: 2-line block ×3, first 2 shown]
	v_cmp_eq_u32_e64 s6, v8, v22
	v_cmp_eq_u32_e64 s10, 0, v5
	v_and_b32_e32 v11, v4, v41
	v_bfe_u32 v4, v4, s91, 2
	v_cmp_eq_u32_e64 s7, v9, v22
	v_cmp_eq_u32_e64 s11, 0, v6
	;; [unrolled: 1-line block ×4, first 2 shown]
	s_and_b32 s10, s6, s10
	v_cmp_eq_u32_e64 s9, v11, v22
	v_cmp_eq_u32_e64 s13, 0, v4
	;; [unrolled: 1-line block ×5, first 2 shown]
	s_wait_alu 0xfffe
	v_cndmask_b32_e64 v4, 0, 1, s10
	s_and_b32 s10, s7, s11
	v_cmp_eq_u32_e64 s14, 1, v5
	v_cmp_eq_u32_e64 s18, 2, v5
	v_cmp_eq_u32_e64 s22, 3, v5
	s_wait_alu 0xfffe
	v_cndmask_b32_e64 v5, 0, 1, s10
	s_and_b32 s10, s8, s12
	v_cmp_eq_u32_e64 s15, 1, v6
	v_cmp_eq_u32_e64 s19, 2, v6
	v_cmp_eq_u32_e64 s23, 3, v6
	;; [unrolled: 6-line block ×3, first 2 shown]
	s_wait_alu 0xfffe
	v_cndmask_b32_e64 v7, 0, 1, s10
	s_and_b32 s10, s6, s14
	s_wait_alu 0xfffe
	v_cndmask_b32_e64 v8, 0, 1, s10
	s_and_b32 s10, s7, s15
	;; [unrolled: 3-line block ×4, first 2 shown]
	v_cmp_ne_u32_e64 s11, 0, v9
	s_wait_alu 0xfffe
	v_cndmask_b32_e64 v11, 0, 1, s10
	s_and_b32 s10, s6, s18
	s_and_b32 s6, s6, s22
	s_wait_alu 0xfffe
	v_cndmask_b32_e64 v44, 0, 1, s10
	v_cndmask_b32_e64 v48, 0, 1, s6
	s_and_b32 s6, s7, s23
	s_and_b32 s10, s7, s19
	s_wait_alu 0xfffe
	v_cndmask_b32_e64 v49, 0, 1, s6
	s_and_b32 s6, s8, s24
	v_cndmask_b32_e64 v45, 0, 1, s10
	s_and_b32 s10, s8, s20
	s_wait_alu 0xfffe
	v_cndmask_b32_e64 v50, 0, 1, s6
	s_and_b32 s6, s9, s25
	v_cndmask_b32_e64 v46, 0, 1, s10
	s_and_b32 s10, s9, s21
	s_wait_alu 0xfffe
	v_cndmask_b32_e64 v51, 0, 1, s6
	v_cmp_ne_u32_e64 s6, 0, v4
	v_cmp_ne_u32_e64 s7, 0, v5
	v_cndmask_b32_e64 v47, 0, 1, s10
	v_cmp_ne_u32_e64 s8, 0, v6
	v_cmp_ne_u32_e64 s10, 0, v8
	;; [unrolled: 1-line block ×6, first 2 shown]
	s_bcnt1_i32_b32 s6, s6
	s_bcnt1_i32_b32 s7, s7
	v_cmp_ne_u32_e64 s13, 0, v11
	v_cmp_ne_u32_e64 s16, 0, v46
	;; [unrolled: 1-line block ×4, first 2 shown]
	s_bcnt1_i32_b32 s8, s8
	s_bcnt1_i32_b32 s10, s10
	;; [unrolled: 1-line block ×3, first 2 shown]
	s_wait_alu 0xfffe
	s_add_co_i32 s6, s7, s6
	v_cmp_ne_u32_e64 s17, 0, v47
	v_cmp_ne_u32_e64 s20, 0, v50
	s_bcnt1_i32_b32 s9, s9
	s_bcnt1_i32_b32 s12, s12
	;; [unrolled: 1-line block ×4, first 2 shown]
	s_add_co_i32 s7, s11, s10
	s_wait_alu 0xfffe
	s_add_co_i32 s6, s6, s8
	v_cmp_ne_u32_e64 s21, 0, v51
	s_bcnt1_i32_b32 s13, s13
	s_bcnt1_i32_b32 s16, s16
	;; [unrolled: 1-line block ×4, first 2 shown]
	s_add_co_i32 s10, s15, s14
	s_add_co_i32 s7, s7, s12
	s_wait_alu 0xfffe
	s_add_co_i32 s54, s6, s9
	s_bcnt1_i32_b32 s17, s17
	s_bcnt1_i32_b32 s20, s20
	s_add_co_i32 s11, s19, s18
	s_add_co_i32 s8, s10, s16
	s_wait_alu 0xfffe
	s_add_nc_u64 s[74:75], s[74:75], s[54:55]
	s_add_co_i32 s54, s7, s13
	s_bcnt1_i32_b32 s21, s21
	s_add_co_i32 s10, s11, s20
	s_wait_alu 0xfffe
	s_add_nc_u64 s[72:73], s[72:73], s[54:55]
	s_add_co_i32 s54, s8, s17
	v_dual_mov_b32 v4, s74 :: v_dual_add_nc_u32 v43, s77, v43
	s_wait_alu 0xfffe
	s_add_nc_u64 s[70:71], s[70:71], s[54:55]
	s_add_co_i32 s54, s10, s21
	v_mov_b32_e32 v6, s72
	s_wait_alu 0xfffe
	s_add_nc_u64 s[68:69], s[68:69], s[54:55]
	v_mov_b32_e32 v8, s70
	s_wait_alu 0xfffe
	v_dual_mov_b32 v10, s68 :: v_dual_mov_b32 v5, s75
	v_mov_b32_e32 v7, s73
	v_mov_b32_e32 v9, s71
	;; [unrolled: 1-line block ×3, first 2 shown]
	s_or_b32 s79, vcc_lo, s79
	s_wait_alu 0xfffe
	s_and_not1_b32 exec_lo, exec_lo, s79
	s_cbranch_execnz .LBB87_94
; %bb.95:                               ;   in Loop: Header=BB87_36 Depth=1
	s_or_b32 exec_lo, exec_lo, s79
.LBB87_96:                              ;   in Loop: Header=BB87_36 Depth=1
	s_delay_alu instid0(SALU_CYCLE_1)
	s_or_b32 exec_lo, exec_lo, s78
	v_add_co_u32 v30, vcc_lo, v30, v0
	s_wait_alu 0xfffd
	v_add_co_ci_u32_e64 v31, null, 0, v31, vcc_lo
	s_and_b32 s54, s66, 0x7fffffff
	s_mov_b32 s11, exec_lo
	s_wait_alu 0xfffe
	v_cmpx_gt_u64_e64 s[54:55], v[30:31]
	s_cbranch_execz .LBB87_100
; %bb.97:                               ;   in Loop: Header=BB87_36 Depth=1
	s_mul_i32 s76, s76, s67
	s_mov_b32 s12, 0
	s_wait_alu 0xfffe
	v_lshl_add_u32 v32, s76, 2, v0
.LBB87_98:                              ;   Parent Loop BB87_36 Depth=1
                                        ; =>  This Inner Loop Header: Depth=2
	ds_load_i8 v33, v32
	v_add_co_u32 v30, vcc_lo, v30, v2
	s_wait_alu 0xfffd
	v_add_co_ci_u32_e64 v31, null, 0, v31, vcc_lo
	v_add_nc_u32_e32 v32, s67, v32
	s_delay_alu instid0(VALU_DEP_2) | instskip(SKIP_2) | instid1(VALU_DEP_1)
	v_cmp_le_u64_e32 vcc_lo, s[54:55], v[30:31]
	s_wait_dscnt 0x0
	v_add_nc_u32_e32 v33, 0x80, v33
	v_and_b32_e32 v43, v33, v41
	v_bfe_u32 v33, v33, s91, 2
	s_delay_alu instid0(VALU_DEP_2) | instskip(NEXT) | instid1(VALU_DEP_2)
	v_cmp_eq_u32_e64 s6, v43, v22
	v_cmp_eq_u32_e64 s7, 0, v33
	;; [unrolled: 1-line block ×5, first 2 shown]
	s_and_b32 s7, s6, s7
	s_wait_alu 0xfffe
	v_cndmask_b32_e64 v33, 0, 1, s7
	s_and_b32 s7, s6, s8
	s_wait_alu 0xfffe
	v_cndmask_b32_e64 v43, 0, 1, s7
	s_and_b32 s7, s6, s9
	s_and_b32 s6, s6, s10
	s_wait_alu 0xfffe
	v_cndmask_b32_e64 v44, 0, 1, s7
	v_cndmask_b32_e64 v45, 0, 1, s6
	v_cmp_ne_u32_e64 s6, 0, v33
	v_cmp_ne_u32_e64 s7, 0, v43
	s_delay_alu instid0(VALU_DEP_4) | instskip(NEXT) | instid1(VALU_DEP_4)
	v_cmp_ne_u32_e64 s8, 0, v44
	v_cmp_ne_u32_e64 s9, 0, v45
	s_bcnt1_i32_b32 s6, s6
	s_bcnt1_i32_b32 s7, s7
	s_wait_alu 0xfffe
	v_add_co_u32 v4, s6, v4, s6
	s_bcnt1_i32_b32 s8, s8
	v_add_co_ci_u32_e64 v5, null, 0, v5, s6
	v_add_co_u32 v6, s6, v6, s7
	s_bcnt1_i32_b32 s9, s9
	v_add_co_ci_u32_e64 v7, null, 0, v7, s6
	s_wait_alu 0xfffe
	v_add_co_u32 v8, s6, v8, s8
	s_wait_alu 0xf1ff
	v_add_co_ci_u32_e64 v9, null, 0, v9, s6
	v_add_co_u32 v10, s6, v10, s9
	s_wait_alu 0xf1ff
	v_add_co_ci_u32_e64 v11, null, 0, v11, s6
	s_or_b32 s12, vcc_lo, s12
	s_wait_alu 0xfffe
	s_and_not1_b32 exec_lo, exec_lo, s12
	s_cbranch_execnz .LBB87_98
; %bb.99:                               ;   in Loop: Header=BB87_36 Depth=1
	s_or_b32 exec_lo, exec_lo, s12
.LBB87_100:                             ;   in Loop: Header=BB87_36 Depth=1
	s_delay_alu instid0(SALU_CYCLE_1)
	s_or_b32 exec_lo, exec_lo, s11
	s_lshl_b32 s6, s95, 7
	s_and_saveexec_b32 s7, s1
	s_cbranch_execnz .LBB87_71
	s_branch .LBB87_72
.LBB87_101:                             ;   in Loop: Header=BB87_36 Depth=1
                                        ; implicit-def: $sgpr6_sgpr7
	s_branch .LBB87_80
.LBB87_102:                             ;   in Loop: Header=BB87_36 Depth=1
	s_mov_b32 s8, 0
	s_and_not1_b32 vcc_lo, exec_lo, s92
	s_wait_alu 0xfffe
	s_cbranch_vccnz .LBB87_105
.LBB87_103:                             ;   in Loop: Header=BB87_36 Depth=1
	s_lshl_b32 s9, s95, 10
	s_lshl_b32 s8, s8, 5
	s_wait_alu 0xfffe
	v_add3_u32 v2, s9, s8, v39
	s_mov_b32 s8, s88
.LBB87_104:                             ;   Parent Loop BB87_36 Depth=1
                                        ; =>  This Inner Loop Header: Depth=2
	ds_load_b64 v[6:7], v2
	v_add_nc_u32_e32 v2, 32, v2
	s_wait_alu 0xfffe
	s_add_co_i32 s8, s8, -1
	s_wait_alu 0xfffe
	s_cmp_lg_u32 s8, 0
	s_wait_dscnt 0x0
	v_add_co_u32 v4, vcc_lo, v6, v4
	s_wait_alu 0xfffd
	v_add_co_ci_u32_e64 v5, null, v7, v5, vcc_lo
	s_cbranch_scc1 .LBB87_104
.LBB87_105:                             ;   in Loop: Header=BB87_36 Depth=1
	v_add_lshl_u32 v2, s6, v34, 3
	ds_store_b64 v2, v[4:5] offset:3072
.LBB87_106:                             ;   in Loop: Header=BB87_36 Depth=1
	s_wait_alu 0xfffe
	s_or_b32 exec_lo, exec_lo, s7
	s_lshl_b32 s6, s6, 3
	s_wait_loadcnt_dscnt 0x0
	s_wait_alu 0xfffe
	v_mov_b32_e32 v2, s6
	s_barrier_signal -1
	s_barrier_wait -1
	global_inv scope:SCOPE_SE
	v_cmp_eq_u64_e32 vcc_lo, 1, v[28:29]
	ds_load_b128 v[4:7], v2 offset:3072
	ds_load_b128 v[8:11], v2 offset:3088
	s_lshl_b32 s16, 3, s91
	s_mov_b32 s18, -1
	s_wait_alu 0xfffe
	s_not_b32 s20, s16
                                        ; implicit-def: $sgpr22
                                        ; implicit-def: $sgpr21
	s_wait_dscnt 0x1
	v_cmp_eq_u64_e64 s6, 1, v[4:5]
	s_wait_dscnt 0x0
	v_readfirstlane_b32 s10, v8
	v_readfirstlane_b32 s11, v9
	;; [unrolled: 1-line block ×4, first 2 shown]
	s_and_b32 s19, s6, vcc_lo
	s_mov_b32 s6, -1
	s_and_saveexec_b32 s17, s19
	s_cbranch_execz .LBB87_138
; %bb.107:                              ;   in Loop: Header=BB87_36 Depth=1
	ds_load_b64 v[8:9], v3 offset:5120
	s_wait_loadcnt_dscnt 0x0
	s_barrier_signal -1
	s_barrier_wait -1
	global_inv scope:SCOPE_SE
	v_readfirstlane_b32 s6, v8
	v_readfirstlane_b32 s7, v9
	s_and_saveexec_b32 s12, s3
; %bb.108:                              ;   in Loop: Header=BB87_36 Depth=1
	ds_store_b8 v0, v3 offset:3072
; %bb.109:                              ;   in Loop: Header=BB87_36 Depth=1
	s_wait_alu 0xfffe
	s_or_b32 exec_lo, exec_lo, s12
	v_and_b32_e32 v22, s20, v22
	v_or_b32_e32 v41, s16, v41
	s_mov_b32 s21, -1
	s_mov_b32 s22, 0
	s_cmp_eq_u64 s[6:7], 0
	s_mov_b32 s14, 0
	s_mov_b32 s15, -1
	s_wait_loadcnt_dscnt 0x0
	s_barrier_signal -1
	s_barrier_wait -1
	global_inv scope:SCOPE_SE
                                        ; implicit-def: $vgpr42
	s_cbranch_scc1 .LBB87_123
; %bb.110:                              ;   in Loop: Header=BB87_36 Depth=1
	s_add_nc_u64 s[12:13], s[6:7], s[56:57]
	s_mov_b32 s14, s55
	s_wait_alu 0xfffe
	s_mov_b32 s15, s13
	s_wait_alu 0xfffe
	s_cmp_lg_u64 s[14:15], 0
	s_cbranch_scc0 .LBB87_164
; %bb.111:                              ;   in Loop: Header=BB87_36 Depth=1
	s_cvt_f32_u32 s14, s46
	s_sub_nc_u64 s[24:25], 0, s[46:47]
	s_wait_alu 0xfffe
	s_delay_alu instid0(SALU_CYCLE_1) | instskip(SKIP_1) | instid1(SALU_CYCLE_2)
	s_fmamk_f32 s14, s93, 0x0, s14
	s_wait_alu 0xfffe
	v_s_rcp_f32 s14, s14
	s_delay_alu instid0(TRANS32_DEP_1) | instskip(SKIP_1) | instid1(SALU_CYCLE_2)
	s_mul_f32 s14, s14, 0x5f7ffffc
	s_wait_alu 0xfffe
	s_mul_f32 s15, s14, 0x2f800000
	s_wait_alu 0xfffe
	s_delay_alu instid0(SALU_CYCLE_2) | instskip(SKIP_1) | instid1(SALU_CYCLE_2)
	s_trunc_f32 s15, s15
	s_wait_alu 0xfffe
	s_fmamk_f32 s14, s15, 0xcf800000, s14
	s_cvt_u32_f32 s15, s15
	s_wait_alu 0xfffe
	s_delay_alu instid0(SALU_CYCLE_1) | instskip(SKIP_1) | instid1(SALU_CYCLE_2)
	s_cvt_u32_f32 s14, s14
	s_wait_alu 0xfffe
	s_mul_u64 s[66:67], s[24:25], s[14:15]
	s_wait_alu 0xfffe
	s_mul_hi_u32 s69, s14, s67
	s_mul_i32 s68, s14, s67
	s_mul_hi_u32 s54, s14, s66
	s_mul_i32 s70, s15, s66
	s_wait_alu 0xfffe
	s_add_nc_u64 s[68:69], s[54:55], s[68:69]
	s_mul_hi_u32 s23, s15, s66
	s_mul_hi_u32 s71, s15, s67
	s_wait_alu 0xfffe
	s_add_co_u32 s54, s68, s70
	s_add_co_ci_u32 s54, s69, s23
	s_mul_i32 s66, s15, s67
	s_add_co_ci_u32 s67, s71, 0
	s_wait_alu 0xfffe
	s_add_nc_u64 s[66:67], s[54:55], s[66:67]
	s_wait_alu 0xfffe
	s_add_co_u32 s14, s14, s66
	s_cselect_b32 s23, -1, 0
	s_delay_alu instid0(SALU_CYCLE_1) | instskip(SKIP_3) | instid1(SALU_CYCLE_1)
	s_cmp_lg_u32 s23, 0
	s_add_co_ci_u32 s15, s15, s67
	s_wait_alu 0xfffe
	s_mul_u64 s[24:25], s[24:25], s[14:15]
	s_mul_hi_u32 s67, s14, s25
	s_mul_i32 s66, s14, s25
	s_mul_hi_u32 s54, s14, s24
	s_mul_i32 s68, s15, s24
	s_wait_alu 0xfffe
	s_add_nc_u64 s[66:67], s[54:55], s[66:67]
	s_mul_hi_u32 s23, s15, s24
	s_mul_hi_u32 s69, s15, s25
	s_mul_i32 s24, s15, s25
	s_wait_alu 0xfffe
	s_add_co_u32 s25, s66, s68
	s_add_co_ci_u32 s54, s67, s23
	s_add_co_ci_u32 s25, s69, 0
	s_wait_alu 0xfffe
	s_add_nc_u64 s[24:25], s[54:55], s[24:25]
	s_delay_alu instid0(SALU_CYCLE_1)
	s_add_co_u32 s14, s14, s24
	s_cselect_b32 s23, -1, 0
	s_wait_alu 0xfffe
	s_mul_hi_u32 s54, s12, s14
	s_cmp_lg_u32 s23, 0
	s_mul_hi_u32 s23, s13, s14
	s_add_co_ci_u32 s24, s15, s25
	s_mul_i32 s25, s13, s14
	s_mul_hi_u32 s15, s12, s24
	s_mul_i32 s14, s12, s24
	s_mul_hi_u32 s66, s13, s24
	s_wait_alu 0xfffe
	s_add_nc_u64 s[14:15], s[54:55], s[14:15]
	s_mul_i32 s24, s13, s24
	s_wait_alu 0xfffe
	s_add_co_u32 s14, s14, s25
	s_add_co_ci_u32 s54, s15, s23
	s_add_co_ci_u32 s25, s66, 0
	s_wait_alu 0xfffe
	s_add_nc_u64 s[14:15], s[54:55], s[24:25]
	s_wait_alu 0xfffe
	s_mul_u64 s[14:15], s[46:47], s[14:15]
	s_wait_alu 0xfffe
	s_sub_co_u32 s14, s12, s14
	s_cselect_b32 s23, -1, 0
	s_delay_alu instid0(SALU_CYCLE_1) | instskip(SKIP_4) | instid1(SALU_CYCLE_1)
	s_cmp_lg_u32 s23, 0
	s_sub_co_ci_u32 s15, s13, s15
	s_wait_alu 0xfffe
	s_sub_co_u32 s23, s14, s46
	s_cselect_b32 s24, -1, 0
	s_cmp_lg_u32 s24, 0
	s_sub_co_ci_u32 s24, s15, 0
	s_sub_co_u32 s25, s23, s46
	s_cselect_b32 s54, -1, 0
	s_wait_alu 0xfffe
	s_cmp_lg_u32 s54, 0
	s_sub_co_ci_u32 s54, s24, 0
	s_cmp_ge_u32 s23, s46
	s_cselect_b32 s66, -1, 0
	s_cmp_eq_u32 s24, 0
	s_wait_alu 0xfffe
	s_cselect_b32 s66, s66, -1
	s_wait_alu 0xfffe
	s_cmp_lg_u32 s66, 0
	s_cselect_b32 s24, s54, s24
	s_cselect_b32 s23, s25, s23
	s_cmp_ge_u32 s14, s46
	s_cselect_b32 s25, -1, 0
	s_cmp_eq_u32 s15, 0
	s_cselect_b32 s25, s25, -1
	s_delay_alu instid0(SALU_CYCLE_1)
	s_cmp_lg_u32 s25, 0
	s_cselect_b32 s15, s24, s15
	s_cselect_b32 s14, s23, s14
	s_cbranch_execnz .LBB87_113
.LBB87_112:                             ;   in Loop: Header=BB87_36 Depth=1
	v_cvt_f32_u32_e32 v2, s46
	s_sub_co_i32 s15, 0, s46
	s_delay_alu instid0(VALU_DEP_1) | instskip(NEXT) | instid1(TRANS32_DEP_1)
	v_rcp_iflag_f32_e32 v2, v2
	v_mul_f32_e32 v2, 0x4f7ffffe, v2
	s_delay_alu instid0(VALU_DEP_1) | instskip(NEXT) | instid1(VALU_DEP_1)
	v_cvt_u32_f32_e32 v2, v2
	v_readfirstlane_b32 s14, v2
	s_wait_alu 0xfffe
	s_mul_i32 s15, s15, s14
	s_wait_alu 0xfffe
	s_mul_hi_u32 s15, s14, s15
	s_wait_alu 0xfffe
	s_add_co_i32 s14, s14, s15
	s_wait_alu 0xfffe
	s_mul_hi_u32 s14, s12, s14
	s_wait_alu 0xfffe
	s_mul_i32 s14, s14, s46
	s_wait_alu 0xfffe
	s_sub_co_i32 s14, s12, s14
	s_wait_alu 0xfffe
	s_sub_co_i32 s15, s14, s46
	s_cmp_ge_u32 s14, s46
	s_wait_alu 0xfffe
	s_cselect_b32 s14, s15, s14
	s_wait_alu 0xfffe
	s_sub_co_i32 s15, s14, s46
	s_cmp_ge_u32 s14, s46
	s_wait_alu 0xfffe
	s_cselect_b32 s54, s15, s14
	s_wait_alu 0xfffe
	s_mov_b64 s[14:15], s[54:55]
.LBB87_113:                             ;   in Loop: Header=BB87_36 Depth=1
	s_wait_alu 0xfffe
	s_sub_nc_u64 s[12:13], s[12:13], s[14:15]
	s_mov_b32 s15, 0
	s_mov_b32 s14, 0
	s_mov_b32 s23, exec_lo
                                        ; implicit-def: $vgpr42
	s_wait_alu 0xfffe
	v_cmpx_gt_u64_e64 s[12:13], v[0:1]
	s_cbranch_execz .LBB87_122
; %bb.114:                              ;   in Loop: Header=BB87_36 Depth=1
	v_dual_mov_b32 v2, v0 :: v_dual_mov_b32 v9, v1
	v_mov_b32_e32 v8, v0
                                        ; implicit-def: $sgpr24
	s_branch .LBB87_117
.LBB87_115:                             ;   in Loop: Header=BB87_117 Depth=2
	s_or_b32 exec_lo, exec_lo, s25
	s_wait_loadcnt_dscnt 0x0
	s_barrier_signal -1
	s_barrier_wait -1
	global_inv scope:SCOPE_SE
	ds_load_u16 v10, v3 offset:3072
	s_mov_b32 s25, -1
	s_mov_b32 s54, -1
	s_wait_loadcnt_dscnt 0x0
	s_barrier_signal -1
	s_barrier_wait -1
	global_inv scope:SCOPE_SE
	v_and_b32_e32 v11, 0xff, v10
	s_delay_alu instid0(VALU_DEP_1)
	v_cmp_ne_u32_e32 vcc_lo, 0, v11
	s_cbranch_vccz .LBB87_120
.LBB87_116:                             ;   in Loop: Header=BB87_117 Depth=2
	s_and_b32 s25, exec_lo, s25
	s_delay_alu instid0(SALU_CYCLE_1) | instskip(SKIP_3) | instid1(SALU_CYCLE_1)
	s_or_b32 s14, s25, s14
	s_and_not1_b32 s24, s24, exec_lo
	s_wait_alu 0xfffe
	s_and_b32 s25, s54, exec_lo
	s_or_b32 s24, s24, s25
	s_and_not1_b32 exec_lo, exec_lo, s14
	s_cbranch_execz .LBB87_121
.LBB87_117:                             ;   Parent Loop BB87_36 Depth=1
                                        ; =>  This Inner Loop Header: Depth=2
	s_mov_b32 s25, exec_lo
	s_delay_alu instid0(VALU_DEP_1)
	v_cmpx_gt_u64_e64 s[6:7], v[8:9]
	s_cbranch_execz .LBB87_115
; %bb.118:                              ;   in Loop: Header=BB87_117 Depth=2
	ds_load_u8 v10, v2
	s_wait_dscnt 0x0
	v_bfe_i32 v11, v10, 0, 8
	s_delay_alu instid0(VALU_DEP_1) | instskip(NEXT) | instid1(VALU_DEP_1)
	v_add_nc_u32_e32 v11, 0x80, v11
	v_and_b32_e32 v11, v11, v41
	s_delay_alu instid0(VALU_DEP_1)
	v_cmp_eq_u32_e32 vcc_lo, v11, v22
	s_and_b32 exec_lo, exec_lo, vcc_lo
	s_cbranch_execz .LBB87_115
; %bb.119:                              ;   in Loop: Header=BB87_117 Depth=2
	v_lshlrev_b16 v10, 8, v10
	s_delay_alu instid0(VALU_DEP_1)
	v_or_b32_e32 v10, 1, v10
	ds_store_b16 v3, v10 offset:3072
	s_branch .LBB87_115
.LBB87_120:                             ;   in Loop: Header=BB87_117 Depth=2
	v_add_co_u32 v8, vcc_lo, v8, s46
	s_wait_alu 0xfffd
	v_add_co_ci_u32_e64 v9, null, 0, v9, vcc_lo
	v_add_nc_u32_e32 v2, s46, v2
	s_mov_b32 s54, 0
	s_delay_alu instid0(VALU_DEP_2)
	v_cmp_le_u64_e32 vcc_lo, s[12:13], v[8:9]
	s_or_not1_b32 s25, vcc_lo, exec_lo
	s_branch .LBB87_116
.LBB87_121:                             ;   in Loop: Header=BB87_36 Depth=1
	s_or_b32 exec_lo, exec_lo, s14
	v_and_b32_e32 v2, 0xffff, v10
	s_and_b32 s14, s24, exec_lo
	s_delay_alu instid0(VALU_DEP_1)
	v_lshrrev_b32_e32 v42, 8, v2
.LBB87_122:                             ;   in Loop: Header=BB87_36 Depth=1
	s_or_b32 exec_lo, exec_lo, s23
.LBB87_123:                             ;   in Loop: Header=BB87_36 Depth=1
	s_wait_alu 0xfffe
	s_and_b32 vcc_lo, exec_lo, s15
	s_wait_alu 0xfffe
	s_cbranch_vccz .LBB87_137
; %bb.124:                              ;   in Loop: Header=BB87_36 Depth=1
	s_mov_b32 s6, s55
	s_mov_b32 s7, s59
	s_wait_alu 0xfffe
	s_cmp_lg_u64 s[6:7], 0
	s_cbranch_scc0 .LBB87_168
; %bb.125:                              ;   in Loop: Header=BB87_36 Depth=1
	s_cvt_f32_u32 s6, s46
	s_sub_nc_u64 s[12:13], 0, s[46:47]
	s_wait_alu 0xfffe
	s_delay_alu instid0(SALU_CYCLE_1) | instskip(SKIP_1) | instid1(SALU_CYCLE_2)
	s_fmamk_f32 s6, s93, 0x0, s6
	s_wait_alu 0xfffe
	v_s_rcp_f32 s6, s6
	s_delay_alu instid0(TRANS32_DEP_1) | instskip(SKIP_1) | instid1(SALU_CYCLE_2)
	s_mul_f32 s6, s6, 0x5f7ffffc
	s_wait_alu 0xfffe
	s_mul_f32 s7, s6, 0x2f800000
	s_wait_alu 0xfffe
	s_delay_alu instid0(SALU_CYCLE_2) | instskip(SKIP_1) | instid1(SALU_CYCLE_2)
	s_trunc_f32 s7, s7
	s_wait_alu 0xfffe
	s_fmamk_f32 s6, s7, 0xcf800000, s6
	s_cvt_u32_f32 s7, s7
	s_wait_alu 0xfffe
	s_delay_alu instid0(SALU_CYCLE_1) | instskip(SKIP_1) | instid1(SALU_CYCLE_2)
	s_cvt_u32_f32 s6, s6
	s_wait_alu 0xfffe
	s_mul_u64 s[22:23], s[12:13], s[6:7]
	s_delay_alu instid0(SALU_CYCLE_1)
	s_mul_hi_u32 s25, s6, s23
	s_mul_i32 s24, s6, s23
	s_mul_hi_u32 s54, s6, s22
	s_mul_i32 s21, s7, s22
	s_wait_alu 0xfffe
	s_add_nc_u64 s[24:25], s[54:55], s[24:25]
	s_mul_hi_u32 s15, s7, s22
	s_mul_hi_u32 s66, s7, s23
	s_add_co_u32 s21, s24, s21
	s_wait_alu 0xfffe
	s_add_co_ci_u32 s54, s25, s15
	s_mul_i32 s22, s7, s23
	s_add_co_ci_u32 s23, s66, 0
	s_wait_alu 0xfffe
	s_add_nc_u64 s[22:23], s[54:55], s[22:23]
	s_delay_alu instid0(SALU_CYCLE_1)
	s_add_co_u32 s6, s6, s22
	s_cselect_b32 s15, -1, 0
	s_wait_alu 0xfffe
	s_cmp_lg_u32 s15, 0
	s_add_co_ci_u32 s7, s7, s23
	s_wait_alu 0xfffe
	s_mul_u64 s[12:13], s[12:13], s[6:7]
	s_wait_alu 0xfffe
	s_mul_hi_u32 s23, s6, s13
	s_mul_i32 s22, s6, s13
	s_mul_hi_u32 s54, s6, s12
	s_mul_i32 s21, s7, s12
	s_wait_alu 0xfffe
	s_add_nc_u64 s[22:23], s[54:55], s[22:23]
	s_mul_hi_u32 s15, s7, s12
	s_mul_hi_u32 s24, s7, s13
	s_mul_i32 s12, s7, s13
	s_add_co_u32 s13, s22, s21
	s_wait_alu 0xfffe
	s_add_co_ci_u32 s54, s23, s15
	s_add_co_ci_u32 s13, s24, 0
	s_wait_alu 0xfffe
	s_add_nc_u64 s[12:13], s[54:55], s[12:13]
	s_wait_alu 0xfffe
	s_add_co_u32 s6, s6, s12
	s_cselect_b32 s12, -1, 0
	s_wait_alu 0xfffe
	s_mul_hi_u32 s54, s58, s6
	s_cmp_lg_u32 s12, 0
	s_mul_hi_u32 s15, s59, s6
	s_add_co_ci_u32 s12, s7, s13
	s_mul_i32 s13, s59, s6
	s_wait_alu 0xfffe
	s_mul_hi_u32 s7, s58, s12
	s_mul_i32 s6, s58, s12
	s_mul_hi_u32 s21, s59, s12
	s_wait_alu 0xfffe
	s_add_nc_u64 s[6:7], s[54:55], s[6:7]
	s_mul_i32 s12, s59, s12
	s_wait_alu 0xfffe
	s_add_co_u32 s6, s6, s13
	s_add_co_ci_u32 s54, s7, s15
	s_add_co_ci_u32 s13, s21, 0
	s_wait_alu 0xfffe
	s_add_nc_u64 s[6:7], s[54:55], s[12:13]
	s_wait_alu 0xfffe
	s_mul_u64 s[6:7], s[46:47], s[6:7]
	s_wait_alu 0xfffe
	s_sub_co_u32 s6, s58, s6
	s_cselect_b32 s12, -1, 0
	s_wait_alu 0xfffe
	s_cmp_lg_u32 s12, 0
	s_sub_co_ci_u32 s7, s59, s7
	s_sub_co_u32 s12, s6, s46
	s_cselect_b32 s13, -1, 0
	s_wait_alu 0xfffe
	s_cmp_lg_u32 s13, 0
	s_sub_co_ci_u32 s13, s7, 0
	;; [unrolled: 5-line block ×3, first 2 shown]
	s_cmp_ge_u32 s12, s46
	s_cselect_b32 s22, -1, 0
	s_cmp_eq_u32 s13, 0
	s_cselect_b32 s22, s22, -1
	s_delay_alu instid0(SALU_CYCLE_1)
	s_cmp_lg_u32 s22, 0
	s_wait_alu 0xfffe
	s_cselect_b32 s13, s21, s13
	s_cselect_b32 s12, s15, s12
	s_cmp_ge_u32 s6, s46
	s_cselect_b32 s15, -1, 0
	s_cmp_eq_u32 s7, 0
	s_wait_alu 0xfffe
	s_cselect_b32 s15, s15, -1
	s_wait_alu 0xfffe
	s_cmp_lg_u32 s15, 0
	s_cselect_b32 s7, s13, s7
	s_cselect_b32 s6, s12, s6
	s_cbranch_execnz .LBB87_127
.LBB87_126:                             ;   in Loop: Header=BB87_36 Depth=1
	v_cvt_f32_u32_e32 v2, s46
	s_sub_co_i32 s7, 0, s46
	s_delay_alu instid0(VALU_DEP_1) | instskip(NEXT) | instid1(TRANS32_DEP_1)
	v_rcp_iflag_f32_e32 v2, v2
	v_mul_f32_e32 v2, 0x4f7ffffe, v2
	s_delay_alu instid0(VALU_DEP_1) | instskip(NEXT) | instid1(VALU_DEP_1)
	v_cvt_u32_f32_e32 v2, v2
	v_readfirstlane_b32 s6, v2
	s_wait_alu 0xfffe
	s_mul_i32 s7, s7, s6
	s_wait_alu 0xfffe
	s_mul_hi_u32 s7, s6, s7
	s_wait_alu 0xfffe
	s_add_co_i32 s6, s6, s7
	s_wait_alu 0xfffe
	s_mul_hi_u32 s6, s58, s6
	s_wait_alu 0xfffe
	s_mul_i32 s6, s6, s46
	s_wait_alu 0xfffe
	s_sub_co_i32 s6, s58, s6
	s_wait_alu 0xfffe
	s_sub_co_i32 s7, s6, s46
	s_cmp_ge_u32 s6, s46
	s_wait_alu 0xfffe
	s_cselect_b32 s6, s7, s6
	s_wait_alu 0xfffe
	s_sub_co_i32 s7, s6, s46
	s_cmp_ge_u32 s6, s46
	s_wait_alu 0xfffe
	s_cselect_b32 s54, s7, s6
	s_wait_alu 0xfffe
	s_mov_b64 s[6:7], s[54:55]
.LBB87_127:                             ;   in Loop: Header=BB87_36 Depth=1
	s_wait_alu 0xfffe
	s_sub_nc_u64 s[12:13], s[58:59], s[6:7]
	s_mov_b32 s7, exec_lo
                                        ; implicit-def: $vgpr42
	s_wait_alu 0xfffe
	v_cmpx_gt_u64_e64 s[12:13], v[0:1]
	s_cbranch_execz .LBB87_136
; %bb.128:                              ;   in Loop: Header=BB87_36 Depth=1
	v_dual_mov_b32 v8, v12 :: v_dual_mov_b32 v9, v13
	v_dual_mov_b32 v11, v1 :: v_dual_mov_b32 v10, v0
	s_mov_b32 s21, 0
                                        ; implicit-def: $sgpr15
	s_branch .LBB87_131
.LBB87_129:                             ;   in Loop: Header=BB87_131 Depth=2
	s_wait_alu 0xfffe
	s_or_b32 exec_lo, exec_lo, s6
	s_wait_loadcnt_dscnt 0x0
	s_barrier_signal -1
	s_barrier_wait -1
	global_inv scope:SCOPE_SE
	ds_load_u16 v2, v3 offset:3072
	s_mov_b32 s6, -1
	s_mov_b32 s22, -1
	s_wait_loadcnt_dscnt 0x0
	s_barrier_signal -1
	s_barrier_wait -1
	global_inv scope:SCOPE_SE
	v_and_b32_e32 v30, 0xff, v2
	s_delay_alu instid0(VALU_DEP_1)
	v_cmp_ne_u32_e32 vcc_lo, 0, v30
	s_cbranch_vccz .LBB87_134
.LBB87_130:                             ;   in Loop: Header=BB87_131 Depth=2
	s_wait_alu 0xfffe
	s_and_b32 s6, exec_lo, s6
	s_wait_alu 0xfffe
	s_or_b32 s21, s6, s21
	s_and_not1_b32 s6, s15, exec_lo
	s_and_b32 s15, s22, exec_lo
	s_wait_alu 0xfffe
	s_or_b32 s15, s6, s15
	s_and_not1_b32 exec_lo, exec_lo, s21
	s_cbranch_execz .LBB87_135
.LBB87_131:                             ;   Parent Loop BB87_36 Depth=1
                                        ; =>  This Inner Loop Header: Depth=2
	s_mov_b32 s6, exec_lo
	s_delay_alu instid0(VALU_DEP_1)
	v_cmpx_gt_u64_e64 s[28:29], v[10:11]
	s_cbranch_execz .LBB87_129
; %bb.132:                              ;   in Loop: Header=BB87_131 Depth=2
	global_load_u8 v2, v[8:9], off
	s_wait_loadcnt 0x0
	v_bfe_i32 v30, v2, 0, 8
	s_delay_alu instid0(VALU_DEP_1) | instskip(NEXT) | instid1(VALU_DEP_1)
	v_add_nc_u32_e32 v30, 0x80, v30
	v_and_b32_e32 v30, v30, v41
	s_delay_alu instid0(VALU_DEP_1)
	v_cmp_eq_u32_e32 vcc_lo, v30, v22
	s_and_b32 exec_lo, exec_lo, vcc_lo
	s_cbranch_execz .LBB87_129
; %bb.133:                              ;   in Loop: Header=BB87_131 Depth=2
	v_lshlrev_b16 v2, 8, v2
	s_delay_alu instid0(VALU_DEP_1)
	v_or_b32_e32 v2, 1, v2
	ds_store_b16 v3, v2 offset:3072
	s_branch .LBB87_129
.LBB87_134:                             ;   in Loop: Header=BB87_131 Depth=2
	v_add_co_u32 v10, vcc_lo, v10, s46
	s_wait_alu 0xfffd
	v_add_co_ci_u32_e64 v11, null, 0, v11, vcc_lo
	v_add_co_u32 v8, s6, v8, s52
	s_wait_alu 0xf1fe
	v_add_co_ci_u32_e64 v9, null, s53, v9, s6
	s_delay_alu instid0(VALU_DEP_3)
	v_cmp_le_u64_e32 vcc_lo, s[12:13], v[10:11]
	s_mov_b32 s22, 0
	s_or_not1_b32 s6, vcc_lo, exec_lo
	s_branch .LBB87_130
.LBB87_135:                             ;   in Loop: Header=BB87_36 Depth=1
	s_or_b32 exec_lo, exec_lo, s21
	v_and_b32_e32 v2, 0xffff, v2
	s_and_not1_b32 s6, s14, exec_lo
	s_wait_alu 0xfffe
	s_and_b32 s12, s15, exec_lo
	s_wait_alu 0xfffe
	s_or_b32 s14, s6, s12
	v_lshrrev_b32_e32 v42, 8, v2
.LBB87_136:                             ;   in Loop: Header=BB87_36 Depth=1
	s_or_b32 exec_lo, exec_lo, s7
	s_mov_b32 s21, 0
	s_mov_b32 s22, -1
.LBB87_137:                             ;   in Loop: Header=BB87_36 Depth=1
	s_wait_alu 0xfffe
	s_or_not1_b32 s6, s14, exec_lo
.LBB87_138:                             ;   in Loop: Header=BB87_36 Depth=1
	s_wait_alu 0xfffe
	s_or_b32 exec_lo, exec_lo, s17
	s_delay_alu instid0(SALU_CYCLE_1)
	s_and_not1_b32 s7, s100, exec_lo
	s_and_b32 s12, s22, exec_lo
	s_and_not1_b32 s13, s98, exec_lo
	s_and_b32 s14, s21, exec_lo
	s_and_not1_b32 s97, s97, exec_lo
	s_wait_alu 0xfffe
	s_or_b32 s100, s7, s12
	s_or_b32 s98, s13, s14
                                        ; implicit-def: $vgpr8_vgpr9
	s_and_saveexec_b32 s17, s6
	s_cbranch_execz .LBB87_35
; %bb.139:                              ;   in Loop: Header=BB87_36 Depth=1
	v_mov_b32_e32 v8, 1
	v_dual_mov_b32 v9, 0 :: v_dual_mov_b32 v2, 1
	s_xor_b32 s12, s19, -1
	s_mov_b32 s7, 0
	s_wait_alu 0xfffe
	s_and_saveexec_b32 s6, s12
	s_cbranch_execz .LBB87_148
; %bb.140:                              ;   in Loop: Header=BB87_36 Depth=1
	s_mov_b32 s7, exec_lo
	v_cmpx_le_u64_e64 v[28:29], v[4:5]
	s_wait_alu 0xfffe
	s_xor_b32 s7, exec_lo, s7
	s_cbranch_execz .LBB87_145
; %bb.141:                              ;   in Loop: Header=BB87_36 Depth=1
	ds_load_b64 v[8:9], v3 offset:5120
	v_and_b32_e32 v22, s20, v22
	v_or_b32_e32 v41, s16, v41
	s_wait_dscnt 0x0
	v_cmp_ne_u64_e32 vcc_lo, 0, v[8:9]
	s_cbranch_vccnz .LBB87_145
; %bb.142:                              ;   in Loop: Header=BB87_36 Depth=1
	s_and_saveexec_b32 s12, s2
; %bb.143:                              ;   in Loop: Header=BB87_36 Depth=1
	ds_store_b64 v3, v[4:5] offset:5128
; %bb.144:                              ;   in Loop: Header=BB87_36 Depth=1
	s_wait_alu 0xfffe
	s_or_b32 exec_lo, exec_lo, s12
	s_wait_loadcnt_dscnt 0x0
	s_barrier_signal -1
	s_barrier_wait -1
	global_inv scope:SCOPE_SE
.LBB87_145:                             ;   in Loop: Header=BB87_36 Depth=1
	s_wait_alu 0xfffe
	s_or_saveexec_b32 s7, s7
	v_mov_b32_e32 v2, 8
	s_mov_b32 s12, 0
	s_wait_alu 0xfffe
	s_xor_b32 exec_lo, exec_lo, s7
; %bb.146:                              ;   in Loop: Header=BB87_36 Depth=1
	v_sub_co_u32 v28, vcc_lo, v28, v4
	s_wait_alu 0xfffd
	v_sub_co_ci_u32_e64 v29, null, v29, v5, vcc_lo
	v_mov_b32_e32 v2, 0
	s_mov_b32 s12, exec_lo
; %bb.147:                              ;   in Loop: Header=BB87_36 Depth=1
	s_or_b32 exec_lo, exec_lo, s7
	s_delay_alu instid0(VALU_DEP_2)
	v_dual_mov_b32 v8, v28 :: v_dual_mov_b32 v9, v29
	s_wait_alu 0xfffe
	s_and_b32 s7, s12, exec_lo
.LBB87_148:                             ;   in Loop: Header=BB87_36 Depth=1
	s_wait_alu 0xfffe
	s_or_b32 exec_lo, exec_lo, s6
	s_mov_b32 s18, -1
	s_mov_b32 s6, -1
                                        ; implicit-def: $sgpr21
                                        ; implicit-def: $sgpr22
	s_and_saveexec_b32 s12, s7
	s_wait_alu 0xfffe
	s_xor_b32 s19, exec_lo, s12
	s_cbranch_execz .LBB87_293
; %bb.149:                              ;   in Loop: Header=BB87_36 Depth=1
	v_cmp_eq_u64_e32 vcc_lo, 1, v[6:7]
	v_cmp_eq_u64_e64 s6, 1, v[8:9]
                                        ; implicit-def: $sgpr22
                                        ; implicit-def: $sgpr21
	s_and_b32 s24, vcc_lo, s6
	s_mov_b32 s6, -1
	s_and_saveexec_b32 s23, s24
	s_cbranch_execz .LBB87_186
; %bb.150:                              ;   in Loop: Header=BB87_36 Depth=1
	ds_load_b64 v[4:5], v3 offset:5120
	s_wait_loadcnt_dscnt 0x0
	s_barrier_signal -1
	s_barrier_wait -1
	global_inv scope:SCOPE_SE
	v_readfirstlane_b32 s6, v4
	v_readfirstlane_b32 s7, v5
	s_and_saveexec_b32 s12, s3
; %bb.151:                              ;   in Loop: Header=BB87_36 Depth=1
	ds_store_b8 v0, v3 offset:3072
; %bb.152:                              ;   in Loop: Header=BB87_36 Depth=1
	s_wait_alu 0xfffe
	s_or_b32 exec_lo, exec_lo, s12
	s_lshl_b32 s12, 1, s91
	v_or_b32_e32 v41, s16, v41
	s_wait_alu 0xfffe
	v_and_or_b32 v22, v22, s20, s12
	s_mov_b32 s21, -1
	s_mov_b32 s22, 0
	s_cmp_eq_u64 s[6:7], 0
	s_mov_b32 s14, 0
	s_mov_b32 s15, -1
	s_wait_loadcnt_dscnt 0x0
	s_barrier_signal -1
	s_barrier_wait -1
	global_inv scope:SCOPE_SE
                                        ; implicit-def: $vgpr42
	s_cbranch_scc1 .LBB87_171
; %bb.153:                              ;   in Loop: Header=BB87_36 Depth=1
	s_add_nc_u64 s[12:13], s[6:7], s[56:57]
	s_mov_b32 s14, s55
	s_wait_alu 0xfffe
	s_mov_b32 s15, s13
	s_wait_alu 0xfffe
	s_cmp_lg_u64 s[14:15], 0
	s_cbranch_scc0 .LBB87_213
; %bb.154:                              ;   in Loop: Header=BB87_36 Depth=1
	s_cvt_f32_u32 s14, s46
	s_sub_nc_u64 s[66:67], 0, s[46:47]
	s_wait_alu 0xfffe
	s_delay_alu instid0(SALU_CYCLE_1) | instskip(SKIP_1) | instid1(SALU_CYCLE_2)
	s_fmamk_f32 s14, s93, 0x0, s14
	s_wait_alu 0xfffe
	v_s_rcp_f32 s14, s14
	s_delay_alu instid0(TRANS32_DEP_1) | instskip(SKIP_1) | instid1(SALU_CYCLE_2)
	s_mul_f32 s14, s14, 0x5f7ffffc
	s_wait_alu 0xfffe
	s_mul_f32 s15, s14, 0x2f800000
	s_wait_alu 0xfffe
	s_delay_alu instid0(SALU_CYCLE_2) | instskip(SKIP_1) | instid1(SALU_CYCLE_2)
	s_trunc_f32 s15, s15
	s_wait_alu 0xfffe
	s_fmamk_f32 s14, s15, 0xcf800000, s14
	s_cvt_u32_f32 s15, s15
	s_wait_alu 0xfffe
	s_delay_alu instid0(SALU_CYCLE_1) | instskip(SKIP_1) | instid1(SALU_CYCLE_2)
	s_cvt_u32_f32 s14, s14
	s_wait_alu 0xfffe
	s_mul_u64 s[68:69], s[66:67], s[14:15]
	s_wait_alu 0xfffe
	s_mul_hi_u32 s71, s14, s69
	s_mul_i32 s70, s14, s69
	s_mul_hi_u32 s54, s14, s68
	s_mul_i32 s72, s15, s68
	s_wait_alu 0xfffe
	s_add_nc_u64 s[70:71], s[54:55], s[70:71]
	s_mul_hi_u32 s25, s15, s68
	s_mul_hi_u32 s73, s15, s69
	s_wait_alu 0xfffe
	s_add_co_u32 s54, s70, s72
	s_add_co_ci_u32 s54, s71, s25
	s_mul_i32 s68, s15, s69
	s_add_co_ci_u32 s69, s73, 0
	s_wait_alu 0xfffe
	s_add_nc_u64 s[68:69], s[54:55], s[68:69]
	s_wait_alu 0xfffe
	s_add_co_u32 s14, s14, s68
	s_cselect_b32 s25, -1, 0
	s_delay_alu instid0(SALU_CYCLE_1)
	s_cmp_lg_u32 s25, 0
	s_add_co_ci_u32 s15, s15, s69
	s_wait_alu 0xfffe
	s_mul_u64 s[66:67], s[66:67], s[14:15]
	s_wait_alu 0xfffe
	s_mul_hi_u32 s69, s14, s67
	s_mul_i32 s68, s14, s67
	s_mul_hi_u32 s54, s14, s66
	s_mul_i32 s70, s15, s66
	s_wait_alu 0xfffe
	s_add_nc_u64 s[68:69], s[54:55], s[68:69]
	s_mul_hi_u32 s25, s15, s66
	s_mul_hi_u32 s71, s15, s67
	s_wait_alu 0xfffe
	s_add_co_u32 s54, s68, s70
	s_add_co_ci_u32 s54, s69, s25
	s_mul_i32 s66, s15, s67
	s_add_co_ci_u32 s67, s71, 0
	s_wait_alu 0xfffe
	s_add_nc_u64 s[66:67], s[54:55], s[66:67]
	s_wait_alu 0xfffe
	s_add_co_u32 s14, s14, s66
	s_cselect_b32 s25, -1, 0
	s_wait_alu 0xfffe
	s_mul_hi_u32 s54, s12, s14
	s_cmp_lg_u32 s25, 0
	s_mul_hi_u32 s25, s13, s14
	s_add_co_ci_u32 s66, s15, s67
	s_mul_i32 s67, s13, s14
	s_wait_alu 0xfffe
	s_mul_hi_u32 s15, s12, s66
	s_mul_i32 s14, s12, s66
	s_mul_hi_u32 s68, s13, s66
	s_wait_alu 0xfffe
	s_add_nc_u64 s[14:15], s[54:55], s[14:15]
	s_mul_i32 s66, s13, s66
	s_wait_alu 0xfffe
	s_add_co_u32 s14, s14, s67
	s_add_co_ci_u32 s54, s15, s25
	s_add_co_ci_u32 s67, s68, 0
	s_wait_alu 0xfffe
	s_add_nc_u64 s[14:15], s[54:55], s[66:67]
	s_wait_alu 0xfffe
	s_mul_u64 s[14:15], s[46:47], s[14:15]
	s_wait_alu 0xfffe
	s_sub_co_u32 s14, s12, s14
	s_cselect_b32 s25, -1, 0
	s_delay_alu instid0(SALU_CYCLE_1)
	s_cmp_lg_u32 s25, 0
	s_sub_co_ci_u32 s15, s13, s15
	s_wait_alu 0xfffe
	s_sub_co_u32 s25, s14, s46
	s_cselect_b32 s54, -1, 0
	s_wait_alu 0xfffe
	s_cmp_lg_u32 s54, 0
	s_sub_co_ci_u32 s54, s15, 0
	s_sub_co_u32 s66, s25, s46
	s_cselect_b32 s67, -1, 0
	s_wait_alu 0xfffe
	s_cmp_lg_u32 s67, 0
	s_sub_co_ci_u32 s67, s54, 0
	s_cmp_ge_u32 s25, s46
	s_cselect_b32 s68, -1, 0
	s_cmp_eq_u32 s54, 0
	s_wait_alu 0xfffe
	s_cselect_b32 s68, s68, -1
	s_wait_alu 0xfffe
	s_cmp_lg_u32 s68, 0
	s_cselect_b32 s54, s67, s54
	s_cselect_b32 s25, s66, s25
	s_cmp_ge_u32 s14, s46
	s_cselect_b32 s66, -1, 0
	s_cmp_eq_u32 s15, 0
	s_wait_alu 0xfffe
	s_cselect_b32 s66, s66, -1
	s_wait_alu 0xfffe
	s_cmp_lg_u32 s66, 0
	s_cselect_b32 s15, s54, s15
	s_cselect_b32 s14, s25, s14
	s_cbranch_execnz .LBB87_156
.LBB87_155:                             ;   in Loop: Header=BB87_36 Depth=1
	v_cvt_f32_u32_e32 v4, s46
	s_sub_co_i32 s15, 0, s46
	s_delay_alu instid0(VALU_DEP_1) | instskip(NEXT) | instid1(TRANS32_DEP_1)
	v_rcp_iflag_f32_e32 v4, v4
	v_mul_f32_e32 v4, 0x4f7ffffe, v4
	s_delay_alu instid0(VALU_DEP_1) | instskip(NEXT) | instid1(VALU_DEP_1)
	v_cvt_u32_f32_e32 v4, v4
	v_readfirstlane_b32 s14, v4
	s_wait_alu 0xfffe
	s_mul_i32 s15, s15, s14
	s_wait_alu 0xfffe
	s_mul_hi_u32 s15, s14, s15
	s_wait_alu 0xfffe
	s_add_co_i32 s14, s14, s15
	s_wait_alu 0xfffe
	s_mul_hi_u32 s14, s12, s14
	s_wait_alu 0xfffe
	s_mul_i32 s14, s14, s46
	s_wait_alu 0xfffe
	s_sub_co_i32 s14, s12, s14
	s_wait_alu 0xfffe
	s_sub_co_i32 s15, s14, s46
	s_cmp_ge_u32 s14, s46
	s_wait_alu 0xfffe
	s_cselect_b32 s14, s15, s14
	s_wait_alu 0xfffe
	s_sub_co_i32 s15, s14, s46
	s_cmp_ge_u32 s14, s46
	s_wait_alu 0xfffe
	s_cselect_b32 s54, s15, s14
	s_wait_alu 0xfffe
	s_mov_b64 s[14:15], s[54:55]
.LBB87_156:                             ;   in Loop: Header=BB87_36 Depth=1
	s_wait_alu 0xfffe
	s_sub_nc_u64 s[12:13], s[12:13], s[14:15]
	s_mov_b32 s15, 0
	s_mov_b32 s14, 0
	s_mov_b32 s25, exec_lo
                                        ; implicit-def: $vgpr42
	s_wait_alu 0xfffe
	v_cmpx_gt_u64_e64 s[12:13], v[0:1]
	s_cbranch_execz .LBB87_170
; %bb.157:                              ;   in Loop: Header=BB87_36 Depth=1
	v_dual_mov_b32 v10, v0 :: v_dual_mov_b32 v5, v1
	v_mov_b32_e32 v4, v0
                                        ; implicit-def: $sgpr54
	s_branch .LBB87_160
.LBB87_158:                             ;   in Loop: Header=BB87_160 Depth=2
	s_wait_alu 0xfffe
	s_or_b32 exec_lo, exec_lo, s66
	s_wait_loadcnt_dscnt 0x0
	s_barrier_signal -1
	s_barrier_wait -1
	global_inv scope:SCOPE_SE
	ds_load_u16 v11, v3 offset:3072
	s_mov_b32 s66, -1
	s_mov_b32 s67, -1
	s_wait_loadcnt_dscnt 0x0
	s_barrier_signal -1
	s_barrier_wait -1
	global_inv scope:SCOPE_SE
	v_and_b32_e32 v28, 0xff, v11
	s_delay_alu instid0(VALU_DEP_1)
	v_cmp_ne_u32_e32 vcc_lo, 0, v28
	s_cbranch_vccz .LBB87_163
.LBB87_159:                             ;   in Loop: Header=BB87_160 Depth=2
	s_wait_alu 0xfffe
	s_and_b32 s66, exec_lo, s66
	s_wait_alu 0xfffe
	s_or_b32 s14, s66, s14
	s_and_not1_b32 s54, s54, exec_lo
	s_and_b32 s66, s67, exec_lo
	s_wait_alu 0xfffe
	s_or_b32 s54, s54, s66
	s_and_not1_b32 exec_lo, exec_lo, s14
	s_cbranch_execz .LBB87_169
.LBB87_160:                             ;   Parent Loop BB87_36 Depth=1
                                        ; =>  This Inner Loop Header: Depth=2
	s_mov_b32 s66, exec_lo
	s_delay_alu instid0(VALU_DEP_1)
	v_cmpx_gt_u64_e64 s[6:7], v[4:5]
	s_cbranch_execz .LBB87_158
; %bb.161:                              ;   in Loop: Header=BB87_160 Depth=2
	ds_load_u8 v11, v10
	s_wait_dscnt 0x0
	v_bfe_i32 v28, v11, 0, 8
	s_delay_alu instid0(VALU_DEP_1) | instskip(NEXT) | instid1(VALU_DEP_1)
	v_add_nc_u32_e32 v28, 0x80, v28
	v_and_b32_e32 v28, v28, v41
	s_delay_alu instid0(VALU_DEP_1)
	v_cmp_eq_u32_e32 vcc_lo, v28, v22
	s_and_b32 exec_lo, exec_lo, vcc_lo
	s_cbranch_execz .LBB87_158
; %bb.162:                              ;   in Loop: Header=BB87_160 Depth=2
	v_lshlrev_b16 v11, 8, v11
	s_delay_alu instid0(VALU_DEP_1)
	v_or_b32_e32 v11, 1, v11
	ds_store_b16 v3, v11 offset:3072
	s_branch .LBB87_158
.LBB87_163:                             ;   in Loop: Header=BB87_160 Depth=2
	v_add_co_u32 v4, vcc_lo, v4, s46
	s_wait_alu 0xfffd
	v_add_co_ci_u32_e64 v5, null, 0, v5, vcc_lo
	v_add_nc_u32_e32 v10, s46, v10
	s_mov_b32 s67, 0
	s_delay_alu instid0(VALU_DEP_2)
	v_cmp_le_u64_e32 vcc_lo, s[12:13], v[4:5]
	s_or_not1_b32 s66, vcc_lo, exec_lo
	s_branch .LBB87_159
.LBB87_164:                             ;   in Loop: Header=BB87_36 Depth=1
                                        ; implicit-def: $sgpr14_sgpr15
	s_branch .LBB87_112
.LBB87_165:                             ;   in Loop: Header=BB87_36 Depth=1
	s_or_b32 exec_lo, exec_lo, s9
	s_wait_dscnt 0x0
	s_barrier_signal -1
	s_barrier_wait -1
	global_inv scope:SCOPE_SE
	s_and_saveexec_b32 s6, s2
	s_cbranch_execz .LBB87_167
; %bb.166:                              ;   in Loop: Header=BB87_36 Depth=1
	ds_load_b32 v4, v3 offset:5144
	s_wait_dscnt 0x0
	v_ashrrev_i32_e32 v5, 31, v4
	ds_store_b64 v3, v[4:5] offset:5120
.LBB87_167:                             ;   in Loop: Header=BB87_36 Depth=1
	s_wait_alu 0xfffe
	s_or_b32 exec_lo, exec_lo, s6
	s_wait_loadcnt_dscnt 0x0
	s_barrier_signal -1
	s_mov_b32 s6, -1
	s_barrier_wait -1
	s_and_b32 vcc_lo, exec_lo, s8
	s_wait_alu 0xfffe
	s_cbranch_vccnz .LBB87_51
	s_branch .LBB87_66
.LBB87_168:                             ;   in Loop: Header=BB87_36 Depth=1
                                        ; implicit-def: $sgpr6_sgpr7
	s_branch .LBB87_126
.LBB87_169:                             ;   in Loop: Header=BB87_36 Depth=1
	s_or_b32 exec_lo, exec_lo, s14
	v_and_b32_e32 v4, 0xffff, v11
	s_wait_alu 0xfffe
	s_and_b32 s14, s54, exec_lo
	s_delay_alu instid0(VALU_DEP_1)
	v_lshrrev_b32_e32 v42, 8, v4
.LBB87_170:                             ;   in Loop: Header=BB87_36 Depth=1
	s_or_b32 exec_lo, exec_lo, s25
.LBB87_171:                             ;   in Loop: Header=BB87_36 Depth=1
	s_wait_alu 0xfffe
	s_and_b32 vcc_lo, exec_lo, s15
	s_wait_alu 0xfffe
	s_cbranch_vccz .LBB87_185
; %bb.172:                              ;   in Loop: Header=BB87_36 Depth=1
	s_mov_b32 s6, s55
	s_mov_b32 s7, s59
	s_wait_alu 0xfffe
	s_cmp_lg_u64 s[6:7], 0
	s_cbranch_scc0 .LBB87_214
; %bb.173:                              ;   in Loop: Header=BB87_36 Depth=1
	s_cvt_f32_u32 s6, s46
	s_sub_nc_u64 s[12:13], 0, s[46:47]
	s_wait_alu 0xfffe
	s_delay_alu instid0(SALU_CYCLE_1) | instskip(SKIP_1) | instid1(SALU_CYCLE_2)
	s_fmamk_f32 s6, s93, 0x0, s6
	s_wait_alu 0xfffe
	v_s_rcp_f32 s6, s6
	s_delay_alu instid0(TRANS32_DEP_1) | instskip(SKIP_1) | instid1(SALU_CYCLE_2)
	s_mul_f32 s6, s6, 0x5f7ffffc
	s_wait_alu 0xfffe
	s_mul_f32 s7, s6, 0x2f800000
	s_wait_alu 0xfffe
	s_delay_alu instid0(SALU_CYCLE_2) | instskip(SKIP_1) | instid1(SALU_CYCLE_2)
	s_trunc_f32 s7, s7
	s_wait_alu 0xfffe
	s_fmamk_f32 s6, s7, 0xcf800000, s6
	s_cvt_u32_f32 s7, s7
	s_wait_alu 0xfffe
	s_delay_alu instid0(SALU_CYCLE_1) | instskip(SKIP_1) | instid1(SALU_CYCLE_2)
	s_cvt_u32_f32 s6, s6
	s_wait_alu 0xfffe
	s_mul_u64 s[66:67], s[12:13], s[6:7]
	s_wait_alu 0xfffe
	s_mul_hi_u32 s69, s6, s67
	s_mul_i32 s68, s6, s67
	s_mul_hi_u32 s54, s6, s66
	s_mul_i32 s21, s7, s66
	s_wait_alu 0xfffe
	s_add_nc_u64 s[68:69], s[54:55], s[68:69]
	s_mul_hi_u32 s15, s7, s66
	s_mul_hi_u32 s22, s7, s67
	s_wait_alu 0xfffe
	s_add_co_u32 s21, s68, s21
	s_add_co_ci_u32 s54, s69, s15
	s_mul_i32 s66, s7, s67
	s_add_co_ci_u32 s67, s22, 0
	s_wait_alu 0xfffe
	s_add_nc_u64 s[66:67], s[54:55], s[66:67]
	s_wait_alu 0xfffe
	s_add_co_u32 s6, s6, s66
	s_cselect_b32 s15, -1, 0
	s_wait_alu 0xfffe
	s_cmp_lg_u32 s15, 0
	s_add_co_ci_u32 s7, s7, s67
	s_wait_alu 0xfffe
	s_mul_u64 s[12:13], s[12:13], s[6:7]
	s_wait_alu 0xfffe
	s_mul_hi_u32 s67, s6, s13
	s_mul_i32 s66, s6, s13
	s_mul_hi_u32 s54, s6, s12
	s_mul_i32 s21, s7, s12
	s_wait_alu 0xfffe
	s_add_nc_u64 s[66:67], s[54:55], s[66:67]
	s_mul_hi_u32 s15, s7, s12
	s_mul_hi_u32 s22, s7, s13
	s_mul_i32 s12, s7, s13
	s_wait_alu 0xfffe
	s_add_co_u32 s13, s66, s21
	s_add_co_ci_u32 s54, s67, s15
	s_add_co_ci_u32 s13, s22, 0
	s_wait_alu 0xfffe
	s_add_nc_u64 s[12:13], s[54:55], s[12:13]
	s_wait_alu 0xfffe
	s_add_co_u32 s6, s6, s12
	s_cselect_b32 s12, -1, 0
	s_wait_alu 0xfffe
	s_mul_hi_u32 s54, s58, s6
	s_cmp_lg_u32 s12, 0
	s_mul_hi_u32 s15, s59, s6
	s_add_co_ci_u32 s12, s7, s13
	s_mul_i32 s13, s59, s6
	s_wait_alu 0xfffe
	s_mul_hi_u32 s7, s58, s12
	s_mul_i32 s6, s58, s12
	s_mul_hi_u32 s21, s59, s12
	s_wait_alu 0xfffe
	s_add_nc_u64 s[6:7], s[54:55], s[6:7]
	s_mul_i32 s12, s59, s12
	s_wait_alu 0xfffe
	s_add_co_u32 s6, s6, s13
	s_add_co_ci_u32 s54, s7, s15
	s_add_co_ci_u32 s13, s21, 0
	s_wait_alu 0xfffe
	s_add_nc_u64 s[6:7], s[54:55], s[12:13]
	s_wait_alu 0xfffe
	s_mul_u64 s[6:7], s[46:47], s[6:7]
	s_wait_alu 0xfffe
	s_sub_co_u32 s6, s58, s6
	s_cselect_b32 s12, -1, 0
	s_wait_alu 0xfffe
	s_cmp_lg_u32 s12, 0
	s_sub_co_ci_u32 s7, s59, s7
	s_sub_co_u32 s12, s6, s46
	s_cselect_b32 s13, -1, 0
	s_wait_alu 0xfffe
	s_cmp_lg_u32 s13, 0
	s_sub_co_ci_u32 s13, s7, 0
	;; [unrolled: 5-line block ×3, first 2 shown]
	s_cmp_ge_u32 s12, s46
	s_cselect_b32 s22, -1, 0
	s_cmp_eq_u32 s13, 0
	s_cselect_b32 s22, s22, -1
	s_delay_alu instid0(SALU_CYCLE_1)
	s_cmp_lg_u32 s22, 0
	s_wait_alu 0xfffe
	s_cselect_b32 s13, s21, s13
	s_cselect_b32 s12, s15, s12
	s_cmp_ge_u32 s6, s46
	s_cselect_b32 s15, -1, 0
	s_cmp_eq_u32 s7, 0
	s_wait_alu 0xfffe
	s_cselect_b32 s15, s15, -1
	s_wait_alu 0xfffe
	s_cmp_lg_u32 s15, 0
	s_cselect_b32 s7, s13, s7
	s_cselect_b32 s6, s12, s6
	s_cbranch_execnz .LBB87_175
.LBB87_174:                             ;   in Loop: Header=BB87_36 Depth=1
	v_cvt_f32_u32_e32 v4, s46
	s_sub_co_i32 s7, 0, s46
	s_delay_alu instid0(VALU_DEP_1) | instskip(NEXT) | instid1(TRANS32_DEP_1)
	v_rcp_iflag_f32_e32 v4, v4
	v_mul_f32_e32 v4, 0x4f7ffffe, v4
	s_delay_alu instid0(VALU_DEP_1) | instskip(NEXT) | instid1(VALU_DEP_1)
	v_cvt_u32_f32_e32 v4, v4
	v_readfirstlane_b32 s6, v4
	s_wait_alu 0xfffe
	s_mul_i32 s7, s7, s6
	s_wait_alu 0xfffe
	s_mul_hi_u32 s7, s6, s7
	s_wait_alu 0xfffe
	s_add_co_i32 s6, s6, s7
	s_wait_alu 0xfffe
	s_mul_hi_u32 s6, s58, s6
	s_wait_alu 0xfffe
	s_mul_i32 s6, s6, s46
	s_wait_alu 0xfffe
	s_sub_co_i32 s6, s58, s6
	s_wait_alu 0xfffe
	s_sub_co_i32 s7, s6, s46
	s_cmp_ge_u32 s6, s46
	s_wait_alu 0xfffe
	s_cselect_b32 s6, s7, s6
	s_wait_alu 0xfffe
	s_sub_co_i32 s7, s6, s46
	s_cmp_ge_u32 s6, s46
	s_wait_alu 0xfffe
	s_cselect_b32 s54, s7, s6
	s_wait_alu 0xfffe
	s_mov_b64 s[6:7], s[54:55]
.LBB87_175:                             ;   in Loop: Header=BB87_36 Depth=1
	s_wait_alu 0xfffe
	s_sub_nc_u64 s[12:13], s[58:59], s[6:7]
	s_mov_b32 s7, exec_lo
                                        ; implicit-def: $vgpr42
	s_wait_alu 0xfffe
	v_cmpx_gt_u64_e64 s[12:13], v[0:1]
	s_cbranch_execz .LBB87_184
; %bb.176:                              ;   in Loop: Header=BB87_36 Depth=1
	v_dual_mov_b32 v4, v12 :: v_dual_mov_b32 v5, v13
	v_dual_mov_b32 v11, v1 :: v_dual_mov_b32 v10, v0
	s_mov_b32 s15, 0
                                        ; implicit-def: $sgpr21
	s_branch .LBB87_179
.LBB87_177:                             ;   in Loop: Header=BB87_179 Depth=2
	s_wait_alu 0xfffe
	s_or_b32 exec_lo, exec_lo, s6
	s_wait_loadcnt_dscnt 0x0
	s_barrier_signal -1
	s_barrier_wait -1
	global_inv scope:SCOPE_SE
	ds_load_u16 v28, v3 offset:3072
	s_mov_b32 s6, -1
	s_mov_b32 s22, -1
	s_wait_loadcnt_dscnt 0x0
	s_barrier_signal -1
	s_barrier_wait -1
	global_inv scope:SCOPE_SE
	v_and_b32_e32 v29, 0xff, v28
	s_delay_alu instid0(VALU_DEP_1)
	v_cmp_eq_u32_e32 vcc_lo, 0, v29
	s_cbranch_vccnz .LBB87_182
.LBB87_178:                             ;   in Loop: Header=BB87_179 Depth=2
	s_wait_alu 0xfffe
	s_and_b32 s6, exec_lo, s6
	s_wait_alu 0xfffe
	s_or_b32 s15, s6, s15
	s_and_not1_b32 s6, s21, exec_lo
	s_and_b32 s21, s22, exec_lo
	s_wait_alu 0xfffe
	s_or_b32 s21, s6, s21
	s_and_not1_b32 exec_lo, exec_lo, s15
	s_cbranch_execz .LBB87_183
.LBB87_179:                             ;   Parent Loop BB87_36 Depth=1
                                        ; =>  This Inner Loop Header: Depth=2
	s_mov_b32 s6, exec_lo
	s_delay_alu instid0(VALU_DEP_1)
	v_cmpx_gt_u64_e64 s[28:29], v[10:11]
	s_cbranch_execz .LBB87_177
; %bb.180:                              ;   in Loop: Header=BB87_179 Depth=2
	global_load_u8 v28, v[4:5], off
	s_wait_loadcnt 0x0
	v_bfe_i32 v29, v28, 0, 8
	s_delay_alu instid0(VALU_DEP_1) | instskip(NEXT) | instid1(VALU_DEP_1)
	v_add_nc_u32_e32 v29, 0x80, v29
	v_and_b32_e32 v29, v29, v41
	s_delay_alu instid0(VALU_DEP_1)
	v_cmp_eq_u32_e32 vcc_lo, v29, v22
	s_and_b32 exec_lo, exec_lo, vcc_lo
	s_cbranch_execz .LBB87_177
; %bb.181:                              ;   in Loop: Header=BB87_179 Depth=2
	v_lshlrev_b16 v28, 8, v28
	s_delay_alu instid0(VALU_DEP_1)
	v_or_b32_e32 v28, 1, v28
	ds_store_b16 v3, v28 offset:3072
	s_branch .LBB87_177
.LBB87_182:                             ;   in Loop: Header=BB87_179 Depth=2
	v_add_co_u32 v10, vcc_lo, v10, s46
	s_wait_alu 0xfffd
	v_add_co_ci_u32_e64 v11, null, 0, v11, vcc_lo
	v_add_co_u32 v4, s6, v4, s52
	s_wait_alu 0xf1fe
	v_add_co_ci_u32_e64 v5, null, s53, v5, s6
	s_delay_alu instid0(VALU_DEP_3)
	v_cmp_le_u64_e32 vcc_lo, s[12:13], v[10:11]
	s_mov_b32 s22, 0
	s_or_not1_b32 s6, vcc_lo, exec_lo
	s_branch .LBB87_178
.LBB87_183:                             ;   in Loop: Header=BB87_36 Depth=1
	s_or_b32 exec_lo, exec_lo, s15
	v_and_b32_e32 v4, 0xffff, v28
	s_and_not1_b32 s6, s14, exec_lo
	s_wait_alu 0xfffe
	s_and_b32 s12, s21, exec_lo
	s_wait_alu 0xfffe
	s_or_b32 s14, s6, s12
	v_lshrrev_b32_e32 v42, 8, v4
.LBB87_184:                             ;   in Loop: Header=BB87_36 Depth=1
	s_or_b32 exec_lo, exec_lo, s7
	s_mov_b32 s21, 0
	s_mov_b32 s22, -1
.LBB87_185:                             ;   in Loop: Header=BB87_36 Depth=1
	s_wait_alu 0xfffe
	s_or_not1_b32 s6, s14, exec_lo
.LBB87_186:                             ;   in Loop: Header=BB87_36 Depth=1
	s_or_b32 exec_lo, exec_lo, s23
	s_mov_b32 s7, 0
	s_wait_alu 0xfffe
	s_and_saveexec_b32 s23, s6
	s_cbranch_execz .LBB87_292
; %bb.187:                              ;   in Loop: Header=BB87_36 Depth=1
	v_mov_b32_e32 v4, 1
	v_dual_mov_b32 v5, 0 :: v_dual_mov_b32 v2, 1
	s_xor_b32 s12, s24, -1
	s_wait_alu 0xfffe
	s_and_saveexec_b32 s6, s12
	s_cbranch_execz .LBB87_197
; %bb.188:                              ;   in Loop: Header=BB87_36 Depth=1
	s_mov_b32 s7, exec_lo
	v_cmpx_le_u64_e64 v[8:9], v[6:7]
	s_wait_alu 0xfffe
	s_xor_b32 s7, exec_lo, s7
	s_cbranch_execz .LBB87_194
; %bb.189:                              ;   in Loop: Header=BB87_36 Depth=1
	ds_load_b64 v[4:5], v3 offset:5120
	s_lshl_b32 s12, 1, s91
	v_or_b32_e32 v41, s16, v41
	s_wait_alu 0xfffe
	v_and_or_b32 v22, v22, s20, s12
	s_wait_dscnt 0x0
	v_cmp_ne_u64_e32 vcc_lo, 0, v[4:5]
	s_cbranch_vccnz .LBB87_193
; %bb.190:                              ;   in Loop: Header=BB87_36 Depth=1
	s_and_saveexec_b32 s12, s2
; %bb.191:                              ;   in Loop: Header=BB87_36 Depth=1
	ds_store_b64 v3, v[6:7] offset:5128
; %bb.192:                              ;   in Loop: Header=BB87_36 Depth=1
	s_wait_alu 0xfffe
	s_or_b32 exec_lo, exec_lo, s12
	s_wait_loadcnt_dscnt 0x0
	s_barrier_signal -1
	s_barrier_wait -1
	global_inv scope:SCOPE_SE
.LBB87_193:                             ;   in Loop: Header=BB87_36 Depth=1
                                        ; implicit-def: $vgpr4_vgpr5_vgpr6_vgpr7
.LBB87_194:                             ;   in Loop: Header=BB87_36 Depth=1
	s_wait_alu 0xfffe
	s_or_saveexec_b32 s7, s7
	v_mov_b32_e32 v2, 8
	s_mov_b32 s12, 0
	s_wait_alu 0xfffe
	s_xor_b32 exec_lo, exec_lo, s7
; %bb.195:                              ;   in Loop: Header=BB87_36 Depth=1
	v_sub_co_u32 v8, vcc_lo, v8, v6
	s_wait_alu 0xfffd
	v_sub_co_ci_u32_e64 v9, null, v9, v7, vcc_lo
	v_mov_b32_e32 v2, 0
	s_mov_b32 s12, exec_lo
; %bb.196:                              ;   in Loop: Header=BB87_36 Depth=1
	s_or_b32 exec_lo, exec_lo, s7
	s_delay_alu instid0(VALU_DEP_2)
	v_dual_mov_b32 v4, v8 :: v_dual_mov_b32 v5, v9
	s_wait_alu 0xfffe
	s_and_b32 s7, s12, exec_lo
.LBB87_197:                             ;   in Loop: Header=BB87_36 Depth=1
	s_wait_alu 0xfffe
	s_or_b32 exec_lo, exec_lo, s6
	s_mov_b32 s6, -1
                                        ; implicit-def: $sgpr25
                                        ; implicit-def: $sgpr66
	s_and_saveexec_b32 s24, s7
	s_cbranch_execz .LBB87_291
; %bb.198:                              ;   in Loop: Header=BB87_36 Depth=1
	v_cmp_eq_u64_e32 vcc_lo, 1, v[4:5]
	s_cmp_eq_u64 s[10:11], 1
                                        ; implicit-def: $sgpr66
                                        ; implicit-def: $sgpr25
	s_cselect_b32 s6, -1, 0
	s_wait_alu 0xfffe
	s_and_b32 s67, s6, vcc_lo
	s_mov_b32 s6, -1
	s_wait_alu 0xfffe
	s_and_saveexec_b32 s68, s67
	s_cbranch_execz .LBB87_232
; %bb.199:                              ;   in Loop: Header=BB87_36 Depth=1
	ds_load_b64 v[6:7], v3 offset:5120
	s_wait_loadcnt_dscnt 0x0
	s_barrier_signal -1
	s_barrier_wait -1
	global_inv scope:SCOPE_SE
	v_readfirstlane_b32 s6, v6
	v_readfirstlane_b32 s7, v7
	s_and_saveexec_b32 s12, s3
; %bb.200:                              ;   in Loop: Header=BB87_36 Depth=1
	ds_store_b8 v0, v3 offset:3072
; %bb.201:                              ;   in Loop: Header=BB87_36 Depth=1
	s_wait_alu 0xfffe
	s_or_b32 exec_lo, exec_lo, s12
	s_lshl_b32 s12, 2, s91
	v_or_b32_e32 v41, s16, v41
	s_wait_alu 0xfffe
	v_and_or_b32 v22, v22, s20, s12
	s_mov_b32 s25, -1
	s_mov_b32 s66, 0
	s_cmp_eq_u64 s[6:7], 0
	s_mov_b32 s14, 0
	s_mov_b32 s15, -1
	s_wait_loadcnt_dscnt 0x0
	s_barrier_signal -1
	s_barrier_wait -1
	global_inv scope:SCOPE_SE
                                        ; implicit-def: $vgpr42
	s_cbranch_scc1 .LBB87_217
; %bb.202:                              ;   in Loop: Header=BB87_36 Depth=1
	s_add_nc_u64 s[12:13], s[6:7], s[56:57]
	s_mov_b32 s14, s55
	s_wait_alu 0xfffe
	s_mov_b32 s15, s13
	s_wait_alu 0xfffe
	s_cmp_lg_u64 s[14:15], 0
	s_cbranch_scc0 .LBB87_258
; %bb.203:                              ;   in Loop: Header=BB87_36 Depth=1
	s_cvt_f32_u32 s14, s46
	s_sub_nc_u64 s[70:71], 0, s[46:47]
	s_wait_alu 0xfffe
	s_delay_alu instid0(SALU_CYCLE_1) | instskip(SKIP_1) | instid1(SALU_CYCLE_2)
	s_fmamk_f32 s14, s93, 0x0, s14
	s_wait_alu 0xfffe
	v_s_rcp_f32 s14, s14
	s_delay_alu instid0(TRANS32_DEP_1) | instskip(SKIP_1) | instid1(SALU_CYCLE_2)
	s_mul_f32 s14, s14, 0x5f7ffffc
	s_wait_alu 0xfffe
	s_mul_f32 s15, s14, 0x2f800000
	s_wait_alu 0xfffe
	s_delay_alu instid0(SALU_CYCLE_2) | instskip(SKIP_1) | instid1(SALU_CYCLE_2)
	s_trunc_f32 s15, s15
	s_wait_alu 0xfffe
	s_fmamk_f32 s14, s15, 0xcf800000, s14
	s_cvt_u32_f32 s15, s15
	s_wait_alu 0xfffe
	s_delay_alu instid0(SALU_CYCLE_1) | instskip(SKIP_1) | instid1(SALU_CYCLE_2)
	s_cvt_u32_f32 s14, s14
	s_wait_alu 0xfffe
	s_mul_u64 s[72:73], s[70:71], s[14:15]
	s_wait_alu 0xfffe
	s_mul_hi_u32 s75, s14, s73
	s_mul_i32 s74, s14, s73
	s_mul_hi_u32 s54, s14, s72
	s_mul_i32 s76, s15, s72
	s_wait_alu 0xfffe
	s_add_nc_u64 s[74:75], s[54:55], s[74:75]
	s_mul_hi_u32 s69, s15, s72
	s_mul_hi_u32 s77, s15, s73
	s_wait_alu 0xfffe
	s_add_co_u32 s54, s74, s76
	s_add_co_ci_u32 s54, s75, s69
	s_mul_i32 s72, s15, s73
	s_add_co_ci_u32 s73, s77, 0
	s_wait_alu 0xfffe
	s_add_nc_u64 s[72:73], s[54:55], s[72:73]
	s_wait_alu 0xfffe
	s_add_co_u32 s14, s14, s72
	s_cselect_b32 s54, -1, 0
	s_wait_alu 0xfffe
	s_cmp_lg_u32 s54, 0
	s_add_co_ci_u32 s15, s15, s73
	s_wait_alu 0xfffe
	s_mul_u64 s[70:71], s[70:71], s[14:15]
	s_wait_alu 0xfffe
	s_mul_hi_u32 s73, s14, s71
	s_mul_i32 s72, s14, s71
	s_mul_hi_u32 s54, s14, s70
	s_mul_i32 s74, s15, s70
	s_wait_alu 0xfffe
	s_add_nc_u64 s[72:73], s[54:55], s[72:73]
	s_mul_hi_u32 s69, s15, s70
	s_mul_hi_u32 s75, s15, s71
	s_wait_alu 0xfffe
	s_add_co_u32 s54, s72, s74
	s_add_co_ci_u32 s54, s73, s69
	s_mul_i32 s70, s15, s71
	s_add_co_ci_u32 s71, s75, 0
	s_wait_alu 0xfffe
	s_add_nc_u64 s[70:71], s[54:55], s[70:71]
	s_wait_alu 0xfffe
	s_add_co_u32 s14, s14, s70
	s_cselect_b32 s69, -1, 0
	s_wait_alu 0xfffe
	s_mul_hi_u32 s54, s12, s14
	s_cmp_lg_u32 s69, 0
	s_mul_hi_u32 s69, s13, s14
	s_add_co_ci_u32 s70, s15, s71
	s_mul_i32 s71, s13, s14
	s_wait_alu 0xfffe
	s_mul_hi_u32 s15, s12, s70
	s_mul_i32 s14, s12, s70
	s_mul_hi_u32 s72, s13, s70
	s_wait_alu 0xfffe
	s_add_nc_u64 s[14:15], s[54:55], s[14:15]
	s_mul_i32 s70, s13, s70
	s_wait_alu 0xfffe
	s_add_co_u32 s14, s14, s71
	s_add_co_ci_u32 s54, s15, s69
	s_add_co_ci_u32 s71, s72, 0
	s_wait_alu 0xfffe
	s_add_nc_u64 s[14:15], s[54:55], s[70:71]
	s_wait_alu 0xfffe
	s_mul_u64 s[14:15], s[46:47], s[14:15]
	s_wait_alu 0xfffe
	s_sub_co_u32 s14, s12, s14
	s_cselect_b32 s54, -1, 0
	s_wait_alu 0xfffe
	s_cmp_lg_u32 s54, 0
	s_sub_co_ci_u32 s15, s13, s15
	s_sub_co_u32 s54, s14, s46
	s_cselect_b32 s69, -1, 0
	s_wait_alu 0xfffe
	s_cmp_lg_u32 s69, 0
	s_sub_co_ci_u32 s69, s15, 0
	;; [unrolled: 5-line block ×3, first 2 shown]
	s_cmp_ge_u32 s54, s46
	s_cselect_b32 s72, -1, 0
	s_cmp_eq_u32 s69, 0
	s_wait_alu 0xfffe
	s_cselect_b32 s72, s72, -1
	s_wait_alu 0xfffe
	s_cmp_lg_u32 s72, 0
	s_cselect_b32 s69, s71, s69
	s_cselect_b32 s54, s70, s54
	s_cmp_ge_u32 s14, s46
	s_cselect_b32 s70, -1, 0
	s_cmp_eq_u32 s15, 0
	s_wait_alu 0xfffe
	s_cselect_b32 s70, s70, -1
	s_wait_alu 0xfffe
	s_cmp_lg_u32 s70, 0
	s_cselect_b32 s15, s69, s15
	s_cselect_b32 s14, s54, s14
	s_cbranch_execnz .LBB87_205
.LBB87_204:                             ;   in Loop: Header=BB87_36 Depth=1
	v_cvt_f32_u32_e32 v6, s46
	s_sub_co_i32 s15, 0, s46
	s_delay_alu instid0(VALU_DEP_1) | instskip(NEXT) | instid1(TRANS32_DEP_1)
	v_rcp_iflag_f32_e32 v6, v6
	v_mul_f32_e32 v6, 0x4f7ffffe, v6
	s_delay_alu instid0(VALU_DEP_1) | instskip(NEXT) | instid1(VALU_DEP_1)
	v_cvt_u32_f32_e32 v6, v6
	v_readfirstlane_b32 s14, v6
	s_wait_alu 0xfffe
	s_mul_i32 s15, s15, s14
	s_wait_alu 0xfffe
	s_mul_hi_u32 s15, s14, s15
	s_wait_alu 0xfffe
	s_add_co_i32 s14, s14, s15
	s_wait_alu 0xfffe
	s_mul_hi_u32 s14, s12, s14
	s_wait_alu 0xfffe
	s_mul_i32 s14, s14, s46
	s_wait_alu 0xfffe
	s_sub_co_i32 s14, s12, s14
	s_wait_alu 0xfffe
	s_sub_co_i32 s15, s14, s46
	s_cmp_ge_u32 s14, s46
	s_wait_alu 0xfffe
	s_cselect_b32 s14, s15, s14
	s_wait_alu 0xfffe
	s_sub_co_i32 s15, s14, s46
	s_cmp_ge_u32 s14, s46
	s_wait_alu 0xfffe
	s_cselect_b32 s54, s15, s14
	s_wait_alu 0xfffe
	s_mov_b64 s[14:15], s[54:55]
.LBB87_205:                             ;   in Loop: Header=BB87_36 Depth=1
	s_wait_alu 0xfffe
	s_sub_nc_u64 s[12:13], s[12:13], s[14:15]
	s_mov_b32 s15, 0
	s_mov_b32 s14, 0
	s_mov_b32 s54, exec_lo
                                        ; implicit-def: $vgpr42
	s_wait_alu 0xfffe
	v_cmpx_gt_u64_e64 s[12:13], v[0:1]
	s_cbranch_execz .LBB87_216
; %bb.206:                              ;   in Loop: Header=BB87_36 Depth=1
	v_dual_mov_b32 v8, v0 :: v_dual_mov_b32 v7, v1
	v_mov_b32_e32 v6, v0
                                        ; implicit-def: $sgpr69
	s_branch .LBB87_209
.LBB87_207:                             ;   in Loop: Header=BB87_209 Depth=2
	s_wait_alu 0xfffe
	s_or_b32 exec_lo, exec_lo, s70
	s_wait_loadcnt_dscnt 0x0
	s_barrier_signal -1
	s_barrier_wait -1
	global_inv scope:SCOPE_SE
	ds_load_u16 v9, v3 offset:3072
	s_mov_b32 s70, -1
	s_mov_b32 s71, -1
	s_wait_loadcnt_dscnt 0x0
	s_barrier_signal -1
	s_barrier_wait -1
	global_inv scope:SCOPE_SE
	v_and_b32_e32 v10, 0xff, v9
	s_delay_alu instid0(VALU_DEP_1)
	v_cmp_ne_u32_e32 vcc_lo, 0, v10
	s_cbranch_vccz .LBB87_212
.LBB87_208:                             ;   in Loop: Header=BB87_209 Depth=2
	s_wait_alu 0xfffe
	s_and_b32 s70, exec_lo, s70
	s_wait_alu 0xfffe
	s_or_b32 s14, s70, s14
	s_and_not1_b32 s69, s69, exec_lo
	s_and_b32 s70, s71, exec_lo
	s_wait_alu 0xfffe
	s_or_b32 s69, s69, s70
	s_and_not1_b32 exec_lo, exec_lo, s14
	s_cbranch_execz .LBB87_215
.LBB87_209:                             ;   Parent Loop BB87_36 Depth=1
                                        ; =>  This Inner Loop Header: Depth=2
	s_mov_b32 s70, exec_lo
	s_delay_alu instid0(VALU_DEP_1)
	v_cmpx_gt_u64_e64 s[6:7], v[6:7]
	s_cbranch_execz .LBB87_207
; %bb.210:                              ;   in Loop: Header=BB87_209 Depth=2
	ds_load_u8 v9, v8
	s_wait_dscnt 0x0
	v_bfe_i32 v10, v9, 0, 8
	s_delay_alu instid0(VALU_DEP_1) | instskip(NEXT) | instid1(VALU_DEP_1)
	v_add_nc_u32_e32 v10, 0x80, v10
	v_and_b32_e32 v10, v10, v41
	s_delay_alu instid0(VALU_DEP_1)
	v_cmp_eq_u32_e32 vcc_lo, v10, v22
	s_and_b32 exec_lo, exec_lo, vcc_lo
	s_cbranch_execz .LBB87_207
; %bb.211:                              ;   in Loop: Header=BB87_209 Depth=2
	v_lshlrev_b16 v9, 8, v9
	s_delay_alu instid0(VALU_DEP_1)
	v_or_b32_e32 v9, 1, v9
	ds_store_b16 v3, v9 offset:3072
	s_branch .LBB87_207
.LBB87_212:                             ;   in Loop: Header=BB87_209 Depth=2
	v_add_co_u32 v6, vcc_lo, v6, s46
	s_wait_alu 0xfffd
	v_add_co_ci_u32_e64 v7, null, 0, v7, vcc_lo
	v_add_nc_u32_e32 v8, s46, v8
	s_mov_b32 s71, 0
	s_delay_alu instid0(VALU_DEP_2)
	v_cmp_le_u64_e32 vcc_lo, s[12:13], v[6:7]
	s_or_not1_b32 s70, vcc_lo, exec_lo
	s_branch .LBB87_208
.LBB87_213:                             ;   in Loop: Header=BB87_36 Depth=1
                                        ; implicit-def: $sgpr14_sgpr15
	s_branch .LBB87_155
.LBB87_214:                             ;   in Loop: Header=BB87_36 Depth=1
                                        ; implicit-def: $sgpr6_sgpr7
	s_branch .LBB87_174
.LBB87_215:                             ;   in Loop: Header=BB87_36 Depth=1
	s_or_b32 exec_lo, exec_lo, s14
	v_and_b32_e32 v6, 0xffff, v9
	s_wait_alu 0xfffe
	s_and_b32 s14, s69, exec_lo
	s_delay_alu instid0(VALU_DEP_1)
	v_lshrrev_b32_e32 v42, 8, v6
.LBB87_216:                             ;   in Loop: Header=BB87_36 Depth=1
	s_or_b32 exec_lo, exec_lo, s54
.LBB87_217:                             ;   in Loop: Header=BB87_36 Depth=1
	s_wait_alu 0xfffe
	s_and_b32 vcc_lo, exec_lo, s15
	s_wait_alu 0xfffe
	s_cbranch_vccz .LBB87_231
; %bb.218:                              ;   in Loop: Header=BB87_36 Depth=1
	s_mov_b32 s6, s55
	s_mov_b32 s7, s59
	s_wait_alu 0xfffe
	s_cmp_lg_u64 s[6:7], 0
	s_cbranch_scc0 .LBB87_259
; %bb.219:                              ;   in Loop: Header=BB87_36 Depth=1
	s_cvt_f32_u32 s6, s46
	s_sub_nc_u64 s[12:13], 0, s[46:47]
	s_wait_alu 0xfffe
	s_delay_alu instid0(SALU_CYCLE_1) | instskip(SKIP_1) | instid1(SALU_CYCLE_2)
	s_fmamk_f32 s6, s93, 0x0, s6
	s_wait_alu 0xfffe
	v_s_rcp_f32 s6, s6
	s_delay_alu instid0(TRANS32_DEP_1) | instskip(SKIP_1) | instid1(SALU_CYCLE_2)
	s_mul_f32 s6, s6, 0x5f7ffffc
	s_wait_alu 0xfffe
	s_mul_f32 s7, s6, 0x2f800000
	s_wait_alu 0xfffe
	s_delay_alu instid0(SALU_CYCLE_2) | instskip(SKIP_1) | instid1(SALU_CYCLE_2)
	s_trunc_f32 s7, s7
	s_wait_alu 0xfffe
	s_fmamk_f32 s6, s7, 0xcf800000, s6
	s_cvt_u32_f32 s7, s7
	s_wait_alu 0xfffe
	s_delay_alu instid0(SALU_CYCLE_1) | instskip(SKIP_1) | instid1(SALU_CYCLE_2)
	s_cvt_u32_f32 s6, s6
	s_wait_alu 0xfffe
	s_mul_u64 s[70:71], s[12:13], s[6:7]
	s_wait_alu 0xfffe
	s_mul_hi_u32 s73, s6, s71
	s_mul_i32 s72, s6, s71
	s_mul_hi_u32 s54, s6, s70
	s_mul_i32 s25, s7, s70
	s_wait_alu 0xfffe
	s_add_nc_u64 s[72:73], s[54:55], s[72:73]
	s_mul_hi_u32 s15, s7, s70
	s_mul_hi_u32 s66, s7, s71
	s_wait_alu 0xfffe
	s_add_co_u32 s25, s72, s25
	s_add_co_ci_u32 s54, s73, s15
	s_mul_i32 s70, s7, s71
	s_add_co_ci_u32 s71, s66, 0
	s_wait_alu 0xfffe
	s_add_nc_u64 s[70:71], s[54:55], s[70:71]
	s_wait_alu 0xfffe
	s_add_co_u32 s6, s6, s70
	s_cselect_b32 s15, -1, 0
	s_wait_alu 0xfffe
	s_cmp_lg_u32 s15, 0
	s_add_co_ci_u32 s7, s7, s71
	s_wait_alu 0xfffe
	s_mul_u64 s[12:13], s[12:13], s[6:7]
	s_wait_alu 0xfffe
	s_mul_hi_u32 s71, s6, s13
	s_mul_i32 s70, s6, s13
	s_mul_hi_u32 s54, s6, s12
	s_mul_i32 s25, s7, s12
	s_wait_alu 0xfffe
	s_add_nc_u64 s[70:71], s[54:55], s[70:71]
	s_mul_hi_u32 s15, s7, s12
	s_mul_hi_u32 s66, s7, s13
	s_mul_i32 s12, s7, s13
	s_wait_alu 0xfffe
	s_add_co_u32 s13, s70, s25
	s_add_co_ci_u32 s54, s71, s15
	s_add_co_ci_u32 s13, s66, 0
	s_wait_alu 0xfffe
	s_add_nc_u64 s[12:13], s[54:55], s[12:13]
	s_wait_alu 0xfffe
	s_add_co_u32 s6, s6, s12
	s_cselect_b32 s12, -1, 0
	s_wait_alu 0xfffe
	s_mul_hi_u32 s54, s58, s6
	s_cmp_lg_u32 s12, 0
	s_mul_hi_u32 s15, s59, s6
	s_add_co_ci_u32 s12, s7, s13
	s_mul_i32 s13, s59, s6
	s_wait_alu 0xfffe
	s_mul_hi_u32 s7, s58, s12
	s_mul_i32 s6, s58, s12
	s_mul_hi_u32 s25, s59, s12
	s_wait_alu 0xfffe
	s_add_nc_u64 s[6:7], s[54:55], s[6:7]
	s_mul_i32 s12, s59, s12
	s_wait_alu 0xfffe
	s_add_co_u32 s6, s6, s13
	s_add_co_ci_u32 s54, s7, s15
	s_add_co_ci_u32 s13, s25, 0
	s_wait_alu 0xfffe
	s_add_nc_u64 s[6:7], s[54:55], s[12:13]
	s_wait_alu 0xfffe
	s_mul_u64 s[6:7], s[46:47], s[6:7]
	s_wait_alu 0xfffe
	s_sub_co_u32 s6, s58, s6
	s_cselect_b32 s12, -1, 0
	s_wait_alu 0xfffe
	s_cmp_lg_u32 s12, 0
	s_sub_co_ci_u32 s7, s59, s7
	s_sub_co_u32 s12, s6, s46
	s_cselect_b32 s13, -1, 0
	s_wait_alu 0xfffe
	s_cmp_lg_u32 s13, 0
	s_sub_co_ci_u32 s13, s7, 0
	s_sub_co_u32 s15, s12, s46
	s_cselect_b32 s25, -1, 0
	s_delay_alu instid0(SALU_CYCLE_1)
	s_cmp_lg_u32 s25, 0
	s_wait_alu 0xfffe
	s_sub_co_ci_u32 s25, s13, 0
	s_cmp_ge_u32 s12, s46
	s_cselect_b32 s54, -1, 0
	s_cmp_eq_u32 s13, 0
	s_wait_alu 0xfffe
	s_cselect_b32 s54, s54, -1
	s_wait_alu 0xfffe
	s_cmp_lg_u32 s54, 0
	s_cselect_b32 s13, s25, s13
	s_cselect_b32 s12, s15, s12
	s_cmp_ge_u32 s6, s46
	s_cselect_b32 s15, -1, 0
	s_cmp_eq_u32 s7, 0
	s_wait_alu 0xfffe
	s_cselect_b32 s15, s15, -1
	s_wait_alu 0xfffe
	s_cmp_lg_u32 s15, 0
	s_cselect_b32 s7, s13, s7
	s_cselect_b32 s6, s12, s6
	s_cbranch_execnz .LBB87_221
.LBB87_220:                             ;   in Loop: Header=BB87_36 Depth=1
	v_cvt_f32_u32_e32 v6, s46
	s_sub_co_i32 s7, 0, s46
	s_delay_alu instid0(VALU_DEP_1) | instskip(NEXT) | instid1(TRANS32_DEP_1)
	v_rcp_iflag_f32_e32 v6, v6
	v_mul_f32_e32 v6, 0x4f7ffffe, v6
	s_delay_alu instid0(VALU_DEP_1) | instskip(NEXT) | instid1(VALU_DEP_1)
	v_cvt_u32_f32_e32 v6, v6
	v_readfirstlane_b32 s6, v6
	s_wait_alu 0xfffe
	s_mul_i32 s7, s7, s6
	s_wait_alu 0xfffe
	s_mul_hi_u32 s7, s6, s7
	s_wait_alu 0xfffe
	s_add_co_i32 s6, s6, s7
	s_wait_alu 0xfffe
	s_mul_hi_u32 s6, s58, s6
	s_wait_alu 0xfffe
	s_mul_i32 s6, s6, s46
	s_wait_alu 0xfffe
	s_sub_co_i32 s6, s58, s6
	s_wait_alu 0xfffe
	s_sub_co_i32 s7, s6, s46
	s_cmp_ge_u32 s6, s46
	s_wait_alu 0xfffe
	s_cselect_b32 s6, s7, s6
	s_wait_alu 0xfffe
	s_sub_co_i32 s7, s6, s46
	s_cmp_ge_u32 s6, s46
	s_wait_alu 0xfffe
	s_cselect_b32 s54, s7, s6
	s_wait_alu 0xfffe
	s_mov_b64 s[6:7], s[54:55]
.LBB87_221:                             ;   in Loop: Header=BB87_36 Depth=1
	s_wait_alu 0xfffe
	s_sub_nc_u64 s[12:13], s[58:59], s[6:7]
	s_mov_b32 s7, exec_lo
                                        ; implicit-def: $vgpr42
	s_wait_alu 0xfffe
	v_cmpx_gt_u64_e64 s[12:13], v[0:1]
	s_cbranch_execz .LBB87_230
; %bb.222:                              ;   in Loop: Header=BB87_36 Depth=1
	v_dual_mov_b32 v6, v12 :: v_dual_mov_b32 v7, v13
	v_dual_mov_b32 v9, v1 :: v_dual_mov_b32 v8, v0
	s_mov_b32 s15, 0
                                        ; implicit-def: $sgpr25
	s_branch .LBB87_225
.LBB87_223:                             ;   in Loop: Header=BB87_225 Depth=2
	s_wait_alu 0xfffe
	s_or_b32 exec_lo, exec_lo, s6
	s_wait_loadcnt_dscnt 0x0
	s_barrier_signal -1
	s_barrier_wait -1
	global_inv scope:SCOPE_SE
	ds_load_u16 v10, v3 offset:3072
	s_mov_b32 s6, -1
	s_mov_b32 s54, -1
	s_wait_loadcnt_dscnt 0x0
	s_barrier_signal -1
	s_barrier_wait -1
	global_inv scope:SCOPE_SE
	v_and_b32_e32 v11, 0xff, v10
	s_delay_alu instid0(VALU_DEP_1)
	v_cmp_eq_u32_e32 vcc_lo, 0, v11
	s_cbranch_vccnz .LBB87_228
.LBB87_224:                             ;   in Loop: Header=BB87_225 Depth=2
	s_wait_alu 0xfffe
	s_and_b32 s6, exec_lo, s6
	s_wait_alu 0xfffe
	s_or_b32 s15, s6, s15
	s_and_not1_b32 s6, s25, exec_lo
	s_and_b32 s25, s54, exec_lo
	s_wait_alu 0xfffe
	s_or_b32 s25, s6, s25
	s_and_not1_b32 exec_lo, exec_lo, s15
	s_cbranch_execz .LBB87_229
.LBB87_225:                             ;   Parent Loop BB87_36 Depth=1
                                        ; =>  This Inner Loop Header: Depth=2
	s_mov_b32 s6, exec_lo
	s_delay_alu instid0(VALU_DEP_1)
	v_cmpx_gt_u64_e64 s[28:29], v[8:9]
	s_cbranch_execz .LBB87_223
; %bb.226:                              ;   in Loop: Header=BB87_225 Depth=2
	global_load_u8 v10, v[6:7], off
	s_wait_loadcnt 0x0
	v_bfe_i32 v11, v10, 0, 8
	s_delay_alu instid0(VALU_DEP_1) | instskip(NEXT) | instid1(VALU_DEP_1)
	v_add_nc_u32_e32 v11, 0x80, v11
	v_and_b32_e32 v11, v11, v41
	s_delay_alu instid0(VALU_DEP_1)
	v_cmp_eq_u32_e32 vcc_lo, v11, v22
	s_and_b32 exec_lo, exec_lo, vcc_lo
	s_cbranch_execz .LBB87_223
; %bb.227:                              ;   in Loop: Header=BB87_225 Depth=2
	v_lshlrev_b16 v10, 8, v10
	s_delay_alu instid0(VALU_DEP_1)
	v_or_b32_e32 v10, 1, v10
	ds_store_b16 v3, v10 offset:3072
	s_branch .LBB87_223
.LBB87_228:                             ;   in Loop: Header=BB87_225 Depth=2
	v_add_co_u32 v8, vcc_lo, v8, s46
	s_wait_alu 0xfffd
	v_add_co_ci_u32_e64 v9, null, 0, v9, vcc_lo
	v_add_co_u32 v6, s6, v6, s52
	s_wait_alu 0xf1fe
	v_add_co_ci_u32_e64 v7, null, s53, v7, s6
	s_delay_alu instid0(VALU_DEP_3)
	v_cmp_le_u64_e32 vcc_lo, s[12:13], v[8:9]
	s_mov_b32 s54, 0
	s_or_not1_b32 s6, vcc_lo, exec_lo
	s_branch .LBB87_224
.LBB87_229:                             ;   in Loop: Header=BB87_36 Depth=1
	s_or_b32 exec_lo, exec_lo, s15
	v_and_b32_e32 v6, 0xffff, v10
	s_and_not1_b32 s6, s14, exec_lo
	s_and_b32 s12, s25, exec_lo
	s_wait_alu 0xfffe
	s_or_b32 s14, s6, s12
	v_lshrrev_b32_e32 v42, 8, v6
.LBB87_230:                             ;   in Loop: Header=BB87_36 Depth=1
	s_or_b32 exec_lo, exec_lo, s7
	s_mov_b32 s25, 0
	s_mov_b32 s66, -1
.LBB87_231:                             ;   in Loop: Header=BB87_36 Depth=1
	s_wait_alu 0xfffe
	s_or_not1_b32 s6, s14, exec_lo
.LBB87_232:                             ;   in Loop: Header=BB87_36 Depth=1
	s_wait_alu 0xfffe
	s_or_b32 exec_lo, exec_lo, s68
	s_mov_b32 s7, 0
	s_and_saveexec_b32 s14, s6
	s_cbranch_execz .LBB87_290
; %bb.233:                              ;   in Loop: Header=BB87_36 Depth=1
	v_mov_b32_e32 v6, 1
	v_dual_mov_b32 v7, 0 :: v_dual_mov_b32 v2, 1
	s_xor_b32 s12, s67, -1
	s_wait_alu 0xfffe
	s_and_saveexec_b32 s6, s12
	s_cbranch_execz .LBB87_242
; %bb.234:                              ;   in Loop: Header=BB87_36 Depth=1
	s_mov_b32 s7, exec_lo
	v_cmpx_ge_u64_e64 s[10:11], v[4:5]
	s_wait_alu 0xfffe
	s_xor_b32 s7, exec_lo, s7
	s_cbranch_execz .LBB87_239
; %bb.235:                              ;   in Loop: Header=BB87_36 Depth=1
	ds_load_b64 v[6:7], v3 offset:5120
	s_lshl_b32 s12, 2, s91
	v_or_b32_e32 v41, s16, v41
	s_wait_alu 0xfffe
	v_and_or_b32 v22, v22, s20, s12
	s_wait_dscnt 0x0
	v_cmp_ne_u64_e32 vcc_lo, 0, v[6:7]
	s_cbranch_vccnz .LBB87_239
; %bb.236:                              ;   in Loop: Header=BB87_36 Depth=1
	s_and_saveexec_b32 s12, s2
; %bb.237:                              ;   in Loop: Header=BB87_36 Depth=1
	v_dual_mov_b32 v6, s10 :: v_dual_mov_b32 v7, s11
	ds_store_b64 v3, v[6:7] offset:5128
; %bb.238:                              ;   in Loop: Header=BB87_36 Depth=1
	s_wait_alu 0xfffe
	s_or_b32 exec_lo, exec_lo, s12
	s_wait_loadcnt_dscnt 0x0
	s_barrier_signal -1
	s_barrier_wait -1
	global_inv scope:SCOPE_SE
.LBB87_239:                             ;   in Loop: Header=BB87_36 Depth=1
	s_wait_alu 0xfffe
	s_or_saveexec_b32 s7, s7
	v_mov_b32_e32 v2, 8
	s_mov_b32 s12, 0
	s_wait_alu 0xfffe
	s_xor_b32 exec_lo, exec_lo, s7
; %bb.240:                              ;   in Loop: Header=BB87_36 Depth=1
	v_sub_co_u32 v4, vcc_lo, v4, s10
	s_wait_alu 0xfffd
	v_subrev_co_ci_u32_e64 v5, null, s11, v5, vcc_lo
	v_mov_b32_e32 v2, 0
	s_mov_b32 s12, exec_lo
; %bb.241:                              ;   in Loop: Header=BB87_36 Depth=1
	s_or_b32 exec_lo, exec_lo, s7
	s_delay_alu instid0(VALU_DEP_2)
	v_dual_mov_b32 v7, v5 :: v_dual_mov_b32 v6, v4
	s_wait_alu 0xfffe
	s_and_b32 s7, s12, exec_lo
.LBB87_242:                             ;   in Loop: Header=BB87_36 Depth=1
	s_wait_alu 0xfffe
	s_or_b32 exec_lo, exec_lo, s6
	s_mov_b32 s6, -1
                                        ; implicit-def: $sgpr69
                                        ; implicit-def: $sgpr68
	s_and_saveexec_b32 s15, s7
	s_cbranch_execz .LBB87_289
; %bb.243:                              ;   in Loop: Header=BB87_36 Depth=1
	v_cmp_eq_u64_e32 vcc_lo, 1, v[6:7]
	s_cmp_eq_u64 s[8:9], 1
	s_mov_b32 s7, -1
	s_cselect_b32 s6, -1, 0
                                        ; implicit-def: $sgpr69
                                        ; implicit-def: $sgpr68
	s_wait_alu 0xfffe
	s_and_b32 s20, s6, vcc_lo
	s_wait_alu 0xfffe
	s_and_saveexec_b32 s67, s20
	s_cbranch_execz .LBB87_277
; %bb.244:                              ;   in Loop: Header=BB87_36 Depth=1
	ds_load_b64 v[4:5], v3 offset:5120
	s_wait_loadcnt_dscnt 0x0
	s_barrier_signal -1
	s_barrier_wait -1
	global_inv scope:SCOPE_SE
	v_readfirstlane_b32 s6, v4
	v_readfirstlane_b32 s7, v5
	s_and_saveexec_b32 s10, s3
; %bb.245:                              ;   in Loop: Header=BB87_36 Depth=1
	ds_store_b8 v0, v3 offset:3072
; %bb.246:                              ;   in Loop: Header=BB87_36 Depth=1
	s_wait_alu 0xfffe
	s_or_b32 exec_lo, exec_lo, s10
	v_or_b32_e32 v22, s16, v22
	v_or_b32_e32 v41, s16, v41
	s_mov_b32 s68, -1
	s_mov_b32 s69, 0
	s_cmp_eq_u64 s[6:7], 0
	s_mov_b32 s12, 0
	s_mov_b32 s13, -1
	s_wait_loadcnt_dscnt 0x0
	s_barrier_signal -1
	s_barrier_wait -1
	global_inv scope:SCOPE_SE
                                        ; implicit-def: $vgpr42
	s_cbranch_scc1 .LBB87_262
; %bb.247:                              ;   in Loop: Header=BB87_36 Depth=1
	s_add_nc_u64 s[10:11], s[6:7], s[56:57]
	s_mov_b32 s12, s55
	s_wait_alu 0xfffe
	s_mov_b32 s13, s11
	s_wait_alu 0xfffe
	s_cmp_lg_u64 s[12:13], 0
	s_cbranch_scc0 .LBB87_296
; %bb.248:                              ;   in Loop: Header=BB87_36 Depth=1
	s_cvt_f32_u32 s12, s46
	s_sub_nc_u64 s[70:71], 0, s[46:47]
	s_wait_alu 0xfffe
	s_delay_alu instid0(SALU_CYCLE_1) | instskip(SKIP_1) | instid1(SALU_CYCLE_2)
	s_fmamk_f32 s12, s93, 0x0, s12
	s_wait_alu 0xfffe
	v_s_rcp_f32 s12, s12
	s_delay_alu instid0(TRANS32_DEP_1) | instskip(SKIP_1) | instid1(SALU_CYCLE_2)
	s_mul_f32 s12, s12, 0x5f7ffffc
	s_wait_alu 0xfffe
	s_mul_f32 s13, s12, 0x2f800000
	s_wait_alu 0xfffe
	s_delay_alu instid0(SALU_CYCLE_2) | instskip(SKIP_1) | instid1(SALU_CYCLE_2)
	s_trunc_f32 s13, s13
	s_wait_alu 0xfffe
	s_fmamk_f32 s12, s13, 0xcf800000, s12
	s_cvt_u32_f32 s13, s13
	s_wait_alu 0xfffe
	s_delay_alu instid0(SALU_CYCLE_1) | instskip(SKIP_1) | instid1(SALU_CYCLE_2)
	s_cvt_u32_f32 s12, s12
	s_wait_alu 0xfffe
	s_mul_u64 s[72:73], s[70:71], s[12:13]
	s_wait_alu 0xfffe
	s_mul_hi_u32 s75, s12, s73
	s_mul_i32 s74, s12, s73
	s_mul_hi_u32 s54, s12, s72
	s_mul_i32 s77, s13, s72
	s_wait_alu 0xfffe
	s_add_nc_u64 s[74:75], s[54:55], s[74:75]
	s_mul_hi_u32 s76, s13, s72
	s_mul_hi_u32 s78, s13, s73
	s_wait_alu 0xfffe
	s_add_co_u32 s54, s74, s77
	s_add_co_ci_u32 s54, s75, s76
	s_mul_i32 s72, s13, s73
	s_add_co_ci_u32 s73, s78, 0
	s_wait_alu 0xfffe
	s_add_nc_u64 s[72:73], s[54:55], s[72:73]
	s_wait_alu 0xfffe
	s_add_co_u32 s12, s12, s72
	s_cselect_b32 s54, -1, 0
	s_wait_alu 0xfffe
	s_cmp_lg_u32 s54, 0
	s_add_co_ci_u32 s13, s13, s73
	s_wait_alu 0xfffe
	s_mul_u64 s[70:71], s[70:71], s[12:13]
	s_wait_alu 0xfffe
	s_mul_hi_u32 s73, s12, s71
	s_mul_i32 s72, s12, s71
	s_mul_hi_u32 s54, s12, s70
	s_mul_i32 s75, s13, s70
	s_wait_alu 0xfffe
	s_add_nc_u64 s[72:73], s[54:55], s[72:73]
	s_mul_hi_u32 s74, s13, s70
	s_mul_hi_u32 s76, s13, s71
	s_wait_alu 0xfffe
	s_add_co_u32 s54, s72, s75
	s_add_co_ci_u32 s54, s73, s74
	s_mul_i32 s70, s13, s71
	s_add_co_ci_u32 s71, s76, 0
	s_wait_alu 0xfffe
	s_add_nc_u64 s[70:71], s[54:55], s[70:71]
	s_wait_alu 0xfffe
	s_add_co_u32 s12, s12, s70
	s_cselect_b32 s70, -1, 0
	s_wait_alu 0xfffe
	s_mul_hi_u32 s54, s10, s12
	s_cmp_lg_u32 s70, 0
	s_mul_hi_u32 s72, s11, s12
	s_add_co_ci_u32 s70, s13, s71
	s_mul_i32 s71, s11, s12
	s_wait_alu 0xfffe
	s_mul_hi_u32 s13, s10, s70
	s_mul_i32 s12, s10, s70
	s_mul_hi_u32 s73, s11, s70
	s_wait_alu 0xfffe
	s_add_nc_u64 s[12:13], s[54:55], s[12:13]
	s_mul_i32 s70, s11, s70
	s_wait_alu 0xfffe
	s_add_co_u32 s12, s12, s71
	s_add_co_ci_u32 s54, s13, s72
	s_add_co_ci_u32 s71, s73, 0
	s_wait_alu 0xfffe
	s_add_nc_u64 s[12:13], s[54:55], s[70:71]
	s_wait_alu 0xfffe
	s_mul_u64 s[12:13], s[46:47], s[12:13]
	s_wait_alu 0xfffe
	s_sub_co_u32 s12, s10, s12
	s_cselect_b32 s54, -1, 0
	s_wait_alu 0xfffe
	s_cmp_lg_u32 s54, 0
	s_sub_co_ci_u32 s13, s11, s13
	s_sub_co_u32 s54, s12, s46
	s_cselect_b32 s70, -1, 0
	s_wait_alu 0xfffe
	s_cmp_lg_u32 s70, 0
	s_sub_co_ci_u32 s70, s13, 0
	;; [unrolled: 5-line block ×3, first 2 shown]
	s_cmp_ge_u32 s54, s46
	s_cselect_b32 s73, -1, 0
	s_cmp_eq_u32 s70, 0
	s_wait_alu 0xfffe
	s_cselect_b32 s73, s73, -1
	s_wait_alu 0xfffe
	s_cmp_lg_u32 s73, 0
	s_cselect_b32 s70, s72, s70
	s_cselect_b32 s54, s71, s54
	s_cmp_ge_u32 s12, s46
	s_cselect_b32 s71, -1, 0
	s_cmp_eq_u32 s13, 0
	s_wait_alu 0xfffe
	s_cselect_b32 s71, s71, -1
	s_wait_alu 0xfffe
	s_cmp_lg_u32 s71, 0
	s_cselect_b32 s13, s70, s13
	s_cselect_b32 s12, s54, s12
	s_cbranch_execnz .LBB87_250
.LBB87_249:                             ;   in Loop: Header=BB87_36 Depth=1
	v_cvt_f32_u32_e32 v4, s46
	s_sub_co_i32 s13, 0, s46
	s_delay_alu instid0(VALU_DEP_1) | instskip(NEXT) | instid1(TRANS32_DEP_1)
	v_rcp_iflag_f32_e32 v4, v4
	v_mul_f32_e32 v4, 0x4f7ffffe, v4
	s_delay_alu instid0(VALU_DEP_1) | instskip(NEXT) | instid1(VALU_DEP_1)
	v_cvt_u32_f32_e32 v4, v4
	v_readfirstlane_b32 s12, v4
	s_wait_alu 0xfffe
	s_mul_i32 s13, s13, s12
	s_wait_alu 0xfffe
	s_mul_hi_u32 s13, s12, s13
	s_wait_alu 0xfffe
	s_add_co_i32 s12, s12, s13
	s_wait_alu 0xfffe
	s_mul_hi_u32 s12, s10, s12
	s_wait_alu 0xfffe
	s_mul_i32 s12, s12, s46
	s_wait_alu 0xfffe
	s_sub_co_i32 s12, s10, s12
	s_wait_alu 0xfffe
	s_sub_co_i32 s13, s12, s46
	s_cmp_ge_u32 s12, s46
	s_wait_alu 0xfffe
	s_cselect_b32 s12, s13, s12
	s_wait_alu 0xfffe
	s_sub_co_i32 s13, s12, s46
	s_cmp_ge_u32 s12, s46
	s_wait_alu 0xfffe
	s_cselect_b32 s54, s13, s12
	s_wait_alu 0xfffe
	s_mov_b64 s[12:13], s[54:55]
.LBB87_250:                             ;   in Loop: Header=BB87_36 Depth=1
	s_wait_alu 0xfffe
	s_sub_nc_u64 s[10:11], s[10:11], s[12:13]
	s_mov_b32 s13, 0
	s_mov_b32 s12, 0
	s_mov_b32 s54, exec_lo
                                        ; implicit-def: $vgpr42
	s_wait_alu 0xfffe
	v_cmpx_gt_u64_e64 s[10:11], v[0:1]
	s_cbranch_execz .LBB87_261
; %bb.251:                              ;   in Loop: Header=BB87_36 Depth=1
	v_dual_mov_b32 v8, v0 :: v_dual_mov_b32 v5, v1
	v_mov_b32_e32 v4, v0
                                        ; implicit-def: $sgpr70
	s_branch .LBB87_254
.LBB87_252:                             ;   in Loop: Header=BB87_254 Depth=2
	s_wait_alu 0xfffe
	s_or_b32 exec_lo, exec_lo, s71
	s_wait_loadcnt_dscnt 0x0
	s_barrier_signal -1
	s_barrier_wait -1
	global_inv scope:SCOPE_SE
	ds_load_u16 v9, v3 offset:3072
	s_mov_b32 s71, -1
	s_mov_b32 s72, -1
	s_wait_loadcnt_dscnt 0x0
	s_barrier_signal -1
	s_barrier_wait -1
	global_inv scope:SCOPE_SE
	v_and_b32_e32 v10, 0xff, v9
	s_delay_alu instid0(VALU_DEP_1)
	v_cmp_ne_u32_e32 vcc_lo, 0, v10
	s_cbranch_vccz .LBB87_257
.LBB87_253:                             ;   in Loop: Header=BB87_254 Depth=2
	s_wait_alu 0xfffe
	s_and_b32 s71, exec_lo, s71
	s_wait_alu 0xfffe
	s_or_b32 s12, s71, s12
	s_and_not1_b32 s70, s70, exec_lo
	s_and_b32 s71, s72, exec_lo
	s_wait_alu 0xfffe
	s_or_b32 s70, s70, s71
	s_and_not1_b32 exec_lo, exec_lo, s12
	s_cbranch_execz .LBB87_260
.LBB87_254:                             ;   Parent Loop BB87_36 Depth=1
                                        ; =>  This Inner Loop Header: Depth=2
	s_mov_b32 s71, exec_lo
	s_delay_alu instid0(VALU_DEP_1)
	v_cmpx_gt_u64_e64 s[6:7], v[4:5]
	s_cbranch_execz .LBB87_252
; %bb.255:                              ;   in Loop: Header=BB87_254 Depth=2
	ds_load_u8 v9, v8
	s_wait_dscnt 0x0
	v_bfe_i32 v10, v9, 0, 8
	s_delay_alu instid0(VALU_DEP_1) | instskip(NEXT) | instid1(VALU_DEP_1)
	v_add_nc_u32_e32 v10, 0x80, v10
	v_and_b32_e32 v10, v10, v41
	s_delay_alu instid0(VALU_DEP_1)
	v_cmp_eq_u32_e32 vcc_lo, v10, v22
	s_and_b32 exec_lo, exec_lo, vcc_lo
	s_cbranch_execz .LBB87_252
; %bb.256:                              ;   in Loop: Header=BB87_254 Depth=2
	v_lshlrev_b16 v9, 8, v9
	s_delay_alu instid0(VALU_DEP_1)
	v_or_b32_e32 v9, 1, v9
	ds_store_b16 v3, v9 offset:3072
	s_branch .LBB87_252
.LBB87_257:                             ;   in Loop: Header=BB87_254 Depth=2
	v_add_co_u32 v4, vcc_lo, v4, s46
	s_wait_alu 0xfffd
	v_add_co_ci_u32_e64 v5, null, 0, v5, vcc_lo
	v_add_nc_u32_e32 v8, s46, v8
	s_mov_b32 s72, 0
	s_delay_alu instid0(VALU_DEP_2)
	v_cmp_le_u64_e32 vcc_lo, s[10:11], v[4:5]
	s_or_not1_b32 s71, vcc_lo, exec_lo
	s_branch .LBB87_253
.LBB87_258:                             ;   in Loop: Header=BB87_36 Depth=1
                                        ; implicit-def: $sgpr14_sgpr15
	s_branch .LBB87_204
.LBB87_259:                             ;   in Loop: Header=BB87_36 Depth=1
                                        ; implicit-def: $sgpr6_sgpr7
	s_branch .LBB87_220
.LBB87_260:                             ;   in Loop: Header=BB87_36 Depth=1
	s_or_b32 exec_lo, exec_lo, s12
	v_and_b32_e32 v4, 0xffff, v9
	s_wait_alu 0xfffe
	s_and_b32 s12, s70, exec_lo
	s_delay_alu instid0(VALU_DEP_1)
	v_lshrrev_b32_e32 v42, 8, v4
.LBB87_261:                             ;   in Loop: Header=BB87_36 Depth=1
	s_or_b32 exec_lo, exec_lo, s54
.LBB87_262:                             ;   in Loop: Header=BB87_36 Depth=1
	s_wait_alu 0xfffe
	s_and_b32 vcc_lo, exec_lo, s13
	s_wait_alu 0xfffe
	s_cbranch_vccz .LBB87_276
; %bb.263:                              ;   in Loop: Header=BB87_36 Depth=1
	s_mov_b32 s6, s55
	s_mov_b32 s7, s59
	s_wait_alu 0xfffe
	s_cmp_lg_u64 s[6:7], 0
	s_cbranch_scc0 .LBB87_297
; %bb.264:                              ;   in Loop: Header=BB87_36 Depth=1
	s_cvt_f32_u32 s6, s46
	s_sub_nc_u64 s[10:11], 0, s[46:47]
	s_wait_alu 0xfffe
	s_delay_alu instid0(SALU_CYCLE_1) | instskip(SKIP_1) | instid1(SALU_CYCLE_2)
	s_fmamk_f32 s6, s93, 0x0, s6
	s_wait_alu 0xfffe
	v_s_rcp_f32 s6, s6
	s_delay_alu instid0(TRANS32_DEP_1) | instskip(SKIP_1) | instid1(SALU_CYCLE_2)
	s_mul_f32 s6, s6, 0x5f7ffffc
	s_wait_alu 0xfffe
	s_mul_f32 s7, s6, 0x2f800000
	s_wait_alu 0xfffe
	s_delay_alu instid0(SALU_CYCLE_2) | instskip(SKIP_1) | instid1(SALU_CYCLE_2)
	s_trunc_f32 s7, s7
	s_wait_alu 0xfffe
	s_fmamk_f32 s6, s7, 0xcf800000, s6
	s_cvt_u32_f32 s7, s7
	s_wait_alu 0xfffe
	s_delay_alu instid0(SALU_CYCLE_1) | instskip(SKIP_1) | instid1(SALU_CYCLE_2)
	s_cvt_u32_f32 s6, s6
	s_wait_alu 0xfffe
	s_mul_u64 s[68:69], s[10:11], s[6:7]
	s_wait_alu 0xfffe
	s_mul_hi_u32 s71, s6, s69
	s_mul_i32 s70, s6, s69
	s_mul_hi_u32 s54, s6, s68
	s_mul_i32 s72, s7, s68
	s_wait_alu 0xfffe
	s_add_nc_u64 s[70:71], s[54:55], s[70:71]
	s_mul_hi_u32 s13, s7, s68
	s_mul_hi_u32 s73, s7, s69
	s_wait_alu 0xfffe
	s_add_co_u32 s54, s70, s72
	s_add_co_ci_u32 s54, s71, s13
	s_mul_i32 s68, s7, s69
	s_add_co_ci_u32 s69, s73, 0
	s_wait_alu 0xfffe
	s_add_nc_u64 s[68:69], s[54:55], s[68:69]
	s_wait_alu 0xfffe
	s_add_co_u32 s6, s6, s68
	s_cselect_b32 s13, -1, 0
	s_wait_alu 0xfffe
	s_cmp_lg_u32 s13, 0
	s_add_co_ci_u32 s7, s7, s69
	s_wait_alu 0xfffe
	s_mul_u64 s[10:11], s[10:11], s[6:7]
	s_wait_alu 0xfffe
	s_mul_hi_u32 s69, s6, s11
	s_mul_i32 s68, s6, s11
	s_mul_hi_u32 s54, s6, s10
	s_mul_i32 s70, s7, s10
	s_wait_alu 0xfffe
	s_add_nc_u64 s[68:69], s[54:55], s[68:69]
	s_mul_hi_u32 s13, s7, s10
	s_mul_hi_u32 s71, s7, s11
	s_mul_i32 s10, s7, s11
	s_wait_alu 0xfffe
	s_add_co_u32 s11, s68, s70
	s_add_co_ci_u32 s54, s69, s13
	s_add_co_ci_u32 s11, s71, 0
	s_wait_alu 0xfffe
	s_add_nc_u64 s[10:11], s[54:55], s[10:11]
	s_wait_alu 0xfffe
	s_add_co_u32 s6, s6, s10
	s_cselect_b32 s10, -1, 0
	s_wait_alu 0xfffe
	s_mul_hi_u32 s54, s58, s6
	s_cmp_lg_u32 s10, 0
	s_mul_hi_u32 s13, s59, s6
	s_add_co_ci_u32 s10, s7, s11
	s_mul_i32 s11, s59, s6
	s_wait_alu 0xfffe
	s_mul_hi_u32 s7, s58, s10
	s_mul_i32 s6, s58, s10
	s_mul_hi_u32 s68, s59, s10
	s_wait_alu 0xfffe
	s_add_nc_u64 s[6:7], s[54:55], s[6:7]
	s_mul_i32 s10, s59, s10
	s_wait_alu 0xfffe
	s_add_co_u32 s6, s6, s11
	s_add_co_ci_u32 s54, s7, s13
	s_add_co_ci_u32 s11, s68, 0
	s_wait_alu 0xfffe
	s_add_nc_u64 s[6:7], s[54:55], s[10:11]
	s_wait_alu 0xfffe
	s_mul_u64 s[6:7], s[46:47], s[6:7]
	s_wait_alu 0xfffe
	s_sub_co_u32 s6, s58, s6
	s_cselect_b32 s10, -1, 0
	s_wait_alu 0xfffe
	s_cmp_lg_u32 s10, 0
	s_sub_co_ci_u32 s7, s59, s7
	s_sub_co_u32 s10, s6, s46
	s_cselect_b32 s11, -1, 0
	s_wait_alu 0xfffe
	s_cmp_lg_u32 s11, 0
	s_sub_co_ci_u32 s11, s7, 0
	;; [unrolled: 5-line block ×3, first 2 shown]
	s_cmp_ge_u32 s10, s46
	s_cselect_b32 s68, -1, 0
	s_cmp_eq_u32 s11, 0
	s_wait_alu 0xfffe
	s_cselect_b32 s68, s68, -1
	s_wait_alu 0xfffe
	s_cmp_lg_u32 s68, 0
	s_cselect_b32 s11, s54, s11
	s_cselect_b32 s10, s13, s10
	s_cmp_ge_u32 s6, s46
	s_cselect_b32 s13, -1, 0
	s_cmp_eq_u32 s7, 0
	s_wait_alu 0xfffe
	s_cselect_b32 s13, s13, -1
	s_wait_alu 0xfffe
	s_cmp_lg_u32 s13, 0
	s_cselect_b32 s7, s11, s7
	s_cselect_b32 s6, s10, s6
	s_cbranch_execnz .LBB87_266
.LBB87_265:                             ;   in Loop: Header=BB87_36 Depth=1
	v_cvt_f32_u32_e32 v4, s46
	s_sub_co_i32 s7, 0, s46
	s_delay_alu instid0(VALU_DEP_1) | instskip(NEXT) | instid1(TRANS32_DEP_1)
	v_rcp_iflag_f32_e32 v4, v4
	v_mul_f32_e32 v4, 0x4f7ffffe, v4
	s_delay_alu instid0(VALU_DEP_1) | instskip(NEXT) | instid1(VALU_DEP_1)
	v_cvt_u32_f32_e32 v4, v4
	v_readfirstlane_b32 s6, v4
	s_wait_alu 0xfffe
	s_mul_i32 s7, s7, s6
	s_wait_alu 0xfffe
	s_mul_hi_u32 s7, s6, s7
	s_wait_alu 0xfffe
	s_add_co_i32 s6, s6, s7
	s_wait_alu 0xfffe
	s_mul_hi_u32 s6, s58, s6
	s_wait_alu 0xfffe
	s_mul_i32 s6, s6, s46
	s_wait_alu 0xfffe
	s_sub_co_i32 s6, s58, s6
	s_wait_alu 0xfffe
	s_sub_co_i32 s7, s6, s46
	s_cmp_ge_u32 s6, s46
	s_wait_alu 0xfffe
	s_cselect_b32 s6, s7, s6
	s_wait_alu 0xfffe
	s_sub_co_i32 s7, s6, s46
	s_cmp_ge_u32 s6, s46
	s_wait_alu 0xfffe
	s_cselect_b32 s54, s7, s6
	s_wait_alu 0xfffe
	s_mov_b64 s[6:7], s[54:55]
.LBB87_266:                             ;   in Loop: Header=BB87_36 Depth=1
	s_wait_alu 0xfffe
	s_sub_nc_u64 s[10:11], s[58:59], s[6:7]
	s_mov_b32 s7, exec_lo
                                        ; implicit-def: $vgpr42
	s_wait_alu 0xfffe
	v_cmpx_gt_u64_e64 s[10:11], v[0:1]
	s_cbranch_execz .LBB87_275
; %bb.267:                              ;   in Loop: Header=BB87_36 Depth=1
	v_dual_mov_b32 v4, v12 :: v_dual_mov_b32 v5, v13
	v_dual_mov_b32 v9, v1 :: v_dual_mov_b32 v8, v0
	s_mov_b32 s13, 0
                                        ; implicit-def: $sgpr54
	s_branch .LBB87_270
.LBB87_268:                             ;   in Loop: Header=BB87_270 Depth=2
	s_wait_alu 0xfffe
	s_or_b32 exec_lo, exec_lo, s6
	s_wait_loadcnt_dscnt 0x0
	s_barrier_signal -1
	s_barrier_wait -1
	global_inv scope:SCOPE_SE
	ds_load_u16 v10, v3 offset:3072
	s_mov_b32 s6, -1
	s_mov_b32 s68, -1
	s_wait_loadcnt_dscnt 0x0
	s_barrier_signal -1
	s_barrier_wait -1
	global_inv scope:SCOPE_SE
	v_and_b32_e32 v11, 0xff, v10
	s_delay_alu instid0(VALU_DEP_1)
	v_cmp_eq_u32_e32 vcc_lo, 0, v11
	s_cbranch_vccnz .LBB87_273
.LBB87_269:                             ;   in Loop: Header=BB87_270 Depth=2
	s_wait_alu 0xfffe
	s_and_b32 s6, exec_lo, s6
	s_wait_alu 0xfffe
	s_or_b32 s13, s6, s13
	s_and_not1_b32 s6, s54, exec_lo
	s_and_b32 s54, s68, exec_lo
	s_wait_alu 0xfffe
	s_or_b32 s54, s6, s54
	s_and_not1_b32 exec_lo, exec_lo, s13
	s_cbranch_execz .LBB87_274
.LBB87_270:                             ;   Parent Loop BB87_36 Depth=1
                                        ; =>  This Inner Loop Header: Depth=2
	s_mov_b32 s6, exec_lo
	s_delay_alu instid0(VALU_DEP_1)
	v_cmpx_gt_u64_e64 s[28:29], v[8:9]
	s_cbranch_execz .LBB87_268
; %bb.271:                              ;   in Loop: Header=BB87_270 Depth=2
	global_load_u8 v10, v[4:5], off
	s_wait_loadcnt 0x0
	v_bfe_i32 v11, v10, 0, 8
	s_delay_alu instid0(VALU_DEP_1) | instskip(NEXT) | instid1(VALU_DEP_1)
	v_add_nc_u32_e32 v11, 0x80, v11
	v_and_b32_e32 v11, v11, v41
	s_delay_alu instid0(VALU_DEP_1)
	v_cmp_eq_u32_e32 vcc_lo, v11, v22
	s_and_b32 exec_lo, exec_lo, vcc_lo
	s_cbranch_execz .LBB87_268
; %bb.272:                              ;   in Loop: Header=BB87_270 Depth=2
	v_lshlrev_b16 v10, 8, v10
	s_delay_alu instid0(VALU_DEP_1)
	v_or_b32_e32 v10, 1, v10
	ds_store_b16 v3, v10 offset:3072
	s_branch .LBB87_268
.LBB87_273:                             ;   in Loop: Header=BB87_270 Depth=2
	v_add_co_u32 v8, vcc_lo, v8, s46
	s_wait_alu 0xfffd
	v_add_co_ci_u32_e64 v9, null, 0, v9, vcc_lo
	v_add_co_u32 v4, s6, v4, s52
	s_wait_alu 0xf1fe
	v_add_co_ci_u32_e64 v5, null, s53, v5, s6
	s_delay_alu instid0(VALU_DEP_3)
	v_cmp_le_u64_e32 vcc_lo, s[10:11], v[8:9]
	s_mov_b32 s68, 0
	s_or_not1_b32 s6, vcc_lo, exec_lo
	s_branch .LBB87_269
.LBB87_274:                             ;   in Loop: Header=BB87_36 Depth=1
	s_or_b32 exec_lo, exec_lo, s13
	v_and_b32_e32 v4, 0xffff, v10
	s_and_not1_b32 s6, s12, exec_lo
	s_wait_alu 0xfffe
	s_and_b32 s10, s54, exec_lo
	s_wait_alu 0xfffe
	s_or_b32 s12, s6, s10
	v_lshrrev_b32_e32 v42, 8, v4
.LBB87_275:                             ;   in Loop: Header=BB87_36 Depth=1
	s_or_b32 exec_lo, exec_lo, s7
	s_mov_b32 s68, 0
	s_mov_b32 s69, -1
.LBB87_276:                             ;   in Loop: Header=BB87_36 Depth=1
	s_wait_alu 0xfffe
	s_or_not1_b32 s7, s12, exec_lo
.LBB87_277:                             ;   in Loop: Header=BB87_36 Depth=1
	s_wait_alu 0xfffe
	s_or_b32 exec_lo, exec_lo, s67
	s_mov_b32 s10, 0
	s_and_saveexec_b32 s6, s7
	s_cbranch_execz .LBB87_288
; %bb.278:                              ;   in Loop: Header=BB87_36 Depth=1
	v_mov_b32_e32 v4, 1
	v_dual_mov_b32 v5, 0 :: v_dual_mov_b32 v2, 1
	s_xor_b32 s10, s20, -1
	s_wait_alu 0xfffe
	s_and_saveexec_b32 s7, s10
	s_cbranch_execz .LBB87_287
; %bb.279:                              ;   in Loop: Header=BB87_36 Depth=1
	s_mov_b32 s10, exec_lo
	v_cmpx_ge_u64_e64 s[8:9], v[6:7]
	s_wait_alu 0xfffe
	s_xor_b32 s10, exec_lo, s10
	s_cbranch_execz .LBB87_284
; %bb.280:                              ;   in Loop: Header=BB87_36 Depth=1
	ds_load_b64 v[4:5], v3 offset:5120
	v_or_b32_e32 v22, s16, v22
	v_or_b32_e32 v41, s16, v41
	s_wait_dscnt 0x0
	v_cmp_ne_u64_e32 vcc_lo, 0, v[4:5]
	s_cbranch_vccnz .LBB87_284
; %bb.281:                              ;   in Loop: Header=BB87_36 Depth=1
	s_and_saveexec_b32 s11, s2
; %bb.282:                              ;   in Loop: Header=BB87_36 Depth=1
	v_dual_mov_b32 v4, s8 :: v_dual_mov_b32 v5, s9
	ds_store_b64 v3, v[4:5] offset:5128
; %bb.283:                              ;   in Loop: Header=BB87_36 Depth=1
	s_wait_alu 0xfffe
	s_or_b32 exec_lo, exec_lo, s11
	s_wait_loadcnt_dscnt 0x0
	s_barrier_signal -1
	s_barrier_wait -1
	global_inv scope:SCOPE_SE
.LBB87_284:                             ;   in Loop: Header=BB87_36 Depth=1
	s_wait_alu 0xfffe
	s_and_not1_saveexec_b32 s10, s10
; %bb.285:                              ;   in Loop: Header=BB87_36 Depth=1
	v_sub_co_u32 v6, vcc_lo, v6, s8
	s_wait_alu 0xfffd
	v_subrev_co_ci_u32_e64 v7, null, s9, v7, vcc_lo
; %bb.286:                              ;   in Loop: Header=BB87_36 Depth=1
	s_wait_alu 0xfffe
	s_or_b32 exec_lo, exec_lo, s10
	v_mov_b32_e32 v4, v6
	s_delay_alu instid0(VALU_DEP_2)
	v_dual_mov_b32 v2, 8 :: v_dual_mov_b32 v5, v7
.LBB87_287:                             ;   in Loop: Header=BB87_36 Depth=1
	s_wait_alu 0xfffe
	s_or_b32 exec_lo, exec_lo, s7
	s_delay_alu instid0(VALU_DEP_1)
	v_dual_mov_b32 v7, v5 :: v_dual_mov_b32 v6, v4
	s_mov_b32 s10, exec_lo
.LBB87_288:                             ;   in Loop: Header=BB87_36 Depth=1
	s_wait_alu 0xfffe
	s_or_b32 exec_lo, exec_lo, s6
	s_delay_alu instid0(SALU_CYCLE_1)
	s_or_not1_b32 s6, s10, exec_lo
.LBB87_289:                             ;   in Loop: Header=BB87_36 Depth=1
	s_wait_alu 0xfffe
	s_or_b32 exec_lo, exec_lo, s15
	v_dual_mov_b32 v4, v6 :: v_dual_mov_b32 v5, v7
	s_and_not1_b32 s7, s66, exec_lo
	s_and_b32 s8, s69, exec_lo
	s_and_not1_b32 s9, s25, exec_lo
	s_and_b32 s10, s68, exec_lo
	s_wait_alu 0xfffe
	s_or_b32 s66, s7, s8
	s_or_b32 s25, s9, s10
	s_and_b32 s7, s6, exec_lo
.LBB87_290:                             ;   in Loop: Header=BB87_36 Depth=1
	s_wait_alu 0xfffe
	s_or_b32 exec_lo, exec_lo, s14
	s_delay_alu instid0(SALU_CYCLE_1)
	s_or_not1_b32 s6, s7, exec_lo
.LBB87_291:                             ;   in Loop: Header=BB87_36 Depth=1
	s_or_b32 exec_lo, exec_lo, s24
	v_dual_mov_b32 v9, v5 :: v_dual_mov_b32 v8, v4
	s_and_not1_b32 s7, s22, exec_lo
	s_and_b32 s8, s66, exec_lo
	s_and_not1_b32 s9, s21, exec_lo
	s_and_b32 s10, s25, exec_lo
	s_wait_alu 0xfffe
	s_or_b32 s22, s7, s8
	s_or_b32 s21, s9, s10
	s_and_b32 s7, s6, exec_lo
.LBB87_292:                             ;   in Loop: Header=BB87_36 Depth=1
	s_or_b32 exec_lo, exec_lo, s23
	s_wait_alu 0xfffe
	s_or_not1_b32 s6, s7, exec_lo
.LBB87_293:                             ;   in Loop: Header=BB87_36 Depth=1
	s_or_b32 exec_lo, exec_lo, s19
	s_mov_b32 s7, 0
	s_wait_alu 0xfffe
	s_and_saveexec_b32 s8, s6
	s_wait_alu 0xfffe
	s_xor_b32 s6, exec_lo, s8
	s_cbranch_execz .LBB87_34
; %bb.294:                              ;   in Loop: Header=BB87_36 Depth=1
	v_and_b32_e32 v2, 7, v2
	s_mov_b32 s8, -1
	s_mov_b32 s7, -1
	s_mov_b32 s9, exec_lo
	s_delay_alu instid0(VALU_DEP_1)
	v_cmpx_eq_u32_e32 0, v2
	s_cbranch_execz .LBB87_33
; %bb.295:                              ;   in Loop: Header=BB87_36 Depth=1
	s_xor_b32 s95, s95, 1
	s_add_co_i32 s10, s91, -2
	s_cmp_eq_u32 s91, 0
	s_wait_alu 0xfffe
	s_mov_b32 s91, s10
	s_cselect_b32 s8, -1, 0
	s_xor_b32 s7, exec_lo, -1
	s_wait_alu 0xfffe
	s_or_not1_b32 s8, s8, exec_lo
	s_branch .LBB87_33
.LBB87_296:                             ;   in Loop: Header=BB87_36 Depth=1
                                        ; implicit-def: $sgpr12_sgpr13
	s_branch .LBB87_249
.LBB87_297:                             ;   in Loop: Header=BB87_36 Depth=1
                                        ; implicit-def: $sgpr6_sgpr7
	s_branch .LBB87_265
.LBB87_298:
	s_or_b32 exec_lo, exec_lo, s94
	s_xor_b32 s4, s101, -1
	s_xor_b32 s1, s99, -1
	;; [unrolled: 1-line block ×3, first 2 shown]
	s_mov_b32 s2, 0
	s_and_saveexec_b32 s5, s1
	s_wait_alu 0xfffe
	s_xor_b32 s1, exec_lo, s5
	s_cbranch_execnz .LBB87_303
; %bb.299:
	s_and_not1_saveexec_b32 s0, s1
	s_cbranch_execnz .LBB87_316
.LBB87_300:
	s_wait_alu 0xfffe
	s_or_b32 exec_lo, exec_lo, s0
	s_and_saveexec_b32 s0, s2
.LBB87_301:
	; divergent unreachable
.LBB87_302:
	s_endpgm
.LBB87_303:
	s_and_saveexec_b32 s2, s4
	s_wait_alu 0xfffe
	s_xor_b32 s2, exec_lo, s2
	s_cbranch_execz .LBB87_314
; %bb.304:
	s_and_saveexec_b32 s4, s3
	s_wait_alu 0xfffe
	s_xor_b32 s3, exec_lo, s4
; %bb.305:
	v_xor_b32_e32 v42, 0xffffff80, v22
; %bb.306:
	s_wait_alu 0xfffe
	s_or_b32 exec_lo, exec_lo, s3
	s_mul_u64 s[4:5], s[40:41], s[36:37]
	v_mov_b32_e32 v2, 0
	s_wait_alu 0xfffe
	s_add_nc_u64 s[4:5], s[48:49], s[4:5]
	s_wait_alu 0xfffe
	s_add_nc_u64 s[4:5], s[4:5], s[26:27]
	global_store_b8 v2, v42, s[4:5]
	s_and_saveexec_b32 s3, s0
	s_cbranch_execz .LBB87_313
; %bb.307:
	v_and_b32_e32 v4, 0xff, v42
	s_mov_b32 s4, 0
                                        ; implicit-def: $sgpr5
                                        ; implicit-def: $sgpr7
                                        ; implicit-def: $sgpr6
	s_branch .LBB87_309
.LBB87_308:                             ;   in Loop: Header=BB87_309 Depth=1
	s_wait_alu 0xfffe
	s_or_b32 exec_lo, exec_lo, s8
	s_delay_alu instid0(SALU_CYCLE_1)
	s_and_b32 s0, exec_lo, s7
	s_wait_alu 0xfffe
	s_or_b32 s4, s0, s4
	s_and_not1_b32 s0, s5, exec_lo
	s_and_b32 s5, s6, exec_lo
	s_wait_alu 0xfffe
	s_or_b32 s5, s0, s5
	s_and_not1_b32 exec_lo, exec_lo, s4
	s_cbranch_execz .LBB87_311
.LBB87_309:                             ; =>This Inner Loop Header: Depth=1
	global_load_u8 v5, v[12:13], off
	v_dual_mov_b32 v3, v1 :: v_dual_mov_b32 v2, v0
	s_or_b32 s6, s6, exec_lo
	s_or_b32 s7, s7, exec_lo
	s_mov_b32 s8, exec_lo
                                        ; implicit-def: $vgpr0_vgpr1
	s_wait_loadcnt 0x0
	v_cmpx_ne_u16_e64 v5, v4
	s_cbranch_execz .LBB87_308
; %bb.310:                              ;   in Loop: Header=BB87_309 Depth=1
	v_add_co_u32 v0, vcc_lo, v2, s46
	s_wait_alu 0xfffd
	v_add_co_ci_u32_e64 v1, null, 0, v3, vcc_lo
	v_add_co_u32 v12, s0, v12, s52
	s_wait_alu 0xf1ff
	v_add_co_ci_u32_e64 v13, null, s53, v13, s0
	s_delay_alu instid0(VALU_DEP_3)
	v_cmp_le_u64_e32 vcc_lo, s[28:29], v[0:1]
	s_wait_alu 0xfffe
	s_and_not1_b32 s0, s7, exec_lo
	s_and_not1_b32 s6, s6, exec_lo
	s_and_b32 s7, vcc_lo, exec_lo
	s_wait_alu 0xfffe
	s_or_b32 s7, s0, s7
	s_branch .LBB87_308
.LBB87_311:
	s_or_b32 exec_lo, exec_lo, s4
	s_wait_alu 0xfffe
	s_and_saveexec_b32 s0, s5
	s_wait_alu 0xfffe
	s_xor_b32 s0, exec_lo, s0
	s_cbranch_execz .LBB87_313
; %bb.312:
	s_mul_u64 s[4:5], s[42:43], s[38:39]
	v_mov_b32_e32 v0, 0
	s_wait_alu 0xfffe
	s_lshl_b64 s[4:5], s[4:5], 3
	s_lshl_b64 s[6:7], s[34:35], 3
	s_wait_alu 0xfffe
	s_add_nc_u64 s[4:5], s[44:45], s[4:5]
	s_wait_alu 0xfffe
	s_add_nc_u64 s[4:5], s[4:5], s[6:7]
	global_store_b64 v0, v[2:3], s[4:5]
.LBB87_313:
	s_wait_alu 0xfffe
	s_or_b32 exec_lo, exec_lo, s3
.LBB87_314:
	s_wait_alu 0xfffe
	s_or_saveexec_b32 s0, s2
	s_mov_b32 s2, 0
	s_wait_alu 0xfffe
	s_xor_b32 exec_lo, exec_lo, s0
	s_cbranch_execnz .LBB87_317
.LBB87_315:
	s_or_b32 exec_lo, exec_lo, s0
	s_wait_alu 0xfffe
	s_and_b32 s2, s2, exec_lo
	s_and_not1_saveexec_b32 s0, s1
	s_cbranch_execz .LBB87_300
.LBB87_316:
	s_wait_alu 0xfffe
	s_or_b32 s2, s2, exec_lo
	s_trap 2
	s_or_b32 exec_lo, exec_lo, s0
	s_wait_alu 0xfffe
	s_and_saveexec_b32 s0, s2
	s_cbranch_execnz .LBB87_301
	s_branch .LBB87_302
.LBB87_317:
	s_mov_b32 s2, exec_lo
	s_trap 2
	s_branch .LBB87_315
	.section	.rodata,"a",@progbits
	.p2align	6, 0x0
	.amdhsa_kernel _ZN2at6native12_GLOBAL__N_112gatherMedianIamLin1EEEvNS_4cuda6detail10TensorInfoIT_T0_EENS5_IlS7_EENS5_IKS6_S7_EES7_S7_S7_b
		.amdhsa_group_segment_fixed_size 5152
		.amdhsa_private_segment_fixed_size 0
		.amdhsa_kernarg_size 1536
		.amdhsa_user_sgpr_count 2
		.amdhsa_user_sgpr_dispatch_ptr 0
		.amdhsa_user_sgpr_queue_ptr 0
		.amdhsa_user_sgpr_kernarg_segment_ptr 1
		.amdhsa_user_sgpr_dispatch_id 0
		.amdhsa_user_sgpr_private_segment_size 0
		.amdhsa_wavefront_size32 1
		.amdhsa_uses_dynamic_stack 0
		.amdhsa_enable_private_segment 0
		.amdhsa_system_sgpr_workgroup_id_x 1
		.amdhsa_system_sgpr_workgroup_id_y 1
		.amdhsa_system_sgpr_workgroup_id_z 1
		.amdhsa_system_sgpr_workgroup_info 0
		.amdhsa_system_vgpr_workitem_id 0
		.amdhsa_next_free_vgpr 59
		.amdhsa_next_free_sgpr 102
		.amdhsa_reserve_vcc 1
		.amdhsa_float_round_mode_32 0
		.amdhsa_float_round_mode_16_64 0
		.amdhsa_float_denorm_mode_32 3
		.amdhsa_float_denorm_mode_16_64 3
		.amdhsa_fp16_overflow 0
		.amdhsa_workgroup_processor_mode 1
		.amdhsa_memory_ordered 1
		.amdhsa_forward_progress 1
		.amdhsa_inst_pref_size 163
		.amdhsa_round_robin_scheduling 0
		.amdhsa_exception_fp_ieee_invalid_op 0
		.amdhsa_exception_fp_denorm_src 0
		.amdhsa_exception_fp_ieee_div_zero 0
		.amdhsa_exception_fp_ieee_overflow 0
		.amdhsa_exception_fp_ieee_underflow 0
		.amdhsa_exception_fp_ieee_inexact 0
		.amdhsa_exception_int_div_zero 0
	.end_amdhsa_kernel
	.section	.text._ZN2at6native12_GLOBAL__N_112gatherMedianIamLin1EEEvNS_4cuda6detail10TensorInfoIT_T0_EENS5_IlS7_EENS5_IKS6_S7_EES7_S7_S7_b,"axG",@progbits,_ZN2at6native12_GLOBAL__N_112gatherMedianIamLin1EEEvNS_4cuda6detail10TensorInfoIT_T0_EENS5_IlS7_EENS5_IKS6_S7_EES7_S7_S7_b,comdat
.Lfunc_end87:
	.size	_ZN2at6native12_GLOBAL__N_112gatherMedianIamLin1EEEvNS_4cuda6detail10TensorInfoIT_T0_EENS5_IlS7_EENS5_IKS6_S7_EES7_S7_S7_b, .Lfunc_end87-_ZN2at6native12_GLOBAL__N_112gatherMedianIamLin1EEEvNS_4cuda6detail10TensorInfoIT_T0_EENS5_IlS7_EENS5_IKS6_S7_EES7_S7_S7_b
                                        ; -- End function
	.set _ZN2at6native12_GLOBAL__N_112gatherMedianIamLin1EEEvNS_4cuda6detail10TensorInfoIT_T0_EENS5_IlS7_EENS5_IKS6_S7_EES7_S7_S7_b.num_vgpr, 59
	.set _ZN2at6native12_GLOBAL__N_112gatherMedianIamLin1EEEvNS_4cuda6detail10TensorInfoIT_T0_EENS5_IlS7_EENS5_IKS6_S7_EES7_S7_S7_b.num_agpr, 0
	.set _ZN2at6native12_GLOBAL__N_112gatherMedianIamLin1EEEvNS_4cuda6detail10TensorInfoIT_T0_EENS5_IlS7_EENS5_IKS6_S7_EES7_S7_S7_b.numbered_sgpr, 102
	.set _ZN2at6native12_GLOBAL__N_112gatherMedianIamLin1EEEvNS_4cuda6detail10TensorInfoIT_T0_EENS5_IlS7_EENS5_IKS6_S7_EES7_S7_S7_b.num_named_barrier, 0
	.set _ZN2at6native12_GLOBAL__N_112gatherMedianIamLin1EEEvNS_4cuda6detail10TensorInfoIT_T0_EENS5_IlS7_EENS5_IKS6_S7_EES7_S7_S7_b.private_seg_size, 0
	.set _ZN2at6native12_GLOBAL__N_112gatherMedianIamLin1EEEvNS_4cuda6detail10TensorInfoIT_T0_EENS5_IlS7_EENS5_IKS6_S7_EES7_S7_S7_b.uses_vcc, 1
	.set _ZN2at6native12_GLOBAL__N_112gatherMedianIamLin1EEEvNS_4cuda6detail10TensorInfoIT_T0_EENS5_IlS7_EENS5_IKS6_S7_EES7_S7_S7_b.uses_flat_scratch, 0
	.set _ZN2at6native12_GLOBAL__N_112gatherMedianIamLin1EEEvNS_4cuda6detail10TensorInfoIT_T0_EENS5_IlS7_EENS5_IKS6_S7_EES7_S7_S7_b.has_dyn_sized_stack, 0
	.set _ZN2at6native12_GLOBAL__N_112gatherMedianIamLin1EEEvNS_4cuda6detail10TensorInfoIT_T0_EENS5_IlS7_EENS5_IKS6_S7_EES7_S7_S7_b.has_recursion, 0
	.set _ZN2at6native12_GLOBAL__N_112gatherMedianIamLin1EEEvNS_4cuda6detail10TensorInfoIT_T0_EENS5_IlS7_EENS5_IKS6_S7_EES7_S7_S7_b.has_indirect_call, 0
	.section	.AMDGPU.csdata,"",@progbits
; Kernel info:
; codeLenInByte = 20860
; TotalNumSgprs: 104
; NumVgprs: 59
; ScratchSize: 0
; MemoryBound: 0
; FloatMode: 240
; IeeeMode: 1
; LDSByteSize: 5152 bytes/workgroup (compile time only)
; SGPRBlocks: 0
; VGPRBlocks: 7
; NumSGPRsForWavesPerEU: 104
; NumVGPRsForWavesPerEU: 59
; Occupancy: 16
; WaveLimiterHint : 1
; COMPUTE_PGM_RSRC2:SCRATCH_EN: 0
; COMPUTE_PGM_RSRC2:USER_SGPR: 2
; COMPUTE_PGM_RSRC2:TRAP_HANDLER: 0
; COMPUTE_PGM_RSRC2:TGID_X_EN: 1
; COMPUTE_PGM_RSRC2:TGID_Y_EN: 1
; COMPUTE_PGM_RSRC2:TGID_Z_EN: 1
; COMPUTE_PGM_RSRC2:TIDIG_COMP_CNT: 0
	.section	.text._ZN2at6native12_GLOBAL__N_112gatherMedianIijLi1EEEvNS_4cuda6detail10TensorInfoIT_T0_EENS5_IlS7_EENS5_IKS6_S7_EES7_S7_S7_b,"axG",@progbits,_ZN2at6native12_GLOBAL__N_112gatherMedianIijLi1EEEvNS_4cuda6detail10TensorInfoIT_T0_EENS5_IlS7_EENS5_IKS6_S7_EES7_S7_S7_b,comdat
	.globl	_ZN2at6native12_GLOBAL__N_112gatherMedianIijLi1EEEvNS_4cuda6detail10TensorInfoIT_T0_EENS5_IlS7_EENS5_IKS6_S7_EES7_S7_S7_b ; -- Begin function _ZN2at6native12_GLOBAL__N_112gatherMedianIijLi1EEEvNS_4cuda6detail10TensorInfoIT_T0_EENS5_IlS7_EENS5_IKS6_S7_EES7_S7_S7_b
	.p2align	8
	.type	_ZN2at6native12_GLOBAL__N_112gatherMedianIijLi1EEEvNS_4cuda6detail10TensorInfoIT_T0_EENS5_IlS7_EENS5_IKS6_S7_EES7_S7_S7_b,@function
_ZN2at6native12_GLOBAL__N_112gatherMedianIijLi1EEEvNS_4cuda6detail10TensorInfoIT_T0_EENS5_IlS7_EENS5_IKS6_S7_EES7_S7_S7_b: ; @_ZN2at6native12_GLOBAL__N_112gatherMedianIijLi1EEEvNS_4cuda6detail10TensorInfoIT_T0_EENS5_IlS7_EENS5_IKS6_S7_EES7_S7_S7_b
; %bb.0:
	s_clause 0x1
	s_load_b64 s[4:5], s[0:1], 0x298
	s_load_b128 s[28:31], s[0:1], 0x288
	s_lshr_b32 s2, ttmp7, 16
	s_and_b32 s3, ttmp7, 0xffff
	s_wait_kmcnt 0x0
	s_mul_i32 s2, s5, s2
	s_delay_alu instid0(SALU_CYCLE_1) | instskip(NEXT) | instid1(SALU_CYCLE_1)
	s_add_co_i32 s2, s2, s3
	s_mul_i32 s27, s2, s4
	s_delay_alu instid0(SALU_CYCLE_1) | instskip(NEXT) | instid1(SALU_CYCLE_1)
	s_add_co_i32 s27, s27, ttmp9
	s_cmp_ge_u32 s27, s29
	s_cbranch_scc1 .LBB88_235
; %bb.1:
	v_cmp_eq_u32_e64 s2, 0, v0
	s_and_saveexec_b32 s3, s2
; %bb.2:
	v_mov_b32_e32 v1, 0
	s_delay_alu instid0(VALU_DEP_1)
	v_mov_b32_e32 v2, v1
	ds_store_b64 v1, v[1:2] offset:4096
; %bb.3:
	s_or_b32 exec_lo, exec_lo, s3
	v_mov_b32_e32 v1, 0
	s_wait_dscnt 0x0
	s_barrier_signal -1
	s_barrier_wait -1
	global_inv scope:SCOPE_SE
	s_wait_loadcnt 0x0
	s_barrier_signal -1
	s_barrier_wait -1
	global_inv scope:SCOPE_SE
	ds_load_b64 v[1:2], v1 offset:4096
	s_bitcmp1_b32 s31, 0
	s_mov_b32 s10, s28
	s_cselect_b32 s5, -1, 0
	s_wait_dscnt 0x0
	v_readfirstlane_b32 s6, v1
	v_readfirstlane_b32 s7, v2
	s_delay_alu instid0(VALU_DEP_1) | instskip(SKIP_1) | instid1(SALU_CYCLE_1)
	v_cmp_lt_i64_e64 s3, s[6:7], 1
	s_or_b32 s3, s5, s3
	s_and_not1_b32 vcc_lo, exec_lo, s3
	s_cbranch_vccnz .LBB88_5
; %bb.4:
	s_not_b64 s[6:7], s[6:7]
	s_mov_b32 s29, 0
	s_wait_alu 0xfffe
	s_add_nc_u64 s[6:7], s[6:7], s[28:29]
	s_mov_b32 s9, s29
	s_wait_alu 0xfffe
	s_lshr_b32 s8, s7, 31
	s_delay_alu instid0(SALU_CYCLE_1)
	s_add_nc_u64 s[6:7], s[6:7], s[8:9]
	s_wait_alu 0xfffe
	s_lshr_b64 s[6:7], s[6:7], 1
	s_wait_alu 0xfffe
	s_add_co_i32 s10, s6, 1
.LBB88_5:
	s_clause 0x1
	s_load_b32 s3, s[0:1], 0x21c
	s_load_b64 s[6:7], s[0:1], 0x1b0
	s_add_nc_u64 s[8:9], s[0:1], 0x298
	s_and_saveexec_b32 s5, s2
	s_cbranch_execz .LBB88_7
; %bb.6:
	v_dual_mov_b32 v1, 0 :: v_dual_mov_b32 v2, s28
	ds_store_b32 v1, v1 offset:4112
	ds_store_b64 v1, v[1:2] offset:4104
.LBB88_7:
	s_or_b32 exec_lo, exec_lo, s5
	s_wait_loadcnt_dscnt 0x0
	s_barrier_signal -1
	s_barrier_wait -1
	global_inv scope:SCOPE_SE
	s_load_b32 s5, s[8:9], 0xc
	s_clause 0x3
	s_load_b32 s29, s[0:1], 0x144
	s_load_b64 s[34:35], s[0:1], 0xd8
	s_load_b32 s33, s[0:1], 0x6c
	s_load_b64 s[38:39], s[0:1], 0x0
	v_mbcnt_lo_u32_b32 v16, -1, 0
	s_wait_kmcnt 0x0
	s_mul_i32 s40, s3, s27
	v_cmp_gt_u32_e32 vcc_lo, 32, v0
	s_mov_b32 s41, 0
	v_mov_b32_e32 v7, 0
	v_cmp_gt_i32_e64 s3, 4, v16
	s_lshl_b64 s[12:13], s[40:41], 2
	v_mul_lo_u32 v5, s30, v0
	s_add_nc_u64 s[36:37], s[6:7], s[12:13]
	v_dual_mov_b32 v6, v7 :: v_dual_lshlrev_b32 v17, 2, v0
	s_and_b32 s48, vcc_lo, s3
	v_cmp_gt_u32_e64 s0, s28, v0
	v_cmp_gt_u32_e64 s1, 2, v0
	s_delay_alu instid0(VALU_DEP_3)
	v_add_nc_u32_e32 v18, 0xc00, v17
	s_and_b32 s31, s5, 0xffff
	s_bfe_u32 s5, s5, 0xb0005
	s_wait_alu 0xfffe
	s_lshl_b32 s49, s31, 2
	s_add_co_i32 s50, s31, -1
	s_cvt_f32_u32 s3, s49
	s_add_co_i32 s11, s50, s28
	s_cmp_gt_u32 s28, 0x300
	s_cvt_f32_u32 s6, s31
	v_rcp_iflag_f32_e32 v1, s3
	s_cselect_b32 s52, -1, 0
	s_cmp_gt_u32 s31, 31
	s_wait_alu 0xfffe
	v_rcp_iflag_f32_e32 v4, s6
	s_cselect_b32 s53, -1, 0
	s_cmp_lt_u32 ttmp9, s4
	v_mad_co_u64_u32 v[12:13], null, s30, v17, s[30:31]
	s_cselect_b32 s40, 12, 18
	s_add_co_i32 s3, s5, -1
	v_readfirstlane_b32 s4, v1
	s_wait_alu 0xfffe
	s_and_b32 s3, s3, 0xffff
	s_bfe_u32 s54, s31, 0x30005
	s_wait_alu 0xfffe
	s_cmp_gt_u32 s3, 6
	v_lshlrev_b64_e64 v[1:2], v16, -1
	s_mul_f32 s3, s4, 0x4f7ffffe
	s_cselect_b32 s55, -1, 0
	s_and_b32 s56, s5, 0x7f8
	s_cmp_lg_u32 s54, 0
	s_wait_alu 0xfffe
	s_cvt_u32_f32 s4, s3
	s_cselect_b32 s57, -1, 0
	s_sub_co_i32 s5, 0, s49
	v_lshlrev_b64_e32 v[2:3], 2, v[5:6]
	s_mul_i32 s5, s5, s4
	v_not_b32_e32 v19, v1
	s_mul_hi_u32 s5, s4, s5
	v_lshrrev_b32_e32 v1, 1, v0
	s_add_co_i32 s42, s4, s5
	v_readfirstlane_b32 s5, v4
	s_mul_hi_u32 s4, s28, s42
	v_add_co_u32 v8, vcc_lo, s36, v2
	s_mul_i32 s4, s4, s49
	s_mul_f32 s5, s5, 0x4f7ffffe
	s_sub_co_i32 s4, s28, s4
	v_add_co_ci_u32_e64 v9, null, s37, v3, vcc_lo
	s_sub_co_i32 s6, s4, s49
	s_cmp_ge_u32 s4, s49
	s_cvt_u32_f32 s5, s5
	s_wait_alu 0xfffe
	s_cselect_b32 s4, s6, s4
	v_or_b32_e32 v3, 3, v17
	s_sub_co_i32 s6, s4, s49
	s_cmp_ge_u32 s4, s49
	v_mov_b32_e32 v31, s10
	s_wait_alu 0xfffe
	s_cselect_b32 s7, s6, s4
	s_sub_co_i32 s4, 0, s31
	s_wait_alu 0xfffe
	s_sub_co_i32 s58, s28, s7
	s_mul_i32 s4, s4, s5
	v_add_nc_u32_e32 v20, s58, v0
	s_mul_hi_u32 s4, s5, s4
	v_mul_lo_u32 v24, s30, v3
	s_add_co_i32 s44, s5, s4
	s_movk_i32 s4, 0x1f0
	v_mul_lo_u32 v6, v20, s30
	v_and_or_b32 v21, v1, s4, 0xc00
	s_mul_hi_u32 s5, s11, s44
	v_cmp_eq_u32_e64 s3, 0, v16
	s_wait_alu 0xfffe
	s_mul_i32 s5, s5, s31
	v_cmp_gt_u32_e64 s4, s58, v17
	s_wait_alu 0xfffe
	s_sub_co_i32 s5, s11, s5
	v_dual_mov_b32 v22, 0 :: v_dual_lshlrev_b32 v25, 2, v5
	v_lshlrev_b64_e32 v[1:2], 2, v[6:7]
	s_wait_alu 0xfffe
	s_sub_co_i32 s6, s5, s31
	s_cmp_ge_u32 s5, s31
	v_dual_mov_b32 v30, 0 :: v_dual_lshlrev_b32 v27, 4, v0
	s_wait_alu 0xfffe
	s_cselect_b32 s6, s6, s5
	v_add_co_u32 v10, vcc_lo, s36, v1
	v_add3_u32 v1, s31, s28, v0
	s_wait_alu 0xfffd
	v_add_co_ci_u32_e64 v11, null, s37, v2, vcc_lo
	v_or_b32_e32 v2, 2, v17
	s_wait_alu 0xfffe
	s_sub_co_i32 s12, s6, s31
	v_subrev_nc_u32_e32 v1, s7, v1
	s_cmp_ge_u32 s6, s31
	v_cmp_gt_u32_e64 s5, s28, v20
	s_cselect_b32 s6, s12, s6
	v_mul_lo_u32 v23, s30, v2
	v_mul_lo_u32 v26, s30, v1
	s_wait_alu 0xfffe
	s_sub_co_i32 s59, s11, s6
	v_lshl_or_b32 v28, v16, 2, 0xc00
	s_wait_alu 0xfffe
	v_cmp_gt_u32_e64 s6, s59, v0
	v_mov_b32_e32 v13, 1
	v_mov_b32_e32 v15, 0
	;; [unrolled: 1-line block ×3, first 2 shown]
	s_mul_i32 s51, s30, s31
	s_mov_b32 s43, s41
	s_mov_b32 s45, s41
	s_lshl_b32 s60, s51, 2
	s_lshl_b32 s61, s31, 4
	s_mov_b32 s69, 30
	s_add_nc_u64 s[46:47], s[8:9], s[40:41]
	s_mov_b32 s62, 0
                                        ; implicit-def: $sgpr66
                                        ; implicit-def: $sgpr68
                                        ; implicit-def: $sgpr63
                                        ; implicit-def: $sgpr65
                                        ; implicit-def: $sgpr67
                                        ; implicit-def: $sgpr64
	s_branch .LBB88_11
.LBB88_8:                               ;   in Loop: Header=BB88_11 Depth=1
	s_wait_alu 0xfffe
	s_or_b32 exec_lo, exec_lo, s11
	s_delay_alu instid0(SALU_CYCLE_1)
	s_and_b32 s8, s8, exec_lo
	s_and_not1_b32 s13, s13, exec_lo
	s_and_not1_b32 s12, s12, exec_lo
	s_or_not1_b32 s10, s10, exec_lo
.LBB88_9:                               ;   in Loop: Header=BB88_11 Depth=1
	s_wait_alu 0xfffe
	s_or_b32 exec_lo, exec_lo, s7
	s_delay_alu instid0(SALU_CYCLE_1)
	s_and_not1_b32 s7, s64, exec_lo
	s_and_b32 s8, s8, exec_lo
	s_and_not1_b32 s11, s65, exec_lo
	s_wait_alu 0xfffe
	s_or_b32 s64, s7, s8
	s_and_not1_b32 s7, s67, exec_lo
	s_and_b32 s8, s13, exec_lo
	s_and_b32 s12, s12, exec_lo
	s_wait_alu 0xfffe
	s_or_b32 s67, s7, s8
	s_or_b32 s65, s11, s12
	s_or_not1_b32 s11, s10, exec_lo
.LBB88_10:                              ;   in Loop: Header=BB88_11 Depth=1
	s_wait_alu 0xfffe
	s_or_b32 exec_lo, exec_lo, s9
	s_delay_alu instid0(SALU_CYCLE_1)
	s_and_b32 s7, exec_lo, s11
	v_mov_b32_e32 v31, v2
	s_wait_alu 0xfffe
	s_or_b32 s62, s7, s62
	s_and_not1_b32 s7, s63, exec_lo
	s_and_b32 s8, s64, exec_lo
	s_and_not1_b32 s9, s68, exec_lo
	s_wait_alu 0xfffe
	s_or_b32 s63, s7, s8
	s_and_b32 s7, s67, exec_lo
	s_and_not1_b32 s8, s66, exec_lo
	s_and_b32 s10, s65, exec_lo
	s_wait_alu 0xfffe
	s_or_b32 s68, s9, s7
	s_or_b32 s66, s8, s10
	s_mov_b32 s69, s18
	s_and_not1_b32 exec_lo, exec_lo, s62
	s_cbranch_execz .LBB88_231
.LBB88_11:                              ; =>This Loop Header: Depth=1
                                        ;     Child Loop BB88_17 Depth 2
                                        ;     Child Loop BB88_30 Depth 2
	;; [unrolled: 1-line block ×16, first 2 shown]
	ds_load_b64 v[1:2], v7 offset:4104
	s_wait_dscnt 0x0
	v_readfirstlane_b32 s40, v1
	s_cmp_lg_u32 s40, 0
	s_cbranch_scc1 .LBB88_38
; %bb.12:                               ;   in Loop: Header=BB88_11 Depth=1
	s_and_b32 vcc_lo, exec_lo, s52
	s_wait_alu 0xfffe
	s_cbranch_vccz .LBB88_25
; %bb.13:                               ;   in Loop: Header=BB88_11 Depth=1
	v_cmp_gt_u32_e32 vcc_lo, 0x301, v2
	s_mov_b32 s9, 0
	s_mov_b32 s7, 0
	s_cbranch_vccz .LBB88_26
; %bb.14:                               ;   in Loop: Header=BB88_11 Depth=1
	s_and_saveexec_b32 s10, s0
	s_cbranch_execz .LBB88_121
; %bb.15:                               ;   in Loop: Header=BB88_11 Depth=1
	global_load_b32 v1, v[8:9], off
	s_load_u16 s11, s[46:47], 0x0
	s_mov_b32 s13, 0
	s_wait_kmcnt 0x0
	v_add_nc_u32_e32 v2, s11, v0
	s_mul_i32 s12, s30, s11
	s_delay_alu instid0(VALU_DEP_1)
	v_mul_lo_u32 v6, s30, v2
	v_mov_b32_e32 v2, v0
	s_branch .LBB88_17
.LBB88_16:                              ;   in Loop: Header=BB88_17 Depth=2
	s_wait_alu 0xfffe
	s_or_b32 exec_lo, exec_lo, s8
	v_dual_mov_b32 v1, v3 :: v_dual_add_nc_u32 v6, s12, v6
	s_and_not1_b32 exec_lo, exec_lo, s13
	s_cbranch_execz .LBB88_121
.LBB88_17:                              ;   Parent Loop BB88_11 Depth=1
                                        ; =>  This Inner Loop Header: Depth=2
	s_delay_alu instid0(VALU_DEP_1) | instskip(SKIP_3) | instid1(VALU_DEP_2)
	v_dual_mov_b32 v3, 0 :: v_dual_add_nc_u32 v2, s11, v2
	s_wait_dscnt 0x0
	v_mov_b32_e32 v4, 0
	s_mov_b32 s8, exec_lo
	v_cmp_le_u32_e32 vcc_lo, s28, v2
	v_cmpx_gt_u32_e64 s28, v2
	s_cbranch_execz .LBB88_19
; %bb.18:                               ;   in Loop: Header=BB88_17 Depth=2
	v_lshlrev_b64_e32 v[32:33], 2, v[6:7]
	s_delay_alu instid0(VALU_DEP_1) | instskip(SKIP_1) | instid1(VALU_DEP_2)
	v_add_co_u32 v32, s7, s36, v32
	s_wait_alu 0xf1ff
	v_add_co_ci_u32_e64 v33, null, s37, v33, s7
	global_load_b32 v3, v[32:33], off
.LBB88_19:                              ;   in Loop: Header=BB88_17 Depth=2
	s_wait_alu 0xfffe
	s_or_b32 exec_lo, exec_lo, s8
	s_wait_loadcnt 0x0
	v_xor_b32_e32 v14, 0x80000000, v1
	s_delay_alu instid0(VALU_DEP_1) | instskip(NEXT) | instid1(VALU_DEP_1)
	v_and_b32_e32 v14, v14, v30
	v_cmp_eq_u32_e64 s7, v14, v22
	s_cmp_lg_u32 s7, 0
	s_cselect_b32 s8, -1, 0
	s_wait_alu 0xfffe
	s_and_b32 s8, s3, s8
	s_wait_alu 0xfffe
	s_and_saveexec_b32 s14, s8
	s_cbranch_execz .LBB88_23
; %bb.20:                               ;   in Loop: Header=BB88_17 Depth=2
	s_mov_b32 s17, exec_lo
	s_bcnt1_i32_b32 s15, s7
	s_wait_alu 0xfffe
	v_mbcnt_lo_u32_b32 v4, s17, 0
	s_mov_b32 s16, exec_lo
                                        ; implicit-def: $vgpr14
	s_delay_alu instid0(VALU_DEP_1)
	v_cmpx_eq_u32_e32 0, v4
; %bb.21:                               ;   in Loop: Header=BB88_17 Depth=2
	s_bcnt1_i32_b32 s8, s17
	s_wait_alu 0xfffe
	s_mul_i32 s8, s15, s8
	s_wait_alu 0xfffe
	v_mov_b32_e32 v14, s8
	ds_add_rtn_u32 v14, v7, v14 offset:4112
; %bb.22:                               ;   in Loop: Header=BB88_17 Depth=2
	s_or_b32 exec_lo, exec_lo, s16
	s_wait_dscnt 0x0
	v_readfirstlane_b32 s8, v14
	s_wait_alu 0xf1ff
	s_delay_alu instid0(VALU_DEP_1)
	v_mad_u32_u24 v4, s15, v4, s8
.LBB88_23:                              ;   in Loop: Header=BB88_17 Depth=2
	s_wait_alu 0xfffe
	s_or_b32 exec_lo, exec_lo, s14
	ds_bpermute_b32 v4, v7, v4
	s_and_b32 s8, exec_lo, vcc_lo
	s_wait_alu 0xfffe
	s_or_b32 s13, s8, s13
	s_and_saveexec_b32 s8, s7
	s_cbranch_execz .LBB88_16
; %bb.24:                               ;   in Loop: Header=BB88_17 Depth=2
	v_and_b32_e32 v14, s7, v19
	s_delay_alu instid0(VALU_DEP_1) | instskip(NEXT) | instid1(VALU_DEP_1)
	v_bcnt_u32_b32 v14, v14, 0
	v_lshlrev_b32_e32 v14, 2, v14
	s_wait_dscnt 0x0
	s_delay_alu instid0(VALU_DEP_1)
	v_lshl_add_u32 v4, v4, 2, v14
	ds_store_b32 v4, v1
	s_branch .LBB88_16
.LBB88_25:                              ;   in Loop: Header=BB88_11 Depth=1
	s_mov_b32 s9, -1
	s_mov_b32 s7, 0
.LBB88_26:                              ;   in Loop: Header=BB88_11 Depth=1
	s_wait_alu 0xfffe
	s_and_b32 vcc_lo, exec_lo, s9
	s_wait_alu 0xfffe
	s_cbranch_vccz .LBB88_36
.LBB88_27:                              ;   in Loop: Header=BB88_11 Depth=1
	s_and_saveexec_b32 s7, s0
	s_cbranch_execz .LBB88_33
; %bb.28:                               ;   in Loop: Header=BB88_11 Depth=1
	global_load_b32 v2, v[8:9], off
	s_load_u16 s9, s[46:47], 0x0
	v_mov_b32_e32 v1, v0
	s_mov_b32 s8, exec_lo
	s_wait_kmcnt 0x0
	v_add_nc_u32_e32 v3, s9, v0
	s_delay_alu instid0(VALU_DEP_1)
	v_cmpx_gt_u32_e64 s28, v3
	s_cbranch_execz .LBB88_32
; %bb.29:                               ;   in Loop: Header=BB88_11 Depth=1
	v_mul_lo_u32 v6, s30, v3
	v_mov_b32_e32 v3, v17
	v_mov_b32_e32 v1, v0
	s_lshl_b32 s10, s9, 2
	s_mul_i32 s12, s30, s9
	s_mov_b32 s11, 0
.LBB88_30:                              ;   Parent Loop BB88_11 Depth=1
                                        ; =>  This Inner Loop Header: Depth=2
	s_delay_alu instid0(VALU_DEP_3)
	v_lshlrev_b64_e32 v[32:33], 2, v[6:7]
	s_wait_loadcnt 0x0
	ds_store_b32 v3, v2
	s_wait_alu 0xfffe
	v_add_nc_u32_e32 v3, s10, v3
	v_add_nc_u32_e32 v6, s12, v6
	v_add_co_u32 v32, vcc_lo, s36, v32
	s_wait_alu 0xfffd
	v_add_co_ci_u32_e64 v33, null, s37, v33, vcc_lo
	global_load_b32 v4, v[32:33], off
	s_wait_loadcnt 0x0
	v_dual_mov_b32 v2, v4 :: v_dual_add_nc_u32 v1, s9, v1
	s_delay_alu instid0(VALU_DEP_1) | instskip(NEXT) | instid1(VALU_DEP_1)
	v_add_nc_u32_e32 v14, s9, v1
	v_cmp_le_u32_e32 vcc_lo, s28, v14
	s_or_b32 s11, vcc_lo, s11
	s_wait_alu 0xfffe
	s_and_not1_b32 exec_lo, exec_lo, s11
	s_cbranch_execnz .LBB88_30
; %bb.31:                               ;   in Loop: Header=BB88_11 Depth=1
	s_or_b32 exec_lo, exec_lo, s11
	v_mov_b32_e32 v2, v4
.LBB88_32:                              ;   in Loop: Header=BB88_11 Depth=1
	s_wait_alu 0xfffe
	s_or_b32 exec_lo, exec_lo, s8
	v_lshlrev_b32_e32 v1, 2, v1
	s_wait_loadcnt 0x0
	ds_store_b32 v1, v2
.LBB88_33:                              ;   in Loop: Header=BB88_11 Depth=1
	s_wait_alu 0xfffe
	s_or_b32 exec_lo, exec_lo, s7
	s_wait_loadcnt_dscnt 0x0
	s_barrier_signal -1
	s_barrier_wait -1
	global_inv scope:SCOPE_SE
	s_and_saveexec_b32 s7, s2
; %bb.34:                               ;   in Loop: Header=BB88_11 Depth=1
	v_mov_b32_e32 v1, s28
	ds_store_b32 v7, v1 offset:4104
; %bb.35:                               ;   in Loop: Header=BB88_11 Depth=1
	s_wait_alu 0xfffe
	s_or_b32 exec_lo, exec_lo, s7
	s_mov_b32 s7, -1
	s_wait_loadcnt_dscnt 0x0
	s_barrier_signal -1
	s_barrier_wait -1
.LBB88_36:                              ;   in Loop: Header=BB88_11 Depth=1
	s_wait_alu 0xfffe
	s_and_b32 vcc_lo, exec_lo, s7
	s_mov_b32 s40, 0
	s_wait_alu 0xfffe
	s_cbranch_vccz .LBB88_38
; %bb.37:                               ;   in Loop: Header=BB88_11 Depth=1
	s_wait_loadcnt 0x0
	global_inv scope:SCOPE_SE
	ds_load_b32 v1, v7 offset:4104
	s_wait_dscnt 0x0
	v_readfirstlane_b32 s40, v1
.LBB88_38:                              ;   in Loop: Header=BB88_11 Depth=1
	s_delay_alu instid0(VALU_DEP_1)
	s_cmp_lt_i32 s40, 1
	s_mov_b32 s7, -1
                                        ; implicit-def: $vgpr4
	s_cbranch_scc1 .LBB88_48
; %bb.39:                               ;   in Loop: Header=BB88_11 Depth=1
	s_wait_alu 0xfffe
	s_and_b32 vcc_lo, exec_lo, s7
	s_wait_alu 0xfffe
	s_cbranch_vccnz .LBB88_59
.LBB88_40:                              ;   in Loop: Header=BB88_11 Depth=1
	v_lshlrev_b32_e32 v6, 7, v29
	s_and_saveexec_b32 s7, s3
.LBB88_41:                              ;   in Loop: Header=BB88_11 Depth=1
	s_delay_alu instid0(VALU_DEP_1)
	v_lshl_add_u32 v14, v6, 2, v21
	ds_store_b128 v14, v[1:4]
.LBB88_42:                              ;   in Loop: Header=BB88_11 Depth=1
	s_wait_alu 0xfffe
	s_or_b32 exec_lo, exec_lo, s7
	s_wait_loadcnt_dscnt 0x0
	s_barrier_signal -1
	s_barrier_wait -1
	global_inv scope:SCOPE_SE
	s_and_saveexec_b32 s7, s48
	s_cbranch_execz .LBB88_72
; %bb.43:                               ;   in Loop: Header=BB88_11 Depth=1
	v_mov_b32_e32 v1, 0
	s_and_not1_b32 vcc_lo, exec_lo, s53
	s_wait_alu 0xfffe
	s_cbranch_vccnz .LBB88_71
; %bb.44:                               ;   in Loop: Header=BB88_11 Depth=1
	s_and_not1_b32 vcc_lo, exec_lo, s55
	s_wait_alu 0xfffe
	s_cbranch_vccnz .LBB88_68
; %bb.45:                               ;   in Loop: Header=BB88_11 Depth=1
	v_lshl_add_u32 v2, v29, 9, v28
	v_mov_b32_e32 v1, 0
	s_mov_b32 s8, 0
.LBB88_46:                              ;   Parent Loop BB88_11 Depth=1
                                        ; =>  This Inner Loop Header: Depth=2
	ds_load_2addr_b32 v[3:4], v2 offset1:4
	ds_load_2addr_b32 v[32:33], v2 offset0:8 offset1:12
	ds_load_2addr_b32 v[34:35], v2 offset0:16 offset1:20
	;; [unrolled: 1-line block ×3, first 2 shown]
	v_add_nc_u32_e32 v2, 0x80, v2
	s_wait_alu 0xfffe
	s_add_co_i32 s8, s8, 8
	s_wait_alu 0xfffe
	s_cmp_eq_u32 s56, s8
	s_wait_dscnt 0x3
	v_add3_u32 v1, v3, v1, v4
	s_wait_dscnt 0x2
	s_delay_alu instid0(VALU_DEP_1) | instskip(SKIP_1) | instid1(VALU_DEP_1)
	v_add3_u32 v1, v32, v1, v33
	s_wait_dscnt 0x1
	v_add3_u32 v1, v34, v1, v35
	s_wait_dscnt 0x0
	s_delay_alu instid0(VALU_DEP_1)
	v_add3_u32 v1, v36, v1, v37
	s_cbranch_scc0 .LBB88_46
; %bb.47:                               ;   in Loop: Header=BB88_11 Depth=1
	s_mov_b32 s8, s56
	s_and_not1_b32 vcc_lo, exec_lo, s57
	s_wait_alu 0xfffe
	s_cbranch_vccz .LBB88_69
	s_branch .LBB88_71
.LBB88_48:                              ;   in Loop: Header=BB88_11 Depth=1
	v_dual_mov_b32 v1, 0 :: v_dual_mov_b32 v2, 0
	v_dual_mov_b32 v3, 0 :: v_dual_mov_b32 v4, 0
	s_and_saveexec_b32 s18, s4
	s_cbranch_execz .LBB88_52
; %bb.49:                               ;   in Loop: Header=BB88_11 Depth=1
	v_mov_b32_e32 v14, v17
	s_mov_b32 s19, 0
	s_mov_b32 s20, 0
	;; [unrolled: 1-line block ×6, first 2 shown]
.LBB88_50:                              ;   Parent Loop BB88_11 Depth=1
                                        ; =>  This Inner Loop Header: Depth=2
	s_wait_alu 0xfffe
	v_add_nc_u32_e32 v6, s20, v25
	v_add_nc_u32_e32 v14, s49, v14
	s_delay_alu instid0(VALU_DEP_2) | instskip(SKIP_1) | instid1(VALU_DEP_1)
	v_lshlrev_b64_e32 v[1:2], 2, v[6:7]
	v_add_nc_u32_e32 v6, s20, v12
	v_lshlrev_b64_e32 v[3:4], 2, v[6:7]
	v_add_nc_u32_e32 v6, s20, v23
	s_delay_alu instid0(VALU_DEP_4) | instskip(SKIP_2) | instid1(VALU_DEP_3)
	v_add_co_u32 v1, vcc_lo, s36, v1
	s_wait_alu 0xfffd
	v_add_co_ci_u32_e64 v2, null, s37, v2, vcc_lo
	v_lshlrev_b64_e32 v[32:33], 2, v[6:7]
	v_add_nc_u32_e32 v6, s20, v24
	s_add_co_i32 s20, s20, s60
	global_load_b32 v34, v[1:2], off
	v_add_co_u32 v1, vcc_lo, s36, v3
	s_wait_alu 0xfffd
	v_add_co_ci_u32_e64 v2, null, s37, v4, vcc_lo
	v_add_co_u32 v32, vcc_lo, s36, v32
	s_wait_alu 0xfffd
	v_add_co_ci_u32_e64 v33, null, s37, v33, vcc_lo
	v_lshlrev_b64_e32 v[3:4], 2, v[6:7]
	s_clause 0x1
	global_load_b32 v6, v[1:2], off
	global_load_b32 v32, v[32:33], off
	v_add_co_u32 v1, vcc_lo, s36, v3
	s_wait_alu 0xfffd
	v_add_co_ci_u32_e64 v2, null, s37, v4, vcc_lo
	v_cmp_le_u32_e32 vcc_lo, s58, v14
	global_load_b32 v1, v[1:2], off
	s_wait_loadcnt 0x3
	v_xor_b32_e32 v2, 0x80000000, v34
	s_delay_alu instid0(VALU_DEP_1) | instskip(SKIP_3) | instid1(VALU_DEP_3)
	v_and_b32_e32 v3, v2, v30
	v_bfe_u32 v2, v2, s69, 2
	s_wait_loadcnt 0x2
	v_xor_b32_e32 v4, 0x80000000, v6
	v_cmp_eq_u32_e64 s7, v3, v22
	s_delay_alu instid0(VALU_DEP_3)
	v_cmp_eq_u32_e64 s8, 0, v2
	s_wait_loadcnt 0x1
	v_xor_b32_e32 v6, 0x80000000, v32
	v_cmp_eq_u32_e64 s9, 1, v2
	v_and_b32_e32 v3, v4, v30
	v_bfe_u32 v4, v4, s69, 2
	v_cmp_eq_u32_e64 s10, 2, v2
	s_and_b32 s8, s7, s8
	v_cmp_eq_u32_e64 s11, 3, v2
	v_cmp_eq_u32_e64 s12, v3, v22
	v_and_b32_e32 v2, v6, v30
	v_bfe_u32 v3, v6, s69, 2
	v_cmp_eq_u32_e64 s13, 0, v4
	s_wait_alu 0xfffe
	v_cndmask_b32_e64 v6, 0, 1, s8
	v_cmp_eq_u32_e64 s8, 1, v4
	s_and_b32 s9, s7, s9
	s_and_b32 s10, s7, s10
	s_wait_alu 0xfffe
	v_cndmask_b32_e64 v32, 0, 1, s9
	v_cmp_eq_u32_e64 s9, 2, v4
	s_wait_loadcnt 0x0
	v_xor_b32_e32 v1, 0x80000000, v1
	v_cndmask_b32_e64 v33, 0, 1, s10
	s_and_b32 s7, s7, s11
	s_and_b32 s13, s12, s13
	s_and_b32 s8, s12, s8
	v_cmp_eq_u32_e64 s10, 3, v4
	s_wait_alu 0xfffe
	v_cndmask_b32_e64 v4, 0, 1, s7
	v_cmp_eq_u32_e64 s7, v2, v22
	v_cmp_eq_u32_e64 s11, 0, v3
	v_cmp_ne_u32_e64 s14, 0, v6
	v_cndmask_b32_e64 v6, 0, 1, s13
	v_cmp_eq_u32_e64 s13, 1, v3
	v_cmp_ne_u32_e64 s15, 0, v32
	v_cndmask_b32_e64 v32, 0, 1, s8
	v_cmp_eq_u32_e64 s8, 2, v3
	s_and_b32 s9, s12, s9
	v_and_b32_e32 v2, v1, v30
	v_bfe_u32 v1, v1, s69, 2
	v_cmp_ne_u32_e64 s16, 0, v33
	s_wait_alu 0xfffe
	v_cndmask_b32_e64 v33, 0, 1, s9
	v_cmp_eq_u32_e64 s9, 3, v3
	s_and_b32 s10, s12, s10
	s_and_b32 s11, s7, s11
	;; [unrolled: 1-line block ×4, first 2 shown]
	v_cmp_ne_u32_e64 s17, 0, v4
	s_wait_alu 0xfffe
	v_cndmask_b32_e64 v3, 0, 1, s10
	v_cmp_eq_u32_e64 s10, v2, v22
	v_cmp_eq_u32_e64 s12, 0, v1
	s_bcnt1_i32_b32 s25, s14
	v_cmp_ne_u32_e64 s14, 0, v6
	v_cndmask_b32_e64 v2, 0, 1, s11
	v_cmp_eq_u32_e64 s11, 1, v1
	v_cndmask_b32_e64 v4, 0, 1, s13
	v_cmp_eq_u32_e64 s13, 2, v1
	;; [unrolled: 2-line block ×3, first 2 shown]
	s_and_b32 s7, s7, s9
	s_bcnt1_i32_b32 s71, s17
	s_wait_alu 0xfffe
	v_cndmask_b32_e64 v1, 0, 1, s7
	v_cmp_ne_u32_e64 s17, 0, v3
	s_and_b32 s9, s10, s12
	s_and_b32 s11, s10, s11
	;; [unrolled: 1-line block ×4, first 2 shown]
	v_cmp_ne_u32_e64 s7, 0, v2
	s_wait_alu 0xfffe
	v_cndmask_b32_e64 v2, 0, 1, s9
	v_cmp_ne_u32_e64 s9, 0, v4
	v_cndmask_b32_e64 v3, 0, 1, s11
	v_cndmask_b32_e64 v4, 0, 1, s12
	v_cmp_ne_u32_e64 s12, 0, v1
	v_cndmask_b32_e64 v1, 0, 1, s8
	s_bcnt1_i32_b32 s26, s15
	v_cmp_ne_u32_e64 s15, 0, v32
	s_bcnt1_i32_b32 s70, s16
	v_cmp_ne_u32_e64 s16, 0, v33
	s_add_co_i32 s21, s71, s21
	v_cmp_ne_u32_e64 s11, 0, v6
	s_bcnt1_i32_b32 s13, s17
	s_bcnt1_i32_b32 s17, s7
	s_wait_alu 0xfffe
	s_add_co_i32 s13, s21, s13
	v_cmp_ne_u32_e64 s7, 0, v2
	s_bcnt1_i32_b32 s21, s9
	v_cmp_ne_u32_e64 s8, 0, v3
	v_cmp_ne_u32_e64 s9, 0, v4
	;; [unrolled: 1-line block ×3, first 2 shown]
	s_add_co_i32 s24, s25, s24
	s_add_co_i32 s23, s26, s23
	;; [unrolled: 1-line block ×3, first 2 shown]
	s_bcnt1_i32_b32 s14, s14
	s_bcnt1_i32_b32 s15, s15
	;; [unrolled: 1-line block ×3, first 2 shown]
	s_wait_alu 0xfffe
	s_add_co_i32 s14, s24, s14
	s_add_co_i32 s15, s23, s15
	;; [unrolled: 1-line block ×3, first 2 shown]
	s_bcnt1_i32_b32 s11, s11
	s_bcnt1_i32_b32 s12, s12
	s_wait_alu 0xfffe
	s_add_co_i32 s14, s14, s17
	s_add_co_i32 s15, s15, s21
	;; [unrolled: 1-line block ×4, first 2 shown]
	s_bcnt1_i32_b32 s7, s7
	s_bcnt1_i32_b32 s8, s8
	;; [unrolled: 1-line block ×4, first 2 shown]
	s_wait_alu 0xfffe
	s_add_co_i32 s24, s14, s7
	s_add_co_i32 s23, s15, s8
	;; [unrolled: 1-line block ×4, first 2 shown]
	s_wait_alu 0xfffe
	v_dual_mov_b32 v1, s24 :: v_dual_mov_b32 v2, s23
	v_dual_mov_b32 v3, s22 :: v_dual_mov_b32 v4, s21
	s_or_b32 s19, vcc_lo, s19
	s_wait_alu 0xfffe
	s_and_not1_b32 exec_lo, exec_lo, s19
	s_cbranch_execnz .LBB88_50
; %bb.51:                               ;   in Loop: Header=BB88_11 Depth=1
	s_or_b32 exec_lo, exec_lo, s19
.LBB88_52:                              ;   in Loop: Header=BB88_11 Depth=1
	s_wait_alu 0xfffe
	s_or_b32 exec_lo, exec_lo, s18
	s_and_saveexec_b32 s11, s5
	s_cbranch_execz .LBB88_58
; %bb.53:                               ;   in Loop: Header=BB88_11 Depth=1
	global_load_b32 v33, v[10:11], off
	v_mov_b32_e32 v6, v26
	v_mov_b32_e32 v14, v20
	s_mov_b32 s12, 0
	s_branch .LBB88_55
.LBB88_54:                              ;   in Loop: Header=BB88_55 Depth=2
	s_wait_alu 0xfffe
	s_or_b32 exec_lo, exec_lo, s8
	s_wait_loadcnt 0x0
	v_xor_b32_e32 v33, 0x80000000, v33
	s_and_b32 s8, exec_lo, vcc_lo
	v_add_nc_u32_e32 v6, s51, v6
	s_wait_alu 0xfffe
	s_or_b32 s12, s8, s12
	v_and_b32_e32 v34, v33, v30
	v_bfe_u32 v33, v33, s69, 2
	s_delay_alu instid0(VALU_DEP_2) | instskip(NEXT) | instid1(VALU_DEP_2)
	v_cmp_eq_u32_e32 vcc_lo, v34, v22
	v_cmp_eq_u32_e64 s7, 0, v33
	v_cmp_eq_u32_e64 s8, 1, v33
	;; [unrolled: 1-line block ×4, first 2 shown]
	s_and_b32 s7, vcc_lo, s7
	s_wait_alu 0xfffe
	v_cndmask_b32_e64 v33, 0, 1, s7
	s_and_b32 s7, vcc_lo, s8
	s_wait_alu 0xfffe
	v_cndmask_b32_e64 v34, 0, 1, s7
	s_and_b32 s7, vcc_lo, s9
	s_wait_alu 0xfffe
	v_cndmask_b32_e64 v35, 0, 1, s7
	s_and_b32 s7, vcc_lo, s10
	v_cmp_ne_u32_e32 vcc_lo, 0, v33
	s_wait_alu 0xfffe
	v_cndmask_b32_e64 v36, 0, 1, s7
	v_cmp_ne_u32_e64 s7, 0, v34
	v_cmp_ne_u32_e64 s8, 0, v35
	v_mov_b32_e32 v33, v32
	s_bcnt1_i32_b32 s10, vcc_lo
	v_cmp_ne_u32_e64 s9, 0, v36
	s_bcnt1_i32_b32 s7, s7
	s_bcnt1_i32_b32 s8, s8
	s_wait_alu 0xfffe
	v_add_nc_u32_e32 v1, s10, v1
	v_add_nc_u32_e32 v2, s7, v2
	s_bcnt1_i32_b32 s9, s9
	v_add_nc_u32_e32 v3, s8, v3
	s_wait_alu 0xfffe
	v_add_nc_u32_e32 v4, s9, v4
	s_and_not1_b32 exec_lo, exec_lo, s12
	s_cbranch_execz .LBB88_57
.LBB88_55:                              ;   Parent Loop BB88_11 Depth=1
                                        ; =>  This Inner Loop Header: Depth=2
	s_delay_alu instid0(VALU_DEP_1) | instskip(SKIP_2) | instid1(VALU_DEP_2)
	v_add_nc_u32_e32 v14, s31, v14
	v_mov_b32_e32 v32, 0
	s_mov_b32 s8, exec_lo
	v_cmp_le_u32_e32 vcc_lo, s28, v14
	v_cmpx_gt_u32_e64 s28, v14
	s_cbranch_execz .LBB88_54
; %bb.56:                               ;   in Loop: Header=BB88_55 Depth=2
	v_lshlrev_b64_e32 v[34:35], 2, v[6:7]
	s_delay_alu instid0(VALU_DEP_1) | instskip(SKIP_1) | instid1(VALU_DEP_2)
	v_add_co_u32 v34, s7, s36, v34
	s_wait_alu 0xf1fe
	v_add_co_ci_u32_e64 v35, null, s37, v35, s7
	global_load_b32 v32, v[34:35], off
	s_branch .LBB88_54
.LBB88_57:                              ;   in Loop: Header=BB88_11 Depth=1
	s_or_b32 exec_lo, exec_lo, s12
.LBB88_58:                              ;   in Loop: Header=BB88_11 Depth=1
	s_wait_alu 0xfffe
	s_or_b32 exec_lo, exec_lo, s11
	s_branch .LBB88_40
.LBB88_59:                              ;   in Loop: Header=BB88_11 Depth=1
	s_mul_u64 s[8:9], s[40:41], s[42:43]
	v_dual_mov_b32 v1, 0 :: v_dual_mov_b32 v2, 0
	s_wait_alu 0xfffe
	s_mul_i32 s7, s9, s49
	v_dual_mov_b32 v3, 0 :: v_dual_mov_b32 v4, 0
	s_wait_alu 0xfffe
	s_sub_co_i32 s7, s40, s7
	s_mov_b32 s71, exec_lo
	s_wait_alu 0xfffe
	s_sub_co_i32 s8, s7, s49
	s_cmp_ge_u32 s7, s49
	s_wait_alu 0xfffe
	s_cselect_b32 s7, s8, s7
	s_wait_alu 0xfffe
	s_sub_co_i32 s8, s7, s49
	s_cmp_ge_u32 s7, s49
	s_wait_alu 0xfffe
	s_cselect_b32 s7, s8, s7
	s_wait_alu 0xfffe
	s_sub_co_i32 s70, s40, s7
	s_wait_alu 0xfffe
	v_cmpx_gt_u32_e64 s70, v17
	s_cbranch_execz .LBB88_63
; %bb.60:                               ;   in Loop: Header=BB88_11 Depth=1
	v_mov_b32_e32 v6, v27
	v_mov_b32_e32 v14, v17
	s_mov_b32 s72, 0
	s_mov_b32 s73, 0
	;; [unrolled: 1-line block ×5, first 2 shown]
.LBB88_61:                              ;   Parent Loop BB88_11 Depth=1
                                        ; =>  This Inner Loop Header: Depth=2
	ds_load_b128 v[1:4], v6
	s_wait_dscnt 0x0
	v_xor_b32_e32 v1, 0x80000000, v1
	v_xor_b32_e32 v2, 0x80000000, v2
	;; [unrolled: 1-line block ×4, first 2 shown]
	s_delay_alu instid0(VALU_DEP_4)
	v_and_b32_e32 v32, v1, v30
	v_bfe_u32 v1, v1, s69, 2
	v_and_b32_e32 v33, v2, v30
	v_bfe_u32 v2, v2, s69, 2
	;; [unrolled: 2-line block ×3, first 2 shown]
	v_cmp_eq_u32_e64 s7, v32, v22
	v_cmp_eq_u32_e64 s11, 0, v1
	v_and_b32_e32 v35, v4, v30
	v_bfe_u32 v4, v4, s69, 2
	v_cmp_eq_u32_e64 s8, v33, v22
	v_cmp_eq_u32_e64 s12, 0, v2
	;; [unrolled: 1-line block ×4, first 2 shown]
	s_and_b32 s11, s7, s11
	v_cmp_eq_u32_e64 s10, v35, v22
	v_cmp_eq_u32_e64 s14, 0, v4
	;; [unrolled: 1-line block ×5, first 2 shown]
	s_wait_alu 0xfffe
	v_cndmask_b32_e64 v1, 0, 1, s11
	s_and_b32 s11, s8, s12
	v_cmp_eq_u32_e64 s16, 1, v2
	v_cmp_eq_u32_e64 s20, 2, v2
	v_cmp_eq_u32_e64 s24, 3, v2
	s_wait_alu 0xfffe
	v_cndmask_b32_e64 v2, 0, 1, s11
	s_and_b32 s11, s9, s13
	v_cmp_eq_u32_e64 s17, 1, v3
	v_cmp_eq_u32_e64 s21, 2, v3
	v_cmp_eq_u32_e64 s25, 3, v3
	;; [unrolled: 6-line block ×3, first 2 shown]
	s_wait_alu 0xfffe
	v_cndmask_b32_e64 v4, 0, 1, s11
	s_and_b32 s11, s7, s15
	s_wait_alu 0xfffe
	v_cndmask_b32_e64 v32, 0, 1, s11
	s_and_b32 s11, s8, s16
	;; [unrolled: 3-line block ×4, first 2 shown]
	v_cmp_ne_u32_e64 s12, 0, v33
	s_wait_alu 0xfffe
	v_cndmask_b32_e64 v35, 0, 1, s11
	s_and_b32 s11, s7, s19
	s_and_b32 s7, s7, s23
	s_wait_alu 0xfffe
	v_cndmask_b32_e64 v36, 0, 1, s11
	v_cndmask_b32_e64 v40, 0, 1, s7
	s_and_b32 s7, s8, s24
	s_and_b32 s11, s8, s20
	s_wait_alu 0xfffe
	v_cndmask_b32_e64 v41, 0, 1, s7
	s_and_b32 s7, s9, s25
	v_cndmask_b32_e64 v37, 0, 1, s11
	s_wait_alu 0xfffe
	v_cndmask_b32_e64 v42, 0, 1, s7
	s_and_b32 s7, s10, s26
	s_and_b32 s11, s9, s21
	s_wait_alu 0xfffe
	v_cndmask_b32_e64 v43, 0, 1, s7
	v_cmp_ne_u32_e64 s7, 0, v1
	v_cmp_ne_u32_e64 s8, 0, v2
	v_cndmask_b32_e64 v38, 0, 1, s11
	s_and_b32 s11, s10, s22
	v_cmp_ne_u32_e64 s9, 0, v3
	s_wait_alu 0xfffe
	v_cndmask_b32_e64 v39, 0, 1, s11
	v_cmp_ne_u32_e64 s11, 0, v32
	v_cmp_ne_u32_e64 s15, 0, v36
	;; [unrolled: 1-line block ×3, first 2 shown]
	s_bcnt1_i32_b32 s7, s7
	v_cmp_ne_u32_e64 s10, 0, v4
	v_cmp_ne_u32_e64 s16, 0, v37
	;; [unrolled: 1-line block ×3, first 2 shown]
	s_bcnt1_i32_b32 s8, s8
	s_wait_alu 0xfffe
	s_add_co_i32 s7, s7, s76
	v_cmp_ne_u32_e64 s13, 0, v34
	v_cmp_ne_u32_e64 s17, 0, v38
	;; [unrolled: 1-line block ×3, first 2 shown]
	s_bcnt1_i32_b32 s9, s9
	s_wait_alu 0xfffe
	s_add_co_i32 s7, s7, s8
	s_bcnt1_i32_b32 s11, s11
	s_bcnt1_i32_b32 s15, s15
	;; [unrolled: 1-line block ×3, first 2 shown]
	v_cmp_ne_u32_e64 s14, 0, v35
	v_cmp_ne_u32_e64 s18, 0, v39
	;; [unrolled: 1-line block ×3, first 2 shown]
	s_bcnt1_i32_b32 s10, s10
	s_wait_alu 0xfffe
	s_add_co_i32 s7, s7, s9
	s_bcnt1_i32_b32 s12, s12
	s_bcnt1_i32_b32 s16, s16
	;; [unrolled: 1-line block ×3, first 2 shown]
	s_add_co_i32 s11, s11, s75
	s_add_co_i32 s15, s15, s74
	;; [unrolled: 1-line block ×3, first 2 shown]
	s_wait_alu 0xfffe
	s_add_co_i32 s76, s7, s10
	s_wait_alu 0xfffe
	v_dual_mov_b32 v1, s76 :: v_dual_add_nc_u32 v14, s49, v14
	s_bcnt1_i32_b32 s13, s13
	s_bcnt1_i32_b32 s17, s17
	;; [unrolled: 1-line block ×3, first 2 shown]
	s_add_co_i32 s8, s11, s12
	s_add_co_i32 s11, s15, s16
	s_add_co_i32 s12, s19, s20
	s_bcnt1_i32_b32 s14, s14
	s_bcnt1_i32_b32 s18, s18
	;; [unrolled: 1-line block ×3, first 2 shown]
	s_wait_alu 0xfffe
	s_add_co_i32 s8, s8, s13
	s_add_co_i32 s9, s11, s17
	;; [unrolled: 1-line block ×3, first 2 shown]
	v_cmp_le_u32_e32 vcc_lo, s70, v14
	s_wait_alu 0xfffe
	s_add_co_i32 s75, s8, s14
	s_add_co_i32 s74, s9, s18
	;; [unrolled: 1-line block ×3, first 2 shown]
	s_wait_alu 0xfffe
	v_dual_mov_b32 v3, s74 :: v_dual_add_nc_u32 v6, s61, v6
	v_mov_b32_e32 v2, s75
	v_mov_b32_e32 v4, s73
	s_or_b32 s72, vcc_lo, s72
	s_wait_alu 0xfffe
	s_and_not1_b32 exec_lo, exec_lo, s72
	s_cbranch_execnz .LBB88_61
; %bb.62:                               ;   in Loop: Header=BB88_11 Depth=1
	s_or_b32 exec_lo, exec_lo, s72
.LBB88_63:                              ;   in Loop: Header=BB88_11 Depth=1
	s_delay_alu instid0(SALU_CYCLE_1) | instskip(SKIP_2) | instid1(VALU_DEP_1)
	s_or_b32 exec_lo, exec_lo, s71
	v_add_nc_u32_e32 v6, s70, v0
	s_mov_b32 s12, exec_lo
	v_cmpx_gt_u32_e64 s40, v6
	s_cbranch_execz .LBB88_67
; %bb.64:                               ;   in Loop: Header=BB88_11 Depth=1
	v_lshlrev_b32_e32 v14, 2, v6
	s_mov_b32 s13, 0
.LBB88_65:                              ;   Parent Loop BB88_11 Depth=1
                                        ; =>  This Inner Loop Header: Depth=2
	ds_load_b32 v32, v14
	v_add_nc_u32_e32 v6, s31, v6
	v_add_nc_u32_e32 v14, s49, v14
	s_delay_alu instid0(VALU_DEP_2) | instskip(SKIP_2) | instid1(VALU_DEP_1)
	v_cmp_le_u32_e32 vcc_lo, s40, v6
	s_wait_dscnt 0x0
	v_xor_b32_e32 v32, 0x80000000, v32
	v_and_b32_e32 v33, v32, v30
	v_bfe_u32 v32, v32, s69, 2
	s_delay_alu instid0(VALU_DEP_2) | instskip(NEXT) | instid1(VALU_DEP_2)
	v_cmp_eq_u32_e64 s7, v33, v22
	v_cmp_eq_u32_e64 s8, 0, v32
	;; [unrolled: 1-line block ×5, first 2 shown]
	s_and_b32 s8, s7, s8
	s_wait_alu 0xfffe
	v_cndmask_b32_e64 v32, 0, 1, s8
	s_and_b32 s8, s7, s9
	s_wait_alu 0xfffe
	v_cndmask_b32_e64 v33, 0, 1, s8
	s_and_b32 s8, s7, s10
	s_and_b32 s7, s7, s11
	s_wait_alu 0xfffe
	v_cndmask_b32_e64 v34, 0, 1, s8
	v_cndmask_b32_e64 v35, 0, 1, s7
	v_cmp_ne_u32_e64 s7, 0, v32
	v_cmp_ne_u32_e64 s8, 0, v33
	s_delay_alu instid0(VALU_DEP_4) | instskip(NEXT) | instid1(VALU_DEP_4)
	v_cmp_ne_u32_e64 s9, 0, v34
	v_cmp_ne_u32_e64 s10, 0, v35
	s_bcnt1_i32_b32 s7, s7
	s_bcnt1_i32_b32 s8, s8
	s_wait_alu 0xfffe
	v_add_nc_u32_e32 v1, s7, v1
	s_bcnt1_i32_b32 s9, s9
	s_bcnt1_i32_b32 s10, s10
	v_add_nc_u32_e32 v2, s8, v2
	s_wait_alu 0xfffe
	v_add_nc_u32_e32 v3, s9, v3
	v_add_nc_u32_e32 v4, s10, v4
	s_or_b32 s13, vcc_lo, s13
	s_wait_alu 0xfffe
	s_and_not1_b32 exec_lo, exec_lo, s13
	s_cbranch_execnz .LBB88_65
; %bb.66:                               ;   in Loop: Header=BB88_11 Depth=1
	s_or_b32 exec_lo, exec_lo, s13
.LBB88_67:                              ;   in Loop: Header=BB88_11 Depth=1
	s_wait_alu 0xfffe
	s_or_b32 exec_lo, exec_lo, s12
	v_lshlrev_b32_e32 v6, 7, v29
	s_and_saveexec_b32 s7, s3
	s_cbranch_execnz .LBB88_41
	s_branch .LBB88_42
.LBB88_68:                              ;   in Loop: Header=BB88_11 Depth=1
	v_mov_b32_e32 v1, 0
	s_mov_b32 s8, 0
	s_and_not1_b32 vcc_lo, exec_lo, s57
	s_wait_alu 0xfffe
	s_cbranch_vccnz .LBB88_71
.LBB88_69:                              ;   in Loop: Header=BB88_11 Depth=1
	v_lshlrev_b32_e32 v2, 9, v29
	s_lshl_b32 s8, s8, 4
	s_wait_alu 0xfffe
	s_delay_alu instid0(VALU_DEP_1)
	v_add3_u32 v2, v2, s8, v28
	s_mov_b32 s8, s54
.LBB88_70:                              ;   Parent Loop BB88_11 Depth=1
                                        ; =>  This Inner Loop Header: Depth=2
	ds_load_b32 v3, v2
	v_add_nc_u32_e32 v2, 16, v2
	s_wait_alu 0xfffe
	s_add_co_i32 s8, s8, -1
	s_wait_alu 0xfffe
	s_cmp_lg_u32 s8, 0
	s_wait_dscnt 0x0
	v_add_nc_u32_e32 v1, v3, v1
	s_cbranch_scc1 .LBB88_70
.LBB88_71:                              ;   in Loop: Header=BB88_11 Depth=1
	v_add_lshl_u32 v2, v6, v16, 2
	ds_store_b32 v2, v1 offset:3072
.LBB88_72:                              ;   in Loop: Header=BB88_11 Depth=1
	s_wait_alu 0xfffe
	s_or_b32 exec_lo, exec_lo, s7
	v_lshlrev_b32_e32 v1, 2, v6
	s_wait_loadcnt_dscnt 0x0
	s_barrier_signal -1
	s_barrier_wait -1
	global_inv scope:SCOPE_SE
	ds_load_b128 v[1:4], v1 offset:3072
	s_lshl_b32 s8, 3, s69
	v_cmp_eq_u32_e32 vcc_lo, 1, v31
	s_wait_alu 0xfffe
	s_not_b32 s15, s8
	s_mov_b32 s11, -1
	s_mov_b32 s19, -1
                                        ; implicit-def: $sgpr16
                                        ; implicit-def: $sgpr13
	s_wait_dscnt 0x0
	v_readfirstlane_b32 s10, v1
	v_readfirstlane_b32 s17, v2
	v_readfirstlane_b32 s14, v3
	v_readfirstlane_b32 s7, v4
	s_cmp_eq_u32 s10, 1
	s_cselect_b32 s9, -1, 0
	s_wait_alu 0xfffe
	s_and_b32 s12, s9, vcc_lo
	s_wait_alu 0xfffe
	s_and_saveexec_b32 s9, s12
	s_cbranch_execz .LBB88_98
; %bb.73:                               ;   in Loop: Header=BB88_11 Depth=1
	ds_load_b32 v1, v7 offset:4104
	s_wait_loadcnt_dscnt 0x0
	s_barrier_signal -1
	s_barrier_wait -1
	global_inv scope:SCOPE_SE
	v_readfirstlane_b32 s19, v1
	s_and_saveexec_b32 s13, s1
; %bb.74:                               ;   in Loop: Header=BB88_11 Depth=1
	ds_store_b32 v18, v7
; %bb.75:                               ;   in Loop: Header=BB88_11 Depth=1
	s_wait_alu 0xfffe
	s_or_b32 exec_lo, exec_lo, s13
	v_and_b32_e32 v22, s15, v22
	v_or_b32_e32 v30, s8, v30
	s_mov_b32 s13, -1
	s_mov_b32 s16, 0
	s_cmp_eq_u32 s19, 0
	s_mov_b32 s18, 0
	s_mov_b32 s20, -1
	s_wait_loadcnt_dscnt 0x0
	s_barrier_signal -1
	s_barrier_wait -1
	global_inv scope:SCOPE_SE
                                        ; implicit-def: $vgpr15
	s_cbranch_scc1 .LBB88_86
; %bb.76:                               ;   in Loop: Header=BB88_11 Depth=1
	s_add_co_i32 s40, s19, s50
                                        ; implicit-def: $vgpr15
	s_wait_alu 0xfffe
	s_mul_u64 s[20:21], s[40:41], s[44:45]
	s_wait_alu 0xfffe
	s_mul_i32 s18, s21, s31
	s_mov_b32 s21, exec_lo
	s_wait_alu 0xfffe
	s_sub_co_i32 s18, s40, s18
	s_wait_alu 0xfffe
	s_sub_co_i32 s20, s18, s31
	s_cmp_ge_u32 s18, s31
	s_wait_alu 0xfffe
	s_cselect_b32 s18, s20, s18
	s_wait_alu 0xfffe
	s_sub_co_i32 s20, s18, s31
	s_cmp_ge_u32 s18, s31
	s_wait_alu 0xfffe
	s_cselect_b32 s18, s20, s18
	s_mov_b32 s20, 0
	s_wait_alu 0xfffe
	s_sub_co_i32 s22, s40, s18
	s_mov_b32 s18, 0
	s_wait_alu 0xfffe
	v_cmpx_gt_u32_e64 s22, v0
	s_cbranch_execz .LBB88_85
; %bb.77:                               ;   in Loop: Header=BB88_11 Depth=1
	v_dual_mov_b32 v1, v17 :: v_dual_mov_b32 v2, v0
                                        ; implicit-def: $sgpr23
	s_branch .LBB88_80
.LBB88_78:                              ;   in Loop: Header=BB88_80 Depth=2
	s_wait_alu 0xfffe
	s_or_b32 exec_lo, exec_lo, s24
	s_wait_loadcnt_dscnt 0x0
	s_barrier_signal -1
	s_barrier_wait -1
	global_inv scope:SCOPE_SE
	ds_load_b64 v[14:15], v7 offset:3072
	s_mov_b32 s24, -1
	s_mov_b32 s25, -1
	s_wait_loadcnt_dscnt 0x0
	s_barrier_signal -1
	s_barrier_wait -1
	global_inv scope:SCOPE_SE
	v_cmp_ne_u32_e32 vcc_lo, 0, v14
	s_cbranch_vccz .LBB88_83
.LBB88_79:                              ;   in Loop: Header=BB88_80 Depth=2
	s_wait_alu 0xfffe
	s_and_b32 s24, exec_lo, s24
	s_wait_alu 0xfffe
	s_or_b32 s18, s24, s18
	s_and_not1_b32 s23, s23, exec_lo
	s_and_b32 s24, s25, exec_lo
	s_wait_alu 0xfffe
	s_or_b32 s23, s23, s24
	s_and_not1_b32 exec_lo, exec_lo, s18
	s_cbranch_execz .LBB88_84
.LBB88_80:                              ;   Parent Loop BB88_11 Depth=1
                                        ; =>  This Inner Loop Header: Depth=2
	s_mov_b32 s24, exec_lo
	s_delay_alu instid0(VALU_DEP_1)
	v_cmpx_gt_u32_e64 s19, v2
	s_cbranch_execz .LBB88_78
; %bb.81:                               ;   in Loop: Header=BB88_80 Depth=2
	ds_load_b32 v14, v1
	s_wait_dscnt 0x0
	v_xor_b32_e32 v3, 0x80000000, v14
	s_delay_alu instid0(VALU_DEP_1) | instskip(NEXT) | instid1(VALU_DEP_1)
	v_and_b32_e32 v3, v3, v30
	v_cmp_eq_u32_e32 vcc_lo, v3, v22
	s_and_b32 exec_lo, exec_lo, vcc_lo
	s_cbranch_execz .LBB88_78
; %bb.82:                               ;   in Loop: Header=BB88_80 Depth=2
	ds_store_b64 v7, v[13:14] offset:3072
	s_branch .LBB88_78
.LBB88_83:                              ;   in Loop: Header=BB88_80 Depth=2
	v_add_nc_u32_e32 v2, s31, v2
	v_add_nc_u32_e32 v1, s49, v1
	s_mov_b32 s25, 0
	s_delay_alu instid0(VALU_DEP_2)
	v_cmp_le_u32_e32 vcc_lo, s22, v2
	s_or_not1_b32 s24, vcc_lo, exec_lo
	s_branch .LBB88_79
.LBB88_84:                              ;   in Loop: Header=BB88_11 Depth=1
	s_or_b32 exec_lo, exec_lo, s18
	s_wait_alu 0xfffe
	s_and_b32 s18, s23, exec_lo
.LBB88_85:                              ;   in Loop: Header=BB88_11 Depth=1
	s_or_b32 exec_lo, exec_lo, s21
.LBB88_86:                              ;   in Loop: Header=BB88_11 Depth=1
	s_wait_alu 0xfffe
	s_and_b32 vcc_lo, exec_lo, s20
	s_wait_alu 0xfffe
	s_cbranch_vccz .LBB88_97
; %bb.87:                               ;   in Loop: Header=BB88_11 Depth=1
                                        ; implicit-def: $vgpr15
	s_and_saveexec_b32 s13, s6
	s_cbranch_execz .LBB88_96
; %bb.88:                               ;   in Loop: Header=BB88_11 Depth=1
	v_dual_mov_b32 v6, v5 :: v_dual_mov_b32 v1, v0
	s_mov_b32 s16, 0
                                        ; implicit-def: $sgpr19
	s_branch .LBB88_91
.LBB88_89:                              ;   in Loop: Header=BB88_91 Depth=2
	s_wait_alu 0xfffe
	s_or_b32 exec_lo, exec_lo, s20
	s_wait_loadcnt_dscnt 0x0
	s_barrier_signal -1
	s_barrier_wait -1
	global_inv scope:SCOPE_SE
	ds_load_b64 v[14:15], v7 offset:3072
	s_mov_b32 s20, -1
	s_mov_b32 s21, -1
	s_wait_loadcnt_dscnt 0x0
	s_barrier_signal -1
	s_barrier_wait -1
	global_inv scope:SCOPE_SE
	v_cmp_ne_u32_e32 vcc_lo, 0, v14
	s_cbranch_vccz .LBB88_94
.LBB88_90:                              ;   in Loop: Header=BB88_91 Depth=2
	s_wait_alu 0xfffe
	s_and_b32 s20, exec_lo, s20
	s_wait_alu 0xfffe
	s_or_b32 s16, s20, s16
	s_and_not1_b32 s19, s19, exec_lo
	s_and_b32 s20, s21, exec_lo
	s_wait_alu 0xfffe
	s_or_b32 s19, s19, s20
	s_and_not1_b32 exec_lo, exec_lo, s16
	s_cbranch_execz .LBB88_95
.LBB88_91:                              ;   Parent Loop BB88_11 Depth=1
                                        ; =>  This Inner Loop Header: Depth=2
	s_mov_b32 s20, exec_lo
	s_delay_alu instid0(VALU_DEP_1)
	v_cmpx_gt_u32_e64 s28, v1
	s_cbranch_execz .LBB88_89
; %bb.92:                               ;   in Loop: Header=BB88_91 Depth=2
	v_lshlrev_b64_e32 v[2:3], 2, v[6:7]
	s_delay_alu instid0(VALU_DEP_1) | instskip(SKIP_1) | instid1(VALU_DEP_2)
	v_add_co_u32 v2, vcc_lo, s36, v2
	s_wait_alu 0xfffd
	v_add_co_ci_u32_e64 v3, null, s37, v3, vcc_lo
	global_load_b32 v14, v[2:3], off
	s_wait_loadcnt 0x0
	v_xor_b32_e32 v2, 0x80000000, v14
	s_delay_alu instid0(VALU_DEP_1) | instskip(NEXT) | instid1(VALU_DEP_1)
	v_and_b32_e32 v2, v2, v30
	v_cmp_eq_u32_e32 vcc_lo, v2, v22
	s_and_b32 exec_lo, exec_lo, vcc_lo
	s_cbranch_execz .LBB88_89
; %bb.93:                               ;   in Loop: Header=BB88_91 Depth=2
	ds_store_b64 v7, v[13:14] offset:3072
	s_branch .LBB88_89
.LBB88_94:                              ;   in Loop: Header=BB88_91 Depth=2
	v_add_nc_u32_e32 v1, s31, v1
	v_add_nc_u32_e32 v6, s51, v6
	s_mov_b32 s21, 0
	s_delay_alu instid0(VALU_DEP_2)
	v_cmp_le_u32_e32 vcc_lo, s59, v1
	s_or_not1_b32 s20, vcc_lo, exec_lo
	s_branch .LBB88_90
.LBB88_95:                              ;   in Loop: Header=BB88_11 Depth=1
	s_or_b32 exec_lo, exec_lo, s16
	s_delay_alu instid0(SALU_CYCLE_1)
	s_and_not1_b32 s16, s18, exec_lo
	s_wait_alu 0xfffe
	s_and_b32 s18, s19, exec_lo
	s_wait_alu 0xfffe
	s_or_b32 s18, s16, s18
.LBB88_96:                              ;   in Loop: Header=BB88_11 Depth=1
	s_wait_alu 0xfffe
	s_or_b32 exec_lo, exec_lo, s13
	s_mov_b32 s13, 0
	s_mov_b32 s16, -1
.LBB88_97:                              ;   in Loop: Header=BB88_11 Depth=1
	s_or_not1_b32 s19, s18, exec_lo
.LBB88_98:                              ;   in Loop: Header=BB88_11 Depth=1
	s_wait_alu 0xfffe
	s_or_b32 exec_lo, exec_lo, s9
	v_readfirstlane_b32 s18, v0
	s_and_not1_b32 s9, s67, exec_lo
	s_and_b32 s16, s16, exec_lo
	s_and_not1_b32 s20, s65, exec_lo
	s_and_b32 s13, s13, exec_lo
	s_and_not1_b32 s64, s64, exec_lo
	s_wait_alu 0xfffe
	s_or_b32 s67, s9, s16
	s_or_b32 s65, s20, s13
                                        ; implicit-def: $vgpr2
	s_and_saveexec_b32 s9, s19
	s_cbranch_execz .LBB88_10
; %bb.99:                               ;   in Loop: Header=BB88_11 Depth=1
	v_dual_mov_b32 v2, 1 :: v_dual_mov_b32 v1, 1
	s_xor_b32 s12, s12, -1
	s_mov_b32 s18, 0
	s_wait_alu 0xfffe
	s_and_saveexec_b32 s11, s12
	s_cbranch_execz .LBB88_108
; %bb.100:                              ;   in Loop: Header=BB88_11 Depth=1
	s_mov_b32 s12, exec_lo
	v_cmpx_ge_u32_e64 s10, v31
	s_wait_alu 0xfffe
	s_xor_b32 s12, exec_lo, s12
	s_cbranch_execz .LBB88_105
; %bb.101:                              ;   in Loop: Header=BB88_11 Depth=1
	ds_load_b32 v1, v7 offset:4104
	v_and_b32_e32 v22, s15, v22
	v_or_b32_e32 v30, s8, v30
	s_wait_dscnt 0x0
	v_cmp_ne_u32_e32 vcc_lo, 0, v1
	s_cbranch_vccnz .LBB88_105
; %bb.102:                              ;   in Loop: Header=BB88_11 Depth=1
	s_and_saveexec_b32 s13, s2
; %bb.103:                              ;   in Loop: Header=BB88_11 Depth=1
	v_mov_b32_e32 v1, s10
	ds_store_b32 v7, v1 offset:4108
; %bb.104:                              ;   in Loop: Header=BB88_11 Depth=1
	s_wait_alu 0xfffe
	s_or_b32 exec_lo, exec_lo, s13
	s_wait_loadcnt_dscnt 0x0
	s_barrier_signal -1
	s_barrier_wait -1
	global_inv scope:SCOPE_SE
.LBB88_105:                             ;   in Loop: Header=BB88_11 Depth=1
	s_wait_alu 0xfffe
	s_or_saveexec_b32 s12, s12
	v_mov_b32_e32 v1, 8
	s_mov_b32 s13, 0
	s_wait_alu 0xfffe
	s_xor_b32 exec_lo, exec_lo, s12
; %bb.106:                              ;   in Loop: Header=BB88_11 Depth=1
	v_subrev_nc_u32_e32 v31, s10, v31
	v_mov_b32_e32 v1, 0
	s_mov_b32 s13, exec_lo
; %bb.107:                              ;   in Loop: Header=BB88_11 Depth=1
	s_or_b32 exec_lo, exec_lo, s12
	s_delay_alu instid0(VALU_DEP_2)
	v_mov_b32_e32 v2, v31
	s_wait_alu 0xfffe
	s_and_b32 s18, s13, exec_lo
.LBB88_108:                             ;   in Loop: Header=BB88_11 Depth=1
	s_wait_alu 0xfffe
	s_or_b32 exec_lo, exec_lo, s11
	s_mov_b32 s10, -1
	s_mov_b32 s16, -1
                                        ; implicit-def: $sgpr12
                                        ; implicit-def: $sgpr13
	s_and_saveexec_b32 s11, s18
	s_wait_alu 0xfffe
	s_xor_b32 s11, exec_lo, s11
	s_cbranch_execz .LBB88_228
; %bb.109:                              ;   in Loop: Header=BB88_11 Depth=1
	v_cmp_eq_u32_e32 vcc_lo, 1, v2
	s_cmp_eq_u32 s17, 1
	s_mov_b32 s19, -1
	s_cselect_b32 s12, -1, 0
                                        ; implicit-def: $sgpr13
	s_wait_alu 0xfffe
	s_and_b32 s18, s12, vcc_lo
                                        ; implicit-def: $sgpr12
	s_wait_alu 0xfffe
	s_and_saveexec_b32 s16, s18
	s_cbranch_execz .LBB88_138
; %bb.110:                              ;   in Loop: Header=BB88_11 Depth=1
	ds_load_b32 v3, v7 offset:4104
	s_wait_loadcnt_dscnt 0x0
	s_barrier_signal -1
	s_barrier_wait -1
	global_inv scope:SCOPE_SE
	v_readfirstlane_b32 s20, v3
	s_and_saveexec_b32 s12, s1
; %bb.111:                              ;   in Loop: Header=BB88_11 Depth=1
	ds_store_b32 v18, v7
; %bb.112:                              ;   in Loop: Header=BB88_11 Depth=1
	s_wait_alu 0xfffe
	s_or_b32 exec_lo, exec_lo, s12
	s_lshl_b32 s12, 1, s69
	v_or_b32_e32 v30, s8, v30
	s_wait_alu 0xfffe
	v_and_or_b32 v22, v22, s15, s12
	s_mov_b32 s12, -1
	s_mov_b32 s13, 0
	s_cmp_eq_u32 s20, 0
	s_mov_b32 s19, 0
	s_mov_b32 s21, -1
	s_wait_loadcnt_dscnt 0x0
	s_barrier_signal -1
	s_barrier_wait -1
	global_inv scope:SCOPE_SE
                                        ; implicit-def: $vgpr15
	s_cbranch_scc1 .LBB88_126
; %bb.113:                              ;   in Loop: Header=BB88_11 Depth=1
	s_add_co_i32 s40, s20, s50
                                        ; implicit-def: $vgpr15
	s_wait_alu 0xfffe
	s_mul_u64 s[22:23], s[40:41], s[44:45]
	s_mov_b32 s22, exec_lo
	s_wait_alu 0xfffe
	s_mul_i32 s19, s23, s31
	s_wait_alu 0xfffe
	s_sub_co_i32 s19, s40, s19
	s_wait_alu 0xfffe
	s_sub_co_i32 s21, s19, s31
	s_cmp_ge_u32 s19, s31
	s_wait_alu 0xfffe
	s_cselect_b32 s19, s21, s19
	s_wait_alu 0xfffe
	s_sub_co_i32 s21, s19, s31
	s_cmp_ge_u32 s19, s31
	s_wait_alu 0xfffe
	s_cselect_b32 s19, s21, s19
	s_mov_b32 s21, 0
	s_wait_alu 0xfffe
	s_sub_co_i32 s23, s40, s19
	s_mov_b32 s19, 0
	s_wait_alu 0xfffe
	v_cmpx_gt_u32_e64 s23, v0
	s_cbranch_execz .LBB88_125
; %bb.114:                              ;   in Loop: Header=BB88_11 Depth=1
	v_dual_mov_b32 v3, v17 :: v_dual_mov_b32 v4, v0
                                        ; implicit-def: $sgpr24
	s_branch .LBB88_117
.LBB88_115:                             ;   in Loop: Header=BB88_117 Depth=2
	s_wait_alu 0xfffe
	s_or_b32 exec_lo, exec_lo, s25
	s_wait_loadcnt_dscnt 0x0
	s_barrier_signal -1
	s_barrier_wait -1
	global_inv scope:SCOPE_SE
	ds_load_b64 v[14:15], v7 offset:3072
	s_mov_b32 s25, -1
	s_mov_b32 s26, -1
	s_wait_loadcnt_dscnt 0x0
	s_barrier_signal -1
	s_barrier_wait -1
	global_inv scope:SCOPE_SE
	v_cmp_ne_u32_e32 vcc_lo, 0, v14
	s_cbranch_vccz .LBB88_120
.LBB88_116:                             ;   in Loop: Header=BB88_117 Depth=2
	s_wait_alu 0xfffe
	s_and_b32 s25, exec_lo, s25
	s_wait_alu 0xfffe
	s_or_b32 s19, s25, s19
	s_and_not1_b32 s24, s24, exec_lo
	s_and_b32 s25, s26, exec_lo
	s_wait_alu 0xfffe
	s_or_b32 s24, s24, s25
	s_and_not1_b32 exec_lo, exec_lo, s19
	s_cbranch_execz .LBB88_124
.LBB88_117:                             ;   Parent Loop BB88_11 Depth=1
                                        ; =>  This Inner Loop Header: Depth=2
	s_mov_b32 s25, exec_lo
	s_delay_alu instid0(VALU_DEP_1)
	v_cmpx_gt_u32_e64 s20, v4
	s_cbranch_execz .LBB88_115
; %bb.118:                              ;   in Loop: Header=BB88_117 Depth=2
	ds_load_b32 v14, v3
	s_wait_dscnt 0x0
	v_xor_b32_e32 v6, 0x80000000, v14
	s_delay_alu instid0(VALU_DEP_1) | instskip(NEXT) | instid1(VALU_DEP_1)
	v_and_b32_e32 v6, v6, v30
	v_cmp_eq_u32_e32 vcc_lo, v6, v22
	s_and_b32 exec_lo, exec_lo, vcc_lo
	s_cbranch_execz .LBB88_115
; %bb.119:                              ;   in Loop: Header=BB88_117 Depth=2
	ds_store_b64 v7, v[13:14] offset:3072
	s_branch .LBB88_115
.LBB88_120:                             ;   in Loop: Header=BB88_117 Depth=2
	v_add_nc_u32_e32 v4, s31, v4
	v_add_nc_u32_e32 v3, s49, v3
	s_mov_b32 s26, 0
	s_delay_alu instid0(VALU_DEP_2)
	v_cmp_le_u32_e32 vcc_lo, s23, v4
	s_or_not1_b32 s25, vcc_lo, exec_lo
	s_branch .LBB88_116
.LBB88_121:                             ;   in Loop: Header=BB88_11 Depth=1
	s_wait_alu 0xfffe
	s_or_b32 exec_lo, exec_lo, s10
	s_wait_loadcnt_dscnt 0x0
	s_barrier_signal -1
	s_barrier_wait -1
	global_inv scope:SCOPE_SE
	s_and_saveexec_b32 s7, s2
	s_cbranch_execz .LBB88_123
; %bb.122:                              ;   in Loop: Header=BB88_11 Depth=1
	ds_load_b32 v1, v7 offset:4112
	s_wait_dscnt 0x0
	ds_store_b32 v7, v1 offset:4104
.LBB88_123:                             ;   in Loop: Header=BB88_11 Depth=1
	s_wait_alu 0xfffe
	s_or_b32 exec_lo, exec_lo, s7
	s_wait_loadcnt_dscnt 0x0
	s_barrier_signal -1
	s_mov_b32 s7, -1
	s_barrier_wait -1
	s_and_b32 vcc_lo, exec_lo, s9
	s_wait_alu 0xfffe
	s_cbranch_vccnz .LBB88_27
	s_branch .LBB88_36
.LBB88_124:                             ;   in Loop: Header=BB88_11 Depth=1
	s_or_b32 exec_lo, exec_lo, s19
	s_wait_alu 0xfffe
	s_and_b32 s19, s24, exec_lo
.LBB88_125:                             ;   in Loop: Header=BB88_11 Depth=1
	s_or_b32 exec_lo, exec_lo, s22
.LBB88_126:                             ;   in Loop: Header=BB88_11 Depth=1
	s_wait_alu 0xfffe
	s_and_b32 vcc_lo, exec_lo, s21
	s_wait_alu 0xfffe
	s_cbranch_vccz .LBB88_137
; %bb.127:                              ;   in Loop: Header=BB88_11 Depth=1
                                        ; implicit-def: $vgpr15
	s_and_saveexec_b32 s12, s6
	s_cbranch_execz .LBB88_136
; %bb.128:                              ;   in Loop: Header=BB88_11 Depth=1
	v_dual_mov_b32 v6, v5 :: v_dual_mov_b32 v3, v0
	s_mov_b32 s13, 0
                                        ; implicit-def: $sgpr20
	s_branch .LBB88_131
.LBB88_129:                             ;   in Loop: Header=BB88_131 Depth=2
	s_wait_alu 0xfffe
	s_or_b32 exec_lo, exec_lo, s21
	s_wait_loadcnt_dscnt 0x0
	s_barrier_signal -1
	s_barrier_wait -1
	global_inv scope:SCOPE_SE
	ds_load_b64 v[14:15], v7 offset:3072
	s_mov_b32 s21, -1
	s_mov_b32 s22, -1
	s_wait_loadcnt_dscnt 0x0
	s_barrier_signal -1
	s_barrier_wait -1
	global_inv scope:SCOPE_SE
	v_cmp_eq_u32_e32 vcc_lo, 0, v14
	s_cbranch_vccnz .LBB88_134
.LBB88_130:                             ;   in Loop: Header=BB88_131 Depth=2
	s_wait_alu 0xfffe
	s_and_b32 s21, exec_lo, s21
	s_wait_alu 0xfffe
	s_or_b32 s13, s21, s13
	s_and_not1_b32 s20, s20, exec_lo
	s_and_b32 s21, s22, exec_lo
	s_wait_alu 0xfffe
	s_or_b32 s20, s20, s21
	s_and_not1_b32 exec_lo, exec_lo, s13
	s_cbranch_execz .LBB88_135
.LBB88_131:                             ;   Parent Loop BB88_11 Depth=1
                                        ; =>  This Inner Loop Header: Depth=2
	s_mov_b32 s21, exec_lo
	s_delay_alu instid0(VALU_DEP_1)
	v_cmpx_gt_u32_e64 s28, v3
	s_cbranch_execz .LBB88_129
; %bb.132:                              ;   in Loop: Header=BB88_131 Depth=2
	v_lshlrev_b64_e32 v[14:15], 2, v[6:7]
	s_delay_alu instid0(VALU_DEP_1) | instskip(SKIP_1) | instid1(VALU_DEP_2)
	v_add_co_u32 v14, vcc_lo, s36, v14
	s_wait_alu 0xfffd
	v_add_co_ci_u32_e64 v15, null, s37, v15, vcc_lo
	global_load_b32 v14, v[14:15], off
	s_wait_loadcnt 0x0
	v_xor_b32_e32 v4, 0x80000000, v14
	s_delay_alu instid0(VALU_DEP_1) | instskip(NEXT) | instid1(VALU_DEP_1)
	v_and_b32_e32 v4, v4, v30
	v_cmp_eq_u32_e32 vcc_lo, v4, v22
	s_and_b32 exec_lo, exec_lo, vcc_lo
	s_cbranch_execz .LBB88_129
; %bb.133:                              ;   in Loop: Header=BB88_131 Depth=2
	ds_store_b64 v7, v[13:14] offset:3072
	s_branch .LBB88_129
.LBB88_134:                             ;   in Loop: Header=BB88_131 Depth=2
	v_add_nc_u32_e32 v3, s31, v3
	v_add_nc_u32_e32 v6, s51, v6
	s_mov_b32 s22, 0
	s_delay_alu instid0(VALU_DEP_2)
	v_cmp_le_u32_e32 vcc_lo, s59, v3
	s_or_not1_b32 s21, vcc_lo, exec_lo
	s_branch .LBB88_130
.LBB88_135:                             ;   in Loop: Header=BB88_11 Depth=1
	s_or_b32 exec_lo, exec_lo, s13
	s_delay_alu instid0(SALU_CYCLE_1)
	s_and_not1_b32 s13, s19, exec_lo
	s_wait_alu 0xfffe
	s_and_b32 s19, s20, exec_lo
	s_wait_alu 0xfffe
	s_or_b32 s19, s13, s19
.LBB88_136:                             ;   in Loop: Header=BB88_11 Depth=1
	s_wait_alu 0xfffe
	s_or_b32 exec_lo, exec_lo, s12
	s_mov_b32 s12, 0
	s_mov_b32 s13, -1
.LBB88_137:                             ;   in Loop: Header=BB88_11 Depth=1
	s_or_not1_b32 s19, s19, exec_lo
.LBB88_138:                             ;   in Loop: Header=BB88_11 Depth=1
	s_wait_alu 0xfffe
	s_or_b32 exec_lo, exec_lo, s16
	s_mov_b32 s20, 0
	s_and_saveexec_b32 s16, s19
	s_cbranch_execz .LBB88_227
; %bb.139:                              ;   in Loop: Header=BB88_11 Depth=1
	v_mov_b32_e32 v3, 1
	v_mov_b32_e32 v1, 1
	s_xor_b32 s19, s18, -1
	s_mov_b32 s21, 0
	s_wait_alu 0xfffe
	s_and_saveexec_b32 s18, s19
	s_cbranch_execz .LBB88_148
; %bb.140:                              ;   in Loop: Header=BB88_11 Depth=1
	s_mov_b32 s19, exec_lo
	v_cmpx_ge_u32_e64 s17, v2
	s_wait_alu 0xfffe
	s_xor_b32 s19, exec_lo, s19
	s_cbranch_execz .LBB88_145
; %bb.141:                              ;   in Loop: Header=BB88_11 Depth=1
	ds_load_b32 v1, v7 offset:4104
	s_lshl_b32 s20, 1, s69
	v_or_b32_e32 v30, s8, v30
	s_wait_alu 0xfffe
	v_and_or_b32 v22, v22, s15, s20
	s_wait_dscnt 0x0
	v_cmp_ne_u32_e32 vcc_lo, 0, v1
	s_cbranch_vccnz .LBB88_145
; %bb.142:                              ;   in Loop: Header=BB88_11 Depth=1
	s_and_saveexec_b32 s20, s2
; %bb.143:                              ;   in Loop: Header=BB88_11 Depth=1
	v_mov_b32_e32 v1, s17
	ds_store_b32 v7, v1 offset:4108
; %bb.144:                              ;   in Loop: Header=BB88_11 Depth=1
	s_wait_alu 0xfffe
	s_or_b32 exec_lo, exec_lo, s20
	s_wait_loadcnt_dscnt 0x0
	s_barrier_signal -1
	s_barrier_wait -1
	global_inv scope:SCOPE_SE
.LBB88_145:                             ;   in Loop: Header=BB88_11 Depth=1
	s_wait_alu 0xfffe
	s_or_saveexec_b32 s19, s19
	v_mov_b32_e32 v1, 8
	s_mov_b32 s20, 0
	s_wait_alu 0xfffe
	s_xor_b32 exec_lo, exec_lo, s19
; %bb.146:                              ;   in Loop: Header=BB88_11 Depth=1
	v_subrev_nc_u32_e32 v2, s17, v2
	v_mov_b32_e32 v1, 0
	s_mov_b32 s20, exec_lo
; %bb.147:                              ;   in Loop: Header=BB88_11 Depth=1
	s_or_b32 exec_lo, exec_lo, s19
	s_delay_alu instid0(VALU_DEP_2)
	v_mov_b32_e32 v3, v2
	s_wait_alu 0xfffe
	s_and_b32 s21, s20, exec_lo
.LBB88_148:                             ;   in Loop: Header=BB88_11 Depth=1
	s_wait_alu 0xfffe
	s_or_b32 exec_lo, exec_lo, s18
	s_mov_b32 s20, -1
                                        ; implicit-def: $sgpr18
                                        ; implicit-def: $sgpr19
	s_and_saveexec_b32 s17, s21
	s_cbranch_execz .LBB88_226
; %bb.149:                              ;   in Loop: Header=BB88_11 Depth=1
	v_cmp_eq_u32_e32 vcc_lo, 1, v3
	s_cmp_eq_u32 s14, 1
	s_mov_b32 s22, -1
	s_cselect_b32 s18, -1, 0
                                        ; implicit-def: $sgpr19
	s_wait_alu 0xfffe
	s_and_b32 s21, s18, vcc_lo
                                        ; implicit-def: $sgpr18
	s_wait_alu 0xfffe
	s_and_saveexec_b32 s20, s21
	s_cbranch_execz .LBB88_175
; %bb.150:                              ;   in Loop: Header=BB88_11 Depth=1
	ds_load_b32 v2, v7 offset:4104
	s_wait_loadcnt_dscnt 0x0
	s_barrier_signal -1
	s_barrier_wait -1
	global_inv scope:SCOPE_SE
	v_readfirstlane_b32 s23, v2
	s_and_saveexec_b32 s18, s1
; %bb.151:                              ;   in Loop: Header=BB88_11 Depth=1
	ds_store_b32 v18, v7
; %bb.152:                              ;   in Loop: Header=BB88_11 Depth=1
	s_wait_alu 0xfffe
	s_or_b32 exec_lo, exec_lo, s18
	s_lshl_b32 s18, 2, s69
	v_or_b32_e32 v30, s8, v30
	s_wait_alu 0xfffe
	v_and_or_b32 v22, v22, s15, s18
	s_mov_b32 s18, -1
	s_mov_b32 s19, 0
	s_cmp_eq_u32 s23, 0
	s_mov_b32 s22, 0
	s_mov_b32 s24, -1
	s_wait_loadcnt_dscnt 0x0
	s_barrier_signal -1
	s_barrier_wait -1
	global_inv scope:SCOPE_SE
                                        ; implicit-def: $vgpr15
	s_cbranch_scc1 .LBB88_163
; %bb.153:                              ;   in Loop: Header=BB88_11 Depth=1
	s_add_co_i32 s40, s23, s50
                                        ; implicit-def: $vgpr15
	s_wait_alu 0xfffe
	s_mul_u64 s[24:25], s[40:41], s[44:45]
	s_wait_alu 0xfffe
	s_mul_i32 s22, s25, s31
	s_mov_b32 s25, exec_lo
	s_wait_alu 0xfffe
	s_sub_co_i32 s22, s40, s22
	s_wait_alu 0xfffe
	s_sub_co_i32 s24, s22, s31
	s_cmp_ge_u32 s22, s31
	s_wait_alu 0xfffe
	s_cselect_b32 s22, s24, s22
	s_wait_alu 0xfffe
	s_sub_co_i32 s24, s22, s31
	s_cmp_ge_u32 s22, s31
	s_wait_alu 0xfffe
	s_cselect_b32 s22, s24, s22
	s_mov_b32 s24, 0
	s_wait_alu 0xfffe
	s_sub_co_i32 s26, s40, s22
	s_mov_b32 s22, 0
	s_wait_alu 0xfffe
	v_cmpx_gt_u32_e64 s26, v0
	s_cbranch_execz .LBB88_162
; %bb.154:                              ;   in Loop: Header=BB88_11 Depth=1
	v_mov_b32_e32 v2, v17
	v_mov_b32_e32 v4, v0
                                        ; implicit-def: $sgpr40
	s_branch .LBB88_157
.LBB88_155:                             ;   in Loop: Header=BB88_157 Depth=2
	s_wait_alu 0xfffe
	s_or_b32 exec_lo, exec_lo, s70
	s_wait_loadcnt_dscnt 0x0
	s_barrier_signal -1
	s_barrier_wait -1
	global_inv scope:SCOPE_SE
	ds_load_b64 v[14:15], v7 offset:3072
	s_mov_b32 s70, -1
	s_mov_b32 s71, -1
	s_wait_loadcnt_dscnt 0x0
	s_barrier_signal -1
	s_barrier_wait -1
	global_inv scope:SCOPE_SE
	v_cmp_ne_u32_e32 vcc_lo, 0, v14
	s_cbranch_vccz .LBB88_160
.LBB88_156:                             ;   in Loop: Header=BB88_157 Depth=2
	s_wait_alu 0xfffe
	s_and_b32 s70, exec_lo, s70
	s_wait_alu 0xfffe
	s_or_b32 s22, s70, s22
	s_and_not1_b32 s40, s40, exec_lo
	s_and_b32 s70, s71, exec_lo
	s_wait_alu 0xfffe
	s_or_b32 s40, s40, s70
	s_and_not1_b32 exec_lo, exec_lo, s22
	s_cbranch_execz .LBB88_161
.LBB88_157:                             ;   Parent Loop BB88_11 Depth=1
                                        ; =>  This Inner Loop Header: Depth=2
	s_mov_b32 s70, exec_lo
	s_delay_alu instid0(VALU_DEP_1)
	v_cmpx_gt_u32_e64 s23, v4
	s_cbranch_execz .LBB88_155
; %bb.158:                              ;   in Loop: Header=BB88_157 Depth=2
	ds_load_b32 v14, v2
	s_wait_dscnt 0x0
	v_xor_b32_e32 v6, 0x80000000, v14
	s_delay_alu instid0(VALU_DEP_1) | instskip(NEXT) | instid1(VALU_DEP_1)
	v_and_b32_e32 v6, v6, v30
	v_cmp_eq_u32_e32 vcc_lo, v6, v22
	s_and_b32 exec_lo, exec_lo, vcc_lo
	s_cbranch_execz .LBB88_155
; %bb.159:                              ;   in Loop: Header=BB88_157 Depth=2
	ds_store_b64 v7, v[13:14] offset:3072
	s_branch .LBB88_155
.LBB88_160:                             ;   in Loop: Header=BB88_157 Depth=2
	v_add_nc_u32_e32 v4, s31, v4
	v_add_nc_u32_e32 v2, s49, v2
	s_mov_b32 s71, 0
	s_delay_alu instid0(VALU_DEP_2)
	v_cmp_le_u32_e32 vcc_lo, s26, v4
	s_or_not1_b32 s70, vcc_lo, exec_lo
	s_branch .LBB88_156
.LBB88_161:                             ;   in Loop: Header=BB88_11 Depth=1
	s_or_b32 exec_lo, exec_lo, s22
	s_wait_alu 0xfffe
	s_and_b32 s22, s40, exec_lo
.LBB88_162:                             ;   in Loop: Header=BB88_11 Depth=1
	s_or_b32 exec_lo, exec_lo, s25
.LBB88_163:                             ;   in Loop: Header=BB88_11 Depth=1
	s_wait_alu 0xfffe
	s_and_b32 vcc_lo, exec_lo, s24
	s_wait_alu 0xfffe
	s_cbranch_vccz .LBB88_174
; %bb.164:                              ;   in Loop: Header=BB88_11 Depth=1
                                        ; implicit-def: $vgpr15
	s_and_saveexec_b32 s18, s6
	s_cbranch_execz .LBB88_173
; %bb.165:                              ;   in Loop: Header=BB88_11 Depth=1
	v_mov_b32_e32 v6, v5
	v_mov_b32_e32 v2, v0
	s_mov_b32 s19, 0
                                        ; implicit-def: $sgpr23
	s_branch .LBB88_168
.LBB88_166:                             ;   in Loop: Header=BB88_168 Depth=2
	s_wait_alu 0xfffe
	s_or_b32 exec_lo, exec_lo, s24
	s_wait_loadcnt_dscnt 0x0
	s_barrier_signal -1
	s_barrier_wait -1
	global_inv scope:SCOPE_SE
	ds_load_b64 v[14:15], v7 offset:3072
	s_mov_b32 s24, -1
	s_mov_b32 s25, -1
	s_wait_loadcnt_dscnt 0x0
	s_barrier_signal -1
	s_barrier_wait -1
	global_inv scope:SCOPE_SE
	v_cmp_eq_u32_e32 vcc_lo, 0, v14
	s_cbranch_vccnz .LBB88_171
.LBB88_167:                             ;   in Loop: Header=BB88_168 Depth=2
	s_wait_alu 0xfffe
	s_and_b32 s24, exec_lo, s24
	s_wait_alu 0xfffe
	s_or_b32 s19, s24, s19
	s_and_not1_b32 s23, s23, exec_lo
	s_and_b32 s24, s25, exec_lo
	s_wait_alu 0xfffe
	s_or_b32 s23, s23, s24
	s_and_not1_b32 exec_lo, exec_lo, s19
	s_cbranch_execz .LBB88_172
.LBB88_168:                             ;   Parent Loop BB88_11 Depth=1
                                        ; =>  This Inner Loop Header: Depth=2
	s_mov_b32 s24, exec_lo
	s_delay_alu instid0(VALU_DEP_1)
	v_cmpx_gt_u32_e64 s28, v2
	s_cbranch_execz .LBB88_166
; %bb.169:                              ;   in Loop: Header=BB88_168 Depth=2
	v_lshlrev_b64_e32 v[14:15], 2, v[6:7]
	s_delay_alu instid0(VALU_DEP_1) | instskip(SKIP_1) | instid1(VALU_DEP_2)
	v_add_co_u32 v14, vcc_lo, s36, v14
	s_wait_alu 0xfffd
	v_add_co_ci_u32_e64 v15, null, s37, v15, vcc_lo
	global_load_b32 v14, v[14:15], off
	s_wait_loadcnt 0x0
	v_xor_b32_e32 v4, 0x80000000, v14
	s_delay_alu instid0(VALU_DEP_1) | instskip(NEXT) | instid1(VALU_DEP_1)
	v_and_b32_e32 v4, v4, v30
	v_cmp_eq_u32_e32 vcc_lo, v4, v22
	s_and_b32 exec_lo, exec_lo, vcc_lo
	s_cbranch_execz .LBB88_166
; %bb.170:                              ;   in Loop: Header=BB88_168 Depth=2
	ds_store_b64 v7, v[13:14] offset:3072
	s_branch .LBB88_166
.LBB88_171:                             ;   in Loop: Header=BB88_168 Depth=2
	v_add_nc_u32_e32 v2, s31, v2
	v_add_nc_u32_e32 v6, s51, v6
	s_mov_b32 s25, 0
	s_delay_alu instid0(VALU_DEP_2)
	v_cmp_le_u32_e32 vcc_lo, s59, v2
	s_or_not1_b32 s24, vcc_lo, exec_lo
	s_branch .LBB88_167
.LBB88_172:                             ;   in Loop: Header=BB88_11 Depth=1
	s_or_b32 exec_lo, exec_lo, s19
	s_delay_alu instid0(SALU_CYCLE_1)
	s_and_not1_b32 s19, s22, exec_lo
	s_wait_alu 0xfffe
	s_and_b32 s22, s23, exec_lo
	s_wait_alu 0xfffe
	s_or_b32 s22, s19, s22
.LBB88_173:                             ;   in Loop: Header=BB88_11 Depth=1
	s_wait_alu 0xfffe
	s_or_b32 exec_lo, exec_lo, s18
	s_mov_b32 s18, 0
	s_mov_b32 s19, -1
.LBB88_174:                             ;   in Loop: Header=BB88_11 Depth=1
	s_or_not1_b32 s22, s22, exec_lo
.LBB88_175:                             ;   in Loop: Header=BB88_11 Depth=1
	s_wait_alu 0xfffe
	s_or_b32 exec_lo, exec_lo, s20
	s_mov_b32 s23, 0
	s_and_saveexec_b32 s20, s22
	s_cbranch_execz .LBB88_225
; %bb.176:                              ;   in Loop: Header=BB88_11 Depth=1
	v_dual_mov_b32 v2, 1 :: v_dual_mov_b32 v1, 1
	s_xor_b32 s22, s21, -1
	s_wait_alu 0xfffe
	s_and_saveexec_b32 s21, s22
	s_cbranch_execz .LBB88_185
; %bb.177:                              ;   in Loop: Header=BB88_11 Depth=1
	s_mov_b32 s22, exec_lo
	v_cmpx_ge_u32_e64 s14, v3
	s_wait_alu 0xfffe
	s_xor_b32 s22, exec_lo, s22
	s_cbranch_execz .LBB88_182
; %bb.178:                              ;   in Loop: Header=BB88_11 Depth=1
	ds_load_b32 v1, v7 offset:4104
	s_lshl_b32 s23, 2, s69
	v_or_b32_e32 v30, s8, v30
	s_wait_alu 0xfffe
	v_and_or_b32 v22, v22, s15, s23
	s_wait_dscnt 0x0
	v_cmp_ne_u32_e32 vcc_lo, 0, v1
	s_cbranch_vccnz .LBB88_182
; %bb.179:                              ;   in Loop: Header=BB88_11 Depth=1
	s_and_saveexec_b32 s15, s2
; %bb.180:                              ;   in Loop: Header=BB88_11 Depth=1
	v_mov_b32_e32 v1, s14
	ds_store_b32 v7, v1 offset:4108
; %bb.181:                              ;   in Loop: Header=BB88_11 Depth=1
	s_wait_alu 0xfffe
	s_or_b32 exec_lo, exec_lo, s15
	s_wait_loadcnt_dscnt 0x0
	s_barrier_signal -1
	s_barrier_wait -1
	global_inv scope:SCOPE_SE
.LBB88_182:                             ;   in Loop: Header=BB88_11 Depth=1
	s_wait_alu 0xfffe
	s_or_saveexec_b32 s15, s22
	v_mov_b32_e32 v1, 8
	s_mov_b32 s22, 0
	s_wait_alu 0xfffe
	s_xor_b32 exec_lo, exec_lo, s15
; %bb.183:                              ;   in Loop: Header=BB88_11 Depth=1
	v_subrev_nc_u32_e32 v3, s14, v3
	v_mov_b32_e32 v1, 0
	s_mov_b32 s22, exec_lo
; %bb.184:                              ;   in Loop: Header=BB88_11 Depth=1
	s_or_b32 exec_lo, exec_lo, s15
	s_delay_alu instid0(VALU_DEP_2)
	v_mov_b32_e32 v2, v3
	s_wait_alu 0xfffe
	s_and_b32 s23, s22, exec_lo
.LBB88_185:                             ;   in Loop: Header=BB88_11 Depth=1
	s_wait_alu 0xfffe
	s_or_b32 exec_lo, exec_lo, s21
	s_mov_b32 s15, -1
                                        ; implicit-def: $sgpr22
                                        ; implicit-def: $sgpr21
	s_and_saveexec_b32 s14, s23
	s_cbranch_execz .LBB88_224
; %bb.186:                              ;   in Loop: Header=BB88_11 Depth=1
	v_cmp_eq_u32_e32 vcc_lo, 1, v2
	s_cmp_eq_u32 s7, 1
	s_mov_b32 s24, -1
	s_cselect_b32 s15, -1, 0
                                        ; implicit-def: $sgpr22
                                        ; implicit-def: $sgpr21
	s_wait_alu 0xfffe
	s_and_b32 s15, s15, vcc_lo
	s_wait_alu 0xfffe
	s_and_saveexec_b32 s23, s15
	s_cbranch_execz .LBB88_212
; %bb.187:                              ;   in Loop: Header=BB88_11 Depth=1
	ds_load_b32 v3, v7 offset:4104
	s_wait_loadcnt_dscnt 0x0
	s_barrier_signal -1
	s_barrier_wait -1
	global_inv scope:SCOPE_SE
	v_readfirstlane_b32 s25, v3
	s_and_saveexec_b32 s21, s1
; %bb.188:                              ;   in Loop: Header=BB88_11 Depth=1
	ds_store_b32 v18, v7
; %bb.189:                              ;   in Loop: Header=BB88_11 Depth=1
	s_wait_alu 0xfffe
	s_or_b32 exec_lo, exec_lo, s21
	v_or_b32_e32 v22, s8, v22
	v_or_b32_e32 v30, s8, v30
	s_mov_b32 s21, -1
	s_mov_b32 s22, 0
	s_cmp_eq_u32 s25, 0
	s_mov_b32 s24, 0
	s_mov_b32 s26, -1
	s_wait_loadcnt_dscnt 0x0
	s_barrier_signal -1
	s_barrier_wait -1
	global_inv scope:SCOPE_SE
                                        ; implicit-def: $vgpr15
	s_cbranch_scc1 .LBB88_200
; %bb.190:                              ;   in Loop: Header=BB88_11 Depth=1
	s_add_co_i32 s40, s25, s50
                                        ; implicit-def: $vgpr15
	s_wait_alu 0xfffe
	s_mul_u64 s[70:71], s[40:41], s[44:45]
	s_wait_alu 0xfffe
	s_mul_i32 s24, s71, s31
	s_wait_alu 0xfffe
	s_sub_co_i32 s24, s40, s24
	s_wait_alu 0xfffe
	s_sub_co_i32 s26, s24, s31
	s_cmp_ge_u32 s24, s31
	s_wait_alu 0xfffe
	s_cselect_b32 s24, s26, s24
	s_wait_alu 0xfffe
	s_sub_co_i32 s26, s24, s31
	s_cmp_ge_u32 s24, s31
	s_wait_alu 0xfffe
	s_cselect_b32 s24, s26, s24
	s_mov_b32 s26, 0
	s_wait_alu 0xfffe
	s_sub_co_i32 s70, s40, s24
	s_mov_b32 s24, 0
	s_mov_b32 s40, exec_lo
	s_wait_alu 0xfffe
	v_cmpx_gt_u32_e64 s70, v0
	s_cbranch_execz .LBB88_199
; %bb.191:                              ;   in Loop: Header=BB88_11 Depth=1
	v_dual_mov_b32 v3, v17 :: v_dual_mov_b32 v4, v0
                                        ; implicit-def: $sgpr71
	s_branch .LBB88_194
.LBB88_192:                             ;   in Loop: Header=BB88_194 Depth=2
	s_wait_alu 0xfffe
	s_or_b32 exec_lo, exec_lo, s72
	s_wait_loadcnt_dscnt 0x0
	s_barrier_signal -1
	s_barrier_wait -1
	global_inv scope:SCOPE_SE
	ds_load_b64 v[14:15], v7 offset:3072
	s_mov_b32 s72, -1
	s_mov_b32 s73, -1
	s_wait_loadcnt_dscnt 0x0
	s_barrier_signal -1
	s_barrier_wait -1
	global_inv scope:SCOPE_SE
	v_cmp_ne_u32_e32 vcc_lo, 0, v14
	s_cbranch_vccz .LBB88_197
.LBB88_193:                             ;   in Loop: Header=BB88_194 Depth=2
	s_wait_alu 0xfffe
	s_and_b32 s72, exec_lo, s72
	s_wait_alu 0xfffe
	s_or_b32 s24, s72, s24
	s_and_not1_b32 s71, s71, exec_lo
	s_and_b32 s72, s73, exec_lo
	s_wait_alu 0xfffe
	s_or_b32 s71, s71, s72
	s_and_not1_b32 exec_lo, exec_lo, s24
	s_cbranch_execz .LBB88_198
.LBB88_194:                             ;   Parent Loop BB88_11 Depth=1
                                        ; =>  This Inner Loop Header: Depth=2
	s_mov_b32 s72, exec_lo
	s_delay_alu instid0(VALU_DEP_1)
	v_cmpx_gt_u32_e64 s25, v4
	s_cbranch_execz .LBB88_192
; %bb.195:                              ;   in Loop: Header=BB88_194 Depth=2
	ds_load_b32 v14, v3
	s_wait_dscnt 0x0
	v_xor_b32_e32 v6, 0x80000000, v14
	s_delay_alu instid0(VALU_DEP_1) | instskip(NEXT) | instid1(VALU_DEP_1)
	v_and_b32_e32 v6, v6, v30
	v_cmp_eq_u32_e32 vcc_lo, v6, v22
	s_and_b32 exec_lo, exec_lo, vcc_lo
	s_cbranch_execz .LBB88_192
; %bb.196:                              ;   in Loop: Header=BB88_194 Depth=2
	ds_store_b64 v7, v[13:14] offset:3072
	s_branch .LBB88_192
.LBB88_197:                             ;   in Loop: Header=BB88_194 Depth=2
	v_add_nc_u32_e32 v4, s31, v4
	v_add_nc_u32_e32 v3, s49, v3
	s_mov_b32 s73, 0
	s_delay_alu instid0(VALU_DEP_2)
	v_cmp_le_u32_e32 vcc_lo, s70, v4
	s_or_not1_b32 s72, vcc_lo, exec_lo
	s_branch .LBB88_193
.LBB88_198:                             ;   in Loop: Header=BB88_11 Depth=1
	s_or_b32 exec_lo, exec_lo, s24
	s_wait_alu 0xfffe
	s_and_b32 s24, s71, exec_lo
.LBB88_199:                             ;   in Loop: Header=BB88_11 Depth=1
	s_or_b32 exec_lo, exec_lo, s40
.LBB88_200:                             ;   in Loop: Header=BB88_11 Depth=1
	s_wait_alu 0xfffe
	s_and_b32 vcc_lo, exec_lo, s26
	s_wait_alu 0xfffe
	s_cbranch_vccz .LBB88_211
; %bb.201:                              ;   in Loop: Header=BB88_11 Depth=1
                                        ; implicit-def: $vgpr15
	s_and_saveexec_b32 s21, s6
	s_cbranch_execz .LBB88_210
; %bb.202:                              ;   in Loop: Header=BB88_11 Depth=1
	v_dual_mov_b32 v6, v5 :: v_dual_mov_b32 v3, v0
	s_mov_b32 s22, 0
                                        ; implicit-def: $sgpr25
	s_branch .LBB88_205
.LBB88_203:                             ;   in Loop: Header=BB88_205 Depth=2
	s_wait_alu 0xfffe
	s_or_b32 exec_lo, exec_lo, s26
	s_wait_loadcnt_dscnt 0x0
	s_barrier_signal -1
	s_barrier_wait -1
	global_inv scope:SCOPE_SE
	ds_load_b64 v[14:15], v7 offset:3072
	s_mov_b32 s26, -1
	s_mov_b32 s40, -1
	s_wait_loadcnt_dscnt 0x0
	s_barrier_signal -1
	s_barrier_wait -1
	global_inv scope:SCOPE_SE
	v_cmp_eq_u32_e32 vcc_lo, 0, v14
	s_cbranch_vccnz .LBB88_208
.LBB88_204:                             ;   in Loop: Header=BB88_205 Depth=2
	s_wait_alu 0xfffe
	s_and_b32 s26, exec_lo, s26
	s_wait_alu 0xfffe
	s_or_b32 s22, s26, s22
	s_and_not1_b32 s25, s25, exec_lo
	s_and_b32 s26, s40, exec_lo
	s_wait_alu 0xfffe
	s_or_b32 s25, s25, s26
	s_and_not1_b32 exec_lo, exec_lo, s22
	s_cbranch_execz .LBB88_209
.LBB88_205:                             ;   Parent Loop BB88_11 Depth=1
                                        ; =>  This Inner Loop Header: Depth=2
	s_mov_b32 s26, exec_lo
	s_delay_alu instid0(VALU_DEP_1)
	v_cmpx_gt_u32_e64 s28, v3
	s_cbranch_execz .LBB88_203
; %bb.206:                              ;   in Loop: Header=BB88_205 Depth=2
	v_lshlrev_b64_e32 v[14:15], 2, v[6:7]
	s_delay_alu instid0(VALU_DEP_1) | instskip(SKIP_1) | instid1(VALU_DEP_2)
	v_add_co_u32 v14, vcc_lo, s36, v14
	s_wait_alu 0xfffd
	v_add_co_ci_u32_e64 v15, null, s37, v15, vcc_lo
	global_load_b32 v14, v[14:15], off
	s_wait_loadcnt 0x0
	v_xor_b32_e32 v4, 0x80000000, v14
	s_delay_alu instid0(VALU_DEP_1) | instskip(NEXT) | instid1(VALU_DEP_1)
	v_and_b32_e32 v4, v4, v30
	v_cmp_eq_u32_e32 vcc_lo, v4, v22
	s_and_b32 exec_lo, exec_lo, vcc_lo
	s_cbranch_execz .LBB88_203
; %bb.207:                              ;   in Loop: Header=BB88_205 Depth=2
	ds_store_b64 v7, v[13:14] offset:3072
	s_branch .LBB88_203
.LBB88_208:                             ;   in Loop: Header=BB88_205 Depth=2
	v_add_nc_u32_e32 v3, s31, v3
	v_add_nc_u32_e32 v6, s51, v6
	s_mov_b32 s40, 0
	s_delay_alu instid0(VALU_DEP_2)
	v_cmp_le_u32_e32 vcc_lo, s59, v3
	s_or_not1_b32 s26, vcc_lo, exec_lo
	s_branch .LBB88_204
.LBB88_209:                             ;   in Loop: Header=BB88_11 Depth=1
	s_or_b32 exec_lo, exec_lo, s22
	s_delay_alu instid0(SALU_CYCLE_1)
	s_and_not1_b32 s22, s24, exec_lo
	s_wait_alu 0xfffe
	s_and_b32 s24, s25, exec_lo
	s_wait_alu 0xfffe
	s_or_b32 s24, s22, s24
.LBB88_210:                             ;   in Loop: Header=BB88_11 Depth=1
	s_wait_alu 0xfffe
	s_or_b32 exec_lo, exec_lo, s21
	s_mov_b32 s21, 0
	s_mov_b32 s22, -1
.LBB88_211:                             ;   in Loop: Header=BB88_11 Depth=1
	s_or_not1_b32 s24, s24, exec_lo
.LBB88_212:                             ;   in Loop: Header=BB88_11 Depth=1
	s_wait_alu 0xfffe
	s_or_b32 exec_lo, exec_lo, s23
	s_mov_b32 s25, 0
	s_and_saveexec_b32 s23, s24
	s_cbranch_execz .LBB88_223
; %bb.213:                              ;   in Loop: Header=BB88_11 Depth=1
	v_mov_b32_e32 v1, 1
	v_mov_b32_e32 v3, 1
	s_xor_b32 s24, s15, -1
	s_wait_alu 0xfffe
	s_and_saveexec_b32 s15, s24
	s_cbranch_execz .LBB88_222
; %bb.214:                              ;   in Loop: Header=BB88_11 Depth=1
	s_mov_b32 s24, exec_lo
	v_cmpx_ge_u32_e64 s7, v2
	s_wait_alu 0xfffe
	s_xor_b32 s24, exec_lo, s24
	s_cbranch_execz .LBB88_219
; %bb.215:                              ;   in Loop: Header=BB88_11 Depth=1
	ds_load_b32 v1, v7 offset:4104
	v_or_b32_e32 v22, s8, v22
	v_or_b32_e32 v30, s8, v30
	s_wait_dscnt 0x0
	v_cmp_ne_u32_e32 vcc_lo, 0, v1
	s_cbranch_vccnz .LBB88_219
; %bb.216:                              ;   in Loop: Header=BB88_11 Depth=1
	s_and_saveexec_b32 s8, s2
; %bb.217:                              ;   in Loop: Header=BB88_11 Depth=1
	v_mov_b32_e32 v1, s7
	ds_store_b32 v7, v1 offset:4108
; %bb.218:                              ;   in Loop: Header=BB88_11 Depth=1
	s_wait_alu 0xfffe
	s_or_b32 exec_lo, exec_lo, s8
	s_wait_loadcnt_dscnt 0x0
	s_barrier_signal -1
	s_barrier_wait -1
	global_inv scope:SCOPE_SE
.LBB88_219:                             ;   in Loop: Header=BB88_11 Depth=1
	s_wait_alu 0xfffe
	s_and_not1_saveexec_b32 s8, s24
; %bb.220:                              ;   in Loop: Header=BB88_11 Depth=1
	v_subrev_nc_u32_e32 v2, s7, v2
; %bb.221:                              ;   in Loop: Header=BB88_11 Depth=1
	s_wait_alu 0xfffe
	s_or_b32 exec_lo, exec_lo, s8
	v_mov_b32_e32 v1, 8
	s_delay_alu instid0(VALU_DEP_2)
	v_mov_b32_e32 v3, v2
.LBB88_222:                             ;   in Loop: Header=BB88_11 Depth=1
	s_wait_alu 0xfffe
	s_or_b32 exec_lo, exec_lo, s15
	s_delay_alu instid0(VALU_DEP_1)
	v_mov_b32_e32 v2, v3
	s_mov_b32 s25, exec_lo
.LBB88_223:                             ;   in Loop: Header=BB88_11 Depth=1
	s_wait_alu 0xfffe
	s_or_b32 exec_lo, exec_lo, s23
	s_delay_alu instid0(SALU_CYCLE_1)
	s_or_not1_b32 s15, s25, exec_lo
.LBB88_224:                             ;   in Loop: Header=BB88_11 Depth=1
	s_wait_alu 0xfffe
	s_or_b32 exec_lo, exec_lo, s14
	v_mov_b32_e32 v3, v2
	s_and_not1_b32 s7, s19, exec_lo
	s_and_b32 s8, s22, exec_lo
	s_and_not1_b32 s14, s18, exec_lo
	s_and_b32 s18, s21, exec_lo
	s_wait_alu 0xfffe
	s_or_b32 s19, s7, s8
	s_or_b32 s18, s14, s18
	s_and_b32 s23, s15, exec_lo
.LBB88_225:                             ;   in Loop: Header=BB88_11 Depth=1
	s_wait_alu 0xfffe
	s_or_b32 exec_lo, exec_lo, s20
	s_delay_alu instid0(SALU_CYCLE_1)
	s_or_not1_b32 s20, s23, exec_lo
.LBB88_226:                             ;   in Loop: Header=BB88_11 Depth=1
	s_wait_alu 0xfffe
	s_or_b32 exec_lo, exec_lo, s17
	v_mov_b32_e32 v2, v3
	s_and_not1_b32 s7, s13, exec_lo
	s_and_b32 s8, s19, exec_lo
	s_and_not1_b32 s12, s12, exec_lo
	s_and_b32 s14, s18, exec_lo
	s_wait_alu 0xfffe
	s_or_b32 s13, s7, s8
	s_or_b32 s12, s12, s14
	s_and_b32 s20, s20, exec_lo
.LBB88_227:                             ;   in Loop: Header=BB88_11 Depth=1
	s_wait_alu 0xfffe
	s_or_b32 exec_lo, exec_lo, s16
	s_delay_alu instid0(SALU_CYCLE_1)
	s_or_not1_b32 s16, s20, exec_lo
.LBB88_228:                             ;   in Loop: Header=BB88_11 Depth=1
	s_wait_alu 0xfffe
	s_or_b32 exec_lo, exec_lo, s11
	s_mov_b32 s8, 0
                                        ; implicit-def: $sgpr18
	s_and_saveexec_b32 s7, s16
	s_wait_alu 0xfffe
	s_xor_b32 s7, exec_lo, s7
	s_cbranch_execz .LBB88_9
; %bb.229:                              ;   in Loop: Header=BB88_11 Depth=1
	v_and_b32_e32 v1, 7, v1
	s_mov_b32 s10, -1
	s_mov_b32 s8, -1
	s_mov_b32 s11, exec_lo
                                        ; implicit-def: $sgpr18
	s_delay_alu instid0(VALU_DEP_1)
	v_cmpx_eq_u32_e32 0, v1
	s_cbranch_execz .LBB88_8
; %bb.230:                              ;   in Loop: Header=BB88_11 Depth=1
	s_add_co_i32 s18, s69, -2
	s_cmp_eq_u32 s69, 0
	v_xor_b32_e32 v29, 1, v29
	s_cselect_b32 s10, -1, 0
	s_xor_b32 s8, exec_lo, -1
	s_wait_alu 0xfffe
	s_or_not1_b32 s10, s10, exec_lo
	s_branch .LBB88_8
.LBB88_231:
	s_or_b32 exec_lo, exec_lo, s62
	s_wait_alu 0xfffe
	s_xor_b32 s4, s68, -1
	s_xor_b32 s1, s66, -1
	;; [unrolled: 1-line block ×3, first 2 shown]
	s_mov_b32 s2, 0
	s_and_saveexec_b32 s5, s1
	s_wait_alu 0xfffe
	s_xor_b32 s1, exec_lo, s5
	s_cbranch_execnz .LBB88_236
; %bb.232:
	s_and_not1_saveexec_b32 s0, s1
	s_cbranch_execnz .LBB88_249
.LBB88_233:
	s_or_b32 exec_lo, exec_lo, s0
	s_wait_alu 0xfffe
	s_and_saveexec_b32 s0, s2
.LBB88_234:
	; divergent unreachable
.LBB88_235:
	s_endpgm
.LBB88_236:
	s_and_saveexec_b32 s2, s4
	s_wait_alu 0xfffe
	s_xor_b32 s4, exec_lo, s2
	s_cbranch_execz .LBB88_247
; %bb.237:
	s_and_saveexec_b32 s2, s3
	s_wait_alu 0xfffe
	s_xor_b32 s2, exec_lo, s2
; %bb.238:
	v_xor_b32_e32 v15, 0x80000000, v22
; %bb.239:
	s_wait_alu 0xfffe
	s_or_b32 exec_lo, exec_lo, s2
	s_mul_i32 s2, s33, s27
	s_mov_b32 s3, 0
	v_mov_b32_e32 v6, 0
	s_wait_alu 0xfffe
	s_lshl_b64 s[6:7], s[2:3], 2
	s_wait_alu 0xfffe
	s_add_nc_u64 s[6:7], s[38:39], s[6:7]
	global_store_b32 v6, v15, s[6:7]
	s_and_saveexec_b32 s2, s0
	s_cbranch_execz .LBB88_246
; %bb.240:
                                        ; implicit-def: $sgpr0
                                        ; implicit-def: $sgpr6
                                        ; implicit-def: $sgpr5
	s_branch .LBB88_242
.LBB88_241:                             ;   in Loop: Header=BB88_242 Depth=1
	s_wait_alu 0xfffe
	s_or_b32 exec_lo, exec_lo, s7
	s_delay_alu instid0(SALU_CYCLE_1)
	s_and_b32 s7, exec_lo, s6
	s_wait_alu 0xfffe
	s_or_b32 s3, s7, s3
	s_and_not1_b32 s0, s0, exec_lo
	s_and_b32 s7, s5, exec_lo
	s_wait_alu 0xfffe
	s_or_b32 s0, s0, s7
	s_and_not1_b32 exec_lo, exec_lo, s3
	s_cbranch_execz .LBB88_244
.LBB88_242:                             ; =>This Inner Loop Header: Depth=1
	v_lshlrev_b64_e32 v[1:2], 2, v[5:6]
	s_or_b32 s5, s5, exec_lo
	s_wait_alu 0xfffe
	s_or_b32 s6, s6, exec_lo
	s_mov_b32 s7, exec_lo
	s_delay_alu instid0(VALU_DEP_1)
	v_add_co_u32 v1, vcc_lo, s36, v1
	s_wait_alu 0xfffd
	v_add_co_ci_u32_e64 v2, null, s37, v2, vcc_lo
	global_load_b32 v2, v[1:2], off
	v_mov_b32_e32 v1, v0
                                        ; implicit-def: $vgpr0
	s_wait_loadcnt 0x0
	v_cmpx_ne_u32_e64 v2, v15
	s_cbranch_execz .LBB88_241
; %bb.243:                              ;   in Loop: Header=BB88_242 Depth=1
	s_delay_alu instid0(VALU_DEP_2)
	v_add_nc_u32_e32 v0, s31, v1
	v_add_nc_u32_e32 v5, s51, v5
	s_wait_alu 0xfffe
	s_and_not1_b32 s6, s6, exec_lo
	s_and_not1_b32 s5, s5, exec_lo
	v_cmp_le_u32_e32 vcc_lo, s28, v0
	s_and_b32 s8, vcc_lo, exec_lo
	s_wait_alu 0xfffe
	s_or_b32 s6, s6, s8
	s_branch .LBB88_241
.LBB88_244:
	s_or_b32 exec_lo, exec_lo, s3
	s_and_saveexec_b32 s3, s0
	s_wait_alu 0xfffe
	s_xor_b32 s3, exec_lo, s3
	s_cbranch_execz .LBB88_246
; %bb.245:
	s_mul_i32 s6, s29, s27
	s_mov_b32 s7, 0
	v_mov_b32_e32 v2, 0
	s_wait_alu 0xfffe
	s_lshl_b64 s[6:7], s[6:7], 3
	s_wait_alu 0xfffe
	s_add_nc_u64 s[6:7], s[34:35], s[6:7]
	global_store_b64 v2, v[1:2], s[6:7]
.LBB88_246:
	s_wait_alu 0xfffe
	s_or_b32 exec_lo, exec_lo, s2
.LBB88_247:
	s_wait_alu 0xfffe
	s_or_saveexec_b32 s0, s4
	s_mov_b32 s2, 0
	s_xor_b32 exec_lo, exec_lo, s0
	s_cbranch_execnz .LBB88_250
.LBB88_248:
	s_or_b32 exec_lo, exec_lo, s0
	s_wait_alu 0xfffe
	s_and_b32 s2, s2, exec_lo
	s_and_not1_saveexec_b32 s0, s1
	s_cbranch_execz .LBB88_233
.LBB88_249:
	s_wait_alu 0xfffe
	s_or_b32 s2, s2, exec_lo
	s_trap 2
	s_or_b32 exec_lo, exec_lo, s0
	s_wait_alu 0xfffe
	s_and_saveexec_b32 s0, s2
	s_cbranch_execnz .LBB88_234
	s_branch .LBB88_235
.LBB88_250:
	s_mov_b32 s2, exec_lo
	s_trap 2
	s_branch .LBB88_248
	.section	.rodata,"a",@progbits
	.p2align	6, 0x0
	.amdhsa_kernel _ZN2at6native12_GLOBAL__N_112gatherMedianIijLi1EEEvNS_4cuda6detail10TensorInfoIT_T0_EENS5_IlS7_EENS5_IKS6_S7_EES7_S7_S7_b
		.amdhsa_group_segment_fixed_size 4120
		.amdhsa_private_segment_fixed_size 0
		.amdhsa_kernarg_size 920
		.amdhsa_user_sgpr_count 2
		.amdhsa_user_sgpr_dispatch_ptr 0
		.amdhsa_user_sgpr_queue_ptr 0
		.amdhsa_user_sgpr_kernarg_segment_ptr 1
		.amdhsa_user_sgpr_dispatch_id 0
		.amdhsa_user_sgpr_private_segment_size 0
		.amdhsa_wavefront_size32 1
		.amdhsa_uses_dynamic_stack 0
		.amdhsa_enable_private_segment 0
		.amdhsa_system_sgpr_workgroup_id_x 1
		.amdhsa_system_sgpr_workgroup_id_y 1
		.amdhsa_system_sgpr_workgroup_id_z 1
		.amdhsa_system_sgpr_workgroup_info 0
		.amdhsa_system_vgpr_workitem_id 0
		.amdhsa_next_free_vgpr 44
		.amdhsa_next_free_sgpr 77
		.amdhsa_reserve_vcc 1
		.amdhsa_float_round_mode_32 0
		.amdhsa_float_round_mode_16_64 0
		.amdhsa_float_denorm_mode_32 3
		.amdhsa_float_denorm_mode_16_64 3
		.amdhsa_fp16_overflow 0
		.amdhsa_workgroup_processor_mode 1
		.amdhsa_memory_ordered 1
		.amdhsa_forward_progress 1
		.amdhsa_inst_pref_size 81
		.amdhsa_round_robin_scheduling 0
		.amdhsa_exception_fp_ieee_invalid_op 0
		.amdhsa_exception_fp_denorm_src 0
		.amdhsa_exception_fp_ieee_div_zero 0
		.amdhsa_exception_fp_ieee_overflow 0
		.amdhsa_exception_fp_ieee_underflow 0
		.amdhsa_exception_fp_ieee_inexact 0
		.amdhsa_exception_int_div_zero 0
	.end_amdhsa_kernel
	.section	.text._ZN2at6native12_GLOBAL__N_112gatherMedianIijLi1EEEvNS_4cuda6detail10TensorInfoIT_T0_EENS5_IlS7_EENS5_IKS6_S7_EES7_S7_S7_b,"axG",@progbits,_ZN2at6native12_GLOBAL__N_112gatherMedianIijLi1EEEvNS_4cuda6detail10TensorInfoIT_T0_EENS5_IlS7_EENS5_IKS6_S7_EES7_S7_S7_b,comdat
.Lfunc_end88:
	.size	_ZN2at6native12_GLOBAL__N_112gatherMedianIijLi1EEEvNS_4cuda6detail10TensorInfoIT_T0_EENS5_IlS7_EENS5_IKS6_S7_EES7_S7_S7_b, .Lfunc_end88-_ZN2at6native12_GLOBAL__N_112gatherMedianIijLi1EEEvNS_4cuda6detail10TensorInfoIT_T0_EENS5_IlS7_EENS5_IKS6_S7_EES7_S7_S7_b
                                        ; -- End function
	.set _ZN2at6native12_GLOBAL__N_112gatherMedianIijLi1EEEvNS_4cuda6detail10TensorInfoIT_T0_EENS5_IlS7_EENS5_IKS6_S7_EES7_S7_S7_b.num_vgpr, 44
	.set _ZN2at6native12_GLOBAL__N_112gatherMedianIijLi1EEEvNS_4cuda6detail10TensorInfoIT_T0_EENS5_IlS7_EENS5_IKS6_S7_EES7_S7_S7_b.num_agpr, 0
	.set _ZN2at6native12_GLOBAL__N_112gatherMedianIijLi1EEEvNS_4cuda6detail10TensorInfoIT_T0_EENS5_IlS7_EENS5_IKS6_S7_EES7_S7_S7_b.numbered_sgpr, 77
	.set _ZN2at6native12_GLOBAL__N_112gatherMedianIijLi1EEEvNS_4cuda6detail10TensorInfoIT_T0_EENS5_IlS7_EENS5_IKS6_S7_EES7_S7_S7_b.num_named_barrier, 0
	.set _ZN2at6native12_GLOBAL__N_112gatherMedianIijLi1EEEvNS_4cuda6detail10TensorInfoIT_T0_EENS5_IlS7_EENS5_IKS6_S7_EES7_S7_S7_b.private_seg_size, 0
	.set _ZN2at6native12_GLOBAL__N_112gatherMedianIijLi1EEEvNS_4cuda6detail10TensorInfoIT_T0_EENS5_IlS7_EENS5_IKS6_S7_EES7_S7_S7_b.uses_vcc, 1
	.set _ZN2at6native12_GLOBAL__N_112gatherMedianIijLi1EEEvNS_4cuda6detail10TensorInfoIT_T0_EENS5_IlS7_EENS5_IKS6_S7_EES7_S7_S7_b.uses_flat_scratch, 0
	.set _ZN2at6native12_GLOBAL__N_112gatherMedianIijLi1EEEvNS_4cuda6detail10TensorInfoIT_T0_EENS5_IlS7_EENS5_IKS6_S7_EES7_S7_S7_b.has_dyn_sized_stack, 0
	.set _ZN2at6native12_GLOBAL__N_112gatherMedianIijLi1EEEvNS_4cuda6detail10TensorInfoIT_T0_EENS5_IlS7_EENS5_IKS6_S7_EES7_S7_S7_b.has_recursion, 0
	.set _ZN2at6native12_GLOBAL__N_112gatherMedianIijLi1EEEvNS_4cuda6detail10TensorInfoIT_T0_EENS5_IlS7_EENS5_IKS6_S7_EES7_S7_S7_b.has_indirect_call, 0
	.section	.AMDGPU.csdata,"",@progbits
; Kernel info:
; codeLenInByte = 10328
; TotalNumSgprs: 79
; NumVgprs: 44
; ScratchSize: 0
; MemoryBound: 0
; FloatMode: 240
; IeeeMode: 1
; LDSByteSize: 4120 bytes/workgroup (compile time only)
; SGPRBlocks: 0
; VGPRBlocks: 5
; NumSGPRsForWavesPerEU: 79
; NumVGPRsForWavesPerEU: 44
; Occupancy: 16
; WaveLimiterHint : 1
; COMPUTE_PGM_RSRC2:SCRATCH_EN: 0
; COMPUTE_PGM_RSRC2:USER_SGPR: 2
; COMPUTE_PGM_RSRC2:TRAP_HANDLER: 0
; COMPUTE_PGM_RSRC2:TGID_X_EN: 1
; COMPUTE_PGM_RSRC2:TGID_Y_EN: 1
; COMPUTE_PGM_RSRC2:TGID_Z_EN: 1
; COMPUTE_PGM_RSRC2:TIDIG_COMP_CNT: 0
	.section	.text._ZN2at6native12_GLOBAL__N_112gatherMedianIijLi2EEEvNS_4cuda6detail10TensorInfoIT_T0_EENS5_IlS7_EENS5_IKS6_S7_EES7_S7_S7_b,"axG",@progbits,_ZN2at6native12_GLOBAL__N_112gatherMedianIijLi2EEEvNS_4cuda6detail10TensorInfoIT_T0_EENS5_IlS7_EENS5_IKS6_S7_EES7_S7_S7_b,comdat
	.globl	_ZN2at6native12_GLOBAL__N_112gatherMedianIijLi2EEEvNS_4cuda6detail10TensorInfoIT_T0_EENS5_IlS7_EENS5_IKS6_S7_EES7_S7_S7_b ; -- Begin function _ZN2at6native12_GLOBAL__N_112gatherMedianIijLi2EEEvNS_4cuda6detail10TensorInfoIT_T0_EENS5_IlS7_EENS5_IKS6_S7_EES7_S7_S7_b
	.p2align	8
	.type	_ZN2at6native12_GLOBAL__N_112gatherMedianIijLi2EEEvNS_4cuda6detail10TensorInfoIT_T0_EENS5_IlS7_EENS5_IKS6_S7_EES7_S7_S7_b,@function
_ZN2at6native12_GLOBAL__N_112gatherMedianIijLi2EEEvNS_4cuda6detail10TensorInfoIT_T0_EENS5_IlS7_EENS5_IKS6_S7_EES7_S7_S7_b: ; @_ZN2at6native12_GLOBAL__N_112gatherMedianIijLi2EEEvNS_4cuda6detail10TensorInfoIT_T0_EENS5_IlS7_EENS5_IKS6_S7_EES7_S7_S7_b
; %bb.0:
	s_clause 0x1
	s_load_b64 s[4:5], s[0:1], 0x298
	s_load_b128 s[28:31], s[0:1], 0x288
	s_lshr_b32 s2, ttmp7, 16
	s_and_b32 s3, ttmp7, 0xffff
	s_wait_kmcnt 0x0
	s_mul_i32 s2, s5, s2
	s_delay_alu instid0(SALU_CYCLE_1) | instskip(NEXT) | instid1(SALU_CYCLE_1)
	s_add_co_i32 s2, s2, s3
	s_mul_i32 s2, s2, s4
	s_delay_alu instid0(SALU_CYCLE_1) | instskip(NEXT) | instid1(SALU_CYCLE_1)
	s_add_co_i32 s34, s2, ttmp9
	s_cmp_ge_u32 s34, s29
	s_cbranch_scc1 .LBB89_235
; %bb.1:
	s_clause 0x2
	s_load_b32 s56, s[0:1], 0xc
	s_load_b32 s33, s[0:1], 0xe4
	;; [unrolled: 1-line block ×3, first 2 shown]
	s_mov_b32 s35, 0
	s_wait_kmcnt 0x0
	s_cvt_f32_u32 s2, s56
	s_cvt_f32_u32 s5, s33
	s_cvt_f32_u32 s6, s3
	s_sub_co_i32 s8, 0, s56
	v_rcp_iflag_f32_e32 v1, s2
	v_rcp_iflag_f32_e32 v2, s5
	;; [unrolled: 1-line block ×3, first 2 shown]
	s_sub_co_i32 s10, 0, s33
	v_cmp_eq_u32_e64 s2, 0, v0
	s_delay_alu instid0(TRANS32_DEP_3) | instskip(NEXT) | instid1(TRANS32_DEP_2)
	v_readfirstlane_b32 s5, v1
	v_readfirstlane_b32 s6, v2
	s_delay_alu instid0(TRANS32_DEP_1)
	v_readfirstlane_b32 s7, v3
	s_mul_f32 s5, s5, 0x4f7ffffe
	s_mul_f32 s9, s6, 0x4f7ffffe
	;; [unrolled: 1-line block ×3, first 2 shown]
	s_wait_alu 0xfffe
	s_cvt_u32_f32 s6, s5
	s_cvt_u32_f32 s5, s9
	;; [unrolled: 1-line block ×3, first 2 shown]
	s_sub_co_i32 s7, 0, s3
	s_wait_alu 0xfffe
	s_mul_i32 s8, s8, s6
	s_mul_i32 s10, s10, s5
	;; [unrolled: 1-line block ×3, first 2 shown]
	s_mul_hi_u32 s9, s6, s8
	s_wait_alu 0xfffe
	s_mul_hi_u32 s8, s11, s7
	s_mul_hi_u32 s7, s5, s10
	s_add_co_i32 s8, s11, s8
	s_and_saveexec_b32 s10, s2
; %bb.2:
	v_mov_b32_e32 v1, 0
	s_delay_alu instid0(VALU_DEP_1)
	v_mov_b32_e32 v2, v1
	ds_store_b64 v1, v[1:2] offset:4096
; %bb.3:
	s_or_b32 exec_lo, exec_lo, s10
	v_mov_b32_e32 v1, 0
	s_wait_dscnt 0x0
	s_barrier_signal -1
	s_barrier_wait -1
	global_inv scope:SCOPE_SE
	s_wait_loadcnt 0x0
	s_barrier_signal -1
	s_barrier_wait -1
	global_inv scope:SCOPE_SE
	ds_load_b64 v[1:2], v1 offset:4096
	s_load_b64 s[12:13], s[0:1], 0x21c
	s_add_co_i32 s10, s6, s9
	s_add_co_i32 s6, s5, s7
	s_bitcmp1_b32 s31, 0
	s_mov_b32 s18, s28
	s_cselect_b32 s5, -1, 0
	s_wait_dscnt 0x0
	v_readfirstlane_b32 s14, v1
	v_readfirstlane_b32 s15, v2
	s_delay_alu instid0(VALU_DEP_1)
	v_cmp_lt_i64_e64 s9, s[14:15], 1
	s_wait_alu 0xfffe
	s_or_b32 s5, s5, s9
	s_mov_b32 s9, s35
	s_wait_alu 0xfffe
	s_and_not1_b32 vcc_lo, exec_lo, s5
	s_cbranch_vccnz .LBB89_5
; %bb.4:
	s_not_b64 s[14:15], s[14:15]
	s_mov_b32 s29, 0
	s_wait_alu 0xfffe
	s_add_nc_u64 s[14:15], s[14:15], s[28:29]
	s_mov_b32 s17, s29
	s_wait_alu 0xfffe
	s_lshr_b32 s16, s15, 31
	s_delay_alu instid0(SALU_CYCLE_1)
	s_add_nc_u64 s[14:15], s[14:15], s[16:17]
	s_wait_alu 0xfffe
	s_lshr_b64 s[14:15], s[14:15], 1
	s_wait_alu 0xfffe
	s_add_co_i32 s18, s14, 1
.LBB89_5:
	s_clause 0x2
	s_load_b64 s[36:37], s[0:1], 0x144
	s_load_b64 s[14:15], s[0:1], 0x1b0
	;; [unrolled: 1-line block ×3, first 2 shown]
	s_mul_u64 s[16:17], s[34:35], s[8:9]
	s_mov_b32 s11, s35
	s_mov_b32 s7, s35
	s_add_nc_u64 s[8:9], s[0:1], 0x298
	s_and_saveexec_b32 s5, s2
	s_cbranch_execz .LBB89_7
; %bb.6:
	v_dual_mov_b32 v1, 0 :: v_dual_mov_b32 v2, s28
	ds_store_b32 v1, v1 offset:4112
	ds_store_b64 v1, v[1:2] offset:4104
.LBB89_7:
	s_wait_alu 0xfffe
	s_or_b32 exec_lo, exec_lo, s5
	s_mul_i32 s5, s17, s3
	s_add_co_i32 s16, s17, 1
	s_wait_alu 0xfffe
	s_sub_co_i32 s5, s34, s5
	s_wait_loadcnt_dscnt 0x0
	s_wait_alu 0xfffe
	s_sub_co_i32 s19, s5, s3
	s_cmp_ge_u32 s5, s3
	s_barrier_signal -1
	s_cselect_b32 s16, s16, s17
	s_barrier_wait -1
	global_inv scope:SCOPE_SE
	s_load_b32 s17, s[8:9], 0xc
	s_cselect_b32 s5, s19, s5
	s_add_co_i32 s19, s16, 1
	s_wait_alu 0xfffe
	s_cmp_ge_u32 s5, s3
	s_mov_b32 s49, 0
	s_cselect_b32 s5, s19, s16
	s_clause 0x1
	s_load_b64 s[38:39], s[0:1], 0xd8
	s_load_b64 s[44:45], s[0:1], 0x0
	s_mul_i32 s3, s5, s3
	s_wait_kmcnt 0x0
	s_mul_i32 s5, s5, s12
	s_wait_alu 0xfffe
	s_sub_co_i32 s3, s34, s3
	v_mbcnt_lo_u32_b32 v16, -1, 0
	s_wait_alu 0xfffe
	s_mul_i32 s3, s3, s13
	v_cmp_gt_u32_e32 vcc_lo, 32, v0
	s_wait_alu 0xfffe
	s_add_co_i32 s48, s5, s3
	s_mul_u64 s[46:47], s[34:35], s[10:11]
	s_lshl_b64 s[0:1], s[48:49], 2
	s_mul_u64 s[26:27], s[34:35], s[6:7]
	s_add_nc_u64 s[40:41], s[14:15], s[0:1]
	v_cmp_gt_i32_e64 s0, 4, v16
	v_mov_b32_e32 v7, 0
	s_and_b32 s29, s17, 0xffff
	s_bfe_u32 s3, s17, 0xb0005
	s_wait_alu 0xfffe
	s_lshl_b32 s31, s29, 2
	s_add_co_i32 s35, s29, -1
	s_cvt_f32_u32 s1, s31
	s_and_b32 s57, vcc_lo, s0
	s_add_co_i32 s6, s35, s28
	s_cmp_gt_u32 s28, 0x300
	v_rcp_iflag_f32_e32 v1, s1
	s_cselect_b32 s58, -1, 0
	s_cmp_gt_u32 s29, 31
	v_mul_lo_u32 v5, s30, v0
	s_cselect_b32 s59, -1, 0
	s_cmp_lt_u32 ttmp9, s4
	v_dual_mov_b32 v6, v7 :: v_dual_lshlrev_b32 v17, 2, v0
	s_cselect_b32 s48, 12, 18
	s_add_co_i32 s4, s3, -1
	s_delay_alu instid0(TRANS32_DEP_1)
	v_readfirstlane_b32 s5, v1
	s_wait_alu 0xfffe
	s_and_b32 s4, s4, 0xffff
	s_bfe_u32 s60, s29, 0x30005
	s_wait_alu 0xfffe
	s_cmp_gt_u32 s4, 6
	v_lshlrev_b64_e32 v[1:2], 2, v[5:6]
	s_mul_f32 s4, s5, 0x4f7ffffe
	s_cselect_b32 s61, -1, 0
	s_and_b32 s62, s3, 0x7f8
	s_cmp_lg_u32 s60, 0
	s_wait_alu 0xfffe
	s_cvt_u32_f32 s3, s4
	s_cselect_b32 s63, -1, 0
	s_sub_co_i32 s4, 0, s31
	s_cvt_f32_u32 s5, s29
	s_wait_alu 0xfffe
	s_mul_i32 s4, s4, s3
	v_add_nc_u32_e32 v18, 0xc00, v17
	s_wait_alu 0xfffe
	s_mul_hi_u32 s4, s3, s4
	v_rcp_iflag_f32_e32 v8, s5
	s_wait_alu 0xfffe
	s_add_co_i32 s50, s3, s4
	v_lshlrev_b64_e64 v[3:4], v16, -1
	s_mul_hi_u32 s4, s28, s50
	v_mad_co_u64_u32 v[12:13], null, s30, v17, s[30:31]
	s_wait_alu 0xfffe
	s_mul_i32 s4, s4, s31
	v_cmp_gt_u32_e64 s0, s28, v0
	s_wait_alu 0xfffe
	s_sub_co_i32 s4, s28, s4
	v_not_b32_e32 v19, v3
	s_wait_alu 0xfffe
	s_sub_co_i32 s5, s4, s31
	v_readfirstlane_b32 s7, v8
	s_cmp_ge_u32 s4, s31
	v_add_co_u32 v8, vcc_lo, s40, v1
	s_wait_alu 0xfffe
	s_cselect_b32 s4, s5, s4
	s_mul_f32 s5, s7, 0x4f7ffffe
	s_wait_alu 0xfffe
	s_sub_co_i32 s7, s4, s31
	s_cmp_ge_u32 s4, s31
	v_mov_b32_e32 v31, s18
	s_wait_alu 0xfffe
	s_cselect_b32 s7, s7, s4
	s_cvt_u32_f32 s5, s5
	s_wait_alu 0xfffe
	s_sub_co_i32 s64, s28, s7
	s_sub_co_i32 s4, 0, s29
	v_add_nc_u32_e32 v20, s64, v0
	s_wait_alu 0xfffe
	s_mul_i32 s4, s4, s5
	v_lshrrev_b32_e32 v1, 1, v0
	s_wait_alu 0xfffe
	s_mul_hi_u32 s4, s5, s4
	v_add_co_ci_u32_e64 v9, null, s41, v2, vcc_lo
	v_mul_lo_u32 v6, v20, s30
	s_wait_alu 0xfffe
	s_add_co_i32 s52, s5, s4
	s_movk_i32 s4, 0x1f0
	s_mul_hi_u32 s5, s6, s52
	s_wait_alu 0xfffe
	v_and_or_b32 v21, v1, s4, 0xc00
	s_mul_i32 s5, s5, s29
	v_or_b32_e32 v3, 3, v17
	s_wait_alu 0xfffe
	s_sub_co_i32 s5, s6, s5
	v_lshlrev_b64_e32 v[1:2], 2, v[6:7]
	s_wait_alu 0xfffe
	s_sub_co_i32 s10, s5, s29
	s_cmp_ge_u32 s5, s29
	v_mul_lo_u32 v24, s30, v3
	s_cselect_b32 s10, s10, s5
	v_cmp_eq_u32_e64 s1, 0, v16
	v_add_co_u32 v10, vcc_lo, s40, v1
	v_add3_u32 v1, s29, s28, v0
	s_wait_alu 0xfffd
	v_add_co_ci_u32_e64 v11, null, s41, v2, vcc_lo
	v_or_b32_e32 v2, 2, v17
	s_sub_co_i32 s11, s10, s29
	v_subrev_nc_u32_e32 v1, s7, v1
	s_cmp_ge_u32 s10, s29
	v_cmp_gt_u32_e64 s3, 2, v0
	s_cselect_b32 s10, s11, s10
	v_mul_lo_u32 v23, s30, v2
	v_mul_lo_u32 v26, s30, v1
	s_sub_co_i32 s65, s6, s10
	v_cmp_gt_u32_e64 s4, s64, v17
	v_cmp_gt_u32_e64 s5, s28, v20
	s_wait_alu 0xfffe
	v_cmp_gt_u32_e64 s6, s65, v0
	v_dual_mov_b32 v22, 0 :: v_dual_lshlrev_b32 v25, 2, v5
	v_dual_mov_b32 v30, 0 :: v_dual_lshlrev_b32 v27, 4, v0
	v_lshl_or_b32 v28, v16, 2, 0xc00
	v_mov_b32_e32 v13, 1
	v_mov_b32_e32 v15, 0
	;; [unrolled: 1-line block ×3, first 2 shown]
	s_mul_i32 s46, s30, s29
	s_mov_b32 s51, s49
	s_mov_b32 s53, s49
	s_lshl_b32 s66, s46, 2
	s_lshl_b32 s67, s29, 4
	s_mov_b32 s75, 30
	s_add_nc_u64 s[54:55], s[8:9], s[48:49]
	s_mov_b32 s68, 0
                                        ; implicit-def: $sgpr72
                                        ; implicit-def: $sgpr74
                                        ; implicit-def: $sgpr69
                                        ; implicit-def: $sgpr71
                                        ; implicit-def: $sgpr73
                                        ; implicit-def: $sgpr70
	s_branch .LBB89_11
.LBB89_8:                               ;   in Loop: Header=BB89_11 Depth=1
	s_wait_alu 0xfffe
	s_or_b32 exec_lo, exec_lo, s11
	s_delay_alu instid0(SALU_CYCLE_1)
	s_and_b32 s8, s8, exec_lo
	s_and_not1_b32 s13, s13, exec_lo
	s_and_not1_b32 s12, s12, exec_lo
	s_or_not1_b32 s10, s10, exec_lo
.LBB89_9:                               ;   in Loop: Header=BB89_11 Depth=1
	s_wait_alu 0xfffe
	s_or_b32 exec_lo, exec_lo, s7
	s_delay_alu instid0(SALU_CYCLE_1)
	s_and_not1_b32 s7, s70, exec_lo
	s_and_b32 s8, s8, exec_lo
	s_and_not1_b32 s11, s71, exec_lo
	s_wait_alu 0xfffe
	s_or_b32 s70, s7, s8
	s_and_not1_b32 s7, s73, exec_lo
	s_and_b32 s8, s13, exec_lo
	s_and_b32 s12, s12, exec_lo
	s_wait_alu 0xfffe
	s_or_b32 s73, s7, s8
	s_or_b32 s71, s11, s12
	s_or_not1_b32 s11, s10, exec_lo
.LBB89_10:                              ;   in Loop: Header=BB89_11 Depth=1
	s_wait_alu 0xfffe
	s_or_b32 exec_lo, exec_lo, s9
	s_delay_alu instid0(SALU_CYCLE_1)
	s_and_b32 s7, exec_lo, s11
	v_mov_b32_e32 v31, v2
	s_wait_alu 0xfffe
	s_or_b32 s68, s7, s68
	s_and_not1_b32 s7, s69, exec_lo
	s_and_b32 s8, s70, exec_lo
	s_and_not1_b32 s9, s74, exec_lo
	s_wait_alu 0xfffe
	s_or_b32 s69, s7, s8
	s_and_b32 s7, s73, exec_lo
	s_and_not1_b32 s8, s72, exec_lo
	s_and_b32 s10, s71, exec_lo
	s_wait_alu 0xfffe
	s_or_b32 s74, s9, s7
	s_or_b32 s72, s8, s10
	s_mov_b32 s75, s18
	s_and_not1_b32 exec_lo, exec_lo, s68
	s_cbranch_execz .LBB89_231
.LBB89_11:                              ; =>This Loop Header: Depth=1
                                        ;     Child Loop BB89_17 Depth 2
                                        ;     Child Loop BB89_30 Depth 2
                                        ;     Child Loop BB89_61 Depth 2
                                        ;     Child Loop BB89_65 Depth 2
                                        ;     Child Loop BB89_50 Depth 2
                                        ;     Child Loop BB89_55 Depth 2
                                        ;     Child Loop BB89_46 Depth 2
                                        ;     Child Loop BB89_70 Depth 2
                                        ;     Child Loop BB89_80 Depth 2
                                        ;     Child Loop BB89_91 Depth 2
                                        ;     Child Loop BB89_117 Depth 2
                                        ;     Child Loop BB89_131 Depth 2
                                        ;     Child Loop BB89_157 Depth 2
                                        ;     Child Loop BB89_168 Depth 2
                                        ;     Child Loop BB89_194 Depth 2
                                        ;     Child Loop BB89_205 Depth 2
	ds_load_b64 v[1:2], v7 offset:4104
	s_wait_dscnt 0x0
	v_readfirstlane_b32 s48, v1
	s_cmp_lg_u32 s48, 0
	s_cbranch_scc1 .LBB89_38
; %bb.12:                               ;   in Loop: Header=BB89_11 Depth=1
	s_and_b32 vcc_lo, exec_lo, s58
	s_wait_alu 0xfffe
	s_cbranch_vccz .LBB89_25
; %bb.13:                               ;   in Loop: Header=BB89_11 Depth=1
	v_cmp_gt_u32_e32 vcc_lo, 0x301, v2
	s_mov_b32 s9, 0
	s_mov_b32 s7, 0
	s_cbranch_vccz .LBB89_26
; %bb.14:                               ;   in Loop: Header=BB89_11 Depth=1
	s_and_saveexec_b32 s10, s0
	s_cbranch_execz .LBB89_121
; %bb.15:                               ;   in Loop: Header=BB89_11 Depth=1
	global_load_b32 v1, v[8:9], off
	s_load_u16 s11, s[54:55], 0x0
	s_mov_b32 s13, 0
	s_wait_kmcnt 0x0
	v_add_nc_u32_e32 v2, s11, v0
	s_mul_i32 s12, s30, s11
	s_delay_alu instid0(VALU_DEP_1)
	v_mul_lo_u32 v6, s30, v2
	v_mov_b32_e32 v2, v0
	s_branch .LBB89_17
.LBB89_16:                              ;   in Loop: Header=BB89_17 Depth=2
	s_wait_alu 0xfffe
	s_or_b32 exec_lo, exec_lo, s8
	v_dual_mov_b32 v1, v3 :: v_dual_add_nc_u32 v6, s12, v6
	s_and_not1_b32 exec_lo, exec_lo, s13
	s_cbranch_execz .LBB89_121
.LBB89_17:                              ;   Parent Loop BB89_11 Depth=1
                                        ; =>  This Inner Loop Header: Depth=2
	s_delay_alu instid0(VALU_DEP_1) | instskip(SKIP_3) | instid1(VALU_DEP_2)
	v_dual_mov_b32 v3, 0 :: v_dual_add_nc_u32 v2, s11, v2
	s_wait_dscnt 0x0
	v_mov_b32_e32 v4, 0
	s_mov_b32 s8, exec_lo
	v_cmp_le_u32_e32 vcc_lo, s28, v2
	v_cmpx_gt_u32_e64 s28, v2
	s_cbranch_execz .LBB89_19
; %bb.18:                               ;   in Loop: Header=BB89_17 Depth=2
	v_lshlrev_b64_e32 v[32:33], 2, v[6:7]
	s_delay_alu instid0(VALU_DEP_1) | instskip(SKIP_1) | instid1(VALU_DEP_2)
	v_add_co_u32 v32, s7, s40, v32
	s_wait_alu 0xf1ff
	v_add_co_ci_u32_e64 v33, null, s41, v33, s7
	global_load_b32 v3, v[32:33], off
.LBB89_19:                              ;   in Loop: Header=BB89_17 Depth=2
	s_wait_alu 0xfffe
	s_or_b32 exec_lo, exec_lo, s8
	s_wait_loadcnt 0x0
	v_xor_b32_e32 v14, 0x80000000, v1
	s_delay_alu instid0(VALU_DEP_1) | instskip(NEXT) | instid1(VALU_DEP_1)
	v_and_b32_e32 v14, v14, v30
	v_cmp_eq_u32_e64 s7, v14, v22
	s_cmp_lg_u32 s7, 0
	s_cselect_b32 s8, -1, 0
	s_wait_alu 0xfffe
	s_and_b32 s8, s1, s8
	s_wait_alu 0xfffe
	s_and_saveexec_b32 s14, s8
	s_cbranch_execz .LBB89_23
; %bb.20:                               ;   in Loop: Header=BB89_17 Depth=2
	s_mov_b32 s17, exec_lo
	s_bcnt1_i32_b32 s15, s7
	s_wait_alu 0xfffe
	v_mbcnt_lo_u32_b32 v4, s17, 0
	s_mov_b32 s16, exec_lo
                                        ; implicit-def: $vgpr14
	s_delay_alu instid0(VALU_DEP_1)
	v_cmpx_eq_u32_e32 0, v4
; %bb.21:                               ;   in Loop: Header=BB89_17 Depth=2
	s_bcnt1_i32_b32 s8, s17
	s_wait_alu 0xfffe
	s_mul_i32 s8, s15, s8
	s_wait_alu 0xfffe
	v_mov_b32_e32 v14, s8
	ds_add_rtn_u32 v14, v7, v14 offset:4112
; %bb.22:                               ;   in Loop: Header=BB89_17 Depth=2
	s_or_b32 exec_lo, exec_lo, s16
	s_wait_dscnt 0x0
	v_readfirstlane_b32 s8, v14
	s_wait_alu 0xf1ff
	s_delay_alu instid0(VALU_DEP_1)
	v_mad_u32_u24 v4, s15, v4, s8
.LBB89_23:                              ;   in Loop: Header=BB89_17 Depth=2
	s_wait_alu 0xfffe
	s_or_b32 exec_lo, exec_lo, s14
	ds_bpermute_b32 v4, v7, v4
	s_and_b32 s8, exec_lo, vcc_lo
	s_wait_alu 0xfffe
	s_or_b32 s13, s8, s13
	s_and_saveexec_b32 s8, s7
	s_cbranch_execz .LBB89_16
; %bb.24:                               ;   in Loop: Header=BB89_17 Depth=2
	v_and_b32_e32 v14, s7, v19
	s_delay_alu instid0(VALU_DEP_1) | instskip(NEXT) | instid1(VALU_DEP_1)
	v_bcnt_u32_b32 v14, v14, 0
	v_lshlrev_b32_e32 v14, 2, v14
	s_wait_dscnt 0x0
	s_delay_alu instid0(VALU_DEP_1)
	v_lshl_add_u32 v4, v4, 2, v14
	ds_store_b32 v4, v1
	s_branch .LBB89_16
.LBB89_25:                              ;   in Loop: Header=BB89_11 Depth=1
	s_mov_b32 s9, -1
	s_mov_b32 s7, 0
.LBB89_26:                              ;   in Loop: Header=BB89_11 Depth=1
	s_wait_alu 0xfffe
	s_and_b32 vcc_lo, exec_lo, s9
	s_wait_alu 0xfffe
	s_cbranch_vccz .LBB89_36
.LBB89_27:                              ;   in Loop: Header=BB89_11 Depth=1
	s_and_saveexec_b32 s7, s0
	s_cbranch_execz .LBB89_33
; %bb.28:                               ;   in Loop: Header=BB89_11 Depth=1
	global_load_b32 v2, v[8:9], off
	s_load_u16 s9, s[54:55], 0x0
	v_mov_b32_e32 v1, v0
	s_mov_b32 s8, exec_lo
	s_wait_kmcnt 0x0
	v_add_nc_u32_e32 v3, s9, v0
	s_delay_alu instid0(VALU_DEP_1)
	v_cmpx_gt_u32_e64 s28, v3
	s_cbranch_execz .LBB89_32
; %bb.29:                               ;   in Loop: Header=BB89_11 Depth=1
	v_mul_lo_u32 v6, s30, v3
	v_mov_b32_e32 v3, v17
	v_mov_b32_e32 v1, v0
	s_lshl_b32 s10, s9, 2
	s_mul_i32 s12, s30, s9
	s_mov_b32 s11, 0
.LBB89_30:                              ;   Parent Loop BB89_11 Depth=1
                                        ; =>  This Inner Loop Header: Depth=2
	s_delay_alu instid0(VALU_DEP_3)
	v_lshlrev_b64_e32 v[32:33], 2, v[6:7]
	s_wait_loadcnt 0x0
	ds_store_b32 v3, v2
	s_wait_alu 0xfffe
	v_add_nc_u32_e32 v3, s10, v3
	v_add_nc_u32_e32 v6, s12, v6
	v_add_co_u32 v32, vcc_lo, s40, v32
	s_wait_alu 0xfffd
	v_add_co_ci_u32_e64 v33, null, s41, v33, vcc_lo
	global_load_b32 v4, v[32:33], off
	s_wait_loadcnt 0x0
	v_dual_mov_b32 v2, v4 :: v_dual_add_nc_u32 v1, s9, v1
	s_delay_alu instid0(VALU_DEP_1) | instskip(NEXT) | instid1(VALU_DEP_1)
	v_add_nc_u32_e32 v14, s9, v1
	v_cmp_le_u32_e32 vcc_lo, s28, v14
	s_or_b32 s11, vcc_lo, s11
	s_wait_alu 0xfffe
	s_and_not1_b32 exec_lo, exec_lo, s11
	s_cbranch_execnz .LBB89_30
; %bb.31:                               ;   in Loop: Header=BB89_11 Depth=1
	s_or_b32 exec_lo, exec_lo, s11
	v_mov_b32_e32 v2, v4
.LBB89_32:                              ;   in Loop: Header=BB89_11 Depth=1
	s_wait_alu 0xfffe
	s_or_b32 exec_lo, exec_lo, s8
	v_lshlrev_b32_e32 v1, 2, v1
	s_wait_loadcnt 0x0
	ds_store_b32 v1, v2
.LBB89_33:                              ;   in Loop: Header=BB89_11 Depth=1
	s_wait_alu 0xfffe
	s_or_b32 exec_lo, exec_lo, s7
	s_wait_loadcnt_dscnt 0x0
	s_barrier_signal -1
	s_barrier_wait -1
	global_inv scope:SCOPE_SE
	s_and_saveexec_b32 s7, s2
; %bb.34:                               ;   in Loop: Header=BB89_11 Depth=1
	v_mov_b32_e32 v1, s28
	ds_store_b32 v7, v1 offset:4104
; %bb.35:                               ;   in Loop: Header=BB89_11 Depth=1
	s_wait_alu 0xfffe
	s_or_b32 exec_lo, exec_lo, s7
	s_mov_b32 s7, -1
	s_wait_loadcnt_dscnt 0x0
	s_barrier_signal -1
	s_barrier_wait -1
.LBB89_36:                              ;   in Loop: Header=BB89_11 Depth=1
	s_wait_alu 0xfffe
	s_and_b32 vcc_lo, exec_lo, s7
	s_mov_b32 s48, 0
	s_wait_alu 0xfffe
	s_cbranch_vccz .LBB89_38
; %bb.37:                               ;   in Loop: Header=BB89_11 Depth=1
	s_wait_loadcnt 0x0
	global_inv scope:SCOPE_SE
	ds_load_b32 v1, v7 offset:4104
	s_wait_dscnt 0x0
	v_readfirstlane_b32 s48, v1
.LBB89_38:                              ;   in Loop: Header=BB89_11 Depth=1
	s_delay_alu instid0(VALU_DEP_1)
	s_cmp_lt_i32 s48, 1
	s_mov_b32 s7, -1
                                        ; implicit-def: $vgpr4
	s_cbranch_scc1 .LBB89_48
; %bb.39:                               ;   in Loop: Header=BB89_11 Depth=1
	s_wait_alu 0xfffe
	s_and_b32 vcc_lo, exec_lo, s7
	s_wait_alu 0xfffe
	s_cbranch_vccnz .LBB89_59
.LBB89_40:                              ;   in Loop: Header=BB89_11 Depth=1
	v_lshlrev_b32_e32 v6, 7, v29
	s_and_saveexec_b32 s7, s1
.LBB89_41:                              ;   in Loop: Header=BB89_11 Depth=1
	s_delay_alu instid0(VALU_DEP_1)
	v_lshl_add_u32 v14, v6, 2, v21
	ds_store_b128 v14, v[1:4]
.LBB89_42:                              ;   in Loop: Header=BB89_11 Depth=1
	s_wait_alu 0xfffe
	s_or_b32 exec_lo, exec_lo, s7
	s_wait_loadcnt_dscnt 0x0
	s_barrier_signal -1
	s_barrier_wait -1
	global_inv scope:SCOPE_SE
	s_and_saveexec_b32 s7, s57
	s_cbranch_execz .LBB89_72
; %bb.43:                               ;   in Loop: Header=BB89_11 Depth=1
	v_mov_b32_e32 v1, 0
	s_and_not1_b32 vcc_lo, exec_lo, s59
	s_wait_alu 0xfffe
	s_cbranch_vccnz .LBB89_71
; %bb.44:                               ;   in Loop: Header=BB89_11 Depth=1
	s_and_not1_b32 vcc_lo, exec_lo, s61
	s_wait_alu 0xfffe
	s_cbranch_vccnz .LBB89_68
; %bb.45:                               ;   in Loop: Header=BB89_11 Depth=1
	v_lshl_add_u32 v2, v29, 9, v28
	v_mov_b32_e32 v1, 0
	s_mov_b32 s8, 0
.LBB89_46:                              ;   Parent Loop BB89_11 Depth=1
                                        ; =>  This Inner Loop Header: Depth=2
	ds_load_2addr_b32 v[3:4], v2 offset1:4
	ds_load_2addr_b32 v[32:33], v2 offset0:8 offset1:12
	ds_load_2addr_b32 v[34:35], v2 offset0:16 offset1:20
	;; [unrolled: 1-line block ×3, first 2 shown]
	v_add_nc_u32_e32 v2, 0x80, v2
	s_wait_alu 0xfffe
	s_add_co_i32 s8, s8, 8
	s_wait_alu 0xfffe
	s_cmp_eq_u32 s62, s8
	s_wait_dscnt 0x3
	v_add3_u32 v1, v3, v1, v4
	s_wait_dscnt 0x2
	s_delay_alu instid0(VALU_DEP_1) | instskip(SKIP_1) | instid1(VALU_DEP_1)
	v_add3_u32 v1, v32, v1, v33
	s_wait_dscnt 0x1
	v_add3_u32 v1, v34, v1, v35
	s_wait_dscnt 0x0
	s_delay_alu instid0(VALU_DEP_1)
	v_add3_u32 v1, v36, v1, v37
	s_cbranch_scc0 .LBB89_46
; %bb.47:                               ;   in Loop: Header=BB89_11 Depth=1
	s_mov_b32 s8, s62
	s_and_not1_b32 vcc_lo, exec_lo, s63
	s_wait_alu 0xfffe
	s_cbranch_vccz .LBB89_69
	s_branch .LBB89_71
.LBB89_48:                              ;   in Loop: Header=BB89_11 Depth=1
	v_dual_mov_b32 v1, 0 :: v_dual_mov_b32 v2, 0
	v_dual_mov_b32 v3, 0 :: v_dual_mov_b32 v4, 0
	s_and_saveexec_b32 s18, s4
	s_cbranch_execz .LBB89_52
; %bb.49:                               ;   in Loop: Header=BB89_11 Depth=1
	v_mov_b32_e32 v14, v17
	s_mov_b32 s19, 0
	s_mov_b32 s20, 0
	;; [unrolled: 1-line block ×6, first 2 shown]
.LBB89_50:                              ;   Parent Loop BB89_11 Depth=1
                                        ; =>  This Inner Loop Header: Depth=2
	s_wait_alu 0xfffe
	v_add_nc_u32_e32 v6, s20, v25
	v_add_nc_u32_e32 v14, s31, v14
	s_delay_alu instid0(VALU_DEP_2) | instskip(SKIP_1) | instid1(VALU_DEP_1)
	v_lshlrev_b64_e32 v[1:2], 2, v[6:7]
	v_add_nc_u32_e32 v6, s20, v12
	v_lshlrev_b64_e32 v[3:4], 2, v[6:7]
	v_add_nc_u32_e32 v6, s20, v23
	s_delay_alu instid0(VALU_DEP_4) | instskip(SKIP_2) | instid1(VALU_DEP_3)
	v_add_co_u32 v1, vcc_lo, s40, v1
	s_wait_alu 0xfffd
	v_add_co_ci_u32_e64 v2, null, s41, v2, vcc_lo
	v_lshlrev_b64_e32 v[32:33], 2, v[6:7]
	v_add_nc_u32_e32 v6, s20, v24
	s_add_co_i32 s20, s20, s66
	global_load_b32 v34, v[1:2], off
	v_add_co_u32 v1, vcc_lo, s40, v3
	s_wait_alu 0xfffd
	v_add_co_ci_u32_e64 v2, null, s41, v4, vcc_lo
	v_add_co_u32 v32, vcc_lo, s40, v32
	s_wait_alu 0xfffd
	v_add_co_ci_u32_e64 v33, null, s41, v33, vcc_lo
	v_lshlrev_b64_e32 v[3:4], 2, v[6:7]
	s_clause 0x1
	global_load_b32 v6, v[1:2], off
	global_load_b32 v32, v[32:33], off
	v_add_co_u32 v1, vcc_lo, s40, v3
	s_wait_alu 0xfffd
	v_add_co_ci_u32_e64 v2, null, s41, v4, vcc_lo
	v_cmp_le_u32_e32 vcc_lo, s64, v14
	global_load_b32 v1, v[1:2], off
	s_wait_loadcnt 0x3
	v_xor_b32_e32 v2, 0x80000000, v34
	s_delay_alu instid0(VALU_DEP_1) | instskip(SKIP_3) | instid1(VALU_DEP_3)
	v_and_b32_e32 v3, v2, v30
	v_bfe_u32 v2, v2, s75, 2
	s_wait_loadcnt 0x2
	v_xor_b32_e32 v4, 0x80000000, v6
	v_cmp_eq_u32_e64 s7, v3, v22
	s_delay_alu instid0(VALU_DEP_3)
	v_cmp_eq_u32_e64 s8, 0, v2
	s_wait_loadcnt 0x1
	v_xor_b32_e32 v6, 0x80000000, v32
	v_cmp_eq_u32_e64 s9, 1, v2
	v_and_b32_e32 v3, v4, v30
	v_bfe_u32 v4, v4, s75, 2
	v_cmp_eq_u32_e64 s10, 2, v2
	s_and_b32 s8, s7, s8
	v_cmp_eq_u32_e64 s11, 3, v2
	v_cmp_eq_u32_e64 s12, v3, v22
	v_and_b32_e32 v2, v6, v30
	v_bfe_u32 v3, v6, s75, 2
	v_cmp_eq_u32_e64 s13, 0, v4
	s_wait_alu 0xfffe
	v_cndmask_b32_e64 v6, 0, 1, s8
	v_cmp_eq_u32_e64 s8, 1, v4
	s_and_b32 s9, s7, s9
	s_and_b32 s10, s7, s10
	s_wait_alu 0xfffe
	v_cndmask_b32_e64 v32, 0, 1, s9
	v_cmp_eq_u32_e64 s9, 2, v4
	s_wait_loadcnt 0x0
	v_xor_b32_e32 v1, 0x80000000, v1
	v_cndmask_b32_e64 v33, 0, 1, s10
	s_and_b32 s7, s7, s11
	s_and_b32 s13, s12, s13
	;; [unrolled: 1-line block ×3, first 2 shown]
	v_cmp_eq_u32_e64 s10, 3, v4
	s_wait_alu 0xfffe
	v_cndmask_b32_e64 v4, 0, 1, s7
	v_cmp_eq_u32_e64 s7, v2, v22
	v_cmp_eq_u32_e64 s11, 0, v3
	v_cmp_ne_u32_e64 s14, 0, v6
	v_cndmask_b32_e64 v6, 0, 1, s13
	v_cmp_eq_u32_e64 s13, 1, v3
	v_cmp_ne_u32_e64 s15, 0, v32
	v_cndmask_b32_e64 v32, 0, 1, s8
	v_cmp_eq_u32_e64 s8, 2, v3
	s_and_b32 s9, s12, s9
	v_and_b32_e32 v2, v1, v30
	v_bfe_u32 v1, v1, s75, 2
	v_cmp_ne_u32_e64 s16, 0, v33
	s_wait_alu 0xfffe
	v_cndmask_b32_e64 v33, 0, 1, s9
	v_cmp_eq_u32_e64 s9, 3, v3
	s_and_b32 s10, s12, s10
	s_and_b32 s11, s7, s11
	;; [unrolled: 1-line block ×4, first 2 shown]
	v_cmp_ne_u32_e64 s17, 0, v4
	s_wait_alu 0xfffe
	v_cndmask_b32_e64 v3, 0, 1, s10
	v_cmp_eq_u32_e64 s10, v2, v22
	v_cmp_eq_u32_e64 s12, 0, v1
	s_bcnt1_i32_b32 s25, s14
	v_cmp_ne_u32_e64 s14, 0, v6
	v_cndmask_b32_e64 v2, 0, 1, s11
	v_cmp_eq_u32_e64 s11, 1, v1
	v_cndmask_b32_e64 v4, 0, 1, s13
	v_cmp_eq_u32_e64 s13, 2, v1
	;; [unrolled: 2-line block ×3, first 2 shown]
	s_and_b32 s7, s7, s9
	s_bcnt1_i32_b32 s77, s17
	s_wait_alu 0xfffe
	v_cndmask_b32_e64 v1, 0, 1, s7
	v_cmp_ne_u32_e64 s17, 0, v3
	s_and_b32 s9, s10, s12
	s_and_b32 s11, s10, s11
	;; [unrolled: 1-line block ×4, first 2 shown]
	v_cmp_ne_u32_e64 s7, 0, v2
	s_wait_alu 0xfffe
	v_cndmask_b32_e64 v2, 0, 1, s9
	v_cmp_ne_u32_e64 s9, 0, v4
	v_cndmask_b32_e64 v3, 0, 1, s11
	v_cndmask_b32_e64 v4, 0, 1, s12
	v_cmp_ne_u32_e64 s12, 0, v1
	v_cndmask_b32_e64 v1, 0, 1, s8
	s_bcnt1_i32_b32 s26, s15
	v_cmp_ne_u32_e64 s15, 0, v32
	s_bcnt1_i32_b32 s76, s16
	v_cmp_ne_u32_e64 s16, 0, v33
	s_add_co_i32 s21, s77, s21
	v_cmp_ne_u32_e64 s11, 0, v6
	s_bcnt1_i32_b32 s13, s17
	s_bcnt1_i32_b32 s17, s7
	s_wait_alu 0xfffe
	s_add_co_i32 s13, s21, s13
	v_cmp_ne_u32_e64 s7, 0, v2
	s_bcnt1_i32_b32 s21, s9
	v_cmp_ne_u32_e64 s8, 0, v3
	v_cmp_ne_u32_e64 s9, 0, v4
	;; [unrolled: 1-line block ×3, first 2 shown]
	s_add_co_i32 s24, s25, s24
	s_add_co_i32 s23, s26, s23
	;; [unrolled: 1-line block ×3, first 2 shown]
	s_bcnt1_i32_b32 s14, s14
	s_bcnt1_i32_b32 s15, s15
	;; [unrolled: 1-line block ×3, first 2 shown]
	s_wait_alu 0xfffe
	s_add_co_i32 s14, s24, s14
	s_add_co_i32 s15, s23, s15
	;; [unrolled: 1-line block ×3, first 2 shown]
	s_bcnt1_i32_b32 s11, s11
	s_bcnt1_i32_b32 s12, s12
	s_wait_alu 0xfffe
	s_add_co_i32 s14, s14, s17
	s_add_co_i32 s15, s15, s21
	;; [unrolled: 1-line block ×4, first 2 shown]
	s_bcnt1_i32_b32 s7, s7
	s_bcnt1_i32_b32 s8, s8
	;; [unrolled: 1-line block ×4, first 2 shown]
	s_wait_alu 0xfffe
	s_add_co_i32 s24, s14, s7
	s_add_co_i32 s23, s15, s8
	s_add_co_i32 s22, s11, s9
	s_add_co_i32 s21, s12, s10
	s_wait_alu 0xfffe
	v_dual_mov_b32 v1, s24 :: v_dual_mov_b32 v2, s23
	v_dual_mov_b32 v3, s22 :: v_dual_mov_b32 v4, s21
	s_or_b32 s19, vcc_lo, s19
	s_wait_alu 0xfffe
	s_and_not1_b32 exec_lo, exec_lo, s19
	s_cbranch_execnz .LBB89_50
; %bb.51:                               ;   in Loop: Header=BB89_11 Depth=1
	s_or_b32 exec_lo, exec_lo, s19
.LBB89_52:                              ;   in Loop: Header=BB89_11 Depth=1
	s_wait_alu 0xfffe
	s_or_b32 exec_lo, exec_lo, s18
	s_and_saveexec_b32 s11, s5
	s_cbranch_execz .LBB89_58
; %bb.53:                               ;   in Loop: Header=BB89_11 Depth=1
	global_load_b32 v33, v[10:11], off
	v_mov_b32_e32 v6, v26
	v_mov_b32_e32 v14, v20
	s_mov_b32 s12, 0
	s_branch .LBB89_55
.LBB89_54:                              ;   in Loop: Header=BB89_55 Depth=2
	s_wait_alu 0xfffe
	s_or_b32 exec_lo, exec_lo, s8
	s_wait_loadcnt 0x0
	v_xor_b32_e32 v33, 0x80000000, v33
	s_and_b32 s8, exec_lo, vcc_lo
	v_add_nc_u32_e32 v6, s46, v6
	s_wait_alu 0xfffe
	s_or_b32 s12, s8, s12
	v_and_b32_e32 v34, v33, v30
	v_bfe_u32 v33, v33, s75, 2
	s_delay_alu instid0(VALU_DEP_2) | instskip(NEXT) | instid1(VALU_DEP_2)
	v_cmp_eq_u32_e32 vcc_lo, v34, v22
	v_cmp_eq_u32_e64 s7, 0, v33
	v_cmp_eq_u32_e64 s8, 1, v33
	;; [unrolled: 1-line block ×4, first 2 shown]
	s_and_b32 s7, vcc_lo, s7
	s_wait_alu 0xfffe
	v_cndmask_b32_e64 v33, 0, 1, s7
	s_and_b32 s7, vcc_lo, s8
	s_wait_alu 0xfffe
	v_cndmask_b32_e64 v34, 0, 1, s7
	;; [unrolled: 3-line block ×3, first 2 shown]
	s_and_b32 s7, vcc_lo, s10
	v_cmp_ne_u32_e32 vcc_lo, 0, v33
	s_wait_alu 0xfffe
	v_cndmask_b32_e64 v36, 0, 1, s7
	v_cmp_ne_u32_e64 s7, 0, v34
	v_cmp_ne_u32_e64 s8, 0, v35
	v_mov_b32_e32 v33, v32
	s_bcnt1_i32_b32 s10, vcc_lo
	v_cmp_ne_u32_e64 s9, 0, v36
	s_bcnt1_i32_b32 s7, s7
	s_bcnt1_i32_b32 s8, s8
	s_wait_alu 0xfffe
	v_add_nc_u32_e32 v1, s10, v1
	v_add_nc_u32_e32 v2, s7, v2
	s_bcnt1_i32_b32 s9, s9
	v_add_nc_u32_e32 v3, s8, v3
	s_wait_alu 0xfffe
	v_add_nc_u32_e32 v4, s9, v4
	s_and_not1_b32 exec_lo, exec_lo, s12
	s_cbranch_execz .LBB89_57
.LBB89_55:                              ;   Parent Loop BB89_11 Depth=1
                                        ; =>  This Inner Loop Header: Depth=2
	s_delay_alu instid0(VALU_DEP_1) | instskip(SKIP_2) | instid1(VALU_DEP_2)
	v_add_nc_u32_e32 v14, s29, v14
	v_mov_b32_e32 v32, 0
	s_mov_b32 s8, exec_lo
	v_cmp_le_u32_e32 vcc_lo, s28, v14
	v_cmpx_gt_u32_e64 s28, v14
	s_cbranch_execz .LBB89_54
; %bb.56:                               ;   in Loop: Header=BB89_55 Depth=2
	v_lshlrev_b64_e32 v[34:35], 2, v[6:7]
	s_delay_alu instid0(VALU_DEP_1) | instskip(SKIP_1) | instid1(VALU_DEP_2)
	v_add_co_u32 v34, s7, s40, v34
	s_wait_alu 0xf1ff
	v_add_co_ci_u32_e64 v35, null, s41, v35, s7
	global_load_b32 v32, v[34:35], off
	s_branch .LBB89_54
.LBB89_57:                              ;   in Loop: Header=BB89_11 Depth=1
	s_or_b32 exec_lo, exec_lo, s12
.LBB89_58:                              ;   in Loop: Header=BB89_11 Depth=1
	s_wait_alu 0xfffe
	s_or_b32 exec_lo, exec_lo, s11
	s_branch .LBB89_40
.LBB89_59:                              ;   in Loop: Header=BB89_11 Depth=1
	s_mul_u64 s[8:9], s[48:49], s[50:51]
	v_dual_mov_b32 v1, 0 :: v_dual_mov_b32 v2, 0
	s_wait_alu 0xfffe
	s_mul_i32 s7, s9, s31
	v_dual_mov_b32 v3, 0 :: v_dual_mov_b32 v4, 0
	s_wait_alu 0xfffe
	s_sub_co_i32 s7, s48, s7
	s_mov_b32 s77, exec_lo
	s_wait_alu 0xfffe
	s_sub_co_i32 s8, s7, s31
	s_cmp_ge_u32 s7, s31
	s_wait_alu 0xfffe
	s_cselect_b32 s7, s8, s7
	s_wait_alu 0xfffe
	s_sub_co_i32 s8, s7, s31
	s_cmp_ge_u32 s7, s31
	s_wait_alu 0xfffe
	s_cselect_b32 s7, s8, s7
	s_wait_alu 0xfffe
	s_sub_co_i32 s76, s48, s7
	s_wait_alu 0xfffe
	v_cmpx_gt_u32_e64 s76, v17
	s_cbranch_execz .LBB89_63
; %bb.60:                               ;   in Loop: Header=BB89_11 Depth=1
	v_mov_b32_e32 v6, v27
	v_mov_b32_e32 v14, v17
	s_mov_b32 s78, 0
	s_mov_b32 s79, 0
	;; [unrolled: 1-line block ×5, first 2 shown]
.LBB89_61:                              ;   Parent Loop BB89_11 Depth=1
                                        ; =>  This Inner Loop Header: Depth=2
	ds_load_b128 v[1:4], v6
	s_wait_dscnt 0x0
	v_xor_b32_e32 v1, 0x80000000, v1
	v_xor_b32_e32 v2, 0x80000000, v2
	;; [unrolled: 1-line block ×4, first 2 shown]
	s_delay_alu instid0(VALU_DEP_4)
	v_and_b32_e32 v32, v1, v30
	v_bfe_u32 v1, v1, s75, 2
	v_and_b32_e32 v33, v2, v30
	v_bfe_u32 v2, v2, s75, 2
	;; [unrolled: 2-line block ×3, first 2 shown]
	v_cmp_eq_u32_e64 s7, v32, v22
	v_cmp_eq_u32_e64 s11, 0, v1
	v_and_b32_e32 v35, v4, v30
	v_bfe_u32 v4, v4, s75, 2
	v_cmp_eq_u32_e64 s8, v33, v22
	v_cmp_eq_u32_e64 s12, 0, v2
	;; [unrolled: 1-line block ×4, first 2 shown]
	s_and_b32 s11, s7, s11
	v_cmp_eq_u32_e64 s10, v35, v22
	v_cmp_eq_u32_e64 s14, 0, v4
	;; [unrolled: 1-line block ×5, first 2 shown]
	s_wait_alu 0xfffe
	v_cndmask_b32_e64 v1, 0, 1, s11
	s_and_b32 s11, s8, s12
	v_cmp_eq_u32_e64 s16, 1, v2
	v_cmp_eq_u32_e64 s20, 2, v2
	v_cmp_eq_u32_e64 s24, 3, v2
	s_wait_alu 0xfffe
	v_cndmask_b32_e64 v2, 0, 1, s11
	s_and_b32 s11, s9, s13
	v_cmp_eq_u32_e64 s17, 1, v3
	v_cmp_eq_u32_e64 s21, 2, v3
	v_cmp_eq_u32_e64 s25, 3, v3
	;; [unrolled: 6-line block ×3, first 2 shown]
	s_wait_alu 0xfffe
	v_cndmask_b32_e64 v4, 0, 1, s11
	s_and_b32 s11, s7, s15
	s_wait_alu 0xfffe
	v_cndmask_b32_e64 v32, 0, 1, s11
	s_and_b32 s11, s8, s16
	;; [unrolled: 3-line block ×4, first 2 shown]
	v_cmp_ne_u32_e64 s12, 0, v33
	s_wait_alu 0xfffe
	v_cndmask_b32_e64 v35, 0, 1, s11
	s_and_b32 s11, s7, s19
	s_and_b32 s7, s7, s23
	s_wait_alu 0xfffe
	v_cndmask_b32_e64 v36, 0, 1, s11
	v_cndmask_b32_e64 v40, 0, 1, s7
	s_and_b32 s7, s8, s24
	s_and_b32 s11, s8, s20
	s_wait_alu 0xfffe
	v_cndmask_b32_e64 v41, 0, 1, s7
	s_and_b32 s7, s9, s25
	v_cndmask_b32_e64 v37, 0, 1, s11
	s_wait_alu 0xfffe
	v_cndmask_b32_e64 v42, 0, 1, s7
	s_and_b32 s7, s10, s26
	s_and_b32 s11, s9, s21
	s_wait_alu 0xfffe
	v_cndmask_b32_e64 v43, 0, 1, s7
	v_cmp_ne_u32_e64 s7, 0, v1
	v_cmp_ne_u32_e64 s8, 0, v2
	v_cndmask_b32_e64 v38, 0, 1, s11
	s_and_b32 s11, s10, s22
	v_cmp_ne_u32_e64 s9, 0, v3
	s_wait_alu 0xfffe
	v_cndmask_b32_e64 v39, 0, 1, s11
	v_cmp_ne_u32_e64 s11, 0, v32
	v_cmp_ne_u32_e64 s15, 0, v36
	v_cmp_ne_u32_e64 s19, 0, v40
	s_bcnt1_i32_b32 s7, s7
	v_cmp_ne_u32_e64 s10, 0, v4
	v_cmp_ne_u32_e64 s16, 0, v37
	;; [unrolled: 1-line block ×3, first 2 shown]
	s_bcnt1_i32_b32 s8, s8
	s_wait_alu 0xfffe
	s_add_co_i32 s7, s7, s82
	v_cmp_ne_u32_e64 s13, 0, v34
	v_cmp_ne_u32_e64 s17, 0, v38
	;; [unrolled: 1-line block ×3, first 2 shown]
	s_bcnt1_i32_b32 s9, s9
	s_wait_alu 0xfffe
	s_add_co_i32 s7, s7, s8
	s_bcnt1_i32_b32 s11, s11
	s_bcnt1_i32_b32 s15, s15
	;; [unrolled: 1-line block ×3, first 2 shown]
	v_cmp_ne_u32_e64 s14, 0, v35
	v_cmp_ne_u32_e64 s18, 0, v39
	;; [unrolled: 1-line block ×3, first 2 shown]
	s_bcnt1_i32_b32 s10, s10
	s_wait_alu 0xfffe
	s_add_co_i32 s7, s7, s9
	s_bcnt1_i32_b32 s12, s12
	s_bcnt1_i32_b32 s16, s16
	;; [unrolled: 1-line block ×3, first 2 shown]
	s_add_co_i32 s11, s11, s81
	s_add_co_i32 s15, s15, s80
	;; [unrolled: 1-line block ×3, first 2 shown]
	s_wait_alu 0xfffe
	s_add_co_i32 s82, s7, s10
	s_wait_alu 0xfffe
	v_dual_mov_b32 v1, s82 :: v_dual_add_nc_u32 v14, s31, v14
	s_bcnt1_i32_b32 s13, s13
	s_bcnt1_i32_b32 s17, s17
	;; [unrolled: 1-line block ×3, first 2 shown]
	s_add_co_i32 s8, s11, s12
	s_add_co_i32 s11, s15, s16
	;; [unrolled: 1-line block ×3, first 2 shown]
	s_bcnt1_i32_b32 s14, s14
	s_bcnt1_i32_b32 s18, s18
	;; [unrolled: 1-line block ×3, first 2 shown]
	s_wait_alu 0xfffe
	s_add_co_i32 s8, s8, s13
	s_add_co_i32 s9, s11, s17
	;; [unrolled: 1-line block ×3, first 2 shown]
	v_cmp_le_u32_e32 vcc_lo, s76, v14
	s_wait_alu 0xfffe
	s_add_co_i32 s81, s8, s14
	s_add_co_i32 s80, s9, s18
	;; [unrolled: 1-line block ×3, first 2 shown]
	s_wait_alu 0xfffe
	v_dual_mov_b32 v3, s80 :: v_dual_add_nc_u32 v6, s67, v6
	v_mov_b32_e32 v2, s81
	v_mov_b32_e32 v4, s79
	s_or_b32 s78, vcc_lo, s78
	s_wait_alu 0xfffe
	s_and_not1_b32 exec_lo, exec_lo, s78
	s_cbranch_execnz .LBB89_61
; %bb.62:                               ;   in Loop: Header=BB89_11 Depth=1
	s_or_b32 exec_lo, exec_lo, s78
.LBB89_63:                              ;   in Loop: Header=BB89_11 Depth=1
	s_delay_alu instid0(SALU_CYCLE_1) | instskip(SKIP_2) | instid1(VALU_DEP_1)
	s_or_b32 exec_lo, exec_lo, s77
	v_add_nc_u32_e32 v6, s76, v0
	s_mov_b32 s12, exec_lo
	v_cmpx_gt_u32_e64 s48, v6
	s_cbranch_execz .LBB89_67
; %bb.64:                               ;   in Loop: Header=BB89_11 Depth=1
	v_lshlrev_b32_e32 v14, 2, v6
	s_mov_b32 s13, 0
.LBB89_65:                              ;   Parent Loop BB89_11 Depth=1
                                        ; =>  This Inner Loop Header: Depth=2
	ds_load_b32 v32, v14
	v_add_nc_u32_e32 v6, s29, v6
	v_add_nc_u32_e32 v14, s31, v14
	s_delay_alu instid0(VALU_DEP_2) | instskip(SKIP_2) | instid1(VALU_DEP_1)
	v_cmp_le_u32_e32 vcc_lo, s48, v6
	s_wait_dscnt 0x0
	v_xor_b32_e32 v32, 0x80000000, v32
	v_and_b32_e32 v33, v32, v30
	v_bfe_u32 v32, v32, s75, 2
	s_delay_alu instid0(VALU_DEP_2) | instskip(NEXT) | instid1(VALU_DEP_2)
	v_cmp_eq_u32_e64 s7, v33, v22
	v_cmp_eq_u32_e64 s8, 0, v32
	;; [unrolled: 1-line block ×5, first 2 shown]
	s_and_b32 s8, s7, s8
	s_wait_alu 0xfffe
	v_cndmask_b32_e64 v32, 0, 1, s8
	s_and_b32 s8, s7, s9
	s_wait_alu 0xfffe
	v_cndmask_b32_e64 v33, 0, 1, s8
	s_and_b32 s8, s7, s10
	s_and_b32 s7, s7, s11
	s_wait_alu 0xfffe
	v_cndmask_b32_e64 v34, 0, 1, s8
	v_cndmask_b32_e64 v35, 0, 1, s7
	v_cmp_ne_u32_e64 s7, 0, v32
	v_cmp_ne_u32_e64 s8, 0, v33
	s_delay_alu instid0(VALU_DEP_4) | instskip(NEXT) | instid1(VALU_DEP_4)
	v_cmp_ne_u32_e64 s9, 0, v34
	v_cmp_ne_u32_e64 s10, 0, v35
	s_bcnt1_i32_b32 s7, s7
	s_bcnt1_i32_b32 s8, s8
	s_wait_alu 0xfffe
	v_add_nc_u32_e32 v1, s7, v1
	s_bcnt1_i32_b32 s9, s9
	s_bcnt1_i32_b32 s10, s10
	v_add_nc_u32_e32 v2, s8, v2
	s_wait_alu 0xfffe
	v_add_nc_u32_e32 v3, s9, v3
	v_add_nc_u32_e32 v4, s10, v4
	s_or_b32 s13, vcc_lo, s13
	s_wait_alu 0xfffe
	s_and_not1_b32 exec_lo, exec_lo, s13
	s_cbranch_execnz .LBB89_65
; %bb.66:                               ;   in Loop: Header=BB89_11 Depth=1
	s_or_b32 exec_lo, exec_lo, s13
.LBB89_67:                              ;   in Loop: Header=BB89_11 Depth=1
	s_wait_alu 0xfffe
	s_or_b32 exec_lo, exec_lo, s12
	v_lshlrev_b32_e32 v6, 7, v29
	s_and_saveexec_b32 s7, s1
	s_cbranch_execnz .LBB89_41
	s_branch .LBB89_42
.LBB89_68:                              ;   in Loop: Header=BB89_11 Depth=1
	v_mov_b32_e32 v1, 0
	s_mov_b32 s8, 0
	s_and_not1_b32 vcc_lo, exec_lo, s63
	s_wait_alu 0xfffe
	s_cbranch_vccnz .LBB89_71
.LBB89_69:                              ;   in Loop: Header=BB89_11 Depth=1
	v_lshlrev_b32_e32 v2, 9, v29
	s_lshl_b32 s8, s8, 4
	s_wait_alu 0xfffe
	s_delay_alu instid0(VALU_DEP_1)
	v_add3_u32 v2, v2, s8, v28
	s_mov_b32 s8, s60
.LBB89_70:                              ;   Parent Loop BB89_11 Depth=1
                                        ; =>  This Inner Loop Header: Depth=2
	ds_load_b32 v3, v2
	v_add_nc_u32_e32 v2, 16, v2
	s_wait_alu 0xfffe
	s_add_co_i32 s8, s8, -1
	s_wait_alu 0xfffe
	s_cmp_lg_u32 s8, 0
	s_wait_dscnt 0x0
	v_add_nc_u32_e32 v1, v3, v1
	s_cbranch_scc1 .LBB89_70
.LBB89_71:                              ;   in Loop: Header=BB89_11 Depth=1
	v_add_lshl_u32 v2, v6, v16, 2
	ds_store_b32 v2, v1 offset:3072
.LBB89_72:                              ;   in Loop: Header=BB89_11 Depth=1
	s_wait_alu 0xfffe
	s_or_b32 exec_lo, exec_lo, s7
	v_lshlrev_b32_e32 v1, 2, v6
	s_wait_loadcnt_dscnt 0x0
	s_barrier_signal -1
	s_barrier_wait -1
	global_inv scope:SCOPE_SE
	ds_load_b128 v[1:4], v1 offset:3072
	s_lshl_b32 s8, 3, s75
	v_cmp_eq_u32_e32 vcc_lo, 1, v31
	s_wait_alu 0xfffe
	s_not_b32 s15, s8
	s_mov_b32 s11, -1
	s_mov_b32 s19, -1
                                        ; implicit-def: $sgpr16
                                        ; implicit-def: $sgpr13
	s_wait_dscnt 0x0
	v_readfirstlane_b32 s10, v1
	v_readfirstlane_b32 s17, v2
	;; [unrolled: 1-line block ×4, first 2 shown]
	s_cmp_eq_u32 s10, 1
	s_cselect_b32 s9, -1, 0
	s_wait_alu 0xfffe
	s_and_b32 s12, s9, vcc_lo
	s_wait_alu 0xfffe
	s_and_saveexec_b32 s9, s12
	s_cbranch_execz .LBB89_98
; %bb.73:                               ;   in Loop: Header=BB89_11 Depth=1
	ds_load_b32 v1, v7 offset:4104
	s_wait_loadcnt_dscnt 0x0
	s_barrier_signal -1
	s_barrier_wait -1
	global_inv scope:SCOPE_SE
	v_readfirstlane_b32 s19, v1
	s_and_saveexec_b32 s13, s3
; %bb.74:                               ;   in Loop: Header=BB89_11 Depth=1
	ds_store_b32 v18, v7
; %bb.75:                               ;   in Loop: Header=BB89_11 Depth=1
	s_wait_alu 0xfffe
	s_or_b32 exec_lo, exec_lo, s13
	v_and_b32_e32 v22, s15, v22
	v_or_b32_e32 v30, s8, v30
	s_mov_b32 s13, -1
	s_mov_b32 s16, 0
	s_cmp_eq_u32 s19, 0
	s_mov_b32 s18, 0
	s_mov_b32 s20, -1
	s_wait_loadcnt_dscnt 0x0
	s_barrier_signal -1
	s_barrier_wait -1
	global_inv scope:SCOPE_SE
                                        ; implicit-def: $vgpr15
	s_cbranch_scc1 .LBB89_86
; %bb.76:                               ;   in Loop: Header=BB89_11 Depth=1
	s_add_co_i32 s48, s19, s35
                                        ; implicit-def: $vgpr15
	s_wait_alu 0xfffe
	s_mul_u64 s[20:21], s[48:49], s[52:53]
	s_wait_alu 0xfffe
	s_mul_i32 s18, s21, s29
	s_mov_b32 s21, exec_lo
	s_wait_alu 0xfffe
	s_sub_co_i32 s18, s48, s18
	s_wait_alu 0xfffe
	s_sub_co_i32 s20, s18, s29
	s_cmp_ge_u32 s18, s29
	s_wait_alu 0xfffe
	s_cselect_b32 s18, s20, s18
	s_wait_alu 0xfffe
	s_sub_co_i32 s20, s18, s29
	s_cmp_ge_u32 s18, s29
	s_wait_alu 0xfffe
	s_cselect_b32 s18, s20, s18
	s_mov_b32 s20, 0
	s_wait_alu 0xfffe
	s_sub_co_i32 s22, s48, s18
	s_mov_b32 s18, 0
	s_wait_alu 0xfffe
	v_cmpx_gt_u32_e64 s22, v0
	s_cbranch_execz .LBB89_85
; %bb.77:                               ;   in Loop: Header=BB89_11 Depth=1
	v_dual_mov_b32 v1, v17 :: v_dual_mov_b32 v2, v0
                                        ; implicit-def: $sgpr23
	s_branch .LBB89_80
.LBB89_78:                              ;   in Loop: Header=BB89_80 Depth=2
	s_wait_alu 0xfffe
	s_or_b32 exec_lo, exec_lo, s24
	s_wait_loadcnt_dscnt 0x0
	s_barrier_signal -1
	s_barrier_wait -1
	global_inv scope:SCOPE_SE
	ds_load_b64 v[14:15], v7 offset:3072
	s_mov_b32 s24, -1
	s_mov_b32 s25, -1
	s_wait_loadcnt_dscnt 0x0
	s_barrier_signal -1
	s_barrier_wait -1
	global_inv scope:SCOPE_SE
	v_cmp_ne_u32_e32 vcc_lo, 0, v14
	s_cbranch_vccz .LBB89_83
.LBB89_79:                              ;   in Loop: Header=BB89_80 Depth=2
	s_wait_alu 0xfffe
	s_and_b32 s24, exec_lo, s24
	s_wait_alu 0xfffe
	s_or_b32 s18, s24, s18
	s_and_not1_b32 s23, s23, exec_lo
	s_and_b32 s24, s25, exec_lo
	s_wait_alu 0xfffe
	s_or_b32 s23, s23, s24
	s_and_not1_b32 exec_lo, exec_lo, s18
	s_cbranch_execz .LBB89_84
.LBB89_80:                              ;   Parent Loop BB89_11 Depth=1
                                        ; =>  This Inner Loop Header: Depth=2
	s_mov_b32 s24, exec_lo
	s_delay_alu instid0(VALU_DEP_1)
	v_cmpx_gt_u32_e64 s19, v2
	s_cbranch_execz .LBB89_78
; %bb.81:                               ;   in Loop: Header=BB89_80 Depth=2
	ds_load_b32 v14, v1
	s_wait_dscnt 0x0
	v_xor_b32_e32 v3, 0x80000000, v14
	s_delay_alu instid0(VALU_DEP_1) | instskip(NEXT) | instid1(VALU_DEP_1)
	v_and_b32_e32 v3, v3, v30
	v_cmp_eq_u32_e32 vcc_lo, v3, v22
	s_and_b32 exec_lo, exec_lo, vcc_lo
	s_cbranch_execz .LBB89_78
; %bb.82:                               ;   in Loop: Header=BB89_80 Depth=2
	ds_store_b64 v7, v[13:14] offset:3072
	s_branch .LBB89_78
.LBB89_83:                              ;   in Loop: Header=BB89_80 Depth=2
	v_add_nc_u32_e32 v2, s29, v2
	v_add_nc_u32_e32 v1, s31, v1
	s_mov_b32 s25, 0
	s_delay_alu instid0(VALU_DEP_2)
	v_cmp_le_u32_e32 vcc_lo, s22, v2
	s_or_not1_b32 s24, vcc_lo, exec_lo
	s_branch .LBB89_79
.LBB89_84:                              ;   in Loop: Header=BB89_11 Depth=1
	s_or_b32 exec_lo, exec_lo, s18
	s_wait_alu 0xfffe
	s_and_b32 s18, s23, exec_lo
.LBB89_85:                              ;   in Loop: Header=BB89_11 Depth=1
	s_or_b32 exec_lo, exec_lo, s21
.LBB89_86:                              ;   in Loop: Header=BB89_11 Depth=1
	s_wait_alu 0xfffe
	s_and_b32 vcc_lo, exec_lo, s20
	s_wait_alu 0xfffe
	s_cbranch_vccz .LBB89_97
; %bb.87:                               ;   in Loop: Header=BB89_11 Depth=1
                                        ; implicit-def: $vgpr15
	s_and_saveexec_b32 s13, s6
	s_cbranch_execz .LBB89_96
; %bb.88:                               ;   in Loop: Header=BB89_11 Depth=1
	v_dual_mov_b32 v6, v5 :: v_dual_mov_b32 v1, v0
	s_mov_b32 s16, 0
                                        ; implicit-def: $sgpr19
	s_branch .LBB89_91
.LBB89_89:                              ;   in Loop: Header=BB89_91 Depth=2
	s_wait_alu 0xfffe
	s_or_b32 exec_lo, exec_lo, s20
	s_wait_loadcnt_dscnt 0x0
	s_barrier_signal -1
	s_barrier_wait -1
	global_inv scope:SCOPE_SE
	ds_load_b64 v[14:15], v7 offset:3072
	s_mov_b32 s20, -1
	s_mov_b32 s21, -1
	s_wait_loadcnt_dscnt 0x0
	s_barrier_signal -1
	s_barrier_wait -1
	global_inv scope:SCOPE_SE
	v_cmp_ne_u32_e32 vcc_lo, 0, v14
	s_cbranch_vccz .LBB89_94
.LBB89_90:                              ;   in Loop: Header=BB89_91 Depth=2
	s_wait_alu 0xfffe
	s_and_b32 s20, exec_lo, s20
	s_wait_alu 0xfffe
	s_or_b32 s16, s20, s16
	s_and_not1_b32 s19, s19, exec_lo
	s_and_b32 s20, s21, exec_lo
	s_wait_alu 0xfffe
	s_or_b32 s19, s19, s20
	s_and_not1_b32 exec_lo, exec_lo, s16
	s_cbranch_execz .LBB89_95
.LBB89_91:                              ;   Parent Loop BB89_11 Depth=1
                                        ; =>  This Inner Loop Header: Depth=2
	s_mov_b32 s20, exec_lo
	s_delay_alu instid0(VALU_DEP_1)
	v_cmpx_gt_u32_e64 s28, v1
	s_cbranch_execz .LBB89_89
; %bb.92:                               ;   in Loop: Header=BB89_91 Depth=2
	v_lshlrev_b64_e32 v[2:3], 2, v[6:7]
	s_delay_alu instid0(VALU_DEP_1) | instskip(SKIP_1) | instid1(VALU_DEP_2)
	v_add_co_u32 v2, vcc_lo, s40, v2
	s_wait_alu 0xfffd
	v_add_co_ci_u32_e64 v3, null, s41, v3, vcc_lo
	global_load_b32 v14, v[2:3], off
	s_wait_loadcnt 0x0
	v_xor_b32_e32 v2, 0x80000000, v14
	s_delay_alu instid0(VALU_DEP_1) | instskip(NEXT) | instid1(VALU_DEP_1)
	v_and_b32_e32 v2, v2, v30
	v_cmp_eq_u32_e32 vcc_lo, v2, v22
	s_and_b32 exec_lo, exec_lo, vcc_lo
	s_cbranch_execz .LBB89_89
; %bb.93:                               ;   in Loop: Header=BB89_91 Depth=2
	ds_store_b64 v7, v[13:14] offset:3072
	s_branch .LBB89_89
.LBB89_94:                              ;   in Loop: Header=BB89_91 Depth=2
	v_add_nc_u32_e32 v1, s29, v1
	v_add_nc_u32_e32 v6, s46, v6
	s_mov_b32 s21, 0
	s_delay_alu instid0(VALU_DEP_2)
	v_cmp_le_u32_e32 vcc_lo, s65, v1
	s_or_not1_b32 s20, vcc_lo, exec_lo
	s_branch .LBB89_90
.LBB89_95:                              ;   in Loop: Header=BB89_11 Depth=1
	s_or_b32 exec_lo, exec_lo, s16
	s_delay_alu instid0(SALU_CYCLE_1)
	s_and_not1_b32 s16, s18, exec_lo
	s_wait_alu 0xfffe
	s_and_b32 s18, s19, exec_lo
	s_wait_alu 0xfffe
	s_or_b32 s18, s16, s18
.LBB89_96:                              ;   in Loop: Header=BB89_11 Depth=1
	s_wait_alu 0xfffe
	s_or_b32 exec_lo, exec_lo, s13
	s_mov_b32 s13, 0
	s_mov_b32 s16, -1
.LBB89_97:                              ;   in Loop: Header=BB89_11 Depth=1
	s_or_not1_b32 s19, s18, exec_lo
.LBB89_98:                              ;   in Loop: Header=BB89_11 Depth=1
	s_wait_alu 0xfffe
	s_or_b32 exec_lo, exec_lo, s9
	v_readfirstlane_b32 s18, v0
	s_and_not1_b32 s9, s73, exec_lo
	s_and_b32 s16, s16, exec_lo
	s_and_not1_b32 s20, s71, exec_lo
	s_and_b32 s13, s13, exec_lo
	s_and_not1_b32 s70, s70, exec_lo
	s_wait_alu 0xfffe
	s_or_b32 s73, s9, s16
	s_or_b32 s71, s20, s13
                                        ; implicit-def: $vgpr2
	s_and_saveexec_b32 s9, s19
	s_cbranch_execz .LBB89_10
; %bb.99:                               ;   in Loop: Header=BB89_11 Depth=1
	v_dual_mov_b32 v2, 1 :: v_dual_mov_b32 v1, 1
	s_xor_b32 s12, s12, -1
	s_mov_b32 s18, 0
	s_wait_alu 0xfffe
	s_and_saveexec_b32 s11, s12
	s_cbranch_execz .LBB89_108
; %bb.100:                              ;   in Loop: Header=BB89_11 Depth=1
	s_mov_b32 s12, exec_lo
	v_cmpx_ge_u32_e64 s10, v31
	s_wait_alu 0xfffe
	s_xor_b32 s12, exec_lo, s12
	s_cbranch_execz .LBB89_105
; %bb.101:                              ;   in Loop: Header=BB89_11 Depth=1
	ds_load_b32 v1, v7 offset:4104
	v_and_b32_e32 v22, s15, v22
	v_or_b32_e32 v30, s8, v30
	s_wait_dscnt 0x0
	v_cmp_ne_u32_e32 vcc_lo, 0, v1
	s_cbranch_vccnz .LBB89_105
; %bb.102:                              ;   in Loop: Header=BB89_11 Depth=1
	s_and_saveexec_b32 s13, s2
; %bb.103:                              ;   in Loop: Header=BB89_11 Depth=1
	v_mov_b32_e32 v1, s10
	ds_store_b32 v7, v1 offset:4108
; %bb.104:                              ;   in Loop: Header=BB89_11 Depth=1
	s_wait_alu 0xfffe
	s_or_b32 exec_lo, exec_lo, s13
	s_wait_loadcnt_dscnt 0x0
	s_barrier_signal -1
	s_barrier_wait -1
	global_inv scope:SCOPE_SE
.LBB89_105:                             ;   in Loop: Header=BB89_11 Depth=1
	s_wait_alu 0xfffe
	s_or_saveexec_b32 s12, s12
	v_mov_b32_e32 v1, 8
	s_mov_b32 s13, 0
	s_wait_alu 0xfffe
	s_xor_b32 exec_lo, exec_lo, s12
; %bb.106:                              ;   in Loop: Header=BB89_11 Depth=1
	v_subrev_nc_u32_e32 v31, s10, v31
	v_mov_b32_e32 v1, 0
	s_mov_b32 s13, exec_lo
; %bb.107:                              ;   in Loop: Header=BB89_11 Depth=1
	s_or_b32 exec_lo, exec_lo, s12
	s_delay_alu instid0(VALU_DEP_2)
	v_mov_b32_e32 v2, v31
	s_wait_alu 0xfffe
	s_and_b32 s18, s13, exec_lo
.LBB89_108:                             ;   in Loop: Header=BB89_11 Depth=1
	s_wait_alu 0xfffe
	s_or_b32 exec_lo, exec_lo, s11
	s_mov_b32 s10, -1
	s_mov_b32 s16, -1
                                        ; implicit-def: $sgpr12
                                        ; implicit-def: $sgpr13
	s_and_saveexec_b32 s11, s18
	s_wait_alu 0xfffe
	s_xor_b32 s11, exec_lo, s11
	s_cbranch_execz .LBB89_228
; %bb.109:                              ;   in Loop: Header=BB89_11 Depth=1
	v_cmp_eq_u32_e32 vcc_lo, 1, v2
	s_cmp_eq_u32 s17, 1
	s_mov_b32 s19, -1
	s_cselect_b32 s12, -1, 0
                                        ; implicit-def: $sgpr13
	s_wait_alu 0xfffe
	s_and_b32 s18, s12, vcc_lo
                                        ; implicit-def: $sgpr12
	s_wait_alu 0xfffe
	s_and_saveexec_b32 s16, s18
	s_cbranch_execz .LBB89_138
; %bb.110:                              ;   in Loop: Header=BB89_11 Depth=1
	ds_load_b32 v3, v7 offset:4104
	s_wait_loadcnt_dscnt 0x0
	s_barrier_signal -1
	s_barrier_wait -1
	global_inv scope:SCOPE_SE
	v_readfirstlane_b32 s20, v3
	s_and_saveexec_b32 s12, s3
; %bb.111:                              ;   in Loop: Header=BB89_11 Depth=1
	ds_store_b32 v18, v7
; %bb.112:                              ;   in Loop: Header=BB89_11 Depth=1
	s_wait_alu 0xfffe
	s_or_b32 exec_lo, exec_lo, s12
	s_lshl_b32 s12, 1, s75
	v_or_b32_e32 v30, s8, v30
	s_wait_alu 0xfffe
	v_and_or_b32 v22, v22, s15, s12
	s_mov_b32 s12, -1
	s_mov_b32 s13, 0
	s_cmp_eq_u32 s20, 0
	s_mov_b32 s19, 0
	s_mov_b32 s21, -1
	s_wait_loadcnt_dscnt 0x0
	s_barrier_signal -1
	s_barrier_wait -1
	global_inv scope:SCOPE_SE
                                        ; implicit-def: $vgpr15
	s_cbranch_scc1 .LBB89_126
; %bb.113:                              ;   in Loop: Header=BB89_11 Depth=1
	s_add_co_i32 s48, s20, s35
                                        ; implicit-def: $vgpr15
	s_wait_alu 0xfffe
	s_mul_u64 s[22:23], s[48:49], s[52:53]
	s_mov_b32 s22, exec_lo
	s_wait_alu 0xfffe
	s_mul_i32 s19, s23, s29
	s_wait_alu 0xfffe
	s_sub_co_i32 s19, s48, s19
	s_wait_alu 0xfffe
	s_sub_co_i32 s21, s19, s29
	s_cmp_ge_u32 s19, s29
	s_wait_alu 0xfffe
	s_cselect_b32 s19, s21, s19
	s_wait_alu 0xfffe
	s_sub_co_i32 s21, s19, s29
	s_cmp_ge_u32 s19, s29
	s_wait_alu 0xfffe
	s_cselect_b32 s19, s21, s19
	s_mov_b32 s21, 0
	s_wait_alu 0xfffe
	s_sub_co_i32 s23, s48, s19
	s_mov_b32 s19, 0
	s_wait_alu 0xfffe
	v_cmpx_gt_u32_e64 s23, v0
	s_cbranch_execz .LBB89_125
; %bb.114:                              ;   in Loop: Header=BB89_11 Depth=1
	v_dual_mov_b32 v3, v17 :: v_dual_mov_b32 v4, v0
                                        ; implicit-def: $sgpr24
	s_branch .LBB89_117
.LBB89_115:                             ;   in Loop: Header=BB89_117 Depth=2
	s_wait_alu 0xfffe
	s_or_b32 exec_lo, exec_lo, s25
	s_wait_loadcnt_dscnt 0x0
	s_barrier_signal -1
	s_barrier_wait -1
	global_inv scope:SCOPE_SE
	ds_load_b64 v[14:15], v7 offset:3072
	s_mov_b32 s25, -1
	s_mov_b32 s26, -1
	s_wait_loadcnt_dscnt 0x0
	s_barrier_signal -1
	s_barrier_wait -1
	global_inv scope:SCOPE_SE
	v_cmp_ne_u32_e32 vcc_lo, 0, v14
	s_cbranch_vccz .LBB89_120
.LBB89_116:                             ;   in Loop: Header=BB89_117 Depth=2
	s_wait_alu 0xfffe
	s_and_b32 s25, exec_lo, s25
	s_wait_alu 0xfffe
	s_or_b32 s19, s25, s19
	s_and_not1_b32 s24, s24, exec_lo
	s_and_b32 s25, s26, exec_lo
	s_wait_alu 0xfffe
	s_or_b32 s24, s24, s25
	s_and_not1_b32 exec_lo, exec_lo, s19
	s_cbranch_execz .LBB89_124
.LBB89_117:                             ;   Parent Loop BB89_11 Depth=1
                                        ; =>  This Inner Loop Header: Depth=2
	s_mov_b32 s25, exec_lo
	s_delay_alu instid0(VALU_DEP_1)
	v_cmpx_gt_u32_e64 s20, v4
	s_cbranch_execz .LBB89_115
; %bb.118:                              ;   in Loop: Header=BB89_117 Depth=2
	ds_load_b32 v14, v3
	s_wait_dscnt 0x0
	v_xor_b32_e32 v6, 0x80000000, v14
	s_delay_alu instid0(VALU_DEP_1) | instskip(NEXT) | instid1(VALU_DEP_1)
	v_and_b32_e32 v6, v6, v30
	v_cmp_eq_u32_e32 vcc_lo, v6, v22
	s_and_b32 exec_lo, exec_lo, vcc_lo
	s_cbranch_execz .LBB89_115
; %bb.119:                              ;   in Loop: Header=BB89_117 Depth=2
	ds_store_b64 v7, v[13:14] offset:3072
	s_branch .LBB89_115
.LBB89_120:                             ;   in Loop: Header=BB89_117 Depth=2
	v_add_nc_u32_e32 v4, s29, v4
	v_add_nc_u32_e32 v3, s31, v3
	s_mov_b32 s26, 0
	s_delay_alu instid0(VALU_DEP_2)
	v_cmp_le_u32_e32 vcc_lo, s23, v4
	s_or_not1_b32 s25, vcc_lo, exec_lo
	s_branch .LBB89_116
.LBB89_121:                             ;   in Loop: Header=BB89_11 Depth=1
	s_wait_alu 0xfffe
	s_or_b32 exec_lo, exec_lo, s10
	s_wait_loadcnt_dscnt 0x0
	s_barrier_signal -1
	s_barrier_wait -1
	global_inv scope:SCOPE_SE
	s_and_saveexec_b32 s7, s2
	s_cbranch_execz .LBB89_123
; %bb.122:                              ;   in Loop: Header=BB89_11 Depth=1
	ds_load_b32 v1, v7 offset:4112
	s_wait_dscnt 0x0
	ds_store_b32 v7, v1 offset:4104
.LBB89_123:                             ;   in Loop: Header=BB89_11 Depth=1
	s_wait_alu 0xfffe
	s_or_b32 exec_lo, exec_lo, s7
	s_wait_loadcnt_dscnt 0x0
	s_barrier_signal -1
	s_mov_b32 s7, -1
	s_barrier_wait -1
	s_and_b32 vcc_lo, exec_lo, s9
	s_wait_alu 0xfffe
	s_cbranch_vccnz .LBB89_27
	s_branch .LBB89_36
.LBB89_124:                             ;   in Loop: Header=BB89_11 Depth=1
	s_or_b32 exec_lo, exec_lo, s19
	s_wait_alu 0xfffe
	s_and_b32 s19, s24, exec_lo
.LBB89_125:                             ;   in Loop: Header=BB89_11 Depth=1
	s_or_b32 exec_lo, exec_lo, s22
.LBB89_126:                             ;   in Loop: Header=BB89_11 Depth=1
	s_wait_alu 0xfffe
	s_and_b32 vcc_lo, exec_lo, s21
	s_wait_alu 0xfffe
	s_cbranch_vccz .LBB89_137
; %bb.127:                              ;   in Loop: Header=BB89_11 Depth=1
                                        ; implicit-def: $vgpr15
	s_and_saveexec_b32 s12, s6
	s_cbranch_execz .LBB89_136
; %bb.128:                              ;   in Loop: Header=BB89_11 Depth=1
	v_dual_mov_b32 v6, v5 :: v_dual_mov_b32 v3, v0
	s_mov_b32 s13, 0
                                        ; implicit-def: $sgpr20
	s_branch .LBB89_131
.LBB89_129:                             ;   in Loop: Header=BB89_131 Depth=2
	s_wait_alu 0xfffe
	s_or_b32 exec_lo, exec_lo, s21
	s_wait_loadcnt_dscnt 0x0
	s_barrier_signal -1
	s_barrier_wait -1
	global_inv scope:SCOPE_SE
	ds_load_b64 v[14:15], v7 offset:3072
	s_mov_b32 s21, -1
	s_mov_b32 s22, -1
	s_wait_loadcnt_dscnt 0x0
	s_barrier_signal -1
	s_barrier_wait -1
	global_inv scope:SCOPE_SE
	v_cmp_eq_u32_e32 vcc_lo, 0, v14
	s_cbranch_vccnz .LBB89_134
.LBB89_130:                             ;   in Loop: Header=BB89_131 Depth=2
	s_wait_alu 0xfffe
	s_and_b32 s21, exec_lo, s21
	s_wait_alu 0xfffe
	s_or_b32 s13, s21, s13
	s_and_not1_b32 s20, s20, exec_lo
	s_and_b32 s21, s22, exec_lo
	s_wait_alu 0xfffe
	s_or_b32 s20, s20, s21
	s_and_not1_b32 exec_lo, exec_lo, s13
	s_cbranch_execz .LBB89_135
.LBB89_131:                             ;   Parent Loop BB89_11 Depth=1
                                        ; =>  This Inner Loop Header: Depth=2
	s_mov_b32 s21, exec_lo
	s_delay_alu instid0(VALU_DEP_1)
	v_cmpx_gt_u32_e64 s28, v3
	s_cbranch_execz .LBB89_129
; %bb.132:                              ;   in Loop: Header=BB89_131 Depth=2
	v_lshlrev_b64_e32 v[14:15], 2, v[6:7]
	s_delay_alu instid0(VALU_DEP_1) | instskip(SKIP_1) | instid1(VALU_DEP_2)
	v_add_co_u32 v14, vcc_lo, s40, v14
	s_wait_alu 0xfffd
	v_add_co_ci_u32_e64 v15, null, s41, v15, vcc_lo
	global_load_b32 v14, v[14:15], off
	s_wait_loadcnt 0x0
	v_xor_b32_e32 v4, 0x80000000, v14
	s_delay_alu instid0(VALU_DEP_1) | instskip(NEXT) | instid1(VALU_DEP_1)
	v_and_b32_e32 v4, v4, v30
	v_cmp_eq_u32_e32 vcc_lo, v4, v22
	s_and_b32 exec_lo, exec_lo, vcc_lo
	s_cbranch_execz .LBB89_129
; %bb.133:                              ;   in Loop: Header=BB89_131 Depth=2
	ds_store_b64 v7, v[13:14] offset:3072
	s_branch .LBB89_129
.LBB89_134:                             ;   in Loop: Header=BB89_131 Depth=2
	v_add_nc_u32_e32 v3, s29, v3
	v_add_nc_u32_e32 v6, s46, v6
	s_mov_b32 s22, 0
	s_delay_alu instid0(VALU_DEP_2)
	v_cmp_le_u32_e32 vcc_lo, s65, v3
	s_or_not1_b32 s21, vcc_lo, exec_lo
	s_branch .LBB89_130
.LBB89_135:                             ;   in Loop: Header=BB89_11 Depth=1
	s_or_b32 exec_lo, exec_lo, s13
	s_delay_alu instid0(SALU_CYCLE_1)
	s_and_not1_b32 s13, s19, exec_lo
	s_wait_alu 0xfffe
	s_and_b32 s19, s20, exec_lo
	s_wait_alu 0xfffe
	s_or_b32 s19, s13, s19
.LBB89_136:                             ;   in Loop: Header=BB89_11 Depth=1
	s_wait_alu 0xfffe
	s_or_b32 exec_lo, exec_lo, s12
	s_mov_b32 s12, 0
	s_mov_b32 s13, -1
.LBB89_137:                             ;   in Loop: Header=BB89_11 Depth=1
	s_or_not1_b32 s19, s19, exec_lo
.LBB89_138:                             ;   in Loop: Header=BB89_11 Depth=1
	s_wait_alu 0xfffe
	s_or_b32 exec_lo, exec_lo, s16
	s_mov_b32 s20, 0
	s_and_saveexec_b32 s16, s19
	s_cbranch_execz .LBB89_227
; %bb.139:                              ;   in Loop: Header=BB89_11 Depth=1
	v_mov_b32_e32 v3, 1
	v_mov_b32_e32 v1, 1
	s_xor_b32 s19, s18, -1
	s_mov_b32 s21, 0
	s_wait_alu 0xfffe
	s_and_saveexec_b32 s18, s19
	s_cbranch_execz .LBB89_148
; %bb.140:                              ;   in Loop: Header=BB89_11 Depth=1
	s_mov_b32 s19, exec_lo
	v_cmpx_ge_u32_e64 s17, v2
	s_wait_alu 0xfffe
	s_xor_b32 s19, exec_lo, s19
	s_cbranch_execz .LBB89_145
; %bb.141:                              ;   in Loop: Header=BB89_11 Depth=1
	ds_load_b32 v1, v7 offset:4104
	s_lshl_b32 s20, 1, s75
	v_or_b32_e32 v30, s8, v30
	s_wait_alu 0xfffe
	v_and_or_b32 v22, v22, s15, s20
	s_wait_dscnt 0x0
	v_cmp_ne_u32_e32 vcc_lo, 0, v1
	s_cbranch_vccnz .LBB89_145
; %bb.142:                              ;   in Loop: Header=BB89_11 Depth=1
	s_and_saveexec_b32 s20, s2
; %bb.143:                              ;   in Loop: Header=BB89_11 Depth=1
	v_mov_b32_e32 v1, s17
	ds_store_b32 v7, v1 offset:4108
; %bb.144:                              ;   in Loop: Header=BB89_11 Depth=1
	s_wait_alu 0xfffe
	s_or_b32 exec_lo, exec_lo, s20
	s_wait_loadcnt_dscnt 0x0
	s_barrier_signal -1
	s_barrier_wait -1
	global_inv scope:SCOPE_SE
.LBB89_145:                             ;   in Loop: Header=BB89_11 Depth=1
	s_wait_alu 0xfffe
	s_or_saveexec_b32 s19, s19
	v_mov_b32_e32 v1, 8
	s_mov_b32 s20, 0
	s_wait_alu 0xfffe
	s_xor_b32 exec_lo, exec_lo, s19
; %bb.146:                              ;   in Loop: Header=BB89_11 Depth=1
	v_subrev_nc_u32_e32 v2, s17, v2
	v_mov_b32_e32 v1, 0
	s_mov_b32 s20, exec_lo
; %bb.147:                              ;   in Loop: Header=BB89_11 Depth=1
	s_or_b32 exec_lo, exec_lo, s19
	s_delay_alu instid0(VALU_DEP_2)
	v_mov_b32_e32 v3, v2
	s_wait_alu 0xfffe
	s_and_b32 s21, s20, exec_lo
.LBB89_148:                             ;   in Loop: Header=BB89_11 Depth=1
	s_wait_alu 0xfffe
	s_or_b32 exec_lo, exec_lo, s18
	s_mov_b32 s20, -1
                                        ; implicit-def: $sgpr18
                                        ; implicit-def: $sgpr19
	s_and_saveexec_b32 s17, s21
	s_cbranch_execz .LBB89_226
; %bb.149:                              ;   in Loop: Header=BB89_11 Depth=1
	v_cmp_eq_u32_e32 vcc_lo, 1, v3
	s_cmp_eq_u32 s14, 1
	s_mov_b32 s22, -1
	s_cselect_b32 s18, -1, 0
                                        ; implicit-def: $sgpr19
	s_wait_alu 0xfffe
	s_and_b32 s21, s18, vcc_lo
                                        ; implicit-def: $sgpr18
	s_wait_alu 0xfffe
	s_and_saveexec_b32 s20, s21
	s_cbranch_execz .LBB89_175
; %bb.150:                              ;   in Loop: Header=BB89_11 Depth=1
	ds_load_b32 v2, v7 offset:4104
	s_wait_loadcnt_dscnt 0x0
	s_barrier_signal -1
	s_barrier_wait -1
	global_inv scope:SCOPE_SE
	v_readfirstlane_b32 s23, v2
	s_and_saveexec_b32 s18, s3
; %bb.151:                              ;   in Loop: Header=BB89_11 Depth=1
	ds_store_b32 v18, v7
; %bb.152:                              ;   in Loop: Header=BB89_11 Depth=1
	s_wait_alu 0xfffe
	s_or_b32 exec_lo, exec_lo, s18
	s_lshl_b32 s18, 2, s75
	v_or_b32_e32 v30, s8, v30
	s_wait_alu 0xfffe
	v_and_or_b32 v22, v22, s15, s18
	s_mov_b32 s18, -1
	s_mov_b32 s19, 0
	s_cmp_eq_u32 s23, 0
	s_mov_b32 s22, 0
	s_mov_b32 s24, -1
	s_wait_loadcnt_dscnt 0x0
	s_barrier_signal -1
	s_barrier_wait -1
	global_inv scope:SCOPE_SE
                                        ; implicit-def: $vgpr15
	s_cbranch_scc1 .LBB89_163
; %bb.153:                              ;   in Loop: Header=BB89_11 Depth=1
	s_add_co_i32 s48, s23, s35
                                        ; implicit-def: $vgpr15
	s_wait_alu 0xfffe
	s_mul_u64 s[24:25], s[48:49], s[52:53]
	s_wait_alu 0xfffe
	s_mul_i32 s22, s25, s29
	s_mov_b32 s25, exec_lo
	s_wait_alu 0xfffe
	s_sub_co_i32 s22, s48, s22
	s_wait_alu 0xfffe
	s_sub_co_i32 s24, s22, s29
	s_cmp_ge_u32 s22, s29
	s_wait_alu 0xfffe
	s_cselect_b32 s22, s24, s22
	s_wait_alu 0xfffe
	s_sub_co_i32 s24, s22, s29
	s_cmp_ge_u32 s22, s29
	s_wait_alu 0xfffe
	s_cselect_b32 s22, s24, s22
	s_mov_b32 s24, 0
	s_wait_alu 0xfffe
	s_sub_co_i32 s26, s48, s22
	s_mov_b32 s22, 0
	s_wait_alu 0xfffe
	v_cmpx_gt_u32_e64 s26, v0
	s_cbranch_execz .LBB89_162
; %bb.154:                              ;   in Loop: Header=BB89_11 Depth=1
	v_mov_b32_e32 v2, v17
	v_mov_b32_e32 v4, v0
                                        ; implicit-def: $sgpr48
	s_branch .LBB89_157
.LBB89_155:                             ;   in Loop: Header=BB89_157 Depth=2
	s_wait_alu 0xfffe
	s_or_b32 exec_lo, exec_lo, s76
	s_wait_loadcnt_dscnt 0x0
	s_barrier_signal -1
	s_barrier_wait -1
	global_inv scope:SCOPE_SE
	ds_load_b64 v[14:15], v7 offset:3072
	s_mov_b32 s76, -1
	s_mov_b32 s77, -1
	s_wait_loadcnt_dscnt 0x0
	s_barrier_signal -1
	s_barrier_wait -1
	global_inv scope:SCOPE_SE
	v_cmp_ne_u32_e32 vcc_lo, 0, v14
	s_cbranch_vccz .LBB89_160
.LBB89_156:                             ;   in Loop: Header=BB89_157 Depth=2
	s_wait_alu 0xfffe
	s_and_b32 s76, exec_lo, s76
	s_wait_alu 0xfffe
	s_or_b32 s22, s76, s22
	s_and_not1_b32 s48, s48, exec_lo
	s_and_b32 s76, s77, exec_lo
	s_wait_alu 0xfffe
	s_or_b32 s48, s48, s76
	s_and_not1_b32 exec_lo, exec_lo, s22
	s_cbranch_execz .LBB89_161
.LBB89_157:                             ;   Parent Loop BB89_11 Depth=1
                                        ; =>  This Inner Loop Header: Depth=2
	s_mov_b32 s76, exec_lo
	s_delay_alu instid0(VALU_DEP_1)
	v_cmpx_gt_u32_e64 s23, v4
	s_cbranch_execz .LBB89_155
; %bb.158:                              ;   in Loop: Header=BB89_157 Depth=2
	ds_load_b32 v14, v2
	s_wait_dscnt 0x0
	v_xor_b32_e32 v6, 0x80000000, v14
	s_delay_alu instid0(VALU_DEP_1) | instskip(NEXT) | instid1(VALU_DEP_1)
	v_and_b32_e32 v6, v6, v30
	v_cmp_eq_u32_e32 vcc_lo, v6, v22
	s_and_b32 exec_lo, exec_lo, vcc_lo
	s_cbranch_execz .LBB89_155
; %bb.159:                              ;   in Loop: Header=BB89_157 Depth=2
	ds_store_b64 v7, v[13:14] offset:3072
	s_branch .LBB89_155
.LBB89_160:                             ;   in Loop: Header=BB89_157 Depth=2
	v_add_nc_u32_e32 v4, s29, v4
	v_add_nc_u32_e32 v2, s31, v2
	s_mov_b32 s77, 0
	s_delay_alu instid0(VALU_DEP_2)
	v_cmp_le_u32_e32 vcc_lo, s26, v4
	s_or_not1_b32 s76, vcc_lo, exec_lo
	s_branch .LBB89_156
.LBB89_161:                             ;   in Loop: Header=BB89_11 Depth=1
	s_or_b32 exec_lo, exec_lo, s22
	s_wait_alu 0xfffe
	s_and_b32 s22, s48, exec_lo
.LBB89_162:                             ;   in Loop: Header=BB89_11 Depth=1
	s_or_b32 exec_lo, exec_lo, s25
.LBB89_163:                             ;   in Loop: Header=BB89_11 Depth=1
	s_wait_alu 0xfffe
	s_and_b32 vcc_lo, exec_lo, s24
	s_wait_alu 0xfffe
	s_cbranch_vccz .LBB89_174
; %bb.164:                              ;   in Loop: Header=BB89_11 Depth=1
                                        ; implicit-def: $vgpr15
	s_and_saveexec_b32 s18, s6
	s_cbranch_execz .LBB89_173
; %bb.165:                              ;   in Loop: Header=BB89_11 Depth=1
	v_mov_b32_e32 v6, v5
	v_mov_b32_e32 v2, v0
	s_mov_b32 s19, 0
                                        ; implicit-def: $sgpr23
	s_branch .LBB89_168
.LBB89_166:                             ;   in Loop: Header=BB89_168 Depth=2
	s_wait_alu 0xfffe
	s_or_b32 exec_lo, exec_lo, s24
	s_wait_loadcnt_dscnt 0x0
	s_barrier_signal -1
	s_barrier_wait -1
	global_inv scope:SCOPE_SE
	ds_load_b64 v[14:15], v7 offset:3072
	s_mov_b32 s24, -1
	s_mov_b32 s25, -1
	s_wait_loadcnt_dscnt 0x0
	s_barrier_signal -1
	s_barrier_wait -1
	global_inv scope:SCOPE_SE
	v_cmp_eq_u32_e32 vcc_lo, 0, v14
	s_cbranch_vccnz .LBB89_171
.LBB89_167:                             ;   in Loop: Header=BB89_168 Depth=2
	s_wait_alu 0xfffe
	s_and_b32 s24, exec_lo, s24
	s_wait_alu 0xfffe
	s_or_b32 s19, s24, s19
	s_and_not1_b32 s23, s23, exec_lo
	s_and_b32 s24, s25, exec_lo
	s_wait_alu 0xfffe
	s_or_b32 s23, s23, s24
	s_and_not1_b32 exec_lo, exec_lo, s19
	s_cbranch_execz .LBB89_172
.LBB89_168:                             ;   Parent Loop BB89_11 Depth=1
                                        ; =>  This Inner Loop Header: Depth=2
	s_mov_b32 s24, exec_lo
	s_delay_alu instid0(VALU_DEP_1)
	v_cmpx_gt_u32_e64 s28, v2
	s_cbranch_execz .LBB89_166
; %bb.169:                              ;   in Loop: Header=BB89_168 Depth=2
	v_lshlrev_b64_e32 v[14:15], 2, v[6:7]
	s_delay_alu instid0(VALU_DEP_1) | instskip(SKIP_1) | instid1(VALU_DEP_2)
	v_add_co_u32 v14, vcc_lo, s40, v14
	s_wait_alu 0xfffd
	v_add_co_ci_u32_e64 v15, null, s41, v15, vcc_lo
	global_load_b32 v14, v[14:15], off
	s_wait_loadcnt 0x0
	v_xor_b32_e32 v4, 0x80000000, v14
	s_delay_alu instid0(VALU_DEP_1) | instskip(NEXT) | instid1(VALU_DEP_1)
	v_and_b32_e32 v4, v4, v30
	v_cmp_eq_u32_e32 vcc_lo, v4, v22
	s_and_b32 exec_lo, exec_lo, vcc_lo
	s_cbranch_execz .LBB89_166
; %bb.170:                              ;   in Loop: Header=BB89_168 Depth=2
	ds_store_b64 v7, v[13:14] offset:3072
	s_branch .LBB89_166
.LBB89_171:                             ;   in Loop: Header=BB89_168 Depth=2
	v_add_nc_u32_e32 v2, s29, v2
	v_add_nc_u32_e32 v6, s46, v6
	s_mov_b32 s25, 0
	s_delay_alu instid0(VALU_DEP_2)
	v_cmp_le_u32_e32 vcc_lo, s65, v2
	s_or_not1_b32 s24, vcc_lo, exec_lo
	s_branch .LBB89_167
.LBB89_172:                             ;   in Loop: Header=BB89_11 Depth=1
	s_or_b32 exec_lo, exec_lo, s19
	s_delay_alu instid0(SALU_CYCLE_1)
	s_and_not1_b32 s19, s22, exec_lo
	s_wait_alu 0xfffe
	s_and_b32 s22, s23, exec_lo
	s_wait_alu 0xfffe
	s_or_b32 s22, s19, s22
.LBB89_173:                             ;   in Loop: Header=BB89_11 Depth=1
	s_wait_alu 0xfffe
	s_or_b32 exec_lo, exec_lo, s18
	s_mov_b32 s18, 0
	s_mov_b32 s19, -1
.LBB89_174:                             ;   in Loop: Header=BB89_11 Depth=1
	s_or_not1_b32 s22, s22, exec_lo
.LBB89_175:                             ;   in Loop: Header=BB89_11 Depth=1
	s_wait_alu 0xfffe
	s_or_b32 exec_lo, exec_lo, s20
	s_mov_b32 s23, 0
	s_and_saveexec_b32 s20, s22
	s_cbranch_execz .LBB89_225
; %bb.176:                              ;   in Loop: Header=BB89_11 Depth=1
	v_dual_mov_b32 v2, 1 :: v_dual_mov_b32 v1, 1
	s_xor_b32 s22, s21, -1
	s_wait_alu 0xfffe
	s_and_saveexec_b32 s21, s22
	s_cbranch_execz .LBB89_185
; %bb.177:                              ;   in Loop: Header=BB89_11 Depth=1
	s_mov_b32 s22, exec_lo
	v_cmpx_ge_u32_e64 s14, v3
	s_wait_alu 0xfffe
	s_xor_b32 s22, exec_lo, s22
	s_cbranch_execz .LBB89_182
; %bb.178:                              ;   in Loop: Header=BB89_11 Depth=1
	ds_load_b32 v1, v7 offset:4104
	s_lshl_b32 s23, 2, s75
	v_or_b32_e32 v30, s8, v30
	s_wait_alu 0xfffe
	v_and_or_b32 v22, v22, s15, s23
	s_wait_dscnt 0x0
	v_cmp_ne_u32_e32 vcc_lo, 0, v1
	s_cbranch_vccnz .LBB89_182
; %bb.179:                              ;   in Loop: Header=BB89_11 Depth=1
	s_and_saveexec_b32 s15, s2
; %bb.180:                              ;   in Loop: Header=BB89_11 Depth=1
	v_mov_b32_e32 v1, s14
	ds_store_b32 v7, v1 offset:4108
; %bb.181:                              ;   in Loop: Header=BB89_11 Depth=1
	s_wait_alu 0xfffe
	s_or_b32 exec_lo, exec_lo, s15
	s_wait_loadcnt_dscnt 0x0
	s_barrier_signal -1
	s_barrier_wait -1
	global_inv scope:SCOPE_SE
.LBB89_182:                             ;   in Loop: Header=BB89_11 Depth=1
	s_wait_alu 0xfffe
	s_or_saveexec_b32 s15, s22
	v_mov_b32_e32 v1, 8
	s_mov_b32 s22, 0
	s_wait_alu 0xfffe
	s_xor_b32 exec_lo, exec_lo, s15
; %bb.183:                              ;   in Loop: Header=BB89_11 Depth=1
	v_subrev_nc_u32_e32 v3, s14, v3
	v_mov_b32_e32 v1, 0
	s_mov_b32 s22, exec_lo
; %bb.184:                              ;   in Loop: Header=BB89_11 Depth=1
	s_or_b32 exec_lo, exec_lo, s15
	s_delay_alu instid0(VALU_DEP_2)
	v_mov_b32_e32 v2, v3
	s_wait_alu 0xfffe
	s_and_b32 s23, s22, exec_lo
.LBB89_185:                             ;   in Loop: Header=BB89_11 Depth=1
	s_wait_alu 0xfffe
	s_or_b32 exec_lo, exec_lo, s21
	s_mov_b32 s15, -1
                                        ; implicit-def: $sgpr22
                                        ; implicit-def: $sgpr21
	s_and_saveexec_b32 s14, s23
	s_cbranch_execz .LBB89_224
; %bb.186:                              ;   in Loop: Header=BB89_11 Depth=1
	v_cmp_eq_u32_e32 vcc_lo, 1, v2
	s_cmp_eq_u32 s7, 1
	s_mov_b32 s24, -1
	s_cselect_b32 s15, -1, 0
                                        ; implicit-def: $sgpr22
                                        ; implicit-def: $sgpr21
	s_wait_alu 0xfffe
	s_and_b32 s15, s15, vcc_lo
	s_wait_alu 0xfffe
	s_and_saveexec_b32 s23, s15
	s_cbranch_execz .LBB89_212
; %bb.187:                              ;   in Loop: Header=BB89_11 Depth=1
	ds_load_b32 v3, v7 offset:4104
	s_wait_loadcnt_dscnt 0x0
	s_barrier_signal -1
	s_barrier_wait -1
	global_inv scope:SCOPE_SE
	v_readfirstlane_b32 s25, v3
	s_and_saveexec_b32 s21, s3
; %bb.188:                              ;   in Loop: Header=BB89_11 Depth=1
	ds_store_b32 v18, v7
; %bb.189:                              ;   in Loop: Header=BB89_11 Depth=1
	s_wait_alu 0xfffe
	s_or_b32 exec_lo, exec_lo, s21
	v_or_b32_e32 v22, s8, v22
	v_or_b32_e32 v30, s8, v30
	s_mov_b32 s21, -1
	s_mov_b32 s22, 0
	s_cmp_eq_u32 s25, 0
	s_mov_b32 s24, 0
	s_mov_b32 s26, -1
	s_wait_loadcnt_dscnt 0x0
	s_barrier_signal -1
	s_barrier_wait -1
	global_inv scope:SCOPE_SE
                                        ; implicit-def: $vgpr15
	s_cbranch_scc1 .LBB89_200
; %bb.190:                              ;   in Loop: Header=BB89_11 Depth=1
	s_add_co_i32 s48, s25, s35
                                        ; implicit-def: $vgpr15
	s_wait_alu 0xfffe
	s_mul_u64 s[76:77], s[48:49], s[52:53]
	s_wait_alu 0xfffe
	s_mul_i32 s24, s77, s29
	s_wait_alu 0xfffe
	s_sub_co_i32 s24, s48, s24
	s_wait_alu 0xfffe
	s_sub_co_i32 s26, s24, s29
	s_cmp_ge_u32 s24, s29
	s_wait_alu 0xfffe
	s_cselect_b32 s24, s26, s24
	s_wait_alu 0xfffe
	s_sub_co_i32 s26, s24, s29
	s_cmp_ge_u32 s24, s29
	s_wait_alu 0xfffe
	s_cselect_b32 s24, s26, s24
	s_mov_b32 s26, 0
	s_wait_alu 0xfffe
	s_sub_co_i32 s76, s48, s24
	s_mov_b32 s24, 0
	s_mov_b32 s48, exec_lo
	s_wait_alu 0xfffe
	v_cmpx_gt_u32_e64 s76, v0
	s_cbranch_execz .LBB89_199
; %bb.191:                              ;   in Loop: Header=BB89_11 Depth=1
	v_dual_mov_b32 v3, v17 :: v_dual_mov_b32 v4, v0
                                        ; implicit-def: $sgpr77
	s_branch .LBB89_194
.LBB89_192:                             ;   in Loop: Header=BB89_194 Depth=2
	s_wait_alu 0xfffe
	s_or_b32 exec_lo, exec_lo, s78
	s_wait_loadcnt_dscnt 0x0
	s_barrier_signal -1
	s_barrier_wait -1
	global_inv scope:SCOPE_SE
	ds_load_b64 v[14:15], v7 offset:3072
	s_mov_b32 s78, -1
	s_mov_b32 s79, -1
	s_wait_loadcnt_dscnt 0x0
	s_barrier_signal -1
	s_barrier_wait -1
	global_inv scope:SCOPE_SE
	v_cmp_ne_u32_e32 vcc_lo, 0, v14
	s_cbranch_vccz .LBB89_197
.LBB89_193:                             ;   in Loop: Header=BB89_194 Depth=2
	s_wait_alu 0xfffe
	s_and_b32 s78, exec_lo, s78
	s_wait_alu 0xfffe
	s_or_b32 s24, s78, s24
	s_and_not1_b32 s77, s77, exec_lo
	s_and_b32 s78, s79, exec_lo
	s_wait_alu 0xfffe
	s_or_b32 s77, s77, s78
	s_and_not1_b32 exec_lo, exec_lo, s24
	s_cbranch_execz .LBB89_198
.LBB89_194:                             ;   Parent Loop BB89_11 Depth=1
                                        ; =>  This Inner Loop Header: Depth=2
	s_mov_b32 s78, exec_lo
	s_delay_alu instid0(VALU_DEP_1)
	v_cmpx_gt_u32_e64 s25, v4
	s_cbranch_execz .LBB89_192
; %bb.195:                              ;   in Loop: Header=BB89_194 Depth=2
	ds_load_b32 v14, v3
	s_wait_dscnt 0x0
	v_xor_b32_e32 v6, 0x80000000, v14
	s_delay_alu instid0(VALU_DEP_1) | instskip(NEXT) | instid1(VALU_DEP_1)
	v_and_b32_e32 v6, v6, v30
	v_cmp_eq_u32_e32 vcc_lo, v6, v22
	s_and_b32 exec_lo, exec_lo, vcc_lo
	s_cbranch_execz .LBB89_192
; %bb.196:                              ;   in Loop: Header=BB89_194 Depth=2
	ds_store_b64 v7, v[13:14] offset:3072
	s_branch .LBB89_192
.LBB89_197:                             ;   in Loop: Header=BB89_194 Depth=2
	v_add_nc_u32_e32 v4, s29, v4
	v_add_nc_u32_e32 v3, s31, v3
	s_mov_b32 s79, 0
	s_delay_alu instid0(VALU_DEP_2)
	v_cmp_le_u32_e32 vcc_lo, s76, v4
	s_or_not1_b32 s78, vcc_lo, exec_lo
	s_branch .LBB89_193
.LBB89_198:                             ;   in Loop: Header=BB89_11 Depth=1
	s_or_b32 exec_lo, exec_lo, s24
	s_wait_alu 0xfffe
	s_and_b32 s24, s77, exec_lo
.LBB89_199:                             ;   in Loop: Header=BB89_11 Depth=1
	s_or_b32 exec_lo, exec_lo, s48
.LBB89_200:                             ;   in Loop: Header=BB89_11 Depth=1
	s_wait_alu 0xfffe
	s_and_b32 vcc_lo, exec_lo, s26
	s_wait_alu 0xfffe
	s_cbranch_vccz .LBB89_211
; %bb.201:                              ;   in Loop: Header=BB89_11 Depth=1
                                        ; implicit-def: $vgpr15
	s_and_saveexec_b32 s21, s6
	s_cbranch_execz .LBB89_210
; %bb.202:                              ;   in Loop: Header=BB89_11 Depth=1
	v_dual_mov_b32 v6, v5 :: v_dual_mov_b32 v3, v0
	s_mov_b32 s22, 0
                                        ; implicit-def: $sgpr25
	s_branch .LBB89_205
.LBB89_203:                             ;   in Loop: Header=BB89_205 Depth=2
	s_wait_alu 0xfffe
	s_or_b32 exec_lo, exec_lo, s26
	s_wait_loadcnt_dscnt 0x0
	s_barrier_signal -1
	s_barrier_wait -1
	global_inv scope:SCOPE_SE
	ds_load_b64 v[14:15], v7 offset:3072
	s_mov_b32 s26, -1
	s_mov_b32 s48, -1
	s_wait_loadcnt_dscnt 0x0
	s_barrier_signal -1
	s_barrier_wait -1
	global_inv scope:SCOPE_SE
	v_cmp_eq_u32_e32 vcc_lo, 0, v14
	s_cbranch_vccnz .LBB89_208
.LBB89_204:                             ;   in Loop: Header=BB89_205 Depth=2
	s_wait_alu 0xfffe
	s_and_b32 s26, exec_lo, s26
	s_wait_alu 0xfffe
	s_or_b32 s22, s26, s22
	s_and_not1_b32 s25, s25, exec_lo
	s_and_b32 s26, s48, exec_lo
	s_wait_alu 0xfffe
	s_or_b32 s25, s25, s26
	s_and_not1_b32 exec_lo, exec_lo, s22
	s_cbranch_execz .LBB89_209
.LBB89_205:                             ;   Parent Loop BB89_11 Depth=1
                                        ; =>  This Inner Loop Header: Depth=2
	s_mov_b32 s26, exec_lo
	s_delay_alu instid0(VALU_DEP_1)
	v_cmpx_gt_u32_e64 s28, v3
	s_cbranch_execz .LBB89_203
; %bb.206:                              ;   in Loop: Header=BB89_205 Depth=2
	v_lshlrev_b64_e32 v[14:15], 2, v[6:7]
	s_delay_alu instid0(VALU_DEP_1) | instskip(SKIP_1) | instid1(VALU_DEP_2)
	v_add_co_u32 v14, vcc_lo, s40, v14
	s_wait_alu 0xfffd
	v_add_co_ci_u32_e64 v15, null, s41, v15, vcc_lo
	global_load_b32 v14, v[14:15], off
	s_wait_loadcnt 0x0
	v_xor_b32_e32 v4, 0x80000000, v14
	s_delay_alu instid0(VALU_DEP_1) | instskip(NEXT) | instid1(VALU_DEP_1)
	v_and_b32_e32 v4, v4, v30
	v_cmp_eq_u32_e32 vcc_lo, v4, v22
	s_and_b32 exec_lo, exec_lo, vcc_lo
	s_cbranch_execz .LBB89_203
; %bb.207:                              ;   in Loop: Header=BB89_205 Depth=2
	ds_store_b64 v7, v[13:14] offset:3072
	s_branch .LBB89_203
.LBB89_208:                             ;   in Loop: Header=BB89_205 Depth=2
	v_add_nc_u32_e32 v3, s29, v3
	v_add_nc_u32_e32 v6, s46, v6
	s_mov_b32 s48, 0
	s_delay_alu instid0(VALU_DEP_2)
	v_cmp_le_u32_e32 vcc_lo, s65, v3
	s_or_not1_b32 s26, vcc_lo, exec_lo
	s_branch .LBB89_204
.LBB89_209:                             ;   in Loop: Header=BB89_11 Depth=1
	s_or_b32 exec_lo, exec_lo, s22
	s_delay_alu instid0(SALU_CYCLE_1)
	s_and_not1_b32 s22, s24, exec_lo
	s_wait_alu 0xfffe
	s_and_b32 s24, s25, exec_lo
	s_wait_alu 0xfffe
	s_or_b32 s24, s22, s24
.LBB89_210:                             ;   in Loop: Header=BB89_11 Depth=1
	s_wait_alu 0xfffe
	s_or_b32 exec_lo, exec_lo, s21
	s_mov_b32 s21, 0
	s_mov_b32 s22, -1
.LBB89_211:                             ;   in Loop: Header=BB89_11 Depth=1
	s_or_not1_b32 s24, s24, exec_lo
.LBB89_212:                             ;   in Loop: Header=BB89_11 Depth=1
	s_wait_alu 0xfffe
	s_or_b32 exec_lo, exec_lo, s23
	s_mov_b32 s25, 0
	s_and_saveexec_b32 s23, s24
	s_cbranch_execz .LBB89_223
; %bb.213:                              ;   in Loop: Header=BB89_11 Depth=1
	v_mov_b32_e32 v1, 1
	v_mov_b32_e32 v3, 1
	s_xor_b32 s24, s15, -1
	s_wait_alu 0xfffe
	s_and_saveexec_b32 s15, s24
	s_cbranch_execz .LBB89_222
; %bb.214:                              ;   in Loop: Header=BB89_11 Depth=1
	s_mov_b32 s24, exec_lo
	v_cmpx_ge_u32_e64 s7, v2
	s_wait_alu 0xfffe
	s_xor_b32 s24, exec_lo, s24
	s_cbranch_execz .LBB89_219
; %bb.215:                              ;   in Loop: Header=BB89_11 Depth=1
	ds_load_b32 v1, v7 offset:4104
	v_or_b32_e32 v22, s8, v22
	v_or_b32_e32 v30, s8, v30
	s_wait_dscnt 0x0
	v_cmp_ne_u32_e32 vcc_lo, 0, v1
	s_cbranch_vccnz .LBB89_219
; %bb.216:                              ;   in Loop: Header=BB89_11 Depth=1
	s_and_saveexec_b32 s8, s2
; %bb.217:                              ;   in Loop: Header=BB89_11 Depth=1
	v_mov_b32_e32 v1, s7
	ds_store_b32 v7, v1 offset:4108
; %bb.218:                              ;   in Loop: Header=BB89_11 Depth=1
	s_wait_alu 0xfffe
	s_or_b32 exec_lo, exec_lo, s8
	s_wait_loadcnt_dscnt 0x0
	s_barrier_signal -1
	s_barrier_wait -1
	global_inv scope:SCOPE_SE
.LBB89_219:                             ;   in Loop: Header=BB89_11 Depth=1
	s_wait_alu 0xfffe
	s_and_not1_saveexec_b32 s8, s24
; %bb.220:                              ;   in Loop: Header=BB89_11 Depth=1
	v_subrev_nc_u32_e32 v2, s7, v2
; %bb.221:                              ;   in Loop: Header=BB89_11 Depth=1
	s_wait_alu 0xfffe
	s_or_b32 exec_lo, exec_lo, s8
	v_mov_b32_e32 v1, 8
	s_delay_alu instid0(VALU_DEP_2)
	v_mov_b32_e32 v3, v2
.LBB89_222:                             ;   in Loop: Header=BB89_11 Depth=1
	s_wait_alu 0xfffe
	s_or_b32 exec_lo, exec_lo, s15
	s_delay_alu instid0(VALU_DEP_1)
	v_mov_b32_e32 v2, v3
	s_mov_b32 s25, exec_lo
.LBB89_223:                             ;   in Loop: Header=BB89_11 Depth=1
	s_wait_alu 0xfffe
	s_or_b32 exec_lo, exec_lo, s23
	s_delay_alu instid0(SALU_CYCLE_1)
	s_or_not1_b32 s15, s25, exec_lo
.LBB89_224:                             ;   in Loop: Header=BB89_11 Depth=1
	s_wait_alu 0xfffe
	s_or_b32 exec_lo, exec_lo, s14
	v_mov_b32_e32 v3, v2
	s_and_not1_b32 s7, s19, exec_lo
	s_and_b32 s8, s22, exec_lo
	s_and_not1_b32 s14, s18, exec_lo
	s_and_b32 s18, s21, exec_lo
	s_wait_alu 0xfffe
	s_or_b32 s19, s7, s8
	s_or_b32 s18, s14, s18
	s_and_b32 s23, s15, exec_lo
.LBB89_225:                             ;   in Loop: Header=BB89_11 Depth=1
	s_wait_alu 0xfffe
	s_or_b32 exec_lo, exec_lo, s20
	s_delay_alu instid0(SALU_CYCLE_1)
	s_or_not1_b32 s20, s23, exec_lo
.LBB89_226:                             ;   in Loop: Header=BB89_11 Depth=1
	s_wait_alu 0xfffe
	s_or_b32 exec_lo, exec_lo, s17
	v_mov_b32_e32 v2, v3
	s_and_not1_b32 s7, s13, exec_lo
	s_and_b32 s8, s19, exec_lo
	s_and_not1_b32 s12, s12, exec_lo
	s_and_b32 s14, s18, exec_lo
	s_wait_alu 0xfffe
	s_or_b32 s13, s7, s8
	s_or_b32 s12, s12, s14
	s_and_b32 s20, s20, exec_lo
.LBB89_227:                             ;   in Loop: Header=BB89_11 Depth=1
	s_wait_alu 0xfffe
	s_or_b32 exec_lo, exec_lo, s16
	s_delay_alu instid0(SALU_CYCLE_1)
	s_or_not1_b32 s16, s20, exec_lo
.LBB89_228:                             ;   in Loop: Header=BB89_11 Depth=1
	s_wait_alu 0xfffe
	s_or_b32 exec_lo, exec_lo, s11
	s_mov_b32 s8, 0
                                        ; implicit-def: $sgpr18
	s_and_saveexec_b32 s7, s16
	s_wait_alu 0xfffe
	s_xor_b32 s7, exec_lo, s7
	s_cbranch_execz .LBB89_9
; %bb.229:                              ;   in Loop: Header=BB89_11 Depth=1
	v_and_b32_e32 v1, 7, v1
	s_mov_b32 s10, -1
	s_mov_b32 s8, -1
	s_mov_b32 s11, exec_lo
                                        ; implicit-def: $sgpr18
	s_delay_alu instid0(VALU_DEP_1)
	v_cmpx_eq_u32_e32 0, v1
	s_cbranch_execz .LBB89_8
; %bb.230:                              ;   in Loop: Header=BB89_11 Depth=1
	s_add_co_i32 s18, s75, -2
	s_cmp_eq_u32 s75, 0
	v_xor_b32_e32 v29, 1, v29
	s_cselect_b32 s10, -1, 0
	s_xor_b32 s8, exec_lo, -1
	s_wait_alu 0xfffe
	s_or_not1_b32 s10, s10, exec_lo
	s_branch .LBB89_8
.LBB89_231:
	s_or_b32 exec_lo, exec_lo, s68
	s_wait_alu 0xfffe
	s_xor_b32 s4, s74, -1
	s_xor_b32 s1, s72, -1
	;; [unrolled: 1-line block ×3, first 2 shown]
	s_mov_b32 s2, 0
	s_wait_alu 0xfffe
	s_and_saveexec_b32 s5, s1
	s_wait_alu 0xfffe
	s_xor_b32 s1, exec_lo, s5
	s_cbranch_execnz .LBB89_236
; %bb.232:
	s_wait_alu 0xfffe
	s_and_not1_saveexec_b32 s0, s1
	s_cbranch_execnz .LBB89_249
.LBB89_233:
	s_wait_alu 0xfffe
	s_or_b32 exec_lo, exec_lo, s0
	s_and_saveexec_b32 s0, s2
.LBB89_234:
	; divergent unreachable
.LBB89_235:
	s_endpgm
.LBB89_236:
	s_and_saveexec_b32 s2, s4
	s_wait_alu 0xfffe
	s_xor_b32 s4, exec_lo, s2
	s_cbranch_execz .LBB89_247
; %bb.237:
	s_and_saveexec_b32 s2, s3
	s_wait_alu 0xfffe
	s_xor_b32 s2, exec_lo, s2
; %bb.238:
	v_xor_b32_e32 v15, 0x80000000, v22
; %bb.239:
	s_wait_alu 0xfffe
	s_or_b32 exec_lo, exec_lo, s2
	s_mul_i32 s2, s47, s56
	s_add_co_i32 s3, s47, 1
	s_wait_alu 0xfffe
	s_sub_co_i32 s2, s34, s2
	v_mov_b32_e32 v6, 0
	s_wait_alu 0xfffe
	s_sub_co_i32 s5, s2, s56
	s_cmp_ge_u32 s2, s56
	s_cselect_b32 s3, s3, s47
	s_wait_alu 0xfffe
	s_cselect_b32 s2, s5, s2
	s_add_co_i32 s5, s3, 1
	s_wait_alu 0xfffe
	s_cmp_ge_u32 s2, s56
	s_cselect_b32 s2, s5, s3
	s_wait_alu 0xfffe
	s_mul_i32 s3, s2, s56
	s_mul_i32 s2, s2, s42
	s_wait_alu 0xfffe
	s_sub_co_i32 s3, s34, s3
	s_wait_alu 0xfffe
	s_mul_i32 s3, s3, s43
	s_wait_alu 0xfffe
	s_add_co_i32 s2, s2, s3
	s_mov_b32 s3, 0
	s_wait_alu 0xfffe
	s_lshl_b64 s[6:7], s[2:3], 2
	s_wait_alu 0xfffe
	s_add_nc_u64 s[6:7], s[44:45], s[6:7]
	global_store_b32 v6, v15, s[6:7]
	s_and_saveexec_b32 s2, s0
	s_cbranch_execz .LBB89_246
; %bb.240:
                                        ; implicit-def: $sgpr0
                                        ; implicit-def: $sgpr6
                                        ; implicit-def: $sgpr5
	s_branch .LBB89_242
.LBB89_241:                             ;   in Loop: Header=BB89_242 Depth=1
	s_wait_alu 0xfffe
	s_or_b32 exec_lo, exec_lo, s7
	s_delay_alu instid0(SALU_CYCLE_1)
	s_and_b32 s7, exec_lo, s6
	s_wait_alu 0xfffe
	s_or_b32 s3, s7, s3
	s_and_not1_b32 s0, s0, exec_lo
	s_and_b32 s7, s5, exec_lo
	s_wait_alu 0xfffe
	s_or_b32 s0, s0, s7
	s_and_not1_b32 exec_lo, exec_lo, s3
	s_cbranch_execz .LBB89_244
.LBB89_242:                             ; =>This Inner Loop Header: Depth=1
	v_lshlrev_b64_e32 v[1:2], 2, v[5:6]
	s_or_b32 s5, s5, exec_lo
	s_wait_alu 0xfffe
	s_or_b32 s6, s6, exec_lo
	s_mov_b32 s7, exec_lo
	s_delay_alu instid0(VALU_DEP_1)
	v_add_co_u32 v1, vcc_lo, s40, v1
	s_wait_alu 0xfffd
	v_add_co_ci_u32_e64 v2, null, s41, v2, vcc_lo
	global_load_b32 v2, v[1:2], off
	v_mov_b32_e32 v1, v0
                                        ; implicit-def: $vgpr0
	s_wait_loadcnt 0x0
	v_cmpx_ne_u32_e64 v2, v15
	s_cbranch_execz .LBB89_241
; %bb.243:                              ;   in Loop: Header=BB89_242 Depth=1
	s_delay_alu instid0(VALU_DEP_2)
	v_add_nc_u32_e32 v0, s29, v1
	v_add_nc_u32_e32 v5, s46, v5
	s_wait_alu 0xfffe
	s_and_not1_b32 s6, s6, exec_lo
	s_and_not1_b32 s5, s5, exec_lo
	v_cmp_le_u32_e32 vcc_lo, s28, v0
	s_and_b32 s8, vcc_lo, exec_lo
	s_wait_alu 0xfffe
	s_or_b32 s6, s6, s8
	s_branch .LBB89_241
.LBB89_244:
	s_or_b32 exec_lo, exec_lo, s3
	s_wait_alu 0xfffe
	s_and_saveexec_b32 s3, s0
	s_wait_alu 0xfffe
	s_xor_b32 s3, exec_lo, s3
	s_cbranch_execz .LBB89_246
; %bb.245:
	s_mul_i32 s0, s27, s33
	s_add_co_i32 s3, s27, 1
	s_wait_alu 0xfffe
	s_sub_co_i32 s0, s34, s0
	s_mov_b32 s7, 0
	s_wait_alu 0xfffe
	s_sub_co_i32 s5, s0, s33
	s_cmp_ge_u32 s0, s33
	v_mov_b32_e32 v2, 0
	s_cselect_b32 s3, s3, s27
	s_wait_alu 0xfffe
	s_cselect_b32 s0, s5, s0
	s_add_co_i32 s5, s3, 1
	s_wait_alu 0xfffe
	s_cmp_ge_u32 s0, s33
	s_cselect_b32 s0, s5, s3
	s_wait_alu 0xfffe
	s_mul_i32 s3, s0, s33
	s_mul_i32 s0, s0, s36
	s_wait_alu 0xfffe
	s_sub_co_i32 s3, s34, s3
	s_wait_alu 0xfffe
	s_mul_i32 s3, s3, s37
	s_wait_alu 0xfffe
	s_add_co_i32 s6, s0, s3
	s_wait_alu 0xfffe
	s_lshl_b64 s[6:7], s[6:7], 3
	s_wait_alu 0xfffe
	s_add_nc_u64 s[6:7], s[38:39], s[6:7]
	global_store_b64 v2, v[1:2], s[6:7]
.LBB89_246:
	s_wait_alu 0xfffe
	s_or_b32 exec_lo, exec_lo, s2
.LBB89_247:
	s_wait_alu 0xfffe
	s_or_saveexec_b32 s0, s4
	s_mov_b32 s2, 0
	s_wait_alu 0xfffe
	s_xor_b32 exec_lo, exec_lo, s0
	s_cbranch_execnz .LBB89_250
.LBB89_248:
	s_or_b32 exec_lo, exec_lo, s0
	s_wait_alu 0xfffe
	s_and_b32 s2, s2, exec_lo
	s_and_not1_saveexec_b32 s0, s1
	s_cbranch_execz .LBB89_233
.LBB89_249:
	s_wait_alu 0xfffe
	s_or_b32 s2, s2, exec_lo
	s_trap 2
	s_or_b32 exec_lo, exec_lo, s0
	s_wait_alu 0xfffe
	s_and_saveexec_b32 s0, s2
	s_cbranch_execnz .LBB89_234
	s_branch .LBB89_235
.LBB89_250:
	s_mov_b32 s2, exec_lo
	s_trap 2
	s_branch .LBB89_248
	.section	.rodata,"a",@progbits
	.p2align	6, 0x0
	.amdhsa_kernel _ZN2at6native12_GLOBAL__N_112gatherMedianIijLi2EEEvNS_4cuda6detail10TensorInfoIT_T0_EENS5_IlS7_EENS5_IKS6_S7_EES7_S7_S7_b
		.amdhsa_group_segment_fixed_size 4120
		.amdhsa_private_segment_fixed_size 0
		.amdhsa_kernarg_size 920
		.amdhsa_user_sgpr_count 2
		.amdhsa_user_sgpr_dispatch_ptr 0
		.amdhsa_user_sgpr_queue_ptr 0
		.amdhsa_user_sgpr_kernarg_segment_ptr 1
		.amdhsa_user_sgpr_dispatch_id 0
		.amdhsa_user_sgpr_private_segment_size 0
		.amdhsa_wavefront_size32 1
		.amdhsa_uses_dynamic_stack 0
		.amdhsa_enable_private_segment 0
		.amdhsa_system_sgpr_workgroup_id_x 1
		.amdhsa_system_sgpr_workgroup_id_y 1
		.amdhsa_system_sgpr_workgroup_id_z 1
		.amdhsa_system_sgpr_workgroup_info 0
		.amdhsa_system_vgpr_workitem_id 0
		.amdhsa_next_free_vgpr 44
		.amdhsa_next_free_sgpr 83
		.amdhsa_reserve_vcc 1
		.amdhsa_float_round_mode_32 0
		.amdhsa_float_round_mode_16_64 0
		.amdhsa_float_denorm_mode_32 3
		.amdhsa_float_denorm_mode_16_64 3
		.amdhsa_fp16_overflow 0
		.amdhsa_workgroup_processor_mode 1
		.amdhsa_memory_ordered 1
		.amdhsa_forward_progress 1
		.amdhsa_inst_pref_size 85
		.amdhsa_round_robin_scheduling 0
		.amdhsa_exception_fp_ieee_invalid_op 0
		.amdhsa_exception_fp_denorm_src 0
		.amdhsa_exception_fp_ieee_div_zero 0
		.amdhsa_exception_fp_ieee_overflow 0
		.amdhsa_exception_fp_ieee_underflow 0
		.amdhsa_exception_fp_ieee_inexact 0
		.amdhsa_exception_int_div_zero 0
	.end_amdhsa_kernel
	.section	.text._ZN2at6native12_GLOBAL__N_112gatherMedianIijLi2EEEvNS_4cuda6detail10TensorInfoIT_T0_EENS5_IlS7_EENS5_IKS6_S7_EES7_S7_S7_b,"axG",@progbits,_ZN2at6native12_GLOBAL__N_112gatherMedianIijLi2EEEvNS_4cuda6detail10TensorInfoIT_T0_EENS5_IlS7_EENS5_IKS6_S7_EES7_S7_S7_b,comdat
.Lfunc_end89:
	.size	_ZN2at6native12_GLOBAL__N_112gatherMedianIijLi2EEEvNS_4cuda6detail10TensorInfoIT_T0_EENS5_IlS7_EENS5_IKS6_S7_EES7_S7_S7_b, .Lfunc_end89-_ZN2at6native12_GLOBAL__N_112gatherMedianIijLi2EEEvNS_4cuda6detail10TensorInfoIT_T0_EENS5_IlS7_EENS5_IKS6_S7_EES7_S7_S7_b
                                        ; -- End function
	.set _ZN2at6native12_GLOBAL__N_112gatherMedianIijLi2EEEvNS_4cuda6detail10TensorInfoIT_T0_EENS5_IlS7_EENS5_IKS6_S7_EES7_S7_S7_b.num_vgpr, 44
	.set _ZN2at6native12_GLOBAL__N_112gatherMedianIijLi2EEEvNS_4cuda6detail10TensorInfoIT_T0_EENS5_IlS7_EENS5_IKS6_S7_EES7_S7_S7_b.num_agpr, 0
	.set _ZN2at6native12_GLOBAL__N_112gatherMedianIijLi2EEEvNS_4cuda6detail10TensorInfoIT_T0_EENS5_IlS7_EENS5_IKS6_S7_EES7_S7_S7_b.numbered_sgpr, 83
	.set _ZN2at6native12_GLOBAL__N_112gatherMedianIijLi2EEEvNS_4cuda6detail10TensorInfoIT_T0_EENS5_IlS7_EENS5_IKS6_S7_EES7_S7_S7_b.num_named_barrier, 0
	.set _ZN2at6native12_GLOBAL__N_112gatherMedianIijLi2EEEvNS_4cuda6detail10TensorInfoIT_T0_EENS5_IlS7_EENS5_IKS6_S7_EES7_S7_S7_b.private_seg_size, 0
	.set _ZN2at6native12_GLOBAL__N_112gatherMedianIijLi2EEEvNS_4cuda6detail10TensorInfoIT_T0_EENS5_IlS7_EENS5_IKS6_S7_EES7_S7_S7_b.uses_vcc, 1
	.set _ZN2at6native12_GLOBAL__N_112gatherMedianIijLi2EEEvNS_4cuda6detail10TensorInfoIT_T0_EENS5_IlS7_EENS5_IKS6_S7_EES7_S7_S7_b.uses_flat_scratch, 0
	.set _ZN2at6native12_GLOBAL__N_112gatherMedianIijLi2EEEvNS_4cuda6detail10TensorInfoIT_T0_EENS5_IlS7_EENS5_IKS6_S7_EES7_S7_S7_b.has_dyn_sized_stack, 0
	.set _ZN2at6native12_GLOBAL__N_112gatherMedianIijLi2EEEvNS_4cuda6detail10TensorInfoIT_T0_EENS5_IlS7_EENS5_IKS6_S7_EES7_S7_S7_b.has_recursion, 0
	.set _ZN2at6native12_GLOBAL__N_112gatherMedianIijLi2EEEvNS_4cuda6detail10TensorInfoIT_T0_EENS5_IlS7_EENS5_IKS6_S7_EES7_S7_S7_b.has_indirect_call, 0
	.section	.AMDGPU.csdata,"",@progbits
; Kernel info:
; codeLenInByte = 10836
; TotalNumSgprs: 85
; NumVgprs: 44
; ScratchSize: 0
; MemoryBound: 0
; FloatMode: 240
; IeeeMode: 1
; LDSByteSize: 4120 bytes/workgroup (compile time only)
; SGPRBlocks: 0
; VGPRBlocks: 5
; NumSGPRsForWavesPerEU: 85
; NumVGPRsForWavesPerEU: 44
; Occupancy: 16
; WaveLimiterHint : 1
; COMPUTE_PGM_RSRC2:SCRATCH_EN: 0
; COMPUTE_PGM_RSRC2:USER_SGPR: 2
; COMPUTE_PGM_RSRC2:TRAP_HANDLER: 0
; COMPUTE_PGM_RSRC2:TGID_X_EN: 1
; COMPUTE_PGM_RSRC2:TGID_Y_EN: 1
; COMPUTE_PGM_RSRC2:TGID_Z_EN: 1
; COMPUTE_PGM_RSRC2:TIDIG_COMP_CNT: 0
	.section	.text._ZN2at6native12_GLOBAL__N_112gatherMedianIijLi3EEEvNS_4cuda6detail10TensorInfoIT_T0_EENS5_IlS7_EENS5_IKS6_S7_EES7_S7_S7_b,"axG",@progbits,_ZN2at6native12_GLOBAL__N_112gatherMedianIijLi3EEEvNS_4cuda6detail10TensorInfoIT_T0_EENS5_IlS7_EENS5_IKS6_S7_EES7_S7_S7_b,comdat
	.globl	_ZN2at6native12_GLOBAL__N_112gatherMedianIijLi3EEEvNS_4cuda6detail10TensorInfoIT_T0_EENS5_IlS7_EENS5_IKS6_S7_EES7_S7_S7_b ; -- Begin function _ZN2at6native12_GLOBAL__N_112gatherMedianIijLi3EEEvNS_4cuda6detail10TensorInfoIT_T0_EENS5_IlS7_EENS5_IKS6_S7_EES7_S7_S7_b
	.p2align	8
	.type	_ZN2at6native12_GLOBAL__N_112gatherMedianIijLi3EEEvNS_4cuda6detail10TensorInfoIT_T0_EENS5_IlS7_EENS5_IKS6_S7_EES7_S7_S7_b,@function
_ZN2at6native12_GLOBAL__N_112gatherMedianIijLi3EEEvNS_4cuda6detail10TensorInfoIT_T0_EENS5_IlS7_EENS5_IKS6_S7_EES7_S7_S7_b: ; @_ZN2at6native12_GLOBAL__N_112gatherMedianIijLi3EEEvNS_4cuda6detail10TensorInfoIT_T0_EENS5_IlS7_EENS5_IKS6_S7_EES7_S7_S7_b
; %bb.0:
	s_clause 0x1
	s_load_b64 s[8:9], s[0:1], 0x298
	s_load_b128 s[28:31], s[0:1], 0x288
	s_lshr_b32 s2, ttmp7, 16
	s_and_b32 s3, ttmp7, 0xffff
	s_wait_kmcnt 0x0
	s_mul_i32 s2, s9, s2
	s_delay_alu instid0(SALU_CYCLE_1) | instskip(NEXT) | instid1(SALU_CYCLE_1)
	s_add_co_i32 s2, s2, s3
	s_mul_i32 s33, s2, s8
	s_delay_alu instid0(SALU_CYCLE_1) | instskip(NEXT) | instid1(SALU_CYCLE_1)
	s_add_co_i32 s33, s33, ttmp9
	s_cmp_ge_u32 s33, s29
	s_cbranch_scc1 .LBB90_235
; %bb.1:
	s_clause 0x2
	s_load_b64 s[44:45], s[0:1], 0xc
	s_load_b64 s[34:35], s[0:1], 0xe4
	;; [unrolled: 1-line block ×3, first 2 shown]
	s_mov_b32 s13, 0
	s_wait_kmcnt 0x0
	s_cvt_f32_u32 s5, s35
	s_cvt_f32_u32 s2, s45
	s_sub_co_i32 s3, 0, s45
	s_cvt_f32_u32 s4, s44
	s_cvt_f32_u32 s6, s34
	v_rcp_iflag_f32_e32 v1, s2
	s_cvt_f32_u32 s7, s11
	v_rcp_iflag_f32_e32 v2, s4
	v_rcp_iflag_f32_e32 v3, s6
	s_cvt_f32_u32 s9, s10
	v_rcp_iflag_f32_e32 v4, s7
	s_delay_alu instid0(SALU_CYCLE_2) | instskip(SKIP_4) | instid1(SALU_CYCLE_2)
	v_rcp_iflag_f32_e32 v5, s9
	v_readfirstlane_b32 s2, v1
	v_rcp_iflag_f32_e32 v1, s5
	s_mul_f32 s2, s2, 0x4f7ffffe
	s_wait_alu 0xfffe
	s_cvt_u32_f32 s2, s2
	s_delay_alu instid0(TRANS32_DEP_1) | instskip(SKIP_1) | instid1(SALU_CYCLE_1)
	v_readfirstlane_b32 s4, v1
	s_wait_alu 0xfffe
	s_mul_i32 s3, s3, s2
	s_wait_alu 0xfffe
	s_mul_hi_u32 s3, s2, s3
	s_mul_f32 s4, s4, 0x4f7ffffe
	s_wait_alu 0xfffe
	s_add_co_i32 s2, s2, s3
	s_wait_alu 0xfffe
	s_mul_hi_u32 s2, s33, s2
	s_wait_alu 0xfffe
	s_mul_i32 s3, s2, s45
	s_add_co_i32 s5, s2, 1
	s_wait_alu 0xfffe
	s_sub_co_i32 s3, s33, s3
	s_wait_alu 0xfffe
	s_sub_co_i32 s6, s3, s45
	s_cmp_ge_u32 s3, s45
	s_cselect_b32 s2, s5, s2
	s_wait_alu 0xfffe
	s_cselect_b32 s3, s6, s3
	s_add_co_i32 s5, s2, 1
	s_wait_alu 0xfffe
	s_cmp_ge_u32 s3, s45
	s_cvt_u32_f32 s3, s4
	s_cselect_b32 s48, s5, s2
	s_sub_co_i32 s2, 0, s35
	v_readfirstlane_b32 s6, v4
	s_wait_alu 0xfffe
	s_mul_i32 s2, s2, s3
	s_sub_co_i32 s9, 0, s44
	s_wait_alu 0xfffe
	s_mul_hi_u32 s2, s3, s2
	v_readfirstlane_b32 s4, v2
	s_wait_alu 0xfffe
	s_add_co_i32 s3, s3, s2
	s_mul_f32 s6, s6, 0x4f7ffffe
	s_wait_alu 0xfffe
	s_mul_hi_u32 s3, s33, s3
	v_readfirstlane_b32 s5, v3
	s_wait_alu 0xfffe
	s_mul_i32 s7, s3, s35
	s_add_co_i32 s12, s3, 1
	s_wait_alu 0xfffe
	s_sub_co_i32 s7, s33, s7
	v_readfirstlane_b32 s2, v5
	s_wait_alu 0xfffe
	s_sub_co_i32 s14, s7, s35
	s_cmp_ge_u32 s7, s35
	s_mul_f32 s4, s4, 0x4f7ffffe
	s_cselect_b32 s3, s12, s3
	s_cselect_b32 s7, s14, s7
	s_wait_alu 0xfffe
	s_add_co_i32 s12, s3, 1
	s_cmp_ge_u32 s7, s35
	s_cvt_u32_f32 s7, s6
	s_cselect_b32 s46, s12, s3
	s_sub_co_i32 s3, 0, s11
	s_mul_f32 s5, s5, 0x4f7ffffe
	s_wait_alu 0xfffe
	s_mul_i32 s3, s3, s7
	s_mul_f32 s2, s2, 0x4f7ffffe
	s_wait_alu 0xfffe
	s_mul_hi_u32 s3, s7, s3
	s_cvt_u32_f32 s6, s4
	s_wait_alu 0xfffe
	s_add_co_i32 s7, s7, s3
	s_cvt_u32_f32 s3, s5
	s_wait_alu 0xfffe
	s_mul_hi_u32 s4, s33, s7
	s_cvt_u32_f32 s5, s2
	s_wait_alu 0xfffe
	s_mul_i32 s2, s4, s11
	s_sub_co_i32 s14, 0, s34
	s_wait_alu 0xfffe
	s_sub_co_i32 s2, s33, s2
	s_add_co_i32 s7, s4, 1
	s_wait_alu 0xfffe
	s_sub_co_i32 s12, s2, s11
	s_cmp_ge_u32 s2, s11
	s_mul_i32 s9, s9, s6
	s_cselect_b32 s4, s7, s4
	s_cselect_b32 s2, s12, s2
	s_wait_alu 0xfffe
	s_add_co_i32 s12, s4, 1
	s_cmp_ge_u32 s2, s11
	s_mul_i32 s14, s14, s3
	s_cselect_b32 s12, s12, s4
	s_sub_co_i32 s2, 0, s10
	s_mul_hi_u32 s7, s6, s9
	s_wait_alu 0xfffe
	s_mul_i32 s4, s2, s5
	v_cmp_eq_u32_e64 s2, 0, v0
	s_wait_alu 0xfffe
	s_mul_hi_u32 s4, s5, s4
	s_mul_hi_u32 s9, s3, s14
	s_wait_alu 0xfffe
	s_add_co_i32 s14, s5, s4
	s_and_saveexec_b32 s4, s2
; %bb.2:
	v_mov_b32_e32 v1, 0
	s_delay_alu instid0(VALU_DEP_1)
	v_mov_b32_e32 v2, v1
	ds_store_b64 v1, v[1:2] offset:4096
; %bb.3:
	s_wait_alu 0xfffe
	s_or_b32 exec_lo, exec_lo, s4
	v_mov_b32_e32 v1, 0
	s_wait_dscnt 0x0
	s_barrier_signal -1
	s_barrier_wait -1
	global_inv scope:SCOPE_SE
	s_wait_loadcnt 0x0
	s_barrier_signal -1
	s_barrier_wait -1
	global_inv scope:SCOPE_SE
	ds_load_b64 v[1:2], v1 offset:4096
	s_add_co_i32 s18, s6, s7
	s_add_co_i32 s16, s3, s9
	s_bitcmp1_b32 s31, 0
	s_mov_b32 s15, s13
	s_cselect_b32 s3, -1, 0
	s_mov_b32 s7, s28
	s_wait_dscnt 0x0
	v_readfirstlane_b32 s4, v1
	v_readfirstlane_b32 s5, v2
	s_wait_alu 0xf1ff
	s_delay_alu instid0(VALU_DEP_1)
	v_cmp_lt_i64_e64 s6, s[4:5], 1
	s_wait_alu 0xfffe
	s_or_b32 s3, s3, s6
	s_wait_alu 0xfffe
	s_and_not1_b32 vcc_lo, exec_lo, s3
	s_cbranch_vccnz .LBB90_5
; %bb.4:
	s_not_b64 s[4:5], s[4:5]
	s_mov_b32 s29, 0
	s_wait_alu 0xfffe
	s_add_nc_u64 s[4:5], s[4:5], s[28:29]
	s_mov_b32 s7, s29
	s_wait_alu 0xfffe
	s_lshr_b32 s6, s5, 31
	s_wait_alu 0xfffe
	s_add_nc_u64 s[4:5], s[4:5], s[6:7]
	s_wait_alu 0xfffe
	s_lshr_b64 s[4:5], s[4:5], 1
	s_wait_alu 0xfffe
	s_add_co_i32 s7, s4, 1
.LBB90_5:
	s_clause 0x1
	s_load_b96 s[4:6], s[0:1], 0x21c
	s_load_b64 s[20:21], s[0:1], 0x1b0
	s_mov_b32 s49, s13
	s_mov_b32 s19, s13
	s_mul_u64 s[22:23], s[12:13], s[14:15]
	s_mov_b32 s47, s13
	s_mov_b32 s17, s13
	s_add_nc_u64 s[14:15], s[0:1], 0x298
	s_and_saveexec_b32 s3, s2
	s_cbranch_execz .LBB90_7
; %bb.6:
	v_dual_mov_b32 v1, 0 :: v_dual_mov_b32 v2, s28
	ds_store_b32 v1, v1 offset:4112
	ds_store_b64 v1, v[1:2] offset:4104
.LBB90_7:
	s_wait_alu 0xfffe
	s_or_b32 exec_lo, exec_lo, s3
	s_mul_i32 s9, s23, s10
	s_mul_i32 s3, s12, s11
	s_wait_alu 0xfffe
	s_sub_co_i32 s9, s12, s9
	s_sub_co_i32 s3, s33, s3
	s_add_co_i32 s11, s23, 1
	s_wait_alu 0xfffe
	s_sub_co_i32 s13, s9, s10
	s_cmp_ge_u32 s9, s10
	s_wait_loadcnt_dscnt 0x0
	s_cselect_b32 s11, s11, s23
	s_cselect_b32 s9, s13, s9
	s_add_co_i32 s13, s11, 1
	s_wait_alu 0xfffe
	s_cmp_ge_u32 s9, s10
	s_barrier_signal -1
	s_cselect_b32 s9, s13, s11
	s_barrier_wait -1
	global_inv scope:SCOPE_SE
	s_load_b32 s11, s[14:15], 0xc
	s_mul_i32 s10, s9, s10
	s_wait_kmcnt 0x0
	s_mul_i32 s3, s3, s6
	s_sub_co_i32 s10, s12, s10
	s_mul_i32 s9, s9, s4
	s_mul_i32 s5, s10, s5
	s_mov_b32 s59, 0
	s_wait_alu 0xfffe
	s_add_co_i32 s3, s5, s3
	s_clause 0x1
	s_load_b96 s[36:38], s[0:1], 0x144
	s_load_b64 s[50:51], s[0:1], 0xd8
	s_add_co_i32 s58, s3, s9
	s_clause 0x1
	s_load_b96 s[40:42], s[0:1], 0x6c
	s_load_b64 s[54:55], s[0:1], 0x0
	s_lshl_b64 s[0:1], s[58:59], 2
	v_mbcnt_lo_u32_b32 v16, -1, 0
	s_add_nc_u64 s[52:53], s[20:21], s[0:1]
	v_cmp_gt_u32_e32 vcc_lo, 32, v0
	s_mul_u64 s[26:27], s[46:47], s[16:17]
	s_mul_u64 s[56:57], s[48:49], s[18:19]
	v_cmp_gt_i32_e64 s0, 4, v16
	v_mov_b32_e32 v7, 0
	v_mul_lo_u32 v5, s30, v0
	s_and_b32 s29, s11, 0xffff
	s_bfe_u32 s3, s11, 0xb0005
	s_wait_alu 0xfffe
	s_lshl_b32 s31, s29, 2
	s_add_co_i32 s39, s29, -1
	s_wait_alu 0xfffe
	s_cvt_f32_u32 s1, s31
	s_and_b32 s47, vcc_lo, s0
	s_add_co_i32 s6, s39, s28
	s_cmp_gt_u32 s28, 0x300
	v_rcp_iflag_f32_e32 v1, s1
	s_cselect_b32 s49, -1, 0
	s_cmp_gt_u32 s29, 31
	v_dual_mov_b32 v6, v7 :: v_dual_lshlrev_b32 v17, 2, v0
	s_cselect_b32 s56, -1, 0
	s_cmp_lt_u32 ttmp9, s8
	v_lshlrev_b64_e64 v[3:4], v16, -1
	s_cselect_b32 s58, 12, 18
	s_add_co_i32 s4, s3, -1
	s_delay_alu instid0(TRANS32_DEP_1)
	v_readfirstlane_b32 s5, v1
	s_wait_alu 0xfffe
	s_and_b32 s4, s4, 0xffff
	s_bfe_u32 s66, s29, 0x30005
	s_wait_alu 0xfffe
	s_cmp_gt_u32 s4, 6
	v_lshlrev_b64_e32 v[1:2], 2, v[5:6]
	s_mul_f32 s4, s5, 0x4f7ffffe
	s_cselect_b32 s67, -1, 0
	s_and_b32 s68, s3, 0x7f8
	s_cmp_lg_u32 s66, 0
	s_wait_alu 0xfffe
	s_cvt_u32_f32 s3, s4
	s_cselect_b32 s69, -1, 0
	s_sub_co_i32 s4, 0, s31
	s_cvt_f32_u32 s5, s29
	s_wait_alu 0xfffe
	s_mul_i32 s4, s4, s3
	v_add_nc_u32_e32 v18, 0xc00, v17
	s_wait_alu 0xfffe
	s_mul_hi_u32 s4, s3, s4
	v_rcp_iflag_f32_e32 v8, s5
	s_wait_alu 0xfffe
	s_add_co_i32 s60, s3, s4
	v_not_b32_e32 v19, v3
	s_mul_hi_u32 s4, s28, s60
	v_or_b32_e32 v3, 3, v17
	s_wait_alu 0xfffe
	s_mul_i32 s4, s4, s31
	v_mad_co_u64_u32 v[12:13], null, s30, v17, s[30:31]
	s_wait_alu 0xfffe
	s_sub_co_i32 s4, s28, s4
	v_mul_lo_u32 v24, s30, v3
	s_wait_alu 0xfffe
	s_sub_co_i32 s5, s4, s31
	v_readfirstlane_b32 s8, v8
	s_cmp_ge_u32 s4, s31
	v_add_co_u32 v8, vcc_lo, s52, v1
	s_wait_alu 0xfffe
	s_cselect_b32 s4, s5, s4
	s_mul_f32 s5, s8, 0x4f7ffffe
	s_wait_alu 0xfffe
	s_sub_co_i32 s8, s4, s31
	s_cmp_ge_u32 s4, s31
	v_mov_b32_e32 v31, s7
	s_wait_alu 0xfffe
	s_cselect_b32 s8, s8, s4
	s_cvt_u32_f32 s5, s5
	s_wait_alu 0xfffe
	s_sub_co_i32 s70, s28, s8
	s_sub_co_i32 s4, 0, s29
	v_add_nc_u32_e32 v20, s70, v0
	s_wait_alu 0xfffe
	s_mul_i32 s4, s4, s5
	v_lshrrev_b32_e32 v1, 1, v0
	s_wait_alu 0xfffe
	s_mul_hi_u32 s4, s5, s4
	v_add_co_ci_u32_e64 v9, null, s53, v2, vcc_lo
	v_mul_lo_u32 v6, v20, s30
	s_wait_alu 0xfffe
	s_add_co_i32 s62, s5, s4
	s_movk_i32 s4, 0x1f0
	s_mul_hi_u32 s5, s6, s62
	s_wait_alu 0xfffe
	v_and_or_b32 v21, v1, s4, 0xc00
	s_mul_i32 s5, s5, s29
	v_cmp_gt_u32_e64 s0, s28, v0
	s_wait_alu 0xfffe
	s_sub_co_i32 s5, s6, s5
	v_lshlrev_b64_e32 v[1:2], 2, v[6:7]
	s_wait_alu 0xfffe
	s_sub_co_i32 s9, s5, s29
	s_cmp_ge_u32 s5, s29
	v_cmp_eq_u32_e64 s1, 0, v16
	s_wait_alu 0xfffe
	s_cselect_b32 s9, s9, s5
	v_cmp_gt_u32_e64 s3, 2, v0
	v_add_co_u32 v10, vcc_lo, s52, v1
	v_add3_u32 v1, s29, s28, v0
	s_wait_alu 0xfffd
	v_add_co_ci_u32_e64 v11, null, s53, v2, vcc_lo
	v_or_b32_e32 v2, 2, v17
	s_wait_alu 0xfffe
	s_sub_co_i32 s10, s9, s29
	v_subrev_nc_u32_e32 v1, s8, v1
	s_cmp_ge_u32 s9, s29
	v_cmp_gt_u32_e64 s4, s70, v17
	s_cselect_b32 s9, s10, s9
	v_mul_lo_u32 v23, s30, v2
	v_mul_lo_u32 v26, s30, v1
	s_wait_alu 0xfffe
	s_sub_co_i32 s71, s6, s9
	v_cmp_gt_u32_e64 s5, s28, v20
	s_wait_alu 0xfffe
	v_cmp_gt_u32_e64 s6, s71, v0
	v_dual_mov_b32 v22, 0 :: v_dual_lshlrev_b32 v25, 2, v5
	v_dual_mov_b32 v30, 0 :: v_dual_lshlrev_b32 v27, 4, v0
	v_lshl_or_b32 v28, v16, 2, 0xc00
	v_mov_b32_e32 v13, 1
	v_mov_b32_e32 v15, 0
	;; [unrolled: 1-line block ×3, first 2 shown]
	s_mul_i32 s43, s30, s29
	s_mov_b32 s61, s59
	s_mov_b32 s63, s59
	s_lshl_b32 s72, s43, 2
	s_lshl_b32 s73, s29, 4
	s_mov_b32 s81, 30
	s_add_nc_u64 s[64:65], s[14:15], s[58:59]
	s_mov_b32 s74, 0
                                        ; implicit-def: $sgpr78
                                        ; implicit-def: $sgpr80
                                        ; implicit-def: $sgpr75
                                        ; implicit-def: $sgpr77
                                        ; implicit-def: $sgpr79
                                        ; implicit-def: $sgpr76
	s_branch .LBB90_11
.LBB90_8:                               ;   in Loop: Header=BB90_11 Depth=1
	s_wait_alu 0xfffe
	s_or_b32 exec_lo, exec_lo, s11
	s_delay_alu instid0(SALU_CYCLE_1)
	s_and_b32 s8, s8, exec_lo
	s_and_not1_b32 s13, s13, exec_lo
	s_and_not1_b32 s12, s12, exec_lo
	s_or_not1_b32 s10, s10, exec_lo
.LBB90_9:                               ;   in Loop: Header=BB90_11 Depth=1
	s_wait_alu 0xfffe
	s_or_b32 exec_lo, exec_lo, s7
	s_delay_alu instid0(SALU_CYCLE_1)
	s_and_not1_b32 s7, s76, exec_lo
	s_and_b32 s8, s8, exec_lo
	s_and_not1_b32 s11, s77, exec_lo
	s_wait_alu 0xfffe
	s_or_b32 s76, s7, s8
	s_and_not1_b32 s7, s79, exec_lo
	s_and_b32 s8, s13, exec_lo
	s_and_b32 s12, s12, exec_lo
	s_wait_alu 0xfffe
	s_or_b32 s79, s7, s8
	s_or_b32 s77, s11, s12
	s_or_not1_b32 s11, s10, exec_lo
.LBB90_10:                              ;   in Loop: Header=BB90_11 Depth=1
	s_wait_alu 0xfffe
	s_or_b32 exec_lo, exec_lo, s9
	s_delay_alu instid0(SALU_CYCLE_1)
	s_and_b32 s7, exec_lo, s11
	v_mov_b32_e32 v31, v2
	s_wait_alu 0xfffe
	s_or_b32 s74, s7, s74
	s_and_not1_b32 s7, s75, exec_lo
	s_and_b32 s8, s76, exec_lo
	s_and_not1_b32 s9, s80, exec_lo
	s_wait_alu 0xfffe
	s_or_b32 s75, s7, s8
	s_and_b32 s7, s79, exec_lo
	s_and_not1_b32 s8, s78, exec_lo
	s_and_b32 s10, s77, exec_lo
	s_wait_alu 0xfffe
	s_or_b32 s80, s9, s7
	s_or_b32 s78, s8, s10
	s_mov_b32 s81, s18
	s_and_not1_b32 exec_lo, exec_lo, s74
	s_cbranch_execz .LBB90_231
.LBB90_11:                              ; =>This Loop Header: Depth=1
                                        ;     Child Loop BB90_17 Depth 2
                                        ;     Child Loop BB90_30 Depth 2
	;; [unrolled: 1-line block ×16, first 2 shown]
	ds_load_b64 v[1:2], v7 offset:4104
	s_wait_dscnt 0x0
	v_readfirstlane_b32 s58, v1
	s_cmp_lg_u32 s58, 0
	s_cbranch_scc1 .LBB90_38
; %bb.12:                               ;   in Loop: Header=BB90_11 Depth=1
	s_and_b32 vcc_lo, exec_lo, s49
	s_wait_alu 0xfffe
	s_cbranch_vccz .LBB90_25
; %bb.13:                               ;   in Loop: Header=BB90_11 Depth=1
	v_cmp_gt_u32_e32 vcc_lo, 0x301, v2
	s_mov_b32 s9, 0
	s_mov_b32 s7, 0
	s_cbranch_vccz .LBB90_26
; %bb.14:                               ;   in Loop: Header=BB90_11 Depth=1
	s_and_saveexec_b32 s10, s0
	s_cbranch_execz .LBB90_121
; %bb.15:                               ;   in Loop: Header=BB90_11 Depth=1
	global_load_b32 v1, v[8:9], off
	s_load_u16 s11, s[64:65], 0x0
	s_mov_b32 s13, 0
	s_wait_kmcnt 0x0
	v_add_nc_u32_e32 v2, s11, v0
	s_mul_i32 s12, s30, s11
	s_delay_alu instid0(VALU_DEP_1)
	v_mul_lo_u32 v6, s30, v2
	v_mov_b32_e32 v2, v0
	s_branch .LBB90_17
.LBB90_16:                              ;   in Loop: Header=BB90_17 Depth=2
	s_wait_alu 0xfffe
	s_or_b32 exec_lo, exec_lo, s8
	v_dual_mov_b32 v1, v3 :: v_dual_add_nc_u32 v6, s12, v6
	s_and_not1_b32 exec_lo, exec_lo, s13
	s_cbranch_execz .LBB90_121
.LBB90_17:                              ;   Parent Loop BB90_11 Depth=1
                                        ; =>  This Inner Loop Header: Depth=2
	s_delay_alu instid0(VALU_DEP_1) | instskip(SKIP_3) | instid1(VALU_DEP_2)
	v_dual_mov_b32 v3, 0 :: v_dual_add_nc_u32 v2, s11, v2
	s_wait_dscnt 0x0
	v_mov_b32_e32 v4, 0
	s_mov_b32 s8, exec_lo
	v_cmp_le_u32_e32 vcc_lo, s28, v2
	v_cmpx_gt_u32_e64 s28, v2
	s_cbranch_execz .LBB90_19
; %bb.18:                               ;   in Loop: Header=BB90_17 Depth=2
	v_lshlrev_b64_e32 v[32:33], 2, v[6:7]
	s_delay_alu instid0(VALU_DEP_1) | instskip(SKIP_1) | instid1(VALU_DEP_2)
	v_add_co_u32 v32, s7, s52, v32
	s_wait_alu 0xf1ff
	v_add_co_ci_u32_e64 v33, null, s53, v33, s7
	global_load_b32 v3, v[32:33], off
.LBB90_19:                              ;   in Loop: Header=BB90_17 Depth=2
	s_wait_alu 0xfffe
	s_or_b32 exec_lo, exec_lo, s8
	s_wait_loadcnt 0x0
	v_xor_b32_e32 v14, 0x80000000, v1
	s_delay_alu instid0(VALU_DEP_1) | instskip(NEXT) | instid1(VALU_DEP_1)
	v_and_b32_e32 v14, v14, v30
	v_cmp_eq_u32_e64 s7, v14, v22
	s_cmp_lg_u32 s7, 0
	s_cselect_b32 s8, -1, 0
	s_wait_alu 0xfffe
	s_and_b32 s8, s1, s8
	s_wait_alu 0xfffe
	s_and_saveexec_b32 s14, s8
	s_cbranch_execz .LBB90_23
; %bb.20:                               ;   in Loop: Header=BB90_17 Depth=2
	s_mov_b32 s17, exec_lo
	s_bcnt1_i32_b32 s15, s7
	s_wait_alu 0xfffe
	v_mbcnt_lo_u32_b32 v4, s17, 0
	s_mov_b32 s16, exec_lo
                                        ; implicit-def: $vgpr14
	s_delay_alu instid0(VALU_DEP_1)
	v_cmpx_eq_u32_e32 0, v4
; %bb.21:                               ;   in Loop: Header=BB90_17 Depth=2
	s_bcnt1_i32_b32 s8, s17
	s_wait_alu 0xfffe
	s_mul_i32 s8, s15, s8
	s_wait_alu 0xfffe
	v_mov_b32_e32 v14, s8
	ds_add_rtn_u32 v14, v7, v14 offset:4112
; %bb.22:                               ;   in Loop: Header=BB90_17 Depth=2
	s_or_b32 exec_lo, exec_lo, s16
	s_wait_dscnt 0x0
	v_readfirstlane_b32 s8, v14
	s_wait_alu 0xf1ff
	s_delay_alu instid0(VALU_DEP_1)
	v_mad_u32_u24 v4, s15, v4, s8
.LBB90_23:                              ;   in Loop: Header=BB90_17 Depth=2
	s_wait_alu 0xfffe
	s_or_b32 exec_lo, exec_lo, s14
	ds_bpermute_b32 v4, v7, v4
	s_and_b32 s8, exec_lo, vcc_lo
	s_wait_alu 0xfffe
	s_or_b32 s13, s8, s13
	s_and_saveexec_b32 s8, s7
	s_cbranch_execz .LBB90_16
; %bb.24:                               ;   in Loop: Header=BB90_17 Depth=2
	v_and_b32_e32 v14, s7, v19
	s_delay_alu instid0(VALU_DEP_1) | instskip(NEXT) | instid1(VALU_DEP_1)
	v_bcnt_u32_b32 v14, v14, 0
	v_lshlrev_b32_e32 v14, 2, v14
	s_wait_dscnt 0x0
	s_delay_alu instid0(VALU_DEP_1)
	v_lshl_add_u32 v4, v4, 2, v14
	ds_store_b32 v4, v1
	s_branch .LBB90_16
.LBB90_25:                              ;   in Loop: Header=BB90_11 Depth=1
	s_mov_b32 s9, -1
	s_mov_b32 s7, 0
.LBB90_26:                              ;   in Loop: Header=BB90_11 Depth=1
	s_wait_alu 0xfffe
	s_and_b32 vcc_lo, exec_lo, s9
	s_wait_alu 0xfffe
	s_cbranch_vccz .LBB90_36
.LBB90_27:                              ;   in Loop: Header=BB90_11 Depth=1
	s_and_saveexec_b32 s7, s0
	s_cbranch_execz .LBB90_33
; %bb.28:                               ;   in Loop: Header=BB90_11 Depth=1
	global_load_b32 v2, v[8:9], off
	s_load_u16 s9, s[64:65], 0x0
	v_mov_b32_e32 v1, v0
	s_mov_b32 s8, exec_lo
	s_wait_kmcnt 0x0
	v_add_nc_u32_e32 v3, s9, v0
	s_delay_alu instid0(VALU_DEP_1)
	v_cmpx_gt_u32_e64 s28, v3
	s_cbranch_execz .LBB90_32
; %bb.29:                               ;   in Loop: Header=BB90_11 Depth=1
	v_mul_lo_u32 v6, s30, v3
	v_mov_b32_e32 v3, v17
	v_mov_b32_e32 v1, v0
	s_lshl_b32 s10, s9, 2
	s_mul_i32 s12, s30, s9
	s_mov_b32 s11, 0
.LBB90_30:                              ;   Parent Loop BB90_11 Depth=1
                                        ; =>  This Inner Loop Header: Depth=2
	s_delay_alu instid0(VALU_DEP_3)
	v_lshlrev_b64_e32 v[32:33], 2, v[6:7]
	s_wait_loadcnt 0x0
	ds_store_b32 v3, v2
	s_wait_alu 0xfffe
	v_add_nc_u32_e32 v3, s10, v3
	v_add_nc_u32_e32 v6, s12, v6
	v_add_co_u32 v32, vcc_lo, s52, v32
	s_wait_alu 0xfffd
	v_add_co_ci_u32_e64 v33, null, s53, v33, vcc_lo
	global_load_b32 v4, v[32:33], off
	s_wait_loadcnt 0x0
	v_dual_mov_b32 v2, v4 :: v_dual_add_nc_u32 v1, s9, v1
	s_delay_alu instid0(VALU_DEP_1) | instskip(NEXT) | instid1(VALU_DEP_1)
	v_add_nc_u32_e32 v14, s9, v1
	v_cmp_le_u32_e32 vcc_lo, s28, v14
	s_or_b32 s11, vcc_lo, s11
	s_wait_alu 0xfffe
	s_and_not1_b32 exec_lo, exec_lo, s11
	s_cbranch_execnz .LBB90_30
; %bb.31:                               ;   in Loop: Header=BB90_11 Depth=1
	s_or_b32 exec_lo, exec_lo, s11
	v_mov_b32_e32 v2, v4
.LBB90_32:                              ;   in Loop: Header=BB90_11 Depth=1
	s_wait_alu 0xfffe
	s_or_b32 exec_lo, exec_lo, s8
	v_lshlrev_b32_e32 v1, 2, v1
	s_wait_loadcnt 0x0
	ds_store_b32 v1, v2
.LBB90_33:                              ;   in Loop: Header=BB90_11 Depth=1
	s_wait_alu 0xfffe
	s_or_b32 exec_lo, exec_lo, s7
	s_wait_loadcnt_dscnt 0x0
	s_barrier_signal -1
	s_barrier_wait -1
	global_inv scope:SCOPE_SE
	s_and_saveexec_b32 s7, s2
; %bb.34:                               ;   in Loop: Header=BB90_11 Depth=1
	v_mov_b32_e32 v1, s28
	ds_store_b32 v7, v1 offset:4104
; %bb.35:                               ;   in Loop: Header=BB90_11 Depth=1
	s_wait_alu 0xfffe
	s_or_b32 exec_lo, exec_lo, s7
	s_mov_b32 s7, -1
	s_wait_loadcnt_dscnt 0x0
	s_barrier_signal -1
	s_barrier_wait -1
.LBB90_36:                              ;   in Loop: Header=BB90_11 Depth=1
	s_wait_alu 0xfffe
	s_and_b32 vcc_lo, exec_lo, s7
	s_mov_b32 s58, 0
	s_wait_alu 0xfffe
	s_cbranch_vccz .LBB90_38
; %bb.37:                               ;   in Loop: Header=BB90_11 Depth=1
	s_wait_loadcnt 0x0
	global_inv scope:SCOPE_SE
	ds_load_b32 v1, v7 offset:4104
	s_wait_dscnt 0x0
	v_readfirstlane_b32 s58, v1
.LBB90_38:                              ;   in Loop: Header=BB90_11 Depth=1
	s_delay_alu instid0(VALU_DEP_1)
	s_cmp_lt_i32 s58, 1
	s_mov_b32 s7, -1
                                        ; implicit-def: $vgpr4
	s_cbranch_scc1 .LBB90_48
; %bb.39:                               ;   in Loop: Header=BB90_11 Depth=1
	s_wait_alu 0xfffe
	s_and_b32 vcc_lo, exec_lo, s7
	s_wait_alu 0xfffe
	s_cbranch_vccnz .LBB90_59
.LBB90_40:                              ;   in Loop: Header=BB90_11 Depth=1
	v_lshlrev_b32_e32 v6, 7, v29
	s_and_saveexec_b32 s7, s1
.LBB90_41:                              ;   in Loop: Header=BB90_11 Depth=1
	s_delay_alu instid0(VALU_DEP_1)
	v_lshl_add_u32 v14, v6, 2, v21
	ds_store_b128 v14, v[1:4]
.LBB90_42:                              ;   in Loop: Header=BB90_11 Depth=1
	s_wait_alu 0xfffe
	s_or_b32 exec_lo, exec_lo, s7
	s_wait_loadcnt_dscnt 0x0
	s_barrier_signal -1
	s_barrier_wait -1
	global_inv scope:SCOPE_SE
	s_and_saveexec_b32 s7, s47
	s_cbranch_execz .LBB90_72
; %bb.43:                               ;   in Loop: Header=BB90_11 Depth=1
	v_mov_b32_e32 v1, 0
	s_and_not1_b32 vcc_lo, exec_lo, s56
	s_wait_alu 0xfffe
	s_cbranch_vccnz .LBB90_71
; %bb.44:                               ;   in Loop: Header=BB90_11 Depth=1
	s_and_not1_b32 vcc_lo, exec_lo, s67
	s_wait_alu 0xfffe
	s_cbranch_vccnz .LBB90_68
; %bb.45:                               ;   in Loop: Header=BB90_11 Depth=1
	v_lshl_add_u32 v2, v29, 9, v28
	v_mov_b32_e32 v1, 0
	s_mov_b32 s8, 0
.LBB90_46:                              ;   Parent Loop BB90_11 Depth=1
                                        ; =>  This Inner Loop Header: Depth=2
	ds_load_2addr_b32 v[3:4], v2 offset1:4
	ds_load_2addr_b32 v[32:33], v2 offset0:8 offset1:12
	ds_load_2addr_b32 v[34:35], v2 offset0:16 offset1:20
	;; [unrolled: 1-line block ×3, first 2 shown]
	v_add_nc_u32_e32 v2, 0x80, v2
	s_wait_alu 0xfffe
	s_add_co_i32 s8, s8, 8
	s_wait_alu 0xfffe
	s_cmp_eq_u32 s68, s8
	s_wait_dscnt 0x3
	v_add3_u32 v1, v3, v1, v4
	s_wait_dscnt 0x2
	s_delay_alu instid0(VALU_DEP_1) | instskip(SKIP_1) | instid1(VALU_DEP_1)
	v_add3_u32 v1, v32, v1, v33
	s_wait_dscnt 0x1
	v_add3_u32 v1, v34, v1, v35
	s_wait_dscnt 0x0
	s_delay_alu instid0(VALU_DEP_1)
	v_add3_u32 v1, v36, v1, v37
	s_cbranch_scc0 .LBB90_46
; %bb.47:                               ;   in Loop: Header=BB90_11 Depth=1
	s_mov_b32 s8, s68
	s_and_not1_b32 vcc_lo, exec_lo, s69
	s_wait_alu 0xfffe
	s_cbranch_vccz .LBB90_69
	s_branch .LBB90_71
.LBB90_48:                              ;   in Loop: Header=BB90_11 Depth=1
	v_dual_mov_b32 v1, 0 :: v_dual_mov_b32 v2, 0
	v_dual_mov_b32 v3, 0 :: v_dual_mov_b32 v4, 0
	s_and_saveexec_b32 s18, s4
	s_cbranch_execz .LBB90_52
; %bb.49:                               ;   in Loop: Header=BB90_11 Depth=1
	v_mov_b32_e32 v14, v17
	s_mov_b32 s19, 0
	s_mov_b32 s20, 0
	;; [unrolled: 1-line block ×6, first 2 shown]
.LBB90_50:                              ;   Parent Loop BB90_11 Depth=1
                                        ; =>  This Inner Loop Header: Depth=2
	s_wait_alu 0xfffe
	v_add_nc_u32_e32 v6, s20, v25
	v_add_nc_u32_e32 v14, s31, v14
	s_delay_alu instid0(VALU_DEP_2) | instskip(SKIP_1) | instid1(VALU_DEP_1)
	v_lshlrev_b64_e32 v[1:2], 2, v[6:7]
	v_add_nc_u32_e32 v6, s20, v12
	v_lshlrev_b64_e32 v[3:4], 2, v[6:7]
	v_add_nc_u32_e32 v6, s20, v23
	s_delay_alu instid0(VALU_DEP_4) | instskip(SKIP_2) | instid1(VALU_DEP_3)
	v_add_co_u32 v1, vcc_lo, s52, v1
	s_wait_alu 0xfffd
	v_add_co_ci_u32_e64 v2, null, s53, v2, vcc_lo
	v_lshlrev_b64_e32 v[32:33], 2, v[6:7]
	v_add_nc_u32_e32 v6, s20, v24
	s_add_co_i32 s20, s20, s72
	global_load_b32 v34, v[1:2], off
	v_add_co_u32 v1, vcc_lo, s52, v3
	s_wait_alu 0xfffd
	v_add_co_ci_u32_e64 v2, null, s53, v4, vcc_lo
	v_add_co_u32 v32, vcc_lo, s52, v32
	s_wait_alu 0xfffd
	v_add_co_ci_u32_e64 v33, null, s53, v33, vcc_lo
	v_lshlrev_b64_e32 v[3:4], 2, v[6:7]
	s_clause 0x1
	global_load_b32 v6, v[1:2], off
	global_load_b32 v32, v[32:33], off
	v_add_co_u32 v1, vcc_lo, s52, v3
	s_wait_alu 0xfffd
	v_add_co_ci_u32_e64 v2, null, s53, v4, vcc_lo
	v_cmp_le_u32_e32 vcc_lo, s70, v14
	global_load_b32 v1, v[1:2], off
	s_wait_loadcnt 0x3
	v_xor_b32_e32 v2, 0x80000000, v34
	s_delay_alu instid0(VALU_DEP_1) | instskip(SKIP_3) | instid1(VALU_DEP_3)
	v_and_b32_e32 v3, v2, v30
	v_bfe_u32 v2, v2, s81, 2
	s_wait_loadcnt 0x2
	v_xor_b32_e32 v4, 0x80000000, v6
	v_cmp_eq_u32_e64 s7, v3, v22
	s_delay_alu instid0(VALU_DEP_3)
	v_cmp_eq_u32_e64 s8, 0, v2
	s_wait_loadcnt 0x1
	v_xor_b32_e32 v6, 0x80000000, v32
	v_cmp_eq_u32_e64 s9, 1, v2
	v_and_b32_e32 v3, v4, v30
	v_bfe_u32 v4, v4, s81, 2
	v_cmp_eq_u32_e64 s10, 2, v2
	s_and_b32 s8, s7, s8
	v_cmp_eq_u32_e64 s11, 3, v2
	v_cmp_eq_u32_e64 s12, v3, v22
	v_and_b32_e32 v2, v6, v30
	v_bfe_u32 v3, v6, s81, 2
	v_cmp_eq_u32_e64 s13, 0, v4
	s_wait_alu 0xfffe
	v_cndmask_b32_e64 v6, 0, 1, s8
	v_cmp_eq_u32_e64 s8, 1, v4
	s_and_b32 s9, s7, s9
	s_and_b32 s10, s7, s10
	s_wait_alu 0xfffe
	v_cndmask_b32_e64 v32, 0, 1, s9
	v_cmp_eq_u32_e64 s9, 2, v4
	s_wait_loadcnt 0x0
	v_xor_b32_e32 v1, 0x80000000, v1
	v_cndmask_b32_e64 v33, 0, 1, s10
	s_and_b32 s7, s7, s11
	s_and_b32 s13, s12, s13
	s_and_b32 s8, s12, s8
	v_cmp_eq_u32_e64 s10, 3, v4
	s_wait_alu 0xfffe
	v_cndmask_b32_e64 v4, 0, 1, s7
	v_cmp_eq_u32_e64 s7, v2, v22
	v_cmp_eq_u32_e64 s11, 0, v3
	v_cmp_ne_u32_e64 s14, 0, v6
	v_cndmask_b32_e64 v6, 0, 1, s13
	v_cmp_eq_u32_e64 s13, 1, v3
	v_cmp_ne_u32_e64 s15, 0, v32
	v_cndmask_b32_e64 v32, 0, 1, s8
	v_cmp_eq_u32_e64 s8, 2, v3
	s_and_b32 s9, s12, s9
	v_and_b32_e32 v2, v1, v30
	v_bfe_u32 v1, v1, s81, 2
	v_cmp_ne_u32_e64 s16, 0, v33
	s_wait_alu 0xfffe
	v_cndmask_b32_e64 v33, 0, 1, s9
	v_cmp_eq_u32_e64 s9, 3, v3
	s_and_b32 s10, s12, s10
	s_and_b32 s11, s7, s11
	;; [unrolled: 1-line block ×4, first 2 shown]
	v_cmp_ne_u32_e64 s17, 0, v4
	s_wait_alu 0xfffe
	v_cndmask_b32_e64 v3, 0, 1, s10
	v_cmp_eq_u32_e64 s10, v2, v22
	v_cmp_eq_u32_e64 s12, 0, v1
	s_bcnt1_i32_b32 s25, s14
	v_cmp_ne_u32_e64 s14, 0, v6
	v_cndmask_b32_e64 v2, 0, 1, s11
	v_cmp_eq_u32_e64 s11, 1, v1
	v_cndmask_b32_e64 v4, 0, 1, s13
	v_cmp_eq_u32_e64 s13, 2, v1
	;; [unrolled: 2-line block ×3, first 2 shown]
	s_and_b32 s7, s7, s9
	s_bcnt1_i32_b32 s83, s17
	s_wait_alu 0xfffe
	v_cndmask_b32_e64 v1, 0, 1, s7
	v_cmp_ne_u32_e64 s17, 0, v3
	s_and_b32 s9, s10, s12
	s_and_b32 s11, s10, s11
	s_and_b32 s12, s10, s13
	s_and_b32 s8, s10, s8
	v_cmp_ne_u32_e64 s7, 0, v2
	s_wait_alu 0xfffe
	v_cndmask_b32_e64 v2, 0, 1, s9
	v_cmp_ne_u32_e64 s9, 0, v4
	v_cndmask_b32_e64 v3, 0, 1, s11
	v_cndmask_b32_e64 v4, 0, 1, s12
	v_cmp_ne_u32_e64 s12, 0, v1
	v_cndmask_b32_e64 v1, 0, 1, s8
	s_bcnt1_i32_b32 s26, s15
	v_cmp_ne_u32_e64 s15, 0, v32
	s_bcnt1_i32_b32 s82, s16
	v_cmp_ne_u32_e64 s16, 0, v33
	s_add_co_i32 s21, s83, s21
	v_cmp_ne_u32_e64 s11, 0, v6
	s_bcnt1_i32_b32 s13, s17
	s_bcnt1_i32_b32 s17, s7
	s_wait_alu 0xfffe
	s_add_co_i32 s13, s21, s13
	v_cmp_ne_u32_e64 s7, 0, v2
	s_bcnt1_i32_b32 s21, s9
	v_cmp_ne_u32_e64 s8, 0, v3
	v_cmp_ne_u32_e64 s9, 0, v4
	;; [unrolled: 1-line block ×3, first 2 shown]
	s_add_co_i32 s24, s25, s24
	s_add_co_i32 s23, s26, s23
	;; [unrolled: 1-line block ×3, first 2 shown]
	s_bcnt1_i32_b32 s14, s14
	s_bcnt1_i32_b32 s15, s15
	;; [unrolled: 1-line block ×3, first 2 shown]
	s_wait_alu 0xfffe
	s_add_co_i32 s14, s24, s14
	s_add_co_i32 s15, s23, s15
	s_add_co_i32 s16, s22, s16
	s_bcnt1_i32_b32 s11, s11
	s_bcnt1_i32_b32 s12, s12
	s_wait_alu 0xfffe
	s_add_co_i32 s14, s14, s17
	s_add_co_i32 s15, s15, s21
	;; [unrolled: 1-line block ×4, first 2 shown]
	s_bcnt1_i32_b32 s7, s7
	s_bcnt1_i32_b32 s8, s8
	;; [unrolled: 1-line block ×4, first 2 shown]
	s_wait_alu 0xfffe
	s_add_co_i32 s24, s14, s7
	s_add_co_i32 s23, s15, s8
	;; [unrolled: 1-line block ×4, first 2 shown]
	s_wait_alu 0xfffe
	v_dual_mov_b32 v1, s24 :: v_dual_mov_b32 v2, s23
	v_dual_mov_b32 v3, s22 :: v_dual_mov_b32 v4, s21
	s_or_b32 s19, vcc_lo, s19
	s_wait_alu 0xfffe
	s_and_not1_b32 exec_lo, exec_lo, s19
	s_cbranch_execnz .LBB90_50
; %bb.51:                               ;   in Loop: Header=BB90_11 Depth=1
	s_or_b32 exec_lo, exec_lo, s19
.LBB90_52:                              ;   in Loop: Header=BB90_11 Depth=1
	s_wait_alu 0xfffe
	s_or_b32 exec_lo, exec_lo, s18
	s_and_saveexec_b32 s11, s5
	s_cbranch_execz .LBB90_58
; %bb.53:                               ;   in Loop: Header=BB90_11 Depth=1
	global_load_b32 v33, v[10:11], off
	v_mov_b32_e32 v6, v26
	v_mov_b32_e32 v14, v20
	s_mov_b32 s12, 0
	s_branch .LBB90_55
.LBB90_54:                              ;   in Loop: Header=BB90_55 Depth=2
	s_wait_alu 0xfffe
	s_or_b32 exec_lo, exec_lo, s8
	s_wait_loadcnt 0x0
	v_xor_b32_e32 v33, 0x80000000, v33
	s_and_b32 s8, exec_lo, vcc_lo
	v_add_nc_u32_e32 v6, s43, v6
	s_wait_alu 0xfffe
	s_or_b32 s12, s8, s12
	v_and_b32_e32 v34, v33, v30
	v_bfe_u32 v33, v33, s81, 2
	s_delay_alu instid0(VALU_DEP_2) | instskip(NEXT) | instid1(VALU_DEP_2)
	v_cmp_eq_u32_e32 vcc_lo, v34, v22
	v_cmp_eq_u32_e64 s7, 0, v33
	v_cmp_eq_u32_e64 s8, 1, v33
	;; [unrolled: 1-line block ×4, first 2 shown]
	s_and_b32 s7, vcc_lo, s7
	s_wait_alu 0xfffe
	v_cndmask_b32_e64 v33, 0, 1, s7
	s_and_b32 s7, vcc_lo, s8
	s_wait_alu 0xfffe
	v_cndmask_b32_e64 v34, 0, 1, s7
	;; [unrolled: 3-line block ×3, first 2 shown]
	s_and_b32 s7, vcc_lo, s10
	v_cmp_ne_u32_e32 vcc_lo, 0, v33
	s_wait_alu 0xfffe
	v_cndmask_b32_e64 v36, 0, 1, s7
	v_cmp_ne_u32_e64 s7, 0, v34
	v_cmp_ne_u32_e64 s8, 0, v35
	v_mov_b32_e32 v33, v32
	s_bcnt1_i32_b32 s10, vcc_lo
	v_cmp_ne_u32_e64 s9, 0, v36
	s_bcnt1_i32_b32 s7, s7
	s_bcnt1_i32_b32 s8, s8
	s_wait_alu 0xfffe
	v_add_nc_u32_e32 v1, s10, v1
	v_add_nc_u32_e32 v2, s7, v2
	s_bcnt1_i32_b32 s9, s9
	v_add_nc_u32_e32 v3, s8, v3
	s_wait_alu 0xfffe
	v_add_nc_u32_e32 v4, s9, v4
	s_and_not1_b32 exec_lo, exec_lo, s12
	s_cbranch_execz .LBB90_57
.LBB90_55:                              ;   Parent Loop BB90_11 Depth=1
                                        ; =>  This Inner Loop Header: Depth=2
	s_delay_alu instid0(VALU_DEP_1) | instskip(SKIP_2) | instid1(VALU_DEP_2)
	v_add_nc_u32_e32 v14, s29, v14
	v_mov_b32_e32 v32, 0
	s_mov_b32 s8, exec_lo
	v_cmp_le_u32_e32 vcc_lo, s28, v14
	v_cmpx_gt_u32_e64 s28, v14
	s_cbranch_execz .LBB90_54
; %bb.56:                               ;   in Loop: Header=BB90_55 Depth=2
	v_lshlrev_b64_e32 v[34:35], 2, v[6:7]
	s_delay_alu instid0(VALU_DEP_1) | instskip(SKIP_1) | instid1(VALU_DEP_2)
	v_add_co_u32 v34, s7, s52, v34
	s_wait_alu 0xf1fe
	v_add_co_ci_u32_e64 v35, null, s53, v35, s7
	global_load_b32 v32, v[34:35], off
	s_branch .LBB90_54
.LBB90_57:                              ;   in Loop: Header=BB90_11 Depth=1
	s_or_b32 exec_lo, exec_lo, s12
.LBB90_58:                              ;   in Loop: Header=BB90_11 Depth=1
	s_wait_alu 0xfffe
	s_or_b32 exec_lo, exec_lo, s11
	s_branch .LBB90_40
.LBB90_59:                              ;   in Loop: Header=BB90_11 Depth=1
	s_mul_u64 s[8:9], s[58:59], s[60:61]
	v_dual_mov_b32 v1, 0 :: v_dual_mov_b32 v2, 0
	s_wait_alu 0xfffe
	s_mul_i32 s7, s9, s31
	v_dual_mov_b32 v3, 0 :: v_dual_mov_b32 v4, 0
	s_wait_alu 0xfffe
	s_sub_co_i32 s7, s58, s7
	s_mov_b32 s83, exec_lo
	s_wait_alu 0xfffe
	s_sub_co_i32 s8, s7, s31
	s_cmp_ge_u32 s7, s31
	s_wait_alu 0xfffe
	s_cselect_b32 s7, s8, s7
	s_wait_alu 0xfffe
	s_sub_co_i32 s8, s7, s31
	s_cmp_ge_u32 s7, s31
	s_wait_alu 0xfffe
	s_cselect_b32 s7, s8, s7
	s_wait_alu 0xfffe
	s_sub_co_i32 s82, s58, s7
	s_wait_alu 0xfffe
	v_cmpx_gt_u32_e64 s82, v17
	s_cbranch_execz .LBB90_63
; %bb.60:                               ;   in Loop: Header=BB90_11 Depth=1
	v_mov_b32_e32 v6, v27
	v_mov_b32_e32 v14, v17
	s_mov_b32 s84, 0
	s_mov_b32 s85, 0
	;; [unrolled: 1-line block ×5, first 2 shown]
.LBB90_61:                              ;   Parent Loop BB90_11 Depth=1
                                        ; =>  This Inner Loop Header: Depth=2
	ds_load_b128 v[1:4], v6
	s_wait_dscnt 0x0
	v_xor_b32_e32 v1, 0x80000000, v1
	v_xor_b32_e32 v2, 0x80000000, v2
	;; [unrolled: 1-line block ×4, first 2 shown]
	s_delay_alu instid0(VALU_DEP_4)
	v_and_b32_e32 v32, v1, v30
	v_bfe_u32 v1, v1, s81, 2
	v_and_b32_e32 v33, v2, v30
	v_bfe_u32 v2, v2, s81, 2
	v_and_b32_e32 v34, v3, v30
	v_bfe_u32 v3, v3, s81, 2
	v_cmp_eq_u32_e64 s7, v32, v22
	v_cmp_eq_u32_e64 s11, 0, v1
	v_and_b32_e32 v35, v4, v30
	v_bfe_u32 v4, v4, s81, 2
	v_cmp_eq_u32_e64 s8, v33, v22
	v_cmp_eq_u32_e64 s12, 0, v2
	;; [unrolled: 1-line block ×4, first 2 shown]
	s_and_b32 s11, s7, s11
	v_cmp_eq_u32_e64 s10, v35, v22
	v_cmp_eq_u32_e64 s14, 0, v4
	;; [unrolled: 1-line block ×5, first 2 shown]
	s_wait_alu 0xfffe
	v_cndmask_b32_e64 v1, 0, 1, s11
	s_and_b32 s11, s8, s12
	v_cmp_eq_u32_e64 s16, 1, v2
	v_cmp_eq_u32_e64 s20, 2, v2
	v_cmp_eq_u32_e64 s24, 3, v2
	s_wait_alu 0xfffe
	v_cndmask_b32_e64 v2, 0, 1, s11
	s_and_b32 s11, s9, s13
	v_cmp_eq_u32_e64 s17, 1, v3
	v_cmp_eq_u32_e64 s21, 2, v3
	v_cmp_eq_u32_e64 s25, 3, v3
	s_wait_alu 0xfffe
	v_cndmask_b32_e64 v3, 0, 1, s11
	s_and_b32 s11, s10, s14
	v_cmp_eq_u32_e64 s18, 1, v4
	v_cmp_eq_u32_e64 s22, 2, v4
	v_cmp_eq_u32_e64 s26, 3, v4
	s_wait_alu 0xfffe
	v_cndmask_b32_e64 v4, 0, 1, s11
	s_and_b32 s11, s7, s15
	s_wait_alu 0xfffe
	v_cndmask_b32_e64 v32, 0, 1, s11
	s_and_b32 s11, s8, s16
	;; [unrolled: 3-line block ×4, first 2 shown]
	v_cmp_ne_u32_e64 s12, 0, v33
	s_wait_alu 0xfffe
	v_cndmask_b32_e64 v35, 0, 1, s11
	s_and_b32 s11, s7, s19
	s_and_b32 s7, s7, s23
	s_wait_alu 0xfffe
	v_cndmask_b32_e64 v36, 0, 1, s11
	v_cndmask_b32_e64 v40, 0, 1, s7
	s_and_b32 s7, s8, s24
	s_and_b32 s11, s8, s20
	s_wait_alu 0xfffe
	v_cndmask_b32_e64 v41, 0, 1, s7
	s_and_b32 s7, s9, s25
	v_cndmask_b32_e64 v37, 0, 1, s11
	s_wait_alu 0xfffe
	v_cndmask_b32_e64 v42, 0, 1, s7
	s_and_b32 s7, s10, s26
	s_and_b32 s11, s9, s21
	s_wait_alu 0xfffe
	v_cndmask_b32_e64 v43, 0, 1, s7
	v_cmp_ne_u32_e64 s7, 0, v1
	v_cmp_ne_u32_e64 s8, 0, v2
	v_cndmask_b32_e64 v38, 0, 1, s11
	s_and_b32 s11, s10, s22
	v_cmp_ne_u32_e64 s9, 0, v3
	s_wait_alu 0xfffe
	v_cndmask_b32_e64 v39, 0, 1, s11
	v_cmp_ne_u32_e64 s11, 0, v32
	v_cmp_ne_u32_e64 s15, 0, v36
	;; [unrolled: 1-line block ×3, first 2 shown]
	s_bcnt1_i32_b32 s7, s7
	v_cmp_ne_u32_e64 s10, 0, v4
	v_cmp_ne_u32_e64 s16, 0, v37
	;; [unrolled: 1-line block ×3, first 2 shown]
	s_bcnt1_i32_b32 s8, s8
	s_wait_alu 0xfffe
	s_add_co_i32 s7, s7, s88
	v_cmp_ne_u32_e64 s13, 0, v34
	v_cmp_ne_u32_e64 s17, 0, v38
	;; [unrolled: 1-line block ×3, first 2 shown]
	s_bcnt1_i32_b32 s9, s9
	s_wait_alu 0xfffe
	s_add_co_i32 s7, s7, s8
	s_bcnt1_i32_b32 s11, s11
	s_bcnt1_i32_b32 s15, s15
	;; [unrolled: 1-line block ×3, first 2 shown]
	v_cmp_ne_u32_e64 s14, 0, v35
	v_cmp_ne_u32_e64 s18, 0, v39
	;; [unrolled: 1-line block ×3, first 2 shown]
	s_bcnt1_i32_b32 s10, s10
	s_wait_alu 0xfffe
	s_add_co_i32 s7, s7, s9
	s_bcnt1_i32_b32 s12, s12
	s_bcnt1_i32_b32 s16, s16
	;; [unrolled: 1-line block ×3, first 2 shown]
	s_add_co_i32 s11, s11, s87
	s_add_co_i32 s15, s15, s86
	s_add_co_i32 s19, s19, s85
	s_wait_alu 0xfffe
	s_add_co_i32 s88, s7, s10
	s_wait_alu 0xfffe
	v_dual_mov_b32 v1, s88 :: v_dual_add_nc_u32 v14, s31, v14
	s_bcnt1_i32_b32 s13, s13
	s_bcnt1_i32_b32 s17, s17
	;; [unrolled: 1-line block ×3, first 2 shown]
	s_add_co_i32 s8, s11, s12
	s_add_co_i32 s11, s15, s16
	;; [unrolled: 1-line block ×3, first 2 shown]
	s_bcnt1_i32_b32 s14, s14
	s_bcnt1_i32_b32 s18, s18
	;; [unrolled: 1-line block ×3, first 2 shown]
	s_wait_alu 0xfffe
	s_add_co_i32 s8, s8, s13
	s_add_co_i32 s9, s11, s17
	;; [unrolled: 1-line block ×3, first 2 shown]
	v_cmp_le_u32_e32 vcc_lo, s82, v14
	s_wait_alu 0xfffe
	s_add_co_i32 s87, s8, s14
	s_add_co_i32 s86, s9, s18
	;; [unrolled: 1-line block ×3, first 2 shown]
	s_wait_alu 0xfffe
	v_dual_mov_b32 v3, s86 :: v_dual_add_nc_u32 v6, s73, v6
	v_mov_b32_e32 v2, s87
	v_mov_b32_e32 v4, s85
	s_or_b32 s84, vcc_lo, s84
	s_wait_alu 0xfffe
	s_and_not1_b32 exec_lo, exec_lo, s84
	s_cbranch_execnz .LBB90_61
; %bb.62:                               ;   in Loop: Header=BB90_11 Depth=1
	s_or_b32 exec_lo, exec_lo, s84
.LBB90_63:                              ;   in Loop: Header=BB90_11 Depth=1
	s_delay_alu instid0(SALU_CYCLE_1) | instskip(SKIP_2) | instid1(VALU_DEP_1)
	s_or_b32 exec_lo, exec_lo, s83
	v_add_nc_u32_e32 v6, s82, v0
	s_mov_b32 s12, exec_lo
	v_cmpx_gt_u32_e64 s58, v6
	s_cbranch_execz .LBB90_67
; %bb.64:                               ;   in Loop: Header=BB90_11 Depth=1
	v_lshlrev_b32_e32 v14, 2, v6
	s_mov_b32 s13, 0
.LBB90_65:                              ;   Parent Loop BB90_11 Depth=1
                                        ; =>  This Inner Loop Header: Depth=2
	ds_load_b32 v32, v14
	v_add_nc_u32_e32 v6, s29, v6
	v_add_nc_u32_e32 v14, s31, v14
	s_delay_alu instid0(VALU_DEP_2) | instskip(SKIP_2) | instid1(VALU_DEP_1)
	v_cmp_le_u32_e32 vcc_lo, s58, v6
	s_wait_dscnt 0x0
	v_xor_b32_e32 v32, 0x80000000, v32
	v_and_b32_e32 v33, v32, v30
	v_bfe_u32 v32, v32, s81, 2
	s_delay_alu instid0(VALU_DEP_2) | instskip(NEXT) | instid1(VALU_DEP_2)
	v_cmp_eq_u32_e64 s7, v33, v22
	v_cmp_eq_u32_e64 s8, 0, v32
	;; [unrolled: 1-line block ×5, first 2 shown]
	s_and_b32 s8, s7, s8
	s_wait_alu 0xfffe
	v_cndmask_b32_e64 v32, 0, 1, s8
	s_and_b32 s8, s7, s9
	s_wait_alu 0xfffe
	v_cndmask_b32_e64 v33, 0, 1, s8
	s_and_b32 s8, s7, s10
	s_and_b32 s7, s7, s11
	s_wait_alu 0xfffe
	v_cndmask_b32_e64 v34, 0, 1, s8
	v_cndmask_b32_e64 v35, 0, 1, s7
	v_cmp_ne_u32_e64 s7, 0, v32
	v_cmp_ne_u32_e64 s8, 0, v33
	s_delay_alu instid0(VALU_DEP_4) | instskip(NEXT) | instid1(VALU_DEP_4)
	v_cmp_ne_u32_e64 s9, 0, v34
	v_cmp_ne_u32_e64 s10, 0, v35
	s_bcnt1_i32_b32 s7, s7
	s_bcnt1_i32_b32 s8, s8
	s_wait_alu 0xfffe
	v_add_nc_u32_e32 v1, s7, v1
	s_bcnt1_i32_b32 s9, s9
	s_bcnt1_i32_b32 s10, s10
	v_add_nc_u32_e32 v2, s8, v2
	s_wait_alu 0xfffe
	v_add_nc_u32_e32 v3, s9, v3
	v_add_nc_u32_e32 v4, s10, v4
	s_or_b32 s13, vcc_lo, s13
	s_wait_alu 0xfffe
	s_and_not1_b32 exec_lo, exec_lo, s13
	s_cbranch_execnz .LBB90_65
; %bb.66:                               ;   in Loop: Header=BB90_11 Depth=1
	s_or_b32 exec_lo, exec_lo, s13
.LBB90_67:                              ;   in Loop: Header=BB90_11 Depth=1
	s_wait_alu 0xfffe
	s_or_b32 exec_lo, exec_lo, s12
	v_lshlrev_b32_e32 v6, 7, v29
	s_and_saveexec_b32 s7, s1
	s_cbranch_execnz .LBB90_41
	s_branch .LBB90_42
.LBB90_68:                              ;   in Loop: Header=BB90_11 Depth=1
	v_mov_b32_e32 v1, 0
	s_mov_b32 s8, 0
	s_and_not1_b32 vcc_lo, exec_lo, s69
	s_wait_alu 0xfffe
	s_cbranch_vccnz .LBB90_71
.LBB90_69:                              ;   in Loop: Header=BB90_11 Depth=1
	v_lshlrev_b32_e32 v2, 9, v29
	s_lshl_b32 s8, s8, 4
	s_wait_alu 0xfffe
	s_delay_alu instid0(VALU_DEP_1)
	v_add3_u32 v2, v2, s8, v28
	s_mov_b32 s8, s66
.LBB90_70:                              ;   Parent Loop BB90_11 Depth=1
                                        ; =>  This Inner Loop Header: Depth=2
	ds_load_b32 v3, v2
	v_add_nc_u32_e32 v2, 16, v2
	s_wait_alu 0xfffe
	s_add_co_i32 s8, s8, -1
	s_wait_alu 0xfffe
	s_cmp_lg_u32 s8, 0
	s_wait_dscnt 0x0
	v_add_nc_u32_e32 v1, v3, v1
	s_cbranch_scc1 .LBB90_70
.LBB90_71:                              ;   in Loop: Header=BB90_11 Depth=1
	v_add_lshl_u32 v2, v6, v16, 2
	ds_store_b32 v2, v1 offset:3072
.LBB90_72:                              ;   in Loop: Header=BB90_11 Depth=1
	s_wait_alu 0xfffe
	s_or_b32 exec_lo, exec_lo, s7
	v_lshlrev_b32_e32 v1, 2, v6
	s_wait_loadcnt_dscnt 0x0
	s_barrier_signal -1
	s_barrier_wait -1
	global_inv scope:SCOPE_SE
	ds_load_b128 v[1:4], v1 offset:3072
	s_lshl_b32 s8, 3, s81
	v_cmp_eq_u32_e32 vcc_lo, 1, v31
	s_wait_alu 0xfffe
	s_not_b32 s15, s8
	s_mov_b32 s11, -1
	s_mov_b32 s19, -1
                                        ; implicit-def: $sgpr16
                                        ; implicit-def: $sgpr13
	s_wait_dscnt 0x0
	v_readfirstlane_b32 s10, v1
	v_readfirstlane_b32 s17, v2
	;; [unrolled: 1-line block ×4, first 2 shown]
	s_cmp_eq_u32 s10, 1
	s_cselect_b32 s9, -1, 0
	s_wait_alu 0xfffe
	s_and_b32 s12, s9, vcc_lo
	s_wait_alu 0xfffe
	s_and_saveexec_b32 s9, s12
	s_cbranch_execz .LBB90_98
; %bb.73:                               ;   in Loop: Header=BB90_11 Depth=1
	ds_load_b32 v1, v7 offset:4104
	s_wait_loadcnt_dscnt 0x0
	s_barrier_signal -1
	s_barrier_wait -1
	global_inv scope:SCOPE_SE
	v_readfirstlane_b32 s19, v1
	s_and_saveexec_b32 s13, s3
; %bb.74:                               ;   in Loop: Header=BB90_11 Depth=1
	ds_store_b32 v18, v7
; %bb.75:                               ;   in Loop: Header=BB90_11 Depth=1
	s_wait_alu 0xfffe
	s_or_b32 exec_lo, exec_lo, s13
	v_and_b32_e32 v22, s15, v22
	v_or_b32_e32 v30, s8, v30
	s_mov_b32 s13, -1
	s_mov_b32 s16, 0
	s_cmp_eq_u32 s19, 0
	s_mov_b32 s18, 0
	s_mov_b32 s20, -1
	s_wait_loadcnt_dscnt 0x0
	s_barrier_signal -1
	s_barrier_wait -1
	global_inv scope:SCOPE_SE
                                        ; implicit-def: $vgpr15
	s_cbranch_scc1 .LBB90_86
; %bb.76:                               ;   in Loop: Header=BB90_11 Depth=1
	s_add_co_i32 s58, s19, s39
                                        ; implicit-def: $vgpr15
	s_wait_alu 0xfffe
	s_mul_u64 s[20:21], s[58:59], s[62:63]
	s_wait_alu 0xfffe
	s_mul_i32 s18, s21, s29
	s_mov_b32 s21, exec_lo
	s_wait_alu 0xfffe
	s_sub_co_i32 s18, s58, s18
	s_wait_alu 0xfffe
	s_sub_co_i32 s20, s18, s29
	s_cmp_ge_u32 s18, s29
	s_wait_alu 0xfffe
	s_cselect_b32 s18, s20, s18
	s_wait_alu 0xfffe
	s_sub_co_i32 s20, s18, s29
	s_cmp_ge_u32 s18, s29
	s_wait_alu 0xfffe
	s_cselect_b32 s18, s20, s18
	s_mov_b32 s20, 0
	s_wait_alu 0xfffe
	s_sub_co_i32 s22, s58, s18
	s_mov_b32 s18, 0
	s_wait_alu 0xfffe
	v_cmpx_gt_u32_e64 s22, v0
	s_cbranch_execz .LBB90_85
; %bb.77:                               ;   in Loop: Header=BB90_11 Depth=1
	v_dual_mov_b32 v1, v17 :: v_dual_mov_b32 v2, v0
                                        ; implicit-def: $sgpr23
	s_branch .LBB90_80
.LBB90_78:                              ;   in Loop: Header=BB90_80 Depth=2
	s_wait_alu 0xfffe
	s_or_b32 exec_lo, exec_lo, s24
	s_wait_loadcnt_dscnt 0x0
	s_barrier_signal -1
	s_barrier_wait -1
	global_inv scope:SCOPE_SE
	ds_load_b64 v[14:15], v7 offset:3072
	s_mov_b32 s24, -1
	s_mov_b32 s25, -1
	s_wait_loadcnt_dscnt 0x0
	s_barrier_signal -1
	s_barrier_wait -1
	global_inv scope:SCOPE_SE
	v_cmp_ne_u32_e32 vcc_lo, 0, v14
	s_cbranch_vccz .LBB90_83
.LBB90_79:                              ;   in Loop: Header=BB90_80 Depth=2
	s_wait_alu 0xfffe
	s_and_b32 s24, exec_lo, s24
	s_wait_alu 0xfffe
	s_or_b32 s18, s24, s18
	s_and_not1_b32 s23, s23, exec_lo
	s_and_b32 s24, s25, exec_lo
	s_wait_alu 0xfffe
	s_or_b32 s23, s23, s24
	s_and_not1_b32 exec_lo, exec_lo, s18
	s_cbranch_execz .LBB90_84
.LBB90_80:                              ;   Parent Loop BB90_11 Depth=1
                                        ; =>  This Inner Loop Header: Depth=2
	s_mov_b32 s24, exec_lo
	s_delay_alu instid0(VALU_DEP_1)
	v_cmpx_gt_u32_e64 s19, v2
	s_cbranch_execz .LBB90_78
; %bb.81:                               ;   in Loop: Header=BB90_80 Depth=2
	ds_load_b32 v14, v1
	s_wait_dscnt 0x0
	v_xor_b32_e32 v3, 0x80000000, v14
	s_delay_alu instid0(VALU_DEP_1) | instskip(NEXT) | instid1(VALU_DEP_1)
	v_and_b32_e32 v3, v3, v30
	v_cmp_eq_u32_e32 vcc_lo, v3, v22
	s_and_b32 exec_lo, exec_lo, vcc_lo
	s_cbranch_execz .LBB90_78
; %bb.82:                               ;   in Loop: Header=BB90_80 Depth=2
	ds_store_b64 v7, v[13:14] offset:3072
	s_branch .LBB90_78
.LBB90_83:                              ;   in Loop: Header=BB90_80 Depth=2
	v_add_nc_u32_e32 v2, s29, v2
	v_add_nc_u32_e32 v1, s31, v1
	s_mov_b32 s25, 0
	s_delay_alu instid0(VALU_DEP_2)
	v_cmp_le_u32_e32 vcc_lo, s22, v2
	s_or_not1_b32 s24, vcc_lo, exec_lo
	s_branch .LBB90_79
.LBB90_84:                              ;   in Loop: Header=BB90_11 Depth=1
	s_or_b32 exec_lo, exec_lo, s18
	s_wait_alu 0xfffe
	s_and_b32 s18, s23, exec_lo
.LBB90_85:                              ;   in Loop: Header=BB90_11 Depth=1
	s_or_b32 exec_lo, exec_lo, s21
.LBB90_86:                              ;   in Loop: Header=BB90_11 Depth=1
	s_wait_alu 0xfffe
	s_and_b32 vcc_lo, exec_lo, s20
	s_wait_alu 0xfffe
	s_cbranch_vccz .LBB90_97
; %bb.87:                               ;   in Loop: Header=BB90_11 Depth=1
                                        ; implicit-def: $vgpr15
	s_and_saveexec_b32 s13, s6
	s_cbranch_execz .LBB90_96
; %bb.88:                               ;   in Loop: Header=BB90_11 Depth=1
	v_dual_mov_b32 v6, v5 :: v_dual_mov_b32 v1, v0
	s_mov_b32 s16, 0
                                        ; implicit-def: $sgpr19
	s_branch .LBB90_91
.LBB90_89:                              ;   in Loop: Header=BB90_91 Depth=2
	s_wait_alu 0xfffe
	s_or_b32 exec_lo, exec_lo, s20
	s_wait_loadcnt_dscnt 0x0
	s_barrier_signal -1
	s_barrier_wait -1
	global_inv scope:SCOPE_SE
	ds_load_b64 v[14:15], v7 offset:3072
	s_mov_b32 s20, -1
	s_mov_b32 s21, -1
	s_wait_loadcnt_dscnt 0x0
	s_barrier_signal -1
	s_barrier_wait -1
	global_inv scope:SCOPE_SE
	v_cmp_ne_u32_e32 vcc_lo, 0, v14
	s_cbranch_vccz .LBB90_94
.LBB90_90:                              ;   in Loop: Header=BB90_91 Depth=2
	s_wait_alu 0xfffe
	s_and_b32 s20, exec_lo, s20
	s_wait_alu 0xfffe
	s_or_b32 s16, s20, s16
	s_and_not1_b32 s19, s19, exec_lo
	s_and_b32 s20, s21, exec_lo
	s_wait_alu 0xfffe
	s_or_b32 s19, s19, s20
	s_and_not1_b32 exec_lo, exec_lo, s16
	s_cbranch_execz .LBB90_95
.LBB90_91:                              ;   Parent Loop BB90_11 Depth=1
                                        ; =>  This Inner Loop Header: Depth=2
	s_mov_b32 s20, exec_lo
	s_delay_alu instid0(VALU_DEP_1)
	v_cmpx_gt_u32_e64 s28, v1
	s_cbranch_execz .LBB90_89
; %bb.92:                               ;   in Loop: Header=BB90_91 Depth=2
	v_lshlrev_b64_e32 v[2:3], 2, v[6:7]
	s_delay_alu instid0(VALU_DEP_1) | instskip(SKIP_1) | instid1(VALU_DEP_2)
	v_add_co_u32 v2, vcc_lo, s52, v2
	s_wait_alu 0xfffd
	v_add_co_ci_u32_e64 v3, null, s53, v3, vcc_lo
	global_load_b32 v14, v[2:3], off
	s_wait_loadcnt 0x0
	v_xor_b32_e32 v2, 0x80000000, v14
	s_delay_alu instid0(VALU_DEP_1) | instskip(NEXT) | instid1(VALU_DEP_1)
	v_and_b32_e32 v2, v2, v30
	v_cmp_eq_u32_e32 vcc_lo, v2, v22
	s_and_b32 exec_lo, exec_lo, vcc_lo
	s_cbranch_execz .LBB90_89
; %bb.93:                               ;   in Loop: Header=BB90_91 Depth=2
	ds_store_b64 v7, v[13:14] offset:3072
	s_branch .LBB90_89
.LBB90_94:                              ;   in Loop: Header=BB90_91 Depth=2
	v_add_nc_u32_e32 v1, s29, v1
	v_add_nc_u32_e32 v6, s43, v6
	s_mov_b32 s21, 0
	s_delay_alu instid0(VALU_DEP_2)
	v_cmp_le_u32_e32 vcc_lo, s71, v1
	s_or_not1_b32 s20, vcc_lo, exec_lo
	s_branch .LBB90_90
.LBB90_95:                              ;   in Loop: Header=BB90_11 Depth=1
	s_or_b32 exec_lo, exec_lo, s16
	s_delay_alu instid0(SALU_CYCLE_1)
	s_and_not1_b32 s16, s18, exec_lo
	s_wait_alu 0xfffe
	s_and_b32 s18, s19, exec_lo
	s_wait_alu 0xfffe
	s_or_b32 s18, s16, s18
.LBB90_96:                              ;   in Loop: Header=BB90_11 Depth=1
	s_wait_alu 0xfffe
	s_or_b32 exec_lo, exec_lo, s13
	s_mov_b32 s13, 0
	s_mov_b32 s16, -1
.LBB90_97:                              ;   in Loop: Header=BB90_11 Depth=1
	s_or_not1_b32 s19, s18, exec_lo
.LBB90_98:                              ;   in Loop: Header=BB90_11 Depth=1
	s_wait_alu 0xfffe
	s_or_b32 exec_lo, exec_lo, s9
	v_readfirstlane_b32 s18, v0
	s_and_not1_b32 s9, s79, exec_lo
	s_and_b32 s16, s16, exec_lo
	s_and_not1_b32 s20, s77, exec_lo
	s_and_b32 s13, s13, exec_lo
	s_and_not1_b32 s76, s76, exec_lo
	s_wait_alu 0xfffe
	s_or_b32 s79, s9, s16
	s_or_b32 s77, s20, s13
                                        ; implicit-def: $vgpr2
	s_and_saveexec_b32 s9, s19
	s_cbranch_execz .LBB90_10
; %bb.99:                               ;   in Loop: Header=BB90_11 Depth=1
	v_dual_mov_b32 v2, 1 :: v_dual_mov_b32 v1, 1
	s_xor_b32 s12, s12, -1
	s_mov_b32 s18, 0
	s_wait_alu 0xfffe
	s_and_saveexec_b32 s11, s12
	s_cbranch_execz .LBB90_108
; %bb.100:                              ;   in Loop: Header=BB90_11 Depth=1
	s_mov_b32 s12, exec_lo
	v_cmpx_ge_u32_e64 s10, v31
	s_wait_alu 0xfffe
	s_xor_b32 s12, exec_lo, s12
	s_cbranch_execz .LBB90_105
; %bb.101:                              ;   in Loop: Header=BB90_11 Depth=1
	ds_load_b32 v1, v7 offset:4104
	v_and_b32_e32 v22, s15, v22
	v_or_b32_e32 v30, s8, v30
	s_wait_dscnt 0x0
	v_cmp_ne_u32_e32 vcc_lo, 0, v1
	s_cbranch_vccnz .LBB90_105
; %bb.102:                              ;   in Loop: Header=BB90_11 Depth=1
	s_and_saveexec_b32 s13, s2
; %bb.103:                              ;   in Loop: Header=BB90_11 Depth=1
	v_mov_b32_e32 v1, s10
	ds_store_b32 v7, v1 offset:4108
; %bb.104:                              ;   in Loop: Header=BB90_11 Depth=1
	s_wait_alu 0xfffe
	s_or_b32 exec_lo, exec_lo, s13
	s_wait_loadcnt_dscnt 0x0
	s_barrier_signal -1
	s_barrier_wait -1
	global_inv scope:SCOPE_SE
.LBB90_105:                             ;   in Loop: Header=BB90_11 Depth=1
	s_wait_alu 0xfffe
	s_or_saveexec_b32 s12, s12
	v_mov_b32_e32 v1, 8
	s_mov_b32 s13, 0
	s_wait_alu 0xfffe
	s_xor_b32 exec_lo, exec_lo, s12
; %bb.106:                              ;   in Loop: Header=BB90_11 Depth=1
	v_subrev_nc_u32_e32 v31, s10, v31
	v_mov_b32_e32 v1, 0
	s_mov_b32 s13, exec_lo
; %bb.107:                              ;   in Loop: Header=BB90_11 Depth=1
	s_or_b32 exec_lo, exec_lo, s12
	s_delay_alu instid0(VALU_DEP_2)
	v_mov_b32_e32 v2, v31
	s_wait_alu 0xfffe
	s_and_b32 s18, s13, exec_lo
.LBB90_108:                             ;   in Loop: Header=BB90_11 Depth=1
	s_wait_alu 0xfffe
	s_or_b32 exec_lo, exec_lo, s11
	s_mov_b32 s10, -1
	s_mov_b32 s16, -1
                                        ; implicit-def: $sgpr12
                                        ; implicit-def: $sgpr13
	s_and_saveexec_b32 s11, s18
	s_wait_alu 0xfffe
	s_xor_b32 s11, exec_lo, s11
	s_cbranch_execz .LBB90_228
; %bb.109:                              ;   in Loop: Header=BB90_11 Depth=1
	v_cmp_eq_u32_e32 vcc_lo, 1, v2
	s_cmp_eq_u32 s17, 1
	s_mov_b32 s19, -1
	s_cselect_b32 s12, -1, 0
                                        ; implicit-def: $sgpr13
	s_wait_alu 0xfffe
	s_and_b32 s18, s12, vcc_lo
                                        ; implicit-def: $sgpr12
	s_wait_alu 0xfffe
	s_and_saveexec_b32 s16, s18
	s_cbranch_execz .LBB90_138
; %bb.110:                              ;   in Loop: Header=BB90_11 Depth=1
	ds_load_b32 v3, v7 offset:4104
	s_wait_loadcnt_dscnt 0x0
	s_barrier_signal -1
	s_barrier_wait -1
	global_inv scope:SCOPE_SE
	v_readfirstlane_b32 s20, v3
	s_and_saveexec_b32 s12, s3
; %bb.111:                              ;   in Loop: Header=BB90_11 Depth=1
	ds_store_b32 v18, v7
; %bb.112:                              ;   in Loop: Header=BB90_11 Depth=1
	s_wait_alu 0xfffe
	s_or_b32 exec_lo, exec_lo, s12
	s_lshl_b32 s12, 1, s81
	v_or_b32_e32 v30, s8, v30
	s_wait_alu 0xfffe
	v_and_or_b32 v22, v22, s15, s12
	s_mov_b32 s12, -1
	s_mov_b32 s13, 0
	s_cmp_eq_u32 s20, 0
	s_mov_b32 s19, 0
	s_mov_b32 s21, -1
	s_wait_loadcnt_dscnt 0x0
	s_barrier_signal -1
	s_barrier_wait -1
	global_inv scope:SCOPE_SE
                                        ; implicit-def: $vgpr15
	s_cbranch_scc1 .LBB90_126
; %bb.113:                              ;   in Loop: Header=BB90_11 Depth=1
	s_add_co_i32 s58, s20, s39
                                        ; implicit-def: $vgpr15
	s_wait_alu 0xfffe
	s_mul_u64 s[22:23], s[58:59], s[62:63]
	s_mov_b32 s22, exec_lo
	s_wait_alu 0xfffe
	s_mul_i32 s19, s23, s29
	s_wait_alu 0xfffe
	s_sub_co_i32 s19, s58, s19
	s_wait_alu 0xfffe
	s_sub_co_i32 s21, s19, s29
	s_cmp_ge_u32 s19, s29
	s_wait_alu 0xfffe
	s_cselect_b32 s19, s21, s19
	s_wait_alu 0xfffe
	s_sub_co_i32 s21, s19, s29
	s_cmp_ge_u32 s19, s29
	s_wait_alu 0xfffe
	s_cselect_b32 s19, s21, s19
	s_mov_b32 s21, 0
	s_wait_alu 0xfffe
	s_sub_co_i32 s23, s58, s19
	s_mov_b32 s19, 0
	s_wait_alu 0xfffe
	v_cmpx_gt_u32_e64 s23, v0
	s_cbranch_execz .LBB90_125
; %bb.114:                              ;   in Loop: Header=BB90_11 Depth=1
	v_dual_mov_b32 v3, v17 :: v_dual_mov_b32 v4, v0
                                        ; implicit-def: $sgpr24
	s_branch .LBB90_117
.LBB90_115:                             ;   in Loop: Header=BB90_117 Depth=2
	s_wait_alu 0xfffe
	s_or_b32 exec_lo, exec_lo, s25
	s_wait_loadcnt_dscnt 0x0
	s_barrier_signal -1
	s_barrier_wait -1
	global_inv scope:SCOPE_SE
	ds_load_b64 v[14:15], v7 offset:3072
	s_mov_b32 s25, -1
	s_mov_b32 s26, -1
	s_wait_loadcnt_dscnt 0x0
	s_barrier_signal -1
	s_barrier_wait -1
	global_inv scope:SCOPE_SE
	v_cmp_ne_u32_e32 vcc_lo, 0, v14
	s_cbranch_vccz .LBB90_120
.LBB90_116:                             ;   in Loop: Header=BB90_117 Depth=2
	s_wait_alu 0xfffe
	s_and_b32 s25, exec_lo, s25
	s_wait_alu 0xfffe
	s_or_b32 s19, s25, s19
	s_and_not1_b32 s24, s24, exec_lo
	s_and_b32 s25, s26, exec_lo
	s_wait_alu 0xfffe
	s_or_b32 s24, s24, s25
	s_and_not1_b32 exec_lo, exec_lo, s19
	s_cbranch_execz .LBB90_124
.LBB90_117:                             ;   Parent Loop BB90_11 Depth=1
                                        ; =>  This Inner Loop Header: Depth=2
	s_mov_b32 s25, exec_lo
	s_delay_alu instid0(VALU_DEP_1)
	v_cmpx_gt_u32_e64 s20, v4
	s_cbranch_execz .LBB90_115
; %bb.118:                              ;   in Loop: Header=BB90_117 Depth=2
	ds_load_b32 v14, v3
	s_wait_dscnt 0x0
	v_xor_b32_e32 v6, 0x80000000, v14
	s_delay_alu instid0(VALU_DEP_1) | instskip(NEXT) | instid1(VALU_DEP_1)
	v_and_b32_e32 v6, v6, v30
	v_cmp_eq_u32_e32 vcc_lo, v6, v22
	s_and_b32 exec_lo, exec_lo, vcc_lo
	s_cbranch_execz .LBB90_115
; %bb.119:                              ;   in Loop: Header=BB90_117 Depth=2
	ds_store_b64 v7, v[13:14] offset:3072
	s_branch .LBB90_115
.LBB90_120:                             ;   in Loop: Header=BB90_117 Depth=2
	v_add_nc_u32_e32 v4, s29, v4
	v_add_nc_u32_e32 v3, s31, v3
	s_mov_b32 s26, 0
	s_delay_alu instid0(VALU_DEP_2)
	v_cmp_le_u32_e32 vcc_lo, s23, v4
	s_or_not1_b32 s25, vcc_lo, exec_lo
	s_branch .LBB90_116
.LBB90_121:                             ;   in Loop: Header=BB90_11 Depth=1
	s_wait_alu 0xfffe
	s_or_b32 exec_lo, exec_lo, s10
	s_wait_loadcnt_dscnt 0x0
	s_barrier_signal -1
	s_barrier_wait -1
	global_inv scope:SCOPE_SE
	s_and_saveexec_b32 s7, s2
	s_cbranch_execz .LBB90_123
; %bb.122:                              ;   in Loop: Header=BB90_11 Depth=1
	ds_load_b32 v1, v7 offset:4112
	s_wait_dscnt 0x0
	ds_store_b32 v7, v1 offset:4104
.LBB90_123:                             ;   in Loop: Header=BB90_11 Depth=1
	s_wait_alu 0xfffe
	s_or_b32 exec_lo, exec_lo, s7
	s_wait_loadcnt_dscnt 0x0
	s_barrier_signal -1
	s_mov_b32 s7, -1
	s_barrier_wait -1
	s_and_b32 vcc_lo, exec_lo, s9
	s_wait_alu 0xfffe
	s_cbranch_vccnz .LBB90_27
	s_branch .LBB90_36
.LBB90_124:                             ;   in Loop: Header=BB90_11 Depth=1
	s_or_b32 exec_lo, exec_lo, s19
	s_wait_alu 0xfffe
	s_and_b32 s19, s24, exec_lo
.LBB90_125:                             ;   in Loop: Header=BB90_11 Depth=1
	s_or_b32 exec_lo, exec_lo, s22
.LBB90_126:                             ;   in Loop: Header=BB90_11 Depth=1
	s_wait_alu 0xfffe
	s_and_b32 vcc_lo, exec_lo, s21
	s_wait_alu 0xfffe
	s_cbranch_vccz .LBB90_137
; %bb.127:                              ;   in Loop: Header=BB90_11 Depth=1
                                        ; implicit-def: $vgpr15
	s_and_saveexec_b32 s12, s6
	s_cbranch_execz .LBB90_136
; %bb.128:                              ;   in Loop: Header=BB90_11 Depth=1
	v_dual_mov_b32 v6, v5 :: v_dual_mov_b32 v3, v0
	s_mov_b32 s13, 0
                                        ; implicit-def: $sgpr20
	s_branch .LBB90_131
.LBB90_129:                             ;   in Loop: Header=BB90_131 Depth=2
	s_wait_alu 0xfffe
	s_or_b32 exec_lo, exec_lo, s21
	s_wait_loadcnt_dscnt 0x0
	s_barrier_signal -1
	s_barrier_wait -1
	global_inv scope:SCOPE_SE
	ds_load_b64 v[14:15], v7 offset:3072
	s_mov_b32 s21, -1
	s_mov_b32 s22, -1
	s_wait_loadcnt_dscnt 0x0
	s_barrier_signal -1
	s_barrier_wait -1
	global_inv scope:SCOPE_SE
	v_cmp_eq_u32_e32 vcc_lo, 0, v14
	s_cbranch_vccnz .LBB90_134
.LBB90_130:                             ;   in Loop: Header=BB90_131 Depth=2
	s_wait_alu 0xfffe
	s_and_b32 s21, exec_lo, s21
	s_wait_alu 0xfffe
	s_or_b32 s13, s21, s13
	s_and_not1_b32 s20, s20, exec_lo
	s_and_b32 s21, s22, exec_lo
	s_wait_alu 0xfffe
	s_or_b32 s20, s20, s21
	s_and_not1_b32 exec_lo, exec_lo, s13
	s_cbranch_execz .LBB90_135
.LBB90_131:                             ;   Parent Loop BB90_11 Depth=1
                                        ; =>  This Inner Loop Header: Depth=2
	s_mov_b32 s21, exec_lo
	s_delay_alu instid0(VALU_DEP_1)
	v_cmpx_gt_u32_e64 s28, v3
	s_cbranch_execz .LBB90_129
; %bb.132:                              ;   in Loop: Header=BB90_131 Depth=2
	v_lshlrev_b64_e32 v[14:15], 2, v[6:7]
	s_delay_alu instid0(VALU_DEP_1) | instskip(SKIP_1) | instid1(VALU_DEP_2)
	v_add_co_u32 v14, vcc_lo, s52, v14
	s_wait_alu 0xfffd
	v_add_co_ci_u32_e64 v15, null, s53, v15, vcc_lo
	global_load_b32 v14, v[14:15], off
	s_wait_loadcnt 0x0
	v_xor_b32_e32 v4, 0x80000000, v14
	s_delay_alu instid0(VALU_DEP_1) | instskip(NEXT) | instid1(VALU_DEP_1)
	v_and_b32_e32 v4, v4, v30
	v_cmp_eq_u32_e32 vcc_lo, v4, v22
	s_and_b32 exec_lo, exec_lo, vcc_lo
	s_cbranch_execz .LBB90_129
; %bb.133:                              ;   in Loop: Header=BB90_131 Depth=2
	ds_store_b64 v7, v[13:14] offset:3072
	s_branch .LBB90_129
.LBB90_134:                             ;   in Loop: Header=BB90_131 Depth=2
	v_add_nc_u32_e32 v3, s29, v3
	v_add_nc_u32_e32 v6, s43, v6
	s_mov_b32 s22, 0
	s_delay_alu instid0(VALU_DEP_2)
	v_cmp_le_u32_e32 vcc_lo, s71, v3
	s_or_not1_b32 s21, vcc_lo, exec_lo
	s_branch .LBB90_130
.LBB90_135:                             ;   in Loop: Header=BB90_11 Depth=1
	s_or_b32 exec_lo, exec_lo, s13
	s_delay_alu instid0(SALU_CYCLE_1)
	s_and_not1_b32 s13, s19, exec_lo
	s_wait_alu 0xfffe
	s_and_b32 s19, s20, exec_lo
	s_wait_alu 0xfffe
	s_or_b32 s19, s13, s19
.LBB90_136:                             ;   in Loop: Header=BB90_11 Depth=1
	s_wait_alu 0xfffe
	s_or_b32 exec_lo, exec_lo, s12
	s_mov_b32 s12, 0
	s_mov_b32 s13, -1
.LBB90_137:                             ;   in Loop: Header=BB90_11 Depth=1
	s_or_not1_b32 s19, s19, exec_lo
.LBB90_138:                             ;   in Loop: Header=BB90_11 Depth=1
	s_wait_alu 0xfffe
	s_or_b32 exec_lo, exec_lo, s16
	s_mov_b32 s20, 0
	s_and_saveexec_b32 s16, s19
	s_cbranch_execz .LBB90_227
; %bb.139:                              ;   in Loop: Header=BB90_11 Depth=1
	v_mov_b32_e32 v3, 1
	v_mov_b32_e32 v1, 1
	s_xor_b32 s19, s18, -1
	s_mov_b32 s21, 0
	s_wait_alu 0xfffe
	s_and_saveexec_b32 s18, s19
	s_cbranch_execz .LBB90_148
; %bb.140:                              ;   in Loop: Header=BB90_11 Depth=1
	s_mov_b32 s19, exec_lo
	v_cmpx_ge_u32_e64 s17, v2
	s_wait_alu 0xfffe
	s_xor_b32 s19, exec_lo, s19
	s_cbranch_execz .LBB90_145
; %bb.141:                              ;   in Loop: Header=BB90_11 Depth=1
	ds_load_b32 v1, v7 offset:4104
	s_lshl_b32 s20, 1, s81
	v_or_b32_e32 v30, s8, v30
	s_wait_alu 0xfffe
	v_and_or_b32 v22, v22, s15, s20
	s_wait_dscnt 0x0
	v_cmp_ne_u32_e32 vcc_lo, 0, v1
	s_cbranch_vccnz .LBB90_145
; %bb.142:                              ;   in Loop: Header=BB90_11 Depth=1
	s_and_saveexec_b32 s20, s2
; %bb.143:                              ;   in Loop: Header=BB90_11 Depth=1
	v_mov_b32_e32 v1, s17
	ds_store_b32 v7, v1 offset:4108
; %bb.144:                              ;   in Loop: Header=BB90_11 Depth=1
	s_wait_alu 0xfffe
	s_or_b32 exec_lo, exec_lo, s20
	s_wait_loadcnt_dscnt 0x0
	s_barrier_signal -1
	s_barrier_wait -1
	global_inv scope:SCOPE_SE
.LBB90_145:                             ;   in Loop: Header=BB90_11 Depth=1
	s_wait_alu 0xfffe
	s_or_saveexec_b32 s19, s19
	v_mov_b32_e32 v1, 8
	s_mov_b32 s20, 0
	s_wait_alu 0xfffe
	s_xor_b32 exec_lo, exec_lo, s19
; %bb.146:                              ;   in Loop: Header=BB90_11 Depth=1
	v_subrev_nc_u32_e32 v2, s17, v2
	v_mov_b32_e32 v1, 0
	s_mov_b32 s20, exec_lo
; %bb.147:                              ;   in Loop: Header=BB90_11 Depth=1
	s_or_b32 exec_lo, exec_lo, s19
	s_delay_alu instid0(VALU_DEP_2)
	v_mov_b32_e32 v3, v2
	s_wait_alu 0xfffe
	s_and_b32 s21, s20, exec_lo
.LBB90_148:                             ;   in Loop: Header=BB90_11 Depth=1
	s_wait_alu 0xfffe
	s_or_b32 exec_lo, exec_lo, s18
	s_mov_b32 s20, -1
                                        ; implicit-def: $sgpr18
                                        ; implicit-def: $sgpr19
	s_and_saveexec_b32 s17, s21
	s_cbranch_execz .LBB90_226
; %bb.149:                              ;   in Loop: Header=BB90_11 Depth=1
	v_cmp_eq_u32_e32 vcc_lo, 1, v3
	s_cmp_eq_u32 s14, 1
	s_mov_b32 s22, -1
	s_cselect_b32 s18, -1, 0
                                        ; implicit-def: $sgpr19
	s_wait_alu 0xfffe
	s_and_b32 s21, s18, vcc_lo
                                        ; implicit-def: $sgpr18
	s_wait_alu 0xfffe
	s_and_saveexec_b32 s20, s21
	s_cbranch_execz .LBB90_175
; %bb.150:                              ;   in Loop: Header=BB90_11 Depth=1
	ds_load_b32 v2, v7 offset:4104
	s_wait_loadcnt_dscnt 0x0
	s_barrier_signal -1
	s_barrier_wait -1
	global_inv scope:SCOPE_SE
	v_readfirstlane_b32 s23, v2
	s_and_saveexec_b32 s18, s3
; %bb.151:                              ;   in Loop: Header=BB90_11 Depth=1
	ds_store_b32 v18, v7
; %bb.152:                              ;   in Loop: Header=BB90_11 Depth=1
	s_wait_alu 0xfffe
	s_or_b32 exec_lo, exec_lo, s18
	s_lshl_b32 s18, 2, s81
	v_or_b32_e32 v30, s8, v30
	s_wait_alu 0xfffe
	v_and_or_b32 v22, v22, s15, s18
	s_mov_b32 s18, -1
	s_mov_b32 s19, 0
	s_cmp_eq_u32 s23, 0
	s_mov_b32 s22, 0
	s_mov_b32 s24, -1
	s_wait_loadcnt_dscnt 0x0
	s_barrier_signal -1
	s_barrier_wait -1
	global_inv scope:SCOPE_SE
                                        ; implicit-def: $vgpr15
	s_cbranch_scc1 .LBB90_163
; %bb.153:                              ;   in Loop: Header=BB90_11 Depth=1
	s_add_co_i32 s58, s23, s39
                                        ; implicit-def: $vgpr15
	s_wait_alu 0xfffe
	s_mul_u64 s[24:25], s[58:59], s[62:63]
	s_wait_alu 0xfffe
	s_mul_i32 s22, s25, s29
	s_mov_b32 s25, exec_lo
	s_wait_alu 0xfffe
	s_sub_co_i32 s22, s58, s22
	s_wait_alu 0xfffe
	s_sub_co_i32 s24, s22, s29
	s_cmp_ge_u32 s22, s29
	s_wait_alu 0xfffe
	s_cselect_b32 s22, s24, s22
	s_wait_alu 0xfffe
	s_sub_co_i32 s24, s22, s29
	s_cmp_ge_u32 s22, s29
	s_wait_alu 0xfffe
	s_cselect_b32 s22, s24, s22
	s_mov_b32 s24, 0
	s_wait_alu 0xfffe
	s_sub_co_i32 s26, s58, s22
	s_mov_b32 s22, 0
	s_wait_alu 0xfffe
	v_cmpx_gt_u32_e64 s26, v0
	s_cbranch_execz .LBB90_162
; %bb.154:                              ;   in Loop: Header=BB90_11 Depth=1
	v_mov_b32_e32 v2, v17
	v_mov_b32_e32 v4, v0
                                        ; implicit-def: $sgpr58
	s_branch .LBB90_157
.LBB90_155:                             ;   in Loop: Header=BB90_157 Depth=2
	s_wait_alu 0xfffe
	s_or_b32 exec_lo, exec_lo, s82
	s_wait_loadcnt_dscnt 0x0
	s_barrier_signal -1
	s_barrier_wait -1
	global_inv scope:SCOPE_SE
	ds_load_b64 v[14:15], v7 offset:3072
	s_mov_b32 s82, -1
	s_mov_b32 s83, -1
	s_wait_loadcnt_dscnt 0x0
	s_barrier_signal -1
	s_barrier_wait -1
	global_inv scope:SCOPE_SE
	v_cmp_ne_u32_e32 vcc_lo, 0, v14
	s_cbranch_vccz .LBB90_160
.LBB90_156:                             ;   in Loop: Header=BB90_157 Depth=2
	s_wait_alu 0xfffe
	s_and_b32 s82, exec_lo, s82
	s_wait_alu 0xfffe
	s_or_b32 s22, s82, s22
	s_and_not1_b32 s58, s58, exec_lo
	s_and_b32 s82, s83, exec_lo
	s_wait_alu 0xfffe
	s_or_b32 s58, s58, s82
	s_and_not1_b32 exec_lo, exec_lo, s22
	s_cbranch_execz .LBB90_161
.LBB90_157:                             ;   Parent Loop BB90_11 Depth=1
                                        ; =>  This Inner Loop Header: Depth=2
	s_mov_b32 s82, exec_lo
	s_delay_alu instid0(VALU_DEP_1)
	v_cmpx_gt_u32_e64 s23, v4
	s_cbranch_execz .LBB90_155
; %bb.158:                              ;   in Loop: Header=BB90_157 Depth=2
	ds_load_b32 v14, v2
	s_wait_dscnt 0x0
	v_xor_b32_e32 v6, 0x80000000, v14
	s_delay_alu instid0(VALU_DEP_1) | instskip(NEXT) | instid1(VALU_DEP_1)
	v_and_b32_e32 v6, v6, v30
	v_cmp_eq_u32_e32 vcc_lo, v6, v22
	s_and_b32 exec_lo, exec_lo, vcc_lo
	s_cbranch_execz .LBB90_155
; %bb.159:                              ;   in Loop: Header=BB90_157 Depth=2
	ds_store_b64 v7, v[13:14] offset:3072
	s_branch .LBB90_155
.LBB90_160:                             ;   in Loop: Header=BB90_157 Depth=2
	v_add_nc_u32_e32 v4, s29, v4
	v_add_nc_u32_e32 v2, s31, v2
	s_mov_b32 s83, 0
	s_delay_alu instid0(VALU_DEP_2)
	v_cmp_le_u32_e32 vcc_lo, s26, v4
	s_or_not1_b32 s82, vcc_lo, exec_lo
	s_branch .LBB90_156
.LBB90_161:                             ;   in Loop: Header=BB90_11 Depth=1
	s_or_b32 exec_lo, exec_lo, s22
	s_wait_alu 0xfffe
	s_and_b32 s22, s58, exec_lo
.LBB90_162:                             ;   in Loop: Header=BB90_11 Depth=1
	s_or_b32 exec_lo, exec_lo, s25
.LBB90_163:                             ;   in Loop: Header=BB90_11 Depth=1
	s_wait_alu 0xfffe
	s_and_b32 vcc_lo, exec_lo, s24
	s_wait_alu 0xfffe
	s_cbranch_vccz .LBB90_174
; %bb.164:                              ;   in Loop: Header=BB90_11 Depth=1
                                        ; implicit-def: $vgpr15
	s_and_saveexec_b32 s18, s6
	s_cbranch_execz .LBB90_173
; %bb.165:                              ;   in Loop: Header=BB90_11 Depth=1
	v_mov_b32_e32 v6, v5
	v_mov_b32_e32 v2, v0
	s_mov_b32 s19, 0
                                        ; implicit-def: $sgpr23
	s_branch .LBB90_168
.LBB90_166:                             ;   in Loop: Header=BB90_168 Depth=2
	s_wait_alu 0xfffe
	s_or_b32 exec_lo, exec_lo, s24
	s_wait_loadcnt_dscnt 0x0
	s_barrier_signal -1
	s_barrier_wait -1
	global_inv scope:SCOPE_SE
	ds_load_b64 v[14:15], v7 offset:3072
	s_mov_b32 s24, -1
	s_mov_b32 s25, -1
	s_wait_loadcnt_dscnt 0x0
	s_barrier_signal -1
	s_barrier_wait -1
	global_inv scope:SCOPE_SE
	v_cmp_eq_u32_e32 vcc_lo, 0, v14
	s_cbranch_vccnz .LBB90_171
.LBB90_167:                             ;   in Loop: Header=BB90_168 Depth=2
	s_wait_alu 0xfffe
	s_and_b32 s24, exec_lo, s24
	s_wait_alu 0xfffe
	s_or_b32 s19, s24, s19
	s_and_not1_b32 s23, s23, exec_lo
	s_and_b32 s24, s25, exec_lo
	s_wait_alu 0xfffe
	s_or_b32 s23, s23, s24
	s_and_not1_b32 exec_lo, exec_lo, s19
	s_cbranch_execz .LBB90_172
.LBB90_168:                             ;   Parent Loop BB90_11 Depth=1
                                        ; =>  This Inner Loop Header: Depth=2
	s_mov_b32 s24, exec_lo
	s_delay_alu instid0(VALU_DEP_1)
	v_cmpx_gt_u32_e64 s28, v2
	s_cbranch_execz .LBB90_166
; %bb.169:                              ;   in Loop: Header=BB90_168 Depth=2
	v_lshlrev_b64_e32 v[14:15], 2, v[6:7]
	s_delay_alu instid0(VALU_DEP_1) | instskip(SKIP_1) | instid1(VALU_DEP_2)
	v_add_co_u32 v14, vcc_lo, s52, v14
	s_wait_alu 0xfffd
	v_add_co_ci_u32_e64 v15, null, s53, v15, vcc_lo
	global_load_b32 v14, v[14:15], off
	s_wait_loadcnt 0x0
	v_xor_b32_e32 v4, 0x80000000, v14
	s_delay_alu instid0(VALU_DEP_1) | instskip(NEXT) | instid1(VALU_DEP_1)
	v_and_b32_e32 v4, v4, v30
	v_cmp_eq_u32_e32 vcc_lo, v4, v22
	s_and_b32 exec_lo, exec_lo, vcc_lo
	s_cbranch_execz .LBB90_166
; %bb.170:                              ;   in Loop: Header=BB90_168 Depth=2
	ds_store_b64 v7, v[13:14] offset:3072
	s_branch .LBB90_166
.LBB90_171:                             ;   in Loop: Header=BB90_168 Depth=2
	v_add_nc_u32_e32 v2, s29, v2
	v_add_nc_u32_e32 v6, s43, v6
	s_mov_b32 s25, 0
	s_delay_alu instid0(VALU_DEP_2)
	v_cmp_le_u32_e32 vcc_lo, s71, v2
	s_or_not1_b32 s24, vcc_lo, exec_lo
	s_branch .LBB90_167
.LBB90_172:                             ;   in Loop: Header=BB90_11 Depth=1
	s_or_b32 exec_lo, exec_lo, s19
	s_delay_alu instid0(SALU_CYCLE_1)
	s_and_not1_b32 s19, s22, exec_lo
	s_wait_alu 0xfffe
	s_and_b32 s22, s23, exec_lo
	s_wait_alu 0xfffe
	s_or_b32 s22, s19, s22
.LBB90_173:                             ;   in Loop: Header=BB90_11 Depth=1
	s_wait_alu 0xfffe
	s_or_b32 exec_lo, exec_lo, s18
	s_mov_b32 s18, 0
	s_mov_b32 s19, -1
.LBB90_174:                             ;   in Loop: Header=BB90_11 Depth=1
	s_or_not1_b32 s22, s22, exec_lo
.LBB90_175:                             ;   in Loop: Header=BB90_11 Depth=1
	s_wait_alu 0xfffe
	s_or_b32 exec_lo, exec_lo, s20
	s_mov_b32 s23, 0
	s_and_saveexec_b32 s20, s22
	s_cbranch_execz .LBB90_225
; %bb.176:                              ;   in Loop: Header=BB90_11 Depth=1
	v_dual_mov_b32 v2, 1 :: v_dual_mov_b32 v1, 1
	s_xor_b32 s22, s21, -1
	s_wait_alu 0xfffe
	s_and_saveexec_b32 s21, s22
	s_cbranch_execz .LBB90_185
; %bb.177:                              ;   in Loop: Header=BB90_11 Depth=1
	s_mov_b32 s22, exec_lo
	v_cmpx_ge_u32_e64 s14, v3
	s_wait_alu 0xfffe
	s_xor_b32 s22, exec_lo, s22
	s_cbranch_execz .LBB90_182
; %bb.178:                              ;   in Loop: Header=BB90_11 Depth=1
	ds_load_b32 v1, v7 offset:4104
	s_lshl_b32 s23, 2, s81
	v_or_b32_e32 v30, s8, v30
	s_wait_alu 0xfffe
	v_and_or_b32 v22, v22, s15, s23
	s_wait_dscnt 0x0
	v_cmp_ne_u32_e32 vcc_lo, 0, v1
	s_cbranch_vccnz .LBB90_182
; %bb.179:                              ;   in Loop: Header=BB90_11 Depth=1
	s_and_saveexec_b32 s15, s2
; %bb.180:                              ;   in Loop: Header=BB90_11 Depth=1
	v_mov_b32_e32 v1, s14
	ds_store_b32 v7, v1 offset:4108
; %bb.181:                              ;   in Loop: Header=BB90_11 Depth=1
	s_wait_alu 0xfffe
	s_or_b32 exec_lo, exec_lo, s15
	s_wait_loadcnt_dscnt 0x0
	s_barrier_signal -1
	s_barrier_wait -1
	global_inv scope:SCOPE_SE
.LBB90_182:                             ;   in Loop: Header=BB90_11 Depth=1
	s_wait_alu 0xfffe
	s_or_saveexec_b32 s15, s22
	v_mov_b32_e32 v1, 8
	s_mov_b32 s22, 0
	s_wait_alu 0xfffe
	s_xor_b32 exec_lo, exec_lo, s15
; %bb.183:                              ;   in Loop: Header=BB90_11 Depth=1
	v_subrev_nc_u32_e32 v3, s14, v3
	v_mov_b32_e32 v1, 0
	s_mov_b32 s22, exec_lo
; %bb.184:                              ;   in Loop: Header=BB90_11 Depth=1
	s_or_b32 exec_lo, exec_lo, s15
	s_delay_alu instid0(VALU_DEP_2)
	v_mov_b32_e32 v2, v3
	s_wait_alu 0xfffe
	s_and_b32 s23, s22, exec_lo
.LBB90_185:                             ;   in Loop: Header=BB90_11 Depth=1
	s_wait_alu 0xfffe
	s_or_b32 exec_lo, exec_lo, s21
	s_mov_b32 s15, -1
                                        ; implicit-def: $sgpr22
                                        ; implicit-def: $sgpr21
	s_and_saveexec_b32 s14, s23
	s_cbranch_execz .LBB90_224
; %bb.186:                              ;   in Loop: Header=BB90_11 Depth=1
	v_cmp_eq_u32_e32 vcc_lo, 1, v2
	s_cmp_eq_u32 s7, 1
	s_mov_b32 s24, -1
	s_cselect_b32 s15, -1, 0
                                        ; implicit-def: $sgpr22
                                        ; implicit-def: $sgpr21
	s_wait_alu 0xfffe
	s_and_b32 s15, s15, vcc_lo
	s_wait_alu 0xfffe
	s_and_saveexec_b32 s23, s15
	s_cbranch_execz .LBB90_212
; %bb.187:                              ;   in Loop: Header=BB90_11 Depth=1
	ds_load_b32 v3, v7 offset:4104
	s_wait_loadcnt_dscnt 0x0
	s_barrier_signal -1
	s_barrier_wait -1
	global_inv scope:SCOPE_SE
	v_readfirstlane_b32 s25, v3
	s_and_saveexec_b32 s21, s3
; %bb.188:                              ;   in Loop: Header=BB90_11 Depth=1
	ds_store_b32 v18, v7
; %bb.189:                              ;   in Loop: Header=BB90_11 Depth=1
	s_wait_alu 0xfffe
	s_or_b32 exec_lo, exec_lo, s21
	v_or_b32_e32 v22, s8, v22
	v_or_b32_e32 v30, s8, v30
	s_mov_b32 s21, -1
	s_mov_b32 s22, 0
	s_cmp_eq_u32 s25, 0
	s_mov_b32 s24, 0
	s_mov_b32 s26, -1
	s_wait_loadcnt_dscnt 0x0
	s_barrier_signal -1
	s_barrier_wait -1
	global_inv scope:SCOPE_SE
                                        ; implicit-def: $vgpr15
	s_cbranch_scc1 .LBB90_200
; %bb.190:                              ;   in Loop: Header=BB90_11 Depth=1
	s_add_co_i32 s58, s25, s39
                                        ; implicit-def: $vgpr15
	s_wait_alu 0xfffe
	s_mul_u64 s[82:83], s[58:59], s[62:63]
	s_wait_alu 0xfffe
	s_mul_i32 s24, s83, s29
	s_wait_alu 0xfffe
	s_sub_co_i32 s24, s58, s24
	s_wait_alu 0xfffe
	s_sub_co_i32 s26, s24, s29
	s_cmp_ge_u32 s24, s29
	s_wait_alu 0xfffe
	s_cselect_b32 s24, s26, s24
	s_wait_alu 0xfffe
	s_sub_co_i32 s26, s24, s29
	s_cmp_ge_u32 s24, s29
	s_wait_alu 0xfffe
	s_cselect_b32 s24, s26, s24
	s_mov_b32 s26, 0
	s_wait_alu 0xfffe
	s_sub_co_i32 s82, s58, s24
	s_mov_b32 s24, 0
	s_mov_b32 s58, exec_lo
	s_wait_alu 0xfffe
	v_cmpx_gt_u32_e64 s82, v0
	s_cbranch_execz .LBB90_199
; %bb.191:                              ;   in Loop: Header=BB90_11 Depth=1
	v_dual_mov_b32 v3, v17 :: v_dual_mov_b32 v4, v0
                                        ; implicit-def: $sgpr83
	s_branch .LBB90_194
.LBB90_192:                             ;   in Loop: Header=BB90_194 Depth=2
	s_wait_alu 0xfffe
	s_or_b32 exec_lo, exec_lo, s84
	s_wait_loadcnt_dscnt 0x0
	s_barrier_signal -1
	s_barrier_wait -1
	global_inv scope:SCOPE_SE
	ds_load_b64 v[14:15], v7 offset:3072
	s_mov_b32 s84, -1
	s_mov_b32 s85, -1
	s_wait_loadcnt_dscnt 0x0
	s_barrier_signal -1
	s_barrier_wait -1
	global_inv scope:SCOPE_SE
	v_cmp_ne_u32_e32 vcc_lo, 0, v14
	s_cbranch_vccz .LBB90_197
.LBB90_193:                             ;   in Loop: Header=BB90_194 Depth=2
	s_wait_alu 0xfffe
	s_and_b32 s84, exec_lo, s84
	s_wait_alu 0xfffe
	s_or_b32 s24, s84, s24
	s_and_not1_b32 s83, s83, exec_lo
	s_and_b32 s84, s85, exec_lo
	s_wait_alu 0xfffe
	s_or_b32 s83, s83, s84
	s_and_not1_b32 exec_lo, exec_lo, s24
	s_cbranch_execz .LBB90_198
.LBB90_194:                             ;   Parent Loop BB90_11 Depth=1
                                        ; =>  This Inner Loop Header: Depth=2
	s_mov_b32 s84, exec_lo
	s_delay_alu instid0(VALU_DEP_1)
	v_cmpx_gt_u32_e64 s25, v4
	s_cbranch_execz .LBB90_192
; %bb.195:                              ;   in Loop: Header=BB90_194 Depth=2
	ds_load_b32 v14, v3
	s_wait_dscnt 0x0
	v_xor_b32_e32 v6, 0x80000000, v14
	s_delay_alu instid0(VALU_DEP_1) | instskip(NEXT) | instid1(VALU_DEP_1)
	v_and_b32_e32 v6, v6, v30
	v_cmp_eq_u32_e32 vcc_lo, v6, v22
	s_and_b32 exec_lo, exec_lo, vcc_lo
	s_cbranch_execz .LBB90_192
; %bb.196:                              ;   in Loop: Header=BB90_194 Depth=2
	ds_store_b64 v7, v[13:14] offset:3072
	s_branch .LBB90_192
.LBB90_197:                             ;   in Loop: Header=BB90_194 Depth=2
	v_add_nc_u32_e32 v4, s29, v4
	v_add_nc_u32_e32 v3, s31, v3
	s_mov_b32 s85, 0
	s_delay_alu instid0(VALU_DEP_2)
	v_cmp_le_u32_e32 vcc_lo, s82, v4
	s_or_not1_b32 s84, vcc_lo, exec_lo
	s_branch .LBB90_193
.LBB90_198:                             ;   in Loop: Header=BB90_11 Depth=1
	s_or_b32 exec_lo, exec_lo, s24
	s_wait_alu 0xfffe
	s_and_b32 s24, s83, exec_lo
.LBB90_199:                             ;   in Loop: Header=BB90_11 Depth=1
	s_or_b32 exec_lo, exec_lo, s58
.LBB90_200:                             ;   in Loop: Header=BB90_11 Depth=1
	s_wait_alu 0xfffe
	s_and_b32 vcc_lo, exec_lo, s26
	s_wait_alu 0xfffe
	s_cbranch_vccz .LBB90_211
; %bb.201:                              ;   in Loop: Header=BB90_11 Depth=1
                                        ; implicit-def: $vgpr15
	s_and_saveexec_b32 s21, s6
	s_cbranch_execz .LBB90_210
; %bb.202:                              ;   in Loop: Header=BB90_11 Depth=1
	v_dual_mov_b32 v6, v5 :: v_dual_mov_b32 v3, v0
	s_mov_b32 s22, 0
                                        ; implicit-def: $sgpr25
	s_branch .LBB90_205
.LBB90_203:                             ;   in Loop: Header=BB90_205 Depth=2
	s_wait_alu 0xfffe
	s_or_b32 exec_lo, exec_lo, s26
	s_wait_loadcnt_dscnt 0x0
	s_barrier_signal -1
	s_barrier_wait -1
	global_inv scope:SCOPE_SE
	ds_load_b64 v[14:15], v7 offset:3072
	s_mov_b32 s26, -1
	s_mov_b32 s58, -1
	s_wait_loadcnt_dscnt 0x0
	s_barrier_signal -1
	s_barrier_wait -1
	global_inv scope:SCOPE_SE
	v_cmp_eq_u32_e32 vcc_lo, 0, v14
	s_cbranch_vccnz .LBB90_208
.LBB90_204:                             ;   in Loop: Header=BB90_205 Depth=2
	s_wait_alu 0xfffe
	s_and_b32 s26, exec_lo, s26
	s_wait_alu 0xfffe
	s_or_b32 s22, s26, s22
	s_and_not1_b32 s25, s25, exec_lo
	s_and_b32 s26, s58, exec_lo
	s_wait_alu 0xfffe
	s_or_b32 s25, s25, s26
	s_and_not1_b32 exec_lo, exec_lo, s22
	s_cbranch_execz .LBB90_209
.LBB90_205:                             ;   Parent Loop BB90_11 Depth=1
                                        ; =>  This Inner Loop Header: Depth=2
	s_mov_b32 s26, exec_lo
	s_delay_alu instid0(VALU_DEP_1)
	v_cmpx_gt_u32_e64 s28, v3
	s_cbranch_execz .LBB90_203
; %bb.206:                              ;   in Loop: Header=BB90_205 Depth=2
	v_lshlrev_b64_e32 v[14:15], 2, v[6:7]
	s_delay_alu instid0(VALU_DEP_1) | instskip(SKIP_1) | instid1(VALU_DEP_2)
	v_add_co_u32 v14, vcc_lo, s52, v14
	s_wait_alu 0xfffd
	v_add_co_ci_u32_e64 v15, null, s53, v15, vcc_lo
	global_load_b32 v14, v[14:15], off
	s_wait_loadcnt 0x0
	v_xor_b32_e32 v4, 0x80000000, v14
	s_delay_alu instid0(VALU_DEP_1) | instskip(NEXT) | instid1(VALU_DEP_1)
	v_and_b32_e32 v4, v4, v30
	v_cmp_eq_u32_e32 vcc_lo, v4, v22
	s_and_b32 exec_lo, exec_lo, vcc_lo
	s_cbranch_execz .LBB90_203
; %bb.207:                              ;   in Loop: Header=BB90_205 Depth=2
	ds_store_b64 v7, v[13:14] offset:3072
	s_branch .LBB90_203
.LBB90_208:                             ;   in Loop: Header=BB90_205 Depth=2
	v_add_nc_u32_e32 v3, s29, v3
	v_add_nc_u32_e32 v6, s43, v6
	s_mov_b32 s58, 0
	s_delay_alu instid0(VALU_DEP_2)
	v_cmp_le_u32_e32 vcc_lo, s71, v3
	s_or_not1_b32 s26, vcc_lo, exec_lo
	s_branch .LBB90_204
.LBB90_209:                             ;   in Loop: Header=BB90_11 Depth=1
	s_or_b32 exec_lo, exec_lo, s22
	s_delay_alu instid0(SALU_CYCLE_1)
	s_and_not1_b32 s22, s24, exec_lo
	s_wait_alu 0xfffe
	s_and_b32 s24, s25, exec_lo
	s_wait_alu 0xfffe
	s_or_b32 s24, s22, s24
.LBB90_210:                             ;   in Loop: Header=BB90_11 Depth=1
	s_wait_alu 0xfffe
	s_or_b32 exec_lo, exec_lo, s21
	s_mov_b32 s21, 0
	s_mov_b32 s22, -1
.LBB90_211:                             ;   in Loop: Header=BB90_11 Depth=1
	s_or_not1_b32 s24, s24, exec_lo
.LBB90_212:                             ;   in Loop: Header=BB90_11 Depth=1
	s_wait_alu 0xfffe
	s_or_b32 exec_lo, exec_lo, s23
	s_mov_b32 s25, 0
	s_and_saveexec_b32 s23, s24
	s_cbranch_execz .LBB90_223
; %bb.213:                              ;   in Loop: Header=BB90_11 Depth=1
	v_mov_b32_e32 v1, 1
	v_mov_b32_e32 v3, 1
	s_xor_b32 s24, s15, -1
	s_wait_alu 0xfffe
	s_and_saveexec_b32 s15, s24
	s_cbranch_execz .LBB90_222
; %bb.214:                              ;   in Loop: Header=BB90_11 Depth=1
	s_mov_b32 s24, exec_lo
	v_cmpx_ge_u32_e64 s7, v2
	s_wait_alu 0xfffe
	s_xor_b32 s24, exec_lo, s24
	s_cbranch_execz .LBB90_219
; %bb.215:                              ;   in Loop: Header=BB90_11 Depth=1
	ds_load_b32 v1, v7 offset:4104
	v_or_b32_e32 v22, s8, v22
	v_or_b32_e32 v30, s8, v30
	s_wait_dscnt 0x0
	v_cmp_ne_u32_e32 vcc_lo, 0, v1
	s_cbranch_vccnz .LBB90_219
; %bb.216:                              ;   in Loop: Header=BB90_11 Depth=1
	s_and_saveexec_b32 s8, s2
; %bb.217:                              ;   in Loop: Header=BB90_11 Depth=1
	v_mov_b32_e32 v1, s7
	ds_store_b32 v7, v1 offset:4108
; %bb.218:                              ;   in Loop: Header=BB90_11 Depth=1
	s_wait_alu 0xfffe
	s_or_b32 exec_lo, exec_lo, s8
	s_wait_loadcnt_dscnt 0x0
	s_barrier_signal -1
	s_barrier_wait -1
	global_inv scope:SCOPE_SE
.LBB90_219:                             ;   in Loop: Header=BB90_11 Depth=1
	s_wait_alu 0xfffe
	s_and_not1_saveexec_b32 s8, s24
; %bb.220:                              ;   in Loop: Header=BB90_11 Depth=1
	v_subrev_nc_u32_e32 v2, s7, v2
; %bb.221:                              ;   in Loop: Header=BB90_11 Depth=1
	s_wait_alu 0xfffe
	s_or_b32 exec_lo, exec_lo, s8
	v_mov_b32_e32 v1, 8
	s_delay_alu instid0(VALU_DEP_2)
	v_mov_b32_e32 v3, v2
.LBB90_222:                             ;   in Loop: Header=BB90_11 Depth=1
	s_wait_alu 0xfffe
	s_or_b32 exec_lo, exec_lo, s15
	s_delay_alu instid0(VALU_DEP_1)
	v_mov_b32_e32 v2, v3
	s_mov_b32 s25, exec_lo
.LBB90_223:                             ;   in Loop: Header=BB90_11 Depth=1
	s_wait_alu 0xfffe
	s_or_b32 exec_lo, exec_lo, s23
	s_delay_alu instid0(SALU_CYCLE_1)
	s_or_not1_b32 s15, s25, exec_lo
.LBB90_224:                             ;   in Loop: Header=BB90_11 Depth=1
	s_wait_alu 0xfffe
	s_or_b32 exec_lo, exec_lo, s14
	v_mov_b32_e32 v3, v2
	s_and_not1_b32 s7, s19, exec_lo
	s_and_b32 s8, s22, exec_lo
	s_and_not1_b32 s14, s18, exec_lo
	s_and_b32 s18, s21, exec_lo
	s_wait_alu 0xfffe
	s_or_b32 s19, s7, s8
	s_or_b32 s18, s14, s18
	s_and_b32 s23, s15, exec_lo
.LBB90_225:                             ;   in Loop: Header=BB90_11 Depth=1
	s_wait_alu 0xfffe
	s_or_b32 exec_lo, exec_lo, s20
	s_delay_alu instid0(SALU_CYCLE_1)
	s_or_not1_b32 s20, s23, exec_lo
.LBB90_226:                             ;   in Loop: Header=BB90_11 Depth=1
	s_wait_alu 0xfffe
	s_or_b32 exec_lo, exec_lo, s17
	v_mov_b32_e32 v2, v3
	s_and_not1_b32 s7, s13, exec_lo
	s_and_b32 s8, s19, exec_lo
	s_and_not1_b32 s12, s12, exec_lo
	s_and_b32 s14, s18, exec_lo
	s_wait_alu 0xfffe
	s_or_b32 s13, s7, s8
	s_or_b32 s12, s12, s14
	s_and_b32 s20, s20, exec_lo
.LBB90_227:                             ;   in Loop: Header=BB90_11 Depth=1
	s_wait_alu 0xfffe
	s_or_b32 exec_lo, exec_lo, s16
	s_delay_alu instid0(SALU_CYCLE_1)
	s_or_not1_b32 s16, s20, exec_lo
.LBB90_228:                             ;   in Loop: Header=BB90_11 Depth=1
	s_wait_alu 0xfffe
	s_or_b32 exec_lo, exec_lo, s11
	s_mov_b32 s8, 0
                                        ; implicit-def: $sgpr18
	s_and_saveexec_b32 s7, s16
	s_wait_alu 0xfffe
	s_xor_b32 s7, exec_lo, s7
	s_cbranch_execz .LBB90_9
; %bb.229:                              ;   in Loop: Header=BB90_11 Depth=1
	v_and_b32_e32 v1, 7, v1
	s_mov_b32 s10, -1
	s_mov_b32 s8, -1
	s_mov_b32 s11, exec_lo
                                        ; implicit-def: $sgpr18
	s_delay_alu instid0(VALU_DEP_1)
	v_cmpx_eq_u32_e32 0, v1
	s_cbranch_execz .LBB90_8
; %bb.230:                              ;   in Loop: Header=BB90_11 Depth=1
	s_add_co_i32 s18, s81, -2
	s_cmp_eq_u32 s81, 0
	v_xor_b32_e32 v29, 1, v29
	s_cselect_b32 s10, -1, 0
	s_xor_b32 s8, exec_lo, -1
	s_wait_alu 0xfffe
	s_or_not1_b32 s10, s10, exec_lo
	s_branch .LBB90_8
.LBB90_231:
	s_or_b32 exec_lo, exec_lo, s74
	s_wait_alu 0xfffe
	s_xor_b32 s4, s80, -1
	s_xor_b32 s1, s78, -1
	;; [unrolled: 1-line block ×3, first 2 shown]
	s_mov_b32 s2, 0
	s_wait_alu 0xfffe
	s_and_saveexec_b32 s5, s1
	s_wait_alu 0xfffe
	s_xor_b32 s1, exec_lo, s5
	s_cbranch_execnz .LBB90_236
; %bb.232:
	s_wait_alu 0xfffe
	s_and_not1_saveexec_b32 s0, s1
	s_cbranch_execnz .LBB90_249
.LBB90_233:
	s_wait_alu 0xfffe
	s_or_b32 exec_lo, exec_lo, s0
	s_and_saveexec_b32 s0, s2
.LBB90_234:
	; divergent unreachable
.LBB90_235:
	s_endpgm
.LBB90_236:
	s_and_saveexec_b32 s2, s4
	s_wait_alu 0xfffe
	s_xor_b32 s4, exec_lo, s2
	s_cbranch_execz .LBB90_247
; %bb.237:
	s_and_saveexec_b32 s2, s3
	s_wait_alu 0xfffe
	s_xor_b32 s2, exec_lo, s2
; %bb.238:
	v_xor_b32_e32 v15, 0x80000000, v22
; %bb.239:
	s_wait_alu 0xfffe
	s_or_b32 exec_lo, exec_lo, s2
	s_mul_i32 s3, s57, s44
	s_mul_i32 s2, s48, s45
	s_wait_alu 0xfffe
	s_sub_co_i32 s3, s48, s3
	s_sub_co_i32 s2, s33, s2
	s_add_co_i32 s5, s57, 1
	s_wait_alu 0xfffe
	s_sub_co_i32 s6, s3, s44
	s_cmp_ge_u32 s3, s44
	s_wait_kmcnt 0x0
	s_mul_i32 s2, s2, s42
	s_cselect_b32 s5, s5, s57
	s_wait_alu 0xfffe
	s_cselect_b32 s3, s6, s3
	s_add_co_i32 s6, s5, 1
	s_wait_alu 0xfffe
	s_cmp_ge_u32 s3, s44
	v_mov_b32_e32 v6, 0
	s_cselect_b32 s3, s6, s5
	s_wait_alu 0xfffe
	s_mul_i32 s5, s3, s44
	s_mul_i32 s3, s3, s40
	s_wait_alu 0xfffe
	s_sub_co_i32 s5, s48, s5
	s_wait_alu 0xfffe
	s_mul_i32 s5, s5, s41
	s_wait_alu 0xfffe
	s_add_co_i32 s2, s5, s2
	s_wait_alu 0xfffe
	s_add_co_i32 s2, s2, s3
	s_mov_b32 s3, 0
	s_wait_alu 0xfffe
	s_lshl_b64 s[6:7], s[2:3], 2
	s_wait_alu 0xfffe
	s_add_nc_u64 s[6:7], s[54:55], s[6:7]
	global_store_b32 v6, v15, s[6:7]
	s_and_saveexec_b32 s2, s0
	s_cbranch_execz .LBB90_246
; %bb.240:
                                        ; implicit-def: $sgpr0
                                        ; implicit-def: $sgpr6
                                        ; implicit-def: $sgpr5
	s_branch .LBB90_242
.LBB90_241:                             ;   in Loop: Header=BB90_242 Depth=1
	s_wait_alu 0xfffe
	s_or_b32 exec_lo, exec_lo, s7
	s_delay_alu instid0(SALU_CYCLE_1)
	s_and_b32 s7, exec_lo, s6
	s_wait_alu 0xfffe
	s_or_b32 s3, s7, s3
	s_and_not1_b32 s0, s0, exec_lo
	s_and_b32 s7, s5, exec_lo
	s_wait_alu 0xfffe
	s_or_b32 s0, s0, s7
	s_and_not1_b32 exec_lo, exec_lo, s3
	s_cbranch_execz .LBB90_244
.LBB90_242:                             ; =>This Inner Loop Header: Depth=1
	v_lshlrev_b64_e32 v[1:2], 2, v[5:6]
	s_or_b32 s5, s5, exec_lo
	s_wait_alu 0xfffe
	s_or_b32 s6, s6, exec_lo
	s_mov_b32 s7, exec_lo
	s_delay_alu instid0(VALU_DEP_1)
	v_add_co_u32 v1, vcc_lo, s52, v1
	s_wait_alu 0xfffd
	v_add_co_ci_u32_e64 v2, null, s53, v2, vcc_lo
	global_load_b32 v2, v[1:2], off
	v_mov_b32_e32 v1, v0
                                        ; implicit-def: $vgpr0
	s_wait_loadcnt 0x0
	v_cmpx_ne_u32_e64 v2, v15
	s_cbranch_execz .LBB90_241
; %bb.243:                              ;   in Loop: Header=BB90_242 Depth=1
	s_delay_alu instid0(VALU_DEP_2)
	v_add_nc_u32_e32 v0, s29, v1
	v_add_nc_u32_e32 v5, s43, v5
	s_wait_alu 0xfffe
	s_and_not1_b32 s6, s6, exec_lo
	s_and_not1_b32 s5, s5, exec_lo
	v_cmp_le_u32_e32 vcc_lo, s28, v0
	s_and_b32 s8, vcc_lo, exec_lo
	s_wait_alu 0xfffe
	s_or_b32 s6, s6, s8
	s_branch .LBB90_241
.LBB90_244:
	s_or_b32 exec_lo, exec_lo, s3
	s_wait_alu 0xfffe
	s_and_saveexec_b32 s3, s0
	s_wait_alu 0xfffe
	s_xor_b32 s3, exec_lo, s3
	s_cbranch_execz .LBB90_246
; %bb.245:
	s_mul_i32 s3, s27, s34
	s_mul_i32 s0, s46, s35
	s_wait_alu 0xfffe
	s_sub_co_i32 s3, s46, s3
	s_sub_co_i32 s0, s33, s0
	s_add_co_i32 s5, s27, 1
	s_wait_alu 0xfffe
	s_sub_co_i32 s6, s3, s34
	s_cmp_ge_u32 s3, s34
	s_mul_i32 s0, s0, s38
	s_cselect_b32 s5, s5, s27
	s_wait_alu 0xfffe
	s_cselect_b32 s3, s6, s3
	s_add_co_i32 s6, s5, 1
	s_wait_alu 0xfffe
	s_cmp_ge_u32 s3, s34
	s_mov_b32 s7, 0
	s_cselect_b32 s3, s6, s5
	v_mov_b32_e32 v2, 0
	s_wait_alu 0xfffe
	s_mul_i32 s5, s3, s34
	s_mul_i32 s3, s3, s36
	s_wait_alu 0xfffe
	s_sub_co_i32 s5, s46, s5
	s_wait_alu 0xfffe
	s_mul_i32 s5, s5, s37
	s_wait_alu 0xfffe
	s_add_co_i32 s0, s5, s0
	s_wait_alu 0xfffe
	s_add_co_i32 s6, s0, s3
	s_wait_alu 0xfffe
	s_lshl_b64 s[6:7], s[6:7], 3
	s_wait_alu 0xfffe
	s_add_nc_u64 s[6:7], s[50:51], s[6:7]
	global_store_b64 v2, v[1:2], s[6:7]
.LBB90_246:
	s_wait_alu 0xfffe
	s_or_b32 exec_lo, exec_lo, s2
.LBB90_247:
	s_wait_alu 0xfffe
	s_or_saveexec_b32 s0, s4
	s_mov_b32 s2, 0
	s_wait_alu 0xfffe
	s_xor_b32 exec_lo, exec_lo, s0
	s_cbranch_execnz .LBB90_250
.LBB90_248:
	s_or_b32 exec_lo, exec_lo, s0
	s_wait_alu 0xfffe
	s_and_b32 s2, s2, exec_lo
	s_and_not1_saveexec_b32 s0, s1
	s_cbranch_execz .LBB90_233
.LBB90_249:
	s_wait_alu 0xfffe
	s_or_b32 s2, s2, exec_lo
	s_trap 2
	s_or_b32 exec_lo, exec_lo, s0
	s_wait_alu 0xfffe
	s_and_saveexec_b32 s0, s2
	s_cbranch_execnz .LBB90_234
	s_branch .LBB90_235
.LBB90_250:
	s_mov_b32 s2, exec_lo
	s_trap 2
	s_branch .LBB90_248
	.section	.rodata,"a",@progbits
	.p2align	6, 0x0
	.amdhsa_kernel _ZN2at6native12_GLOBAL__N_112gatherMedianIijLi3EEEvNS_4cuda6detail10TensorInfoIT_T0_EENS5_IlS7_EENS5_IKS6_S7_EES7_S7_S7_b
		.amdhsa_group_segment_fixed_size 4120
		.amdhsa_private_segment_fixed_size 0
		.amdhsa_kernarg_size 920
		.amdhsa_user_sgpr_count 2
		.amdhsa_user_sgpr_dispatch_ptr 0
		.amdhsa_user_sgpr_queue_ptr 0
		.amdhsa_user_sgpr_kernarg_segment_ptr 1
		.amdhsa_user_sgpr_dispatch_id 0
		.amdhsa_user_sgpr_private_segment_size 0
		.amdhsa_wavefront_size32 1
		.amdhsa_uses_dynamic_stack 0
		.amdhsa_enable_private_segment 0
		.amdhsa_system_sgpr_workgroup_id_x 1
		.amdhsa_system_sgpr_workgroup_id_y 1
		.amdhsa_system_sgpr_workgroup_id_z 1
		.amdhsa_system_sgpr_workgroup_info 0
		.amdhsa_system_vgpr_workitem_id 0
		.amdhsa_next_free_vgpr 44
		.amdhsa_next_free_sgpr 89
		.amdhsa_reserve_vcc 1
		.amdhsa_float_round_mode_32 0
		.amdhsa_float_round_mode_16_64 0
		.amdhsa_float_denorm_mode_32 3
		.amdhsa_float_denorm_mode_16_64 3
		.amdhsa_fp16_overflow 0
		.amdhsa_workgroup_processor_mode 1
		.amdhsa_memory_ordered 1
		.amdhsa_forward_progress 1
		.amdhsa_inst_pref_size 89
		.amdhsa_round_robin_scheduling 0
		.amdhsa_exception_fp_ieee_invalid_op 0
		.amdhsa_exception_fp_denorm_src 0
		.amdhsa_exception_fp_ieee_div_zero 0
		.amdhsa_exception_fp_ieee_overflow 0
		.amdhsa_exception_fp_ieee_underflow 0
		.amdhsa_exception_fp_ieee_inexact 0
		.amdhsa_exception_int_div_zero 0
	.end_amdhsa_kernel
	.section	.text._ZN2at6native12_GLOBAL__N_112gatherMedianIijLi3EEEvNS_4cuda6detail10TensorInfoIT_T0_EENS5_IlS7_EENS5_IKS6_S7_EES7_S7_S7_b,"axG",@progbits,_ZN2at6native12_GLOBAL__N_112gatherMedianIijLi3EEEvNS_4cuda6detail10TensorInfoIT_T0_EENS5_IlS7_EENS5_IKS6_S7_EES7_S7_S7_b,comdat
.Lfunc_end90:
	.size	_ZN2at6native12_GLOBAL__N_112gatherMedianIijLi3EEEvNS_4cuda6detail10TensorInfoIT_T0_EENS5_IlS7_EENS5_IKS6_S7_EES7_S7_S7_b, .Lfunc_end90-_ZN2at6native12_GLOBAL__N_112gatherMedianIijLi3EEEvNS_4cuda6detail10TensorInfoIT_T0_EENS5_IlS7_EENS5_IKS6_S7_EES7_S7_S7_b
                                        ; -- End function
	.set _ZN2at6native12_GLOBAL__N_112gatherMedianIijLi3EEEvNS_4cuda6detail10TensorInfoIT_T0_EENS5_IlS7_EENS5_IKS6_S7_EES7_S7_S7_b.num_vgpr, 44
	.set _ZN2at6native12_GLOBAL__N_112gatherMedianIijLi3EEEvNS_4cuda6detail10TensorInfoIT_T0_EENS5_IlS7_EENS5_IKS6_S7_EES7_S7_S7_b.num_agpr, 0
	.set _ZN2at6native12_GLOBAL__N_112gatherMedianIijLi3EEEvNS_4cuda6detail10TensorInfoIT_T0_EENS5_IlS7_EENS5_IKS6_S7_EES7_S7_S7_b.numbered_sgpr, 89
	.set _ZN2at6native12_GLOBAL__N_112gatherMedianIijLi3EEEvNS_4cuda6detail10TensorInfoIT_T0_EENS5_IlS7_EENS5_IKS6_S7_EES7_S7_S7_b.num_named_barrier, 0
	.set _ZN2at6native12_GLOBAL__N_112gatherMedianIijLi3EEEvNS_4cuda6detail10TensorInfoIT_T0_EENS5_IlS7_EENS5_IKS6_S7_EES7_S7_S7_b.private_seg_size, 0
	.set _ZN2at6native12_GLOBAL__N_112gatherMedianIijLi3EEEvNS_4cuda6detail10TensorInfoIT_T0_EENS5_IlS7_EENS5_IKS6_S7_EES7_S7_S7_b.uses_vcc, 1
	.set _ZN2at6native12_GLOBAL__N_112gatherMedianIijLi3EEEvNS_4cuda6detail10TensorInfoIT_T0_EENS5_IlS7_EENS5_IKS6_S7_EES7_S7_S7_b.uses_flat_scratch, 0
	.set _ZN2at6native12_GLOBAL__N_112gatherMedianIijLi3EEEvNS_4cuda6detail10TensorInfoIT_T0_EENS5_IlS7_EENS5_IKS6_S7_EES7_S7_S7_b.has_dyn_sized_stack, 0
	.set _ZN2at6native12_GLOBAL__N_112gatherMedianIijLi3EEEvNS_4cuda6detail10TensorInfoIT_T0_EENS5_IlS7_EENS5_IKS6_S7_EES7_S7_S7_b.has_recursion, 0
	.set _ZN2at6native12_GLOBAL__N_112gatherMedianIijLi3EEEvNS_4cuda6detail10TensorInfoIT_T0_EENS5_IlS7_EENS5_IKS6_S7_EES7_S7_S7_b.has_indirect_call, 0
	.section	.AMDGPU.csdata,"",@progbits
; Kernel info:
; codeLenInByte = 11280
; TotalNumSgprs: 91
; NumVgprs: 44
; ScratchSize: 0
; MemoryBound: 0
; FloatMode: 240
; IeeeMode: 1
; LDSByteSize: 4120 bytes/workgroup (compile time only)
; SGPRBlocks: 0
; VGPRBlocks: 5
; NumSGPRsForWavesPerEU: 91
; NumVGPRsForWavesPerEU: 44
; Occupancy: 16
; WaveLimiterHint : 1
; COMPUTE_PGM_RSRC2:SCRATCH_EN: 0
; COMPUTE_PGM_RSRC2:USER_SGPR: 2
; COMPUTE_PGM_RSRC2:TRAP_HANDLER: 0
; COMPUTE_PGM_RSRC2:TGID_X_EN: 1
; COMPUTE_PGM_RSRC2:TGID_Y_EN: 1
; COMPUTE_PGM_RSRC2:TGID_Z_EN: 1
; COMPUTE_PGM_RSRC2:TIDIG_COMP_CNT: 0
	.section	.text._ZN2at6native12_GLOBAL__N_112gatherMedianIijLin1EEEvNS_4cuda6detail10TensorInfoIT_T0_EENS5_IlS7_EENS5_IKS6_S7_EES7_S7_S7_b,"axG",@progbits,_ZN2at6native12_GLOBAL__N_112gatherMedianIijLin1EEEvNS_4cuda6detail10TensorInfoIT_T0_EENS5_IlS7_EENS5_IKS6_S7_EES7_S7_S7_b,comdat
	.globl	_ZN2at6native12_GLOBAL__N_112gatherMedianIijLin1EEEvNS_4cuda6detail10TensorInfoIT_T0_EENS5_IlS7_EENS5_IKS6_S7_EES7_S7_S7_b ; -- Begin function _ZN2at6native12_GLOBAL__N_112gatherMedianIijLin1EEEvNS_4cuda6detail10TensorInfoIT_T0_EENS5_IlS7_EENS5_IKS6_S7_EES7_S7_S7_b
	.p2align	8
	.type	_ZN2at6native12_GLOBAL__N_112gatherMedianIijLin1EEEvNS_4cuda6detail10TensorInfoIT_T0_EENS5_IlS7_EENS5_IKS6_S7_EES7_S7_S7_b,@function
_ZN2at6native12_GLOBAL__N_112gatherMedianIijLin1EEEvNS_4cuda6detail10TensorInfoIT_T0_EENS5_IlS7_EENS5_IKS6_S7_EES7_S7_S7_b: ; @_ZN2at6native12_GLOBAL__N_112gatherMedianIijLin1EEEvNS_4cuda6detail10TensorInfoIT_T0_EENS5_IlS7_EENS5_IKS6_S7_EES7_S7_S7_b
; %bb.0:
	s_clause 0x1
	s_load_b64 s[4:5], s[0:1], 0x298
	s_load_b128 s[28:31], s[0:1], 0x288
	s_lshr_b32 s2, ttmp7, 16
	s_and_b32 s3, ttmp7, 0xffff
	s_wait_kmcnt 0x0
	s_mul_i32 s2, s5, s2
	s_delay_alu instid0(SALU_CYCLE_1) | instskip(NEXT) | instid1(SALU_CYCLE_1)
	s_add_co_i32 s2, s2, s3
	s_mul_i32 s2, s2, s4
	s_delay_alu instid0(SALU_CYCLE_1) | instskip(NEXT) | instid1(SALU_CYCLE_1)
	s_add_co_i32 s5, s2, ttmp9
	s_cmp_ge_u32 s5, s29
	s_cbranch_scc1 .LBB91_244
; %bb.1:
	s_load_b32 s2, s[0:1], 0xd0
	s_mov_b32 s27, 0
	s_mov_b32 s33, s5
	s_wait_kmcnt 0x0
	s_cmp_lt_i32 s2, 2
	s_cbranch_scc1 .LBB91_4
; %bb.2:
	s_add_co_i32 s26, s2, -1
	s_mov_b32 s33, s5
	s_lshl_b64 s[6:7], s[26:27], 2
	s_delay_alu instid0(SALU_CYCLE_1)
	s_add_nc_u64 s[8:9], s[0:1], s[6:7]
	s_add_co_i32 s6, s2, 1
	s_add_nc_u64 s[2:3], s[8:9], 8
.LBB91_3:                               ; =>This Inner Loop Header: Depth=1
	s_clause 0x1
	s_load_b32 s7, s[2:3], 0x0
	s_load_b32 s8, s[2:3], 0x64
	s_mov_b32 s11, s33
	s_add_nc_u64 s[2:3], s[2:3], -4
	s_wait_kmcnt 0x0
	s_cvt_f32_u32 s9, s7
	s_sub_co_i32 s10, 0, s7
	s_wait_alu 0xfffe
	s_delay_alu instid0(SALU_CYCLE_1) | instskip(NEXT) | instid1(TRANS32_DEP_1)
	v_rcp_iflag_f32_e32 v1, s9
	v_readfirstlane_b32 s9, v1
	s_mul_f32 s9, s9, 0x4f7ffffe
	s_wait_alu 0xfffe
	s_delay_alu instid0(SALU_CYCLE_2) | instskip(SKIP_1) | instid1(SALU_CYCLE_2)
	s_cvt_u32_f32 s9, s9
	s_wait_alu 0xfffe
	s_mul_i32 s10, s10, s9
	s_delay_alu instid0(SALU_CYCLE_1) | instskip(NEXT) | instid1(SALU_CYCLE_1)
	s_mul_hi_u32 s10, s9, s10
	s_add_co_i32 s9, s9, s10
	s_wait_alu 0xfffe
	s_mul_hi_u32 s9, s33, s9
	s_wait_alu 0xfffe
	s_mul_i32 s10, s9, s7
	s_add_co_i32 s12, s9, 1
	s_sub_co_i32 s10, s33, s10
	s_delay_alu instid0(SALU_CYCLE_1)
	s_sub_co_i32 s13, s10, s7
	s_cmp_ge_u32 s10, s7
	s_cselect_b32 s9, s12, s9
	s_cselect_b32 s10, s13, s10
	s_wait_alu 0xfffe
	s_add_co_i32 s12, s9, 1
	s_cmp_ge_u32 s10, s7
	s_cselect_b32 s33, s12, s9
	s_add_co_i32 s6, s6, -1
	s_mul_i32 s7, s33, s7
	s_delay_alu instid0(SALU_CYCLE_1) | instskip(NEXT) | instid1(SALU_CYCLE_1)
	s_sub_co_i32 s7, s11, s7
	s_mul_i32 s7, s8, s7
	s_delay_alu instid0(SALU_CYCLE_1)
	s_add_co_i32 s27, s7, s27
	s_cmp_gt_u32 s6, 2
	s_cbranch_scc1 .LBB91_3
.LBB91_4:
	s_load_b32 s6, s[0:1], 0x1a8
	s_add_nc_u64 s[8:9], s[0:1], 0x298
	s_add_nc_u64 s[2:3], s[0:1], 0xd8
	s_mov_b32 s35, 0
	s_mov_b32 s34, s5
	s_wait_kmcnt 0x0
	s_cmp_lt_i32 s6, 2
	s_cbranch_scc1 .LBB91_7
; %bb.5:
	s_add_co_i32 s34, s6, -1
	s_delay_alu instid0(SALU_CYCLE_1)
	s_lshl_b64 s[10:11], s[34:35], 2
	s_mov_b32 s34, s5
	s_add_nc_u64 s[12:13], s[2:3], s[10:11]
	s_add_co_i32 s10, s6, 1
	s_add_nc_u64 s[6:7], s[12:13], 8
.LBB91_6:                               ; =>This Inner Loop Header: Depth=1
	s_clause 0x1
	s_load_b32 s11, s[6:7], 0x0
	s_load_b32 s12, s[6:7], 0x64
	s_mov_b32 s15, s34
	s_add_nc_u64 s[6:7], s[6:7], -4
	s_wait_kmcnt 0x0
	s_cvt_f32_u32 s13, s11
	s_sub_co_i32 s14, 0, s11
	s_wait_alu 0xfffe
	s_delay_alu instid0(SALU_CYCLE_1) | instskip(NEXT) | instid1(TRANS32_DEP_1)
	v_rcp_iflag_f32_e32 v1, s13
	v_readfirstlane_b32 s13, v1
	s_mul_f32 s13, s13, 0x4f7ffffe
	s_wait_alu 0xfffe
	s_delay_alu instid0(SALU_CYCLE_2) | instskip(SKIP_1) | instid1(SALU_CYCLE_2)
	s_cvt_u32_f32 s13, s13
	s_wait_alu 0xfffe
	s_mul_i32 s14, s14, s13
	s_delay_alu instid0(SALU_CYCLE_1) | instskip(NEXT) | instid1(SALU_CYCLE_1)
	s_mul_hi_u32 s14, s13, s14
	s_add_co_i32 s13, s13, s14
	s_wait_alu 0xfffe
	s_mul_hi_u32 s13, s34, s13
	s_wait_alu 0xfffe
	s_mul_i32 s14, s13, s11
	s_add_co_i32 s16, s13, 1
	s_sub_co_i32 s14, s34, s14
	s_delay_alu instid0(SALU_CYCLE_1)
	s_sub_co_i32 s17, s14, s11
	s_cmp_ge_u32 s14, s11
	s_cselect_b32 s13, s16, s13
	s_cselect_b32 s14, s17, s14
	s_wait_alu 0xfffe
	s_add_co_i32 s16, s13, 1
	s_cmp_ge_u32 s14, s11
	s_cselect_b32 s34, s16, s13
	s_add_co_i32 s10, s10, -1
	s_mul_i32 s11, s34, s11
	s_delay_alu instid0(SALU_CYCLE_1) | instskip(NEXT) | instid1(SALU_CYCLE_1)
	s_sub_co_i32 s11, s15, s11
	s_mul_i32 s11, s12, s11
	s_delay_alu instid0(SALU_CYCLE_1)
	s_add_co_i32 s35, s11, s35
	s_cmp_gt_u32 s10, 2
	s_cbranch_scc1 .LBB91_6
.LBB91_7:
	s_clause 0x1
	s_load_b32 s50, s[0:1], 0x6c
	s_load_b32 s10, s[0:1], 0x280
	s_mov_b32 s7, 0
	s_wait_kmcnt 0x0
	s_cmp_lt_i32 s10, 2
	s_cbranch_scc1 .LBB91_10
; %bb.8:
	s_add_co_i32 s6, s10, -1
	s_add_nc_u64 s[12:13], s[0:1], 0x1b0
	s_lshl_b64 s[14:15], s[6:7], 2
	s_add_co_i32 s6, s10, 1
	s_wait_alu 0xfffe
	s_add_nc_u64 s[12:13], s[12:13], s[14:15]
	s_wait_alu 0xfffe
	s_add_nc_u64 s[10:11], s[12:13], 8
.LBB91_9:                               ; =>This Inner Loop Header: Depth=1
	s_clause 0x1
	s_load_b32 s12, s[10:11], 0x0
	s_load_b32 s13, s[10:11], 0x64
	s_mov_b32 s16, s5
	s_add_nc_u64 s[10:11], s[10:11], -4
	s_wait_kmcnt 0x0
	s_cvt_f32_u32 s14, s12
	s_sub_co_i32 s15, 0, s12
	s_wait_alu 0xfffe
	s_delay_alu instid0(SALU_CYCLE_1) | instskip(NEXT) | instid1(TRANS32_DEP_1)
	v_rcp_iflag_f32_e32 v1, s14
	v_readfirstlane_b32 s14, v1
	s_mul_f32 s14, s14, 0x4f7ffffe
	s_wait_alu 0xfffe
	s_delay_alu instid0(SALU_CYCLE_2) | instskip(SKIP_1) | instid1(SALU_CYCLE_2)
	s_cvt_u32_f32 s14, s14
	s_wait_alu 0xfffe
	s_mul_i32 s15, s15, s14
	s_wait_alu 0xfffe
	s_mul_hi_u32 s15, s14, s15
	s_wait_alu 0xfffe
	s_add_co_i32 s14, s14, s15
	s_wait_alu 0xfffe
	s_mul_hi_u32 s5, s5, s14
	s_delay_alu instid0(SALU_CYCLE_1)
	s_mul_i32 s14, s5, s12
	s_add_co_i32 s15, s5, 1
	s_wait_alu 0xfffe
	s_sub_co_i32 s14, s16, s14
	s_wait_alu 0xfffe
	s_sub_co_i32 s17, s14, s12
	s_cmp_ge_u32 s14, s12
	s_cselect_b32 s5, s15, s5
	s_cselect_b32 s14, s17, s14
	s_add_co_i32 s15, s5, 1
	s_wait_alu 0xfffe
	s_cmp_ge_u32 s14, s12
	s_cselect_b32 s5, s15, s5
	s_add_co_i32 s6, s6, -1
	s_mul_i32 s12, s5, s12
	s_wait_alu 0xfffe
	s_sub_co_i32 s12, s16, s12
	s_wait_alu 0xfffe
	s_mul_i32 s12, s13, s12
	s_wait_alu 0xfffe
	s_add_co_i32 s7, s12, s7
	s_cmp_gt_u32 s6, 2
	s_cbranch_scc1 .LBB91_9
.LBB91_10:
	s_load_b32 s51, s[2:3], 0x6c
	v_cmp_eq_u32_e64 s2, 0, v0
	s_and_saveexec_b32 s3, s2
; %bb.11:
	v_mov_b32_e32 v1, 0
	s_delay_alu instid0(VALU_DEP_1)
	v_mov_b32_e32 v2, v1
	ds_store_b64 v1, v[1:2] offset:4096
; %bb.12:
	s_or_b32 exec_lo, exec_lo, s3
	v_mov_b32_e32 v1, 0
	s_wait_dscnt 0x0
	s_barrier_signal -1
	s_barrier_wait -1
	global_inv scope:SCOPE_SE
	s_wait_loadcnt 0x0
	s_barrier_signal -1
	s_barrier_wait -1
	global_inv scope:SCOPE_SE
	ds_load_b64 v[1:2], v1 offset:4096
	s_bitcmp1_b32 s31, 0
	s_mov_b32 s12, s28
	s_cselect_b32 s6, -1, 0
	s_wait_dscnt 0x0
	v_readfirstlane_b32 s10, v1
	v_readfirstlane_b32 s11, v2
	s_delay_alu instid0(VALU_DEP_1) | instskip(SKIP_1) | instid1(SALU_CYCLE_1)
	v_cmp_lt_i64_e64 s3, s[10:11], 1
	s_or_b32 s3, s6, s3
	s_and_not1_b32 vcc_lo, exec_lo, s3
	s_cbranch_vccnz .LBB91_14
; %bb.13:
	s_not_b64 s[10:11], s[10:11]
	s_mov_b32 s29, 0
	s_wait_alu 0xfffe
	s_add_nc_u64 s[10:11], s[10:11], s[28:29]
	s_mov_b32 s13, s29
	s_wait_alu 0xfffe
	s_lshr_b32 s12, s11, 31
	s_wait_alu 0xfffe
	s_add_nc_u64 s[10:11], s[10:11], s[12:13]
	s_wait_alu 0xfffe
	s_lshr_b64 s[10:11], s[10:11], 1
	s_wait_alu 0xfffe
	s_add_co_i32 s12, s10, 1
.LBB91_14:
	s_clause 0x1
	s_load_b32 s3, s[0:1], 0x21c
	s_load_b64 s[10:11], s[0:1], 0x1b0
	s_and_saveexec_b32 s6, s2
	s_cbranch_execz .LBB91_16
; %bb.15:
	v_dual_mov_b32 v1, 0 :: v_dual_mov_b32 v2, s28
	ds_store_b32 v1, v1 offset:4112
	ds_store_b64 v1, v[1:2] offset:4104
.LBB91_16:
	s_or_b32 exec_lo, exec_lo, s6
	s_wait_loadcnt_dscnt 0x0
	s_barrier_signal -1
	s_barrier_wait -1
	global_inv scope:SCOPE_SE
	s_load_b32 s13, s[8:9], 0xc
	s_clause 0x1
	s_load_b64 s[38:39], s[0:1], 0x0
	s_load_b64 s[36:37], s[0:1], 0xd8
	v_mbcnt_lo_u32_b32 v16, -1, 0
	s_wait_kmcnt 0x0
	s_mul_i32 s1, s3, s5
	v_cmp_gt_u32_e32 vcc_lo, 32, v0
	s_mov_b32 s43, 0
	s_add_co_i32 s42, s1, s7
	v_cmp_gt_i32_e64 s3, 4, v16
	s_lshl_b64 s[6:7], s[42:43], 2
	v_mov_b32_e32 v7, 0
	s_add_nc_u64 s[40:41], s[10:11], s[6:7]
	v_mul_lo_u32 v5, s30, v0
	s_and_b32 s31, vcc_lo, s3
	s_delay_alu instid0(VALU_DEP_2)
	v_dual_mov_b32 v6, v7 :: v_dual_lshlrev_b32 v17, 2, v0
	v_cmp_gt_u32_e64 s0, s28, v0
	v_cmp_gt_u32_e64 s1, 2, v0
	v_dual_mov_b32 v30, 0 :: v_dual_lshlrev_b32 v27, 4, v0
	s_and_b32 s29, s13, 0xffff
	s_bfe_u32 s5, s13, 0xb0005
	s_wait_alu 0xfffe
	s_lshl_b32 s52, s29, 2
	s_add_co_i32 s53, s29, -1
	s_cvt_f32_u32 s3, s52
	s_add_co_i32 s13, s53, s28
	s_cmp_gt_u32 s28, 0x300
	s_cvt_f32_u32 s15, s29
	v_rcp_iflag_f32_e32 v1, s3
	s_cselect_b32 s55, -1, 0
	s_cmp_gt_u32 s29, 31
	s_wait_alu 0xfffe
	v_rcp_iflag_f32_e32 v4, s15
	s_cselect_b32 s56, -1, 0
	s_cmp_lt_u32 ttmp9, s4
	v_add_nc_u32_e32 v18, 0xc00, v17
	s_cselect_b32 s42, 12, 18
	s_add_co_i32 s4, s5, -1
	s_bfe_u32 s57, s29, 0x30005
	v_readfirstlane_b32 s14, v1
	s_and_b32 s4, s4, 0xffff
	v_lshlrev_b64_e64 v[1:2], v16, -1
	s_cmp_gt_u32 s4, 6
	v_lshlrev_b64_e32 v[2:3], 2, v[5:6]
	s_mul_f32 s4, s14, 0x4f7ffffe
	s_cselect_b32 s58, -1, 0
	s_and_b32 s59, s5, 0x7f8
	s_cmp_lg_u32 s57, 0
	s_cvt_u32_f32 s4, s4
	s_cselect_b32 s60, -1, 0
	s_sub_co_i32 s5, 0, s52
	v_not_b32_e32 v19, v1
	s_mul_i32 s5, s5, s4
	v_lshrrev_b32_e32 v1, 1, v0
	s_mul_hi_u32 s5, s4, s5
	v_add_co_u32 v8, vcc_lo, s40, v2
	s_add_co_i32 s44, s4, s5
	v_readfirstlane_b32 s5, v4
	s_mul_hi_u32 s4, s28, s44
	v_add_co_ci_u32_e64 v9, null, s41, v3, vcc_lo
	s_mul_i32 s4, s4, s52
	s_mul_f32 s5, s5, 0x4f7ffffe
	s_sub_co_i32 s4, s28, s4
	v_or_b32_e32 v3, 3, v17
	s_sub_co_i32 s6, s4, s52
	s_cmp_ge_u32 s4, s52
	s_cvt_u32_f32 s5, s5
	s_cselect_b32 s4, s6, s4
	v_mad_co_u64_u32 v[12:13], null, s30, v17, s[30:31]
	s_sub_co_i32 s6, s4, s52
	s_cmp_ge_u32 s4, s52
	v_mov_b32_e32 v31, s12
	s_cselect_b32 s7, s6, s4
	s_sub_co_i32 s4, 0, s29
	s_sub_co_i32 s61, s28, s7
	s_mul_i32 s4, s4, s5
	v_add_nc_u32_e32 v20, s61, v0
	s_mul_hi_u32 s4, s5, s4
	v_mul_lo_u32 v24, s30, v3
	s_add_co_i32 s46, s5, s4
	s_movk_i32 s4, 0x1f0
	v_mul_lo_u32 v6, v20, s30
	v_and_or_b32 v21, v1, s4, 0xc00
	s_mul_hi_u32 s5, s13, s46
	v_cmp_eq_u32_e64 s3, 0, v16
	s_wait_alu 0xfffe
	s_mul_i32 s5, s5, s29
	v_cmp_gt_u32_e64 s4, s61, v17
	s_wait_alu 0xfffe
	s_sub_co_i32 s5, s13, s5
	v_dual_mov_b32 v22, 0 :: v_dual_lshlrev_b32 v25, 2, v5
	v_lshlrev_b64_e32 v[1:2], 2, v[6:7]
	s_wait_alu 0xfffe
	s_sub_co_i32 s6, s5, s29
	s_cmp_ge_u32 s5, s29
	v_lshl_or_b32 v28, v16, 2, 0xc00
	s_cselect_b32 s6, s6, s5
	v_cmp_gt_u32_e64 s5, s28, v20
	v_add_co_u32 v10, vcc_lo, s40, v1
	v_add3_u32 v1, s29, s28, v0
	s_wait_alu 0xfffd
	v_add_co_ci_u32_e64 v11, null, s41, v2, vcc_lo
	v_or_b32_e32 v2, 2, v17
	s_sub_co_i32 s10, s6, s29
	v_subrev_nc_u32_e32 v1, s7, v1
	s_cmp_ge_u32 s6, s29
	v_mov_b32_e32 v13, 1
	s_wait_alu 0xfffe
	s_cselect_b32 s6, s10, s6
	v_mul_lo_u32 v23, s30, v2
	v_mul_lo_u32 v26, s30, v1
	s_wait_alu 0xfffe
	s_sub_co_i32 s62, s13, s6
	v_mov_b32_e32 v15, 0
	v_cmp_gt_u32_e64 s6, s62, v0
	v_mov_b32_e32 v29, 0
	s_mul_i32 s54, s30, s29
	s_mov_b32 s45, s43
	s_mov_b32 s47, s43
	s_lshl_b32 s63, s54, 2
	s_lshl_b32 s64, s29, 4
	s_mov_b32 s72, 30
	s_add_nc_u64 s[48:49], s[8:9], s[42:43]
	s_mov_b32 s65, 0
                                        ; implicit-def: $sgpr69
                                        ; implicit-def: $sgpr71
                                        ; implicit-def: $sgpr66
                                        ; implicit-def: $sgpr68
                                        ; implicit-def: $sgpr70
                                        ; implicit-def: $sgpr67
	s_branch .LBB91_20
.LBB91_17:                              ;   in Loop: Header=BB91_20 Depth=1
	s_wait_alu 0xfffe
	s_or_b32 exec_lo, exec_lo, s11
	s_delay_alu instid0(SALU_CYCLE_1)
	s_and_b32 s8, s8, exec_lo
	s_and_not1_b32 s13, s13, exec_lo
	s_and_not1_b32 s12, s12, exec_lo
	s_or_not1_b32 s10, s10, exec_lo
.LBB91_18:                              ;   in Loop: Header=BB91_20 Depth=1
	s_wait_alu 0xfffe
	s_or_b32 exec_lo, exec_lo, s7
	s_delay_alu instid0(SALU_CYCLE_1)
	s_and_not1_b32 s7, s67, exec_lo
	s_and_b32 s8, s8, exec_lo
	s_and_not1_b32 s11, s68, exec_lo
	s_wait_alu 0xfffe
	s_or_b32 s67, s7, s8
	s_and_not1_b32 s7, s70, exec_lo
	s_and_b32 s8, s13, exec_lo
	s_and_b32 s12, s12, exec_lo
	s_wait_alu 0xfffe
	s_or_b32 s70, s7, s8
	s_or_b32 s68, s11, s12
	s_or_not1_b32 s11, s10, exec_lo
.LBB91_19:                              ;   in Loop: Header=BB91_20 Depth=1
	s_wait_alu 0xfffe
	s_or_b32 exec_lo, exec_lo, s9
	s_delay_alu instid0(SALU_CYCLE_1)
	s_and_b32 s7, exec_lo, s11
	v_mov_b32_e32 v31, v2
	s_wait_alu 0xfffe
	s_or_b32 s65, s7, s65
	s_and_not1_b32 s7, s66, exec_lo
	s_and_b32 s8, s67, exec_lo
	s_and_not1_b32 s9, s71, exec_lo
	s_wait_alu 0xfffe
	s_or_b32 s66, s7, s8
	s_and_b32 s7, s70, exec_lo
	s_and_not1_b32 s8, s69, exec_lo
	s_and_b32 s10, s68, exec_lo
	s_wait_alu 0xfffe
	s_or_b32 s71, s9, s7
	s_or_b32 s69, s8, s10
	s_mov_b32 s72, s18
	s_and_not1_b32 exec_lo, exec_lo, s65
	s_cbranch_execz .LBB91_240
.LBB91_20:                              ; =>This Loop Header: Depth=1
                                        ;     Child Loop BB91_26 Depth 2
                                        ;     Child Loop BB91_39 Depth 2
	;; [unrolled: 1-line block ×16, first 2 shown]
	ds_load_b64 v[1:2], v7 offset:4104
	s_wait_dscnt 0x0
	v_readfirstlane_b32 s42, v1
	s_cmp_lg_u32 s42, 0
	s_cbranch_scc1 .LBB91_47
; %bb.21:                               ;   in Loop: Header=BB91_20 Depth=1
	s_and_b32 vcc_lo, exec_lo, s55
	s_wait_alu 0xfffe
	s_cbranch_vccz .LBB91_34
; %bb.22:                               ;   in Loop: Header=BB91_20 Depth=1
	v_cmp_gt_u32_e32 vcc_lo, 0x301, v2
	s_mov_b32 s9, 0
	s_mov_b32 s7, 0
	s_cbranch_vccz .LBB91_35
; %bb.23:                               ;   in Loop: Header=BB91_20 Depth=1
	s_and_saveexec_b32 s10, s0
	s_cbranch_execz .LBB91_130
; %bb.24:                               ;   in Loop: Header=BB91_20 Depth=1
	global_load_b32 v1, v[8:9], off
	s_load_u16 s11, s[48:49], 0x0
	s_mov_b32 s13, 0
	s_wait_kmcnt 0x0
	v_add_nc_u32_e32 v2, s11, v0
	s_mul_i32 s12, s30, s11
	s_delay_alu instid0(VALU_DEP_1)
	v_mul_lo_u32 v6, s30, v2
	v_mov_b32_e32 v2, v0
	s_branch .LBB91_26
.LBB91_25:                              ;   in Loop: Header=BB91_26 Depth=2
	s_wait_alu 0xfffe
	s_or_b32 exec_lo, exec_lo, s8
	v_dual_mov_b32 v1, v3 :: v_dual_add_nc_u32 v6, s12, v6
	s_and_not1_b32 exec_lo, exec_lo, s13
	s_cbranch_execz .LBB91_130
.LBB91_26:                              ;   Parent Loop BB91_20 Depth=1
                                        ; =>  This Inner Loop Header: Depth=2
	s_delay_alu instid0(VALU_DEP_1) | instskip(SKIP_3) | instid1(VALU_DEP_2)
	v_dual_mov_b32 v3, 0 :: v_dual_add_nc_u32 v2, s11, v2
	s_wait_dscnt 0x0
	v_mov_b32_e32 v4, 0
	s_mov_b32 s8, exec_lo
	v_cmp_le_u32_e32 vcc_lo, s28, v2
	v_cmpx_gt_u32_e64 s28, v2
	s_cbranch_execz .LBB91_28
; %bb.27:                               ;   in Loop: Header=BB91_26 Depth=2
	v_lshlrev_b64_e32 v[32:33], 2, v[6:7]
	s_delay_alu instid0(VALU_DEP_1) | instskip(SKIP_1) | instid1(VALU_DEP_2)
	v_add_co_u32 v32, s7, s40, v32
	s_wait_alu 0xf1ff
	v_add_co_ci_u32_e64 v33, null, s41, v33, s7
	global_load_b32 v3, v[32:33], off
.LBB91_28:                              ;   in Loop: Header=BB91_26 Depth=2
	s_wait_alu 0xfffe
	s_or_b32 exec_lo, exec_lo, s8
	s_wait_loadcnt 0x0
	v_xor_b32_e32 v14, 0x80000000, v1
	s_delay_alu instid0(VALU_DEP_1) | instskip(NEXT) | instid1(VALU_DEP_1)
	v_and_b32_e32 v14, v14, v30
	v_cmp_eq_u32_e64 s7, v14, v22
	s_cmp_lg_u32 s7, 0
	s_cselect_b32 s8, -1, 0
	s_wait_alu 0xfffe
	s_and_b32 s8, s3, s8
	s_wait_alu 0xfffe
	s_and_saveexec_b32 s14, s8
	s_cbranch_execz .LBB91_32
; %bb.29:                               ;   in Loop: Header=BB91_26 Depth=2
	s_mov_b32 s17, exec_lo
	s_bcnt1_i32_b32 s15, s7
	s_wait_alu 0xfffe
	v_mbcnt_lo_u32_b32 v4, s17, 0
	s_mov_b32 s16, exec_lo
                                        ; implicit-def: $vgpr14
	s_delay_alu instid0(VALU_DEP_1)
	v_cmpx_eq_u32_e32 0, v4
; %bb.30:                               ;   in Loop: Header=BB91_26 Depth=2
	s_bcnt1_i32_b32 s8, s17
	s_wait_alu 0xfffe
	s_mul_i32 s8, s15, s8
	s_wait_alu 0xfffe
	v_mov_b32_e32 v14, s8
	ds_add_rtn_u32 v14, v7, v14 offset:4112
; %bb.31:                               ;   in Loop: Header=BB91_26 Depth=2
	s_or_b32 exec_lo, exec_lo, s16
	s_wait_dscnt 0x0
	v_readfirstlane_b32 s8, v14
	s_wait_alu 0xf1ff
	s_delay_alu instid0(VALU_DEP_1)
	v_mad_u32_u24 v4, s15, v4, s8
.LBB91_32:                              ;   in Loop: Header=BB91_26 Depth=2
	s_wait_alu 0xfffe
	s_or_b32 exec_lo, exec_lo, s14
	ds_bpermute_b32 v4, v7, v4
	s_and_b32 s8, exec_lo, vcc_lo
	s_wait_alu 0xfffe
	s_or_b32 s13, s8, s13
	s_and_saveexec_b32 s8, s7
	s_cbranch_execz .LBB91_25
; %bb.33:                               ;   in Loop: Header=BB91_26 Depth=2
	v_and_b32_e32 v14, s7, v19
	s_delay_alu instid0(VALU_DEP_1) | instskip(NEXT) | instid1(VALU_DEP_1)
	v_bcnt_u32_b32 v14, v14, 0
	v_lshlrev_b32_e32 v14, 2, v14
	s_wait_dscnt 0x0
	s_delay_alu instid0(VALU_DEP_1)
	v_lshl_add_u32 v4, v4, 2, v14
	ds_store_b32 v4, v1
	s_branch .LBB91_25
.LBB91_34:                              ;   in Loop: Header=BB91_20 Depth=1
	s_mov_b32 s9, -1
	s_mov_b32 s7, 0
.LBB91_35:                              ;   in Loop: Header=BB91_20 Depth=1
	s_wait_alu 0xfffe
	s_and_b32 vcc_lo, exec_lo, s9
	s_wait_alu 0xfffe
	s_cbranch_vccz .LBB91_45
.LBB91_36:                              ;   in Loop: Header=BB91_20 Depth=1
	s_and_saveexec_b32 s7, s0
	s_cbranch_execz .LBB91_42
; %bb.37:                               ;   in Loop: Header=BB91_20 Depth=1
	global_load_b32 v2, v[8:9], off
	s_load_u16 s9, s[48:49], 0x0
	v_mov_b32_e32 v1, v0
	s_mov_b32 s8, exec_lo
	s_wait_kmcnt 0x0
	v_add_nc_u32_e32 v3, s9, v0
	s_delay_alu instid0(VALU_DEP_1)
	v_cmpx_gt_u32_e64 s28, v3
	s_cbranch_execz .LBB91_41
; %bb.38:                               ;   in Loop: Header=BB91_20 Depth=1
	v_mul_lo_u32 v6, s30, v3
	v_mov_b32_e32 v3, v17
	v_mov_b32_e32 v1, v0
	s_lshl_b32 s10, s9, 2
	s_mul_i32 s12, s30, s9
	s_mov_b32 s11, 0
.LBB91_39:                              ;   Parent Loop BB91_20 Depth=1
                                        ; =>  This Inner Loop Header: Depth=2
	s_delay_alu instid0(VALU_DEP_3)
	v_lshlrev_b64_e32 v[32:33], 2, v[6:7]
	s_wait_loadcnt 0x0
	ds_store_b32 v3, v2
	s_wait_alu 0xfffe
	v_add_nc_u32_e32 v3, s10, v3
	v_add_nc_u32_e32 v6, s12, v6
	v_add_co_u32 v32, vcc_lo, s40, v32
	s_wait_alu 0xfffd
	v_add_co_ci_u32_e64 v33, null, s41, v33, vcc_lo
	global_load_b32 v4, v[32:33], off
	s_wait_loadcnt 0x0
	v_dual_mov_b32 v2, v4 :: v_dual_add_nc_u32 v1, s9, v1
	s_delay_alu instid0(VALU_DEP_1) | instskip(NEXT) | instid1(VALU_DEP_1)
	v_add_nc_u32_e32 v14, s9, v1
	v_cmp_le_u32_e32 vcc_lo, s28, v14
	s_or_b32 s11, vcc_lo, s11
	s_wait_alu 0xfffe
	s_and_not1_b32 exec_lo, exec_lo, s11
	s_cbranch_execnz .LBB91_39
; %bb.40:                               ;   in Loop: Header=BB91_20 Depth=1
	s_or_b32 exec_lo, exec_lo, s11
	v_mov_b32_e32 v2, v4
.LBB91_41:                              ;   in Loop: Header=BB91_20 Depth=1
	s_wait_alu 0xfffe
	s_or_b32 exec_lo, exec_lo, s8
	v_lshlrev_b32_e32 v1, 2, v1
	s_wait_loadcnt 0x0
	ds_store_b32 v1, v2
.LBB91_42:                              ;   in Loop: Header=BB91_20 Depth=1
	s_wait_alu 0xfffe
	s_or_b32 exec_lo, exec_lo, s7
	s_wait_loadcnt_dscnt 0x0
	s_barrier_signal -1
	s_barrier_wait -1
	global_inv scope:SCOPE_SE
	s_and_saveexec_b32 s7, s2
; %bb.43:                               ;   in Loop: Header=BB91_20 Depth=1
	v_mov_b32_e32 v1, s28
	ds_store_b32 v7, v1 offset:4104
; %bb.44:                               ;   in Loop: Header=BB91_20 Depth=1
	s_wait_alu 0xfffe
	s_or_b32 exec_lo, exec_lo, s7
	s_mov_b32 s7, -1
	s_wait_loadcnt_dscnt 0x0
	s_barrier_signal -1
	s_barrier_wait -1
.LBB91_45:                              ;   in Loop: Header=BB91_20 Depth=1
	s_wait_alu 0xfffe
	s_and_b32 vcc_lo, exec_lo, s7
	s_mov_b32 s42, 0
	s_wait_alu 0xfffe
	s_cbranch_vccz .LBB91_47
; %bb.46:                               ;   in Loop: Header=BB91_20 Depth=1
	s_wait_loadcnt 0x0
	global_inv scope:SCOPE_SE
	ds_load_b32 v1, v7 offset:4104
	s_wait_dscnt 0x0
	v_readfirstlane_b32 s42, v1
.LBB91_47:                              ;   in Loop: Header=BB91_20 Depth=1
	s_delay_alu instid0(VALU_DEP_1)
	s_cmp_lt_i32 s42, 1
	s_mov_b32 s7, -1
                                        ; implicit-def: $vgpr4
	s_cbranch_scc1 .LBB91_57
; %bb.48:                               ;   in Loop: Header=BB91_20 Depth=1
	s_wait_alu 0xfffe
	s_and_b32 vcc_lo, exec_lo, s7
	s_wait_alu 0xfffe
	s_cbranch_vccnz .LBB91_68
.LBB91_49:                              ;   in Loop: Header=BB91_20 Depth=1
	v_lshlrev_b32_e32 v6, 7, v29
	s_and_saveexec_b32 s7, s3
.LBB91_50:                              ;   in Loop: Header=BB91_20 Depth=1
	s_delay_alu instid0(VALU_DEP_1)
	v_lshl_add_u32 v14, v6, 2, v21
	ds_store_b128 v14, v[1:4]
.LBB91_51:                              ;   in Loop: Header=BB91_20 Depth=1
	s_wait_alu 0xfffe
	s_or_b32 exec_lo, exec_lo, s7
	s_wait_loadcnt_dscnt 0x0
	s_barrier_signal -1
	s_barrier_wait -1
	global_inv scope:SCOPE_SE
	s_and_saveexec_b32 s7, s31
	s_cbranch_execz .LBB91_81
; %bb.52:                               ;   in Loop: Header=BB91_20 Depth=1
	v_mov_b32_e32 v1, 0
	s_and_not1_b32 vcc_lo, exec_lo, s56
	s_wait_alu 0xfffe
	s_cbranch_vccnz .LBB91_80
; %bb.53:                               ;   in Loop: Header=BB91_20 Depth=1
	s_and_not1_b32 vcc_lo, exec_lo, s58
	s_wait_alu 0xfffe
	s_cbranch_vccnz .LBB91_77
; %bb.54:                               ;   in Loop: Header=BB91_20 Depth=1
	v_lshl_add_u32 v2, v29, 9, v28
	v_mov_b32_e32 v1, 0
	s_mov_b32 s8, 0
.LBB91_55:                              ;   Parent Loop BB91_20 Depth=1
                                        ; =>  This Inner Loop Header: Depth=2
	ds_load_2addr_b32 v[3:4], v2 offset1:4
	ds_load_2addr_b32 v[32:33], v2 offset0:8 offset1:12
	ds_load_2addr_b32 v[34:35], v2 offset0:16 offset1:20
	;; [unrolled: 1-line block ×3, first 2 shown]
	v_add_nc_u32_e32 v2, 0x80, v2
	s_wait_alu 0xfffe
	s_add_co_i32 s8, s8, 8
	s_wait_alu 0xfffe
	s_cmp_eq_u32 s59, s8
	s_wait_dscnt 0x3
	v_add3_u32 v1, v3, v1, v4
	s_wait_dscnt 0x2
	s_delay_alu instid0(VALU_DEP_1) | instskip(SKIP_1) | instid1(VALU_DEP_1)
	v_add3_u32 v1, v32, v1, v33
	s_wait_dscnt 0x1
	v_add3_u32 v1, v34, v1, v35
	s_wait_dscnt 0x0
	s_delay_alu instid0(VALU_DEP_1)
	v_add3_u32 v1, v36, v1, v37
	s_cbranch_scc0 .LBB91_55
; %bb.56:                               ;   in Loop: Header=BB91_20 Depth=1
	s_mov_b32 s8, s59
	s_and_not1_b32 vcc_lo, exec_lo, s60
	s_wait_alu 0xfffe
	s_cbranch_vccz .LBB91_78
	s_branch .LBB91_80
.LBB91_57:                              ;   in Loop: Header=BB91_20 Depth=1
	v_dual_mov_b32 v1, 0 :: v_dual_mov_b32 v2, 0
	v_dual_mov_b32 v3, 0 :: v_dual_mov_b32 v4, 0
	s_and_saveexec_b32 s18, s4
	s_cbranch_execz .LBB91_61
; %bb.58:                               ;   in Loop: Header=BB91_20 Depth=1
	v_mov_b32_e32 v14, v17
	s_mov_b32 s19, 0
	s_mov_b32 s20, 0
	;; [unrolled: 1-line block ×6, first 2 shown]
.LBB91_59:                              ;   Parent Loop BB91_20 Depth=1
                                        ; =>  This Inner Loop Header: Depth=2
	s_wait_alu 0xfffe
	v_add_nc_u32_e32 v6, s20, v25
	v_add_nc_u32_e32 v14, s52, v14
	s_delay_alu instid0(VALU_DEP_2) | instskip(SKIP_1) | instid1(VALU_DEP_1)
	v_lshlrev_b64_e32 v[1:2], 2, v[6:7]
	v_add_nc_u32_e32 v6, s20, v12
	v_lshlrev_b64_e32 v[3:4], 2, v[6:7]
	v_add_nc_u32_e32 v6, s20, v23
	s_delay_alu instid0(VALU_DEP_4) | instskip(SKIP_2) | instid1(VALU_DEP_3)
	v_add_co_u32 v1, vcc_lo, s40, v1
	s_wait_alu 0xfffd
	v_add_co_ci_u32_e64 v2, null, s41, v2, vcc_lo
	v_lshlrev_b64_e32 v[32:33], 2, v[6:7]
	v_add_nc_u32_e32 v6, s20, v24
	s_add_co_i32 s20, s20, s63
	global_load_b32 v34, v[1:2], off
	v_add_co_u32 v1, vcc_lo, s40, v3
	s_wait_alu 0xfffd
	v_add_co_ci_u32_e64 v2, null, s41, v4, vcc_lo
	v_add_co_u32 v32, vcc_lo, s40, v32
	s_wait_alu 0xfffd
	v_add_co_ci_u32_e64 v33, null, s41, v33, vcc_lo
	v_lshlrev_b64_e32 v[3:4], 2, v[6:7]
	s_clause 0x1
	global_load_b32 v6, v[1:2], off
	global_load_b32 v32, v[32:33], off
	v_add_co_u32 v1, vcc_lo, s40, v3
	s_wait_alu 0xfffd
	v_add_co_ci_u32_e64 v2, null, s41, v4, vcc_lo
	v_cmp_le_u32_e32 vcc_lo, s61, v14
	global_load_b32 v1, v[1:2], off
	s_wait_loadcnt 0x3
	v_xor_b32_e32 v2, 0x80000000, v34
	s_delay_alu instid0(VALU_DEP_1) | instskip(SKIP_3) | instid1(VALU_DEP_3)
	v_and_b32_e32 v3, v2, v30
	v_bfe_u32 v2, v2, s72, 2
	s_wait_loadcnt 0x2
	v_xor_b32_e32 v4, 0x80000000, v6
	v_cmp_eq_u32_e64 s7, v3, v22
	s_delay_alu instid0(VALU_DEP_3)
	v_cmp_eq_u32_e64 s8, 0, v2
	s_wait_loadcnt 0x1
	v_xor_b32_e32 v6, 0x80000000, v32
	v_cmp_eq_u32_e64 s9, 1, v2
	v_and_b32_e32 v3, v4, v30
	v_bfe_u32 v4, v4, s72, 2
	v_cmp_eq_u32_e64 s10, 2, v2
	s_and_b32 s8, s7, s8
	v_cmp_eq_u32_e64 s11, 3, v2
	v_cmp_eq_u32_e64 s12, v3, v22
	v_and_b32_e32 v2, v6, v30
	v_bfe_u32 v3, v6, s72, 2
	v_cmp_eq_u32_e64 s13, 0, v4
	s_wait_alu 0xfffe
	v_cndmask_b32_e64 v6, 0, 1, s8
	v_cmp_eq_u32_e64 s8, 1, v4
	s_and_b32 s9, s7, s9
	s_and_b32 s10, s7, s10
	s_wait_alu 0xfffe
	v_cndmask_b32_e64 v32, 0, 1, s9
	v_cmp_eq_u32_e64 s9, 2, v4
	s_wait_loadcnt 0x0
	v_xor_b32_e32 v1, 0x80000000, v1
	v_cndmask_b32_e64 v33, 0, 1, s10
	s_and_b32 s7, s7, s11
	s_and_b32 s13, s12, s13
	;; [unrolled: 1-line block ×3, first 2 shown]
	v_cmp_eq_u32_e64 s10, 3, v4
	s_wait_alu 0xfffe
	v_cndmask_b32_e64 v4, 0, 1, s7
	v_cmp_eq_u32_e64 s7, v2, v22
	v_cmp_eq_u32_e64 s11, 0, v3
	v_cmp_ne_u32_e64 s14, 0, v6
	v_cndmask_b32_e64 v6, 0, 1, s13
	v_cmp_eq_u32_e64 s13, 1, v3
	v_cmp_ne_u32_e64 s15, 0, v32
	v_cndmask_b32_e64 v32, 0, 1, s8
	v_cmp_eq_u32_e64 s8, 2, v3
	s_and_b32 s9, s12, s9
	v_and_b32_e32 v2, v1, v30
	v_bfe_u32 v1, v1, s72, 2
	v_cmp_ne_u32_e64 s16, 0, v33
	s_wait_alu 0xfffe
	v_cndmask_b32_e64 v33, 0, 1, s9
	v_cmp_eq_u32_e64 s9, 3, v3
	s_and_b32 s10, s12, s10
	s_and_b32 s11, s7, s11
	;; [unrolled: 1-line block ×4, first 2 shown]
	v_cmp_ne_u32_e64 s17, 0, v4
	s_wait_alu 0xfffe
	v_cndmask_b32_e64 v3, 0, 1, s10
	v_cmp_eq_u32_e64 s10, v2, v22
	v_cmp_eq_u32_e64 s12, 0, v1
	s_bcnt1_i32_b32 s25, s14
	v_cmp_ne_u32_e64 s14, 0, v6
	v_cndmask_b32_e64 v2, 0, 1, s11
	v_cmp_eq_u32_e64 s11, 1, v1
	v_cndmask_b32_e64 v4, 0, 1, s13
	v_cmp_eq_u32_e64 s13, 2, v1
	;; [unrolled: 2-line block ×3, first 2 shown]
	s_and_b32 s7, s7, s9
	s_bcnt1_i32_b32 s74, s17
	s_wait_alu 0xfffe
	v_cndmask_b32_e64 v1, 0, 1, s7
	v_cmp_ne_u32_e64 s17, 0, v3
	s_and_b32 s9, s10, s12
	s_and_b32 s11, s10, s11
	;; [unrolled: 1-line block ×4, first 2 shown]
	v_cmp_ne_u32_e64 s7, 0, v2
	s_wait_alu 0xfffe
	v_cndmask_b32_e64 v2, 0, 1, s9
	v_cmp_ne_u32_e64 s9, 0, v4
	v_cndmask_b32_e64 v3, 0, 1, s11
	v_cndmask_b32_e64 v4, 0, 1, s12
	v_cmp_ne_u32_e64 s12, 0, v1
	v_cndmask_b32_e64 v1, 0, 1, s8
	s_bcnt1_i32_b32 s26, s15
	v_cmp_ne_u32_e64 s15, 0, v32
	s_bcnt1_i32_b32 s73, s16
	v_cmp_ne_u32_e64 s16, 0, v33
	s_add_co_i32 s21, s74, s21
	v_cmp_ne_u32_e64 s11, 0, v6
	s_bcnt1_i32_b32 s13, s17
	s_bcnt1_i32_b32 s17, s7
	s_wait_alu 0xfffe
	s_add_co_i32 s13, s21, s13
	v_cmp_ne_u32_e64 s7, 0, v2
	s_bcnt1_i32_b32 s21, s9
	v_cmp_ne_u32_e64 s8, 0, v3
	v_cmp_ne_u32_e64 s9, 0, v4
	;; [unrolled: 1-line block ×3, first 2 shown]
	s_add_co_i32 s24, s25, s24
	s_add_co_i32 s23, s26, s23
	;; [unrolled: 1-line block ×3, first 2 shown]
	s_bcnt1_i32_b32 s14, s14
	s_bcnt1_i32_b32 s15, s15
	s_bcnt1_i32_b32 s16, s16
	s_wait_alu 0xfffe
	s_add_co_i32 s14, s24, s14
	s_add_co_i32 s15, s23, s15
	;; [unrolled: 1-line block ×3, first 2 shown]
	s_bcnt1_i32_b32 s11, s11
	s_bcnt1_i32_b32 s12, s12
	s_wait_alu 0xfffe
	s_add_co_i32 s14, s14, s17
	s_add_co_i32 s15, s15, s21
	;; [unrolled: 1-line block ×4, first 2 shown]
	s_bcnt1_i32_b32 s7, s7
	s_bcnt1_i32_b32 s8, s8
	;; [unrolled: 1-line block ×4, first 2 shown]
	s_wait_alu 0xfffe
	s_add_co_i32 s24, s14, s7
	s_add_co_i32 s23, s15, s8
	;; [unrolled: 1-line block ×4, first 2 shown]
	s_wait_alu 0xfffe
	v_dual_mov_b32 v1, s24 :: v_dual_mov_b32 v2, s23
	v_dual_mov_b32 v3, s22 :: v_dual_mov_b32 v4, s21
	s_or_b32 s19, vcc_lo, s19
	s_wait_alu 0xfffe
	s_and_not1_b32 exec_lo, exec_lo, s19
	s_cbranch_execnz .LBB91_59
; %bb.60:                               ;   in Loop: Header=BB91_20 Depth=1
	s_or_b32 exec_lo, exec_lo, s19
.LBB91_61:                              ;   in Loop: Header=BB91_20 Depth=1
	s_wait_alu 0xfffe
	s_or_b32 exec_lo, exec_lo, s18
	s_and_saveexec_b32 s11, s5
	s_cbranch_execz .LBB91_67
; %bb.62:                               ;   in Loop: Header=BB91_20 Depth=1
	global_load_b32 v33, v[10:11], off
	v_mov_b32_e32 v6, v26
	v_mov_b32_e32 v14, v20
	s_mov_b32 s12, 0
	s_branch .LBB91_64
.LBB91_63:                              ;   in Loop: Header=BB91_64 Depth=2
	s_wait_alu 0xfffe
	s_or_b32 exec_lo, exec_lo, s8
	s_wait_loadcnt 0x0
	v_xor_b32_e32 v33, 0x80000000, v33
	s_and_b32 s8, exec_lo, vcc_lo
	v_add_nc_u32_e32 v6, s54, v6
	s_wait_alu 0xfffe
	s_or_b32 s12, s8, s12
	v_and_b32_e32 v34, v33, v30
	v_bfe_u32 v33, v33, s72, 2
	s_delay_alu instid0(VALU_DEP_2) | instskip(NEXT) | instid1(VALU_DEP_2)
	v_cmp_eq_u32_e32 vcc_lo, v34, v22
	v_cmp_eq_u32_e64 s7, 0, v33
	v_cmp_eq_u32_e64 s8, 1, v33
	;; [unrolled: 1-line block ×4, first 2 shown]
	s_and_b32 s7, vcc_lo, s7
	s_wait_alu 0xfffe
	v_cndmask_b32_e64 v33, 0, 1, s7
	s_and_b32 s7, vcc_lo, s8
	s_wait_alu 0xfffe
	v_cndmask_b32_e64 v34, 0, 1, s7
	;; [unrolled: 3-line block ×3, first 2 shown]
	s_and_b32 s7, vcc_lo, s10
	v_cmp_ne_u32_e32 vcc_lo, 0, v33
	s_wait_alu 0xfffe
	v_cndmask_b32_e64 v36, 0, 1, s7
	v_cmp_ne_u32_e64 s7, 0, v34
	v_cmp_ne_u32_e64 s8, 0, v35
	v_mov_b32_e32 v33, v32
	s_bcnt1_i32_b32 s10, vcc_lo
	v_cmp_ne_u32_e64 s9, 0, v36
	s_bcnt1_i32_b32 s7, s7
	s_bcnt1_i32_b32 s8, s8
	s_wait_alu 0xfffe
	v_add_nc_u32_e32 v1, s10, v1
	v_add_nc_u32_e32 v2, s7, v2
	s_bcnt1_i32_b32 s9, s9
	v_add_nc_u32_e32 v3, s8, v3
	s_wait_alu 0xfffe
	v_add_nc_u32_e32 v4, s9, v4
	s_and_not1_b32 exec_lo, exec_lo, s12
	s_cbranch_execz .LBB91_66
.LBB91_64:                              ;   Parent Loop BB91_20 Depth=1
                                        ; =>  This Inner Loop Header: Depth=2
	s_delay_alu instid0(VALU_DEP_1) | instskip(SKIP_2) | instid1(VALU_DEP_2)
	v_add_nc_u32_e32 v14, s29, v14
	v_mov_b32_e32 v32, 0
	s_mov_b32 s8, exec_lo
	v_cmp_le_u32_e32 vcc_lo, s28, v14
	v_cmpx_gt_u32_e64 s28, v14
	s_cbranch_execz .LBB91_63
; %bb.65:                               ;   in Loop: Header=BB91_64 Depth=2
	v_lshlrev_b64_e32 v[34:35], 2, v[6:7]
	s_delay_alu instid0(VALU_DEP_1) | instskip(SKIP_1) | instid1(VALU_DEP_2)
	v_add_co_u32 v34, s7, s40, v34
	s_wait_alu 0xf1fe
	v_add_co_ci_u32_e64 v35, null, s41, v35, s7
	global_load_b32 v32, v[34:35], off
	s_branch .LBB91_63
.LBB91_66:                              ;   in Loop: Header=BB91_20 Depth=1
	s_or_b32 exec_lo, exec_lo, s12
.LBB91_67:                              ;   in Loop: Header=BB91_20 Depth=1
	s_wait_alu 0xfffe
	s_or_b32 exec_lo, exec_lo, s11
	s_branch .LBB91_49
.LBB91_68:                              ;   in Loop: Header=BB91_20 Depth=1
	s_mul_u64 s[8:9], s[42:43], s[44:45]
	v_dual_mov_b32 v1, 0 :: v_dual_mov_b32 v2, 0
	s_wait_alu 0xfffe
	s_mul_i32 s7, s9, s52
	v_dual_mov_b32 v3, 0 :: v_dual_mov_b32 v4, 0
	s_wait_alu 0xfffe
	s_sub_co_i32 s7, s42, s7
	s_mov_b32 s74, exec_lo
	s_wait_alu 0xfffe
	s_sub_co_i32 s8, s7, s52
	s_cmp_ge_u32 s7, s52
	s_wait_alu 0xfffe
	s_cselect_b32 s7, s8, s7
	s_wait_alu 0xfffe
	s_sub_co_i32 s8, s7, s52
	s_cmp_ge_u32 s7, s52
	s_wait_alu 0xfffe
	s_cselect_b32 s7, s8, s7
	s_wait_alu 0xfffe
	s_sub_co_i32 s73, s42, s7
	s_wait_alu 0xfffe
	v_cmpx_gt_u32_e64 s73, v17
	s_cbranch_execz .LBB91_72
; %bb.69:                               ;   in Loop: Header=BB91_20 Depth=1
	v_mov_b32_e32 v6, v27
	v_mov_b32_e32 v14, v17
	s_mov_b32 s75, 0
	s_mov_b32 s76, 0
	;; [unrolled: 1-line block ×5, first 2 shown]
.LBB91_70:                              ;   Parent Loop BB91_20 Depth=1
                                        ; =>  This Inner Loop Header: Depth=2
	ds_load_b128 v[1:4], v6
	s_wait_dscnt 0x0
	v_xor_b32_e32 v1, 0x80000000, v1
	v_xor_b32_e32 v2, 0x80000000, v2
	;; [unrolled: 1-line block ×4, first 2 shown]
	s_delay_alu instid0(VALU_DEP_4)
	v_and_b32_e32 v32, v1, v30
	v_bfe_u32 v1, v1, s72, 2
	v_and_b32_e32 v33, v2, v30
	v_bfe_u32 v2, v2, s72, 2
	;; [unrolled: 2-line block ×3, first 2 shown]
	v_cmp_eq_u32_e64 s7, v32, v22
	v_cmp_eq_u32_e64 s11, 0, v1
	v_and_b32_e32 v35, v4, v30
	v_bfe_u32 v4, v4, s72, 2
	v_cmp_eq_u32_e64 s8, v33, v22
	v_cmp_eq_u32_e64 s12, 0, v2
	;; [unrolled: 1-line block ×4, first 2 shown]
	s_and_b32 s11, s7, s11
	v_cmp_eq_u32_e64 s10, v35, v22
	v_cmp_eq_u32_e64 s14, 0, v4
	;; [unrolled: 1-line block ×5, first 2 shown]
	s_wait_alu 0xfffe
	v_cndmask_b32_e64 v1, 0, 1, s11
	s_and_b32 s11, s8, s12
	v_cmp_eq_u32_e64 s16, 1, v2
	v_cmp_eq_u32_e64 s20, 2, v2
	v_cmp_eq_u32_e64 s24, 3, v2
	s_wait_alu 0xfffe
	v_cndmask_b32_e64 v2, 0, 1, s11
	s_and_b32 s11, s9, s13
	v_cmp_eq_u32_e64 s17, 1, v3
	v_cmp_eq_u32_e64 s21, 2, v3
	v_cmp_eq_u32_e64 s25, 3, v3
	;; [unrolled: 6-line block ×3, first 2 shown]
	s_wait_alu 0xfffe
	v_cndmask_b32_e64 v4, 0, 1, s11
	s_and_b32 s11, s7, s15
	s_wait_alu 0xfffe
	v_cndmask_b32_e64 v32, 0, 1, s11
	s_and_b32 s11, s8, s16
	;; [unrolled: 3-line block ×4, first 2 shown]
	v_cmp_ne_u32_e64 s12, 0, v33
	s_wait_alu 0xfffe
	v_cndmask_b32_e64 v35, 0, 1, s11
	s_and_b32 s11, s7, s19
	s_and_b32 s7, s7, s23
	s_wait_alu 0xfffe
	v_cndmask_b32_e64 v36, 0, 1, s11
	v_cndmask_b32_e64 v40, 0, 1, s7
	s_and_b32 s7, s8, s24
	s_and_b32 s11, s8, s20
	s_wait_alu 0xfffe
	v_cndmask_b32_e64 v41, 0, 1, s7
	s_and_b32 s7, s9, s25
	v_cndmask_b32_e64 v37, 0, 1, s11
	s_wait_alu 0xfffe
	v_cndmask_b32_e64 v42, 0, 1, s7
	s_and_b32 s7, s10, s26
	s_and_b32 s11, s9, s21
	s_wait_alu 0xfffe
	v_cndmask_b32_e64 v43, 0, 1, s7
	v_cmp_ne_u32_e64 s7, 0, v1
	v_cmp_ne_u32_e64 s8, 0, v2
	v_cndmask_b32_e64 v38, 0, 1, s11
	s_and_b32 s11, s10, s22
	v_cmp_ne_u32_e64 s9, 0, v3
	s_wait_alu 0xfffe
	v_cndmask_b32_e64 v39, 0, 1, s11
	v_cmp_ne_u32_e64 s11, 0, v32
	v_cmp_ne_u32_e64 s15, 0, v36
	;; [unrolled: 1-line block ×3, first 2 shown]
	s_bcnt1_i32_b32 s7, s7
	v_cmp_ne_u32_e64 s10, 0, v4
	v_cmp_ne_u32_e64 s16, 0, v37
	;; [unrolled: 1-line block ×3, first 2 shown]
	s_bcnt1_i32_b32 s8, s8
	s_wait_alu 0xfffe
	s_add_co_i32 s7, s7, s79
	v_cmp_ne_u32_e64 s13, 0, v34
	v_cmp_ne_u32_e64 s17, 0, v38
	;; [unrolled: 1-line block ×3, first 2 shown]
	s_bcnt1_i32_b32 s9, s9
	s_wait_alu 0xfffe
	s_add_co_i32 s7, s7, s8
	s_bcnt1_i32_b32 s11, s11
	s_bcnt1_i32_b32 s15, s15
	;; [unrolled: 1-line block ×3, first 2 shown]
	v_cmp_ne_u32_e64 s14, 0, v35
	v_cmp_ne_u32_e64 s18, 0, v39
	v_cmp_ne_u32_e64 s22, 0, v43
	s_bcnt1_i32_b32 s10, s10
	s_wait_alu 0xfffe
	s_add_co_i32 s7, s7, s9
	s_bcnt1_i32_b32 s12, s12
	s_bcnt1_i32_b32 s16, s16
	;; [unrolled: 1-line block ×3, first 2 shown]
	s_add_co_i32 s11, s11, s78
	s_add_co_i32 s15, s15, s77
	;; [unrolled: 1-line block ×3, first 2 shown]
	s_wait_alu 0xfffe
	s_add_co_i32 s79, s7, s10
	s_wait_alu 0xfffe
	v_dual_mov_b32 v1, s79 :: v_dual_add_nc_u32 v14, s52, v14
	s_bcnt1_i32_b32 s13, s13
	s_bcnt1_i32_b32 s17, s17
	;; [unrolled: 1-line block ×3, first 2 shown]
	s_add_co_i32 s8, s11, s12
	s_add_co_i32 s11, s15, s16
	;; [unrolled: 1-line block ×3, first 2 shown]
	s_bcnt1_i32_b32 s14, s14
	s_bcnt1_i32_b32 s18, s18
	;; [unrolled: 1-line block ×3, first 2 shown]
	s_wait_alu 0xfffe
	s_add_co_i32 s8, s8, s13
	s_add_co_i32 s9, s11, s17
	;; [unrolled: 1-line block ×3, first 2 shown]
	v_cmp_le_u32_e32 vcc_lo, s73, v14
	s_wait_alu 0xfffe
	s_add_co_i32 s78, s8, s14
	s_add_co_i32 s77, s9, s18
	;; [unrolled: 1-line block ×3, first 2 shown]
	s_wait_alu 0xfffe
	v_dual_mov_b32 v3, s77 :: v_dual_add_nc_u32 v6, s64, v6
	v_mov_b32_e32 v2, s78
	v_mov_b32_e32 v4, s76
	s_or_b32 s75, vcc_lo, s75
	s_delay_alu instid0(SALU_CYCLE_1)
	s_and_not1_b32 exec_lo, exec_lo, s75
	s_cbranch_execnz .LBB91_70
; %bb.71:                               ;   in Loop: Header=BB91_20 Depth=1
	s_or_b32 exec_lo, exec_lo, s75
.LBB91_72:                              ;   in Loop: Header=BB91_20 Depth=1
	s_delay_alu instid0(SALU_CYCLE_1) | instskip(SKIP_2) | instid1(VALU_DEP_1)
	s_or_b32 exec_lo, exec_lo, s74
	v_add_nc_u32_e32 v6, s73, v0
	s_mov_b32 s12, exec_lo
	v_cmpx_gt_u32_e64 s42, v6
	s_cbranch_execz .LBB91_76
; %bb.73:                               ;   in Loop: Header=BB91_20 Depth=1
	v_lshlrev_b32_e32 v14, 2, v6
	s_mov_b32 s13, 0
.LBB91_74:                              ;   Parent Loop BB91_20 Depth=1
                                        ; =>  This Inner Loop Header: Depth=2
	ds_load_b32 v32, v14
	v_add_nc_u32_e32 v6, s29, v6
	v_add_nc_u32_e32 v14, s52, v14
	s_delay_alu instid0(VALU_DEP_2) | instskip(SKIP_2) | instid1(VALU_DEP_1)
	v_cmp_le_u32_e32 vcc_lo, s42, v6
	s_wait_dscnt 0x0
	v_xor_b32_e32 v32, 0x80000000, v32
	v_and_b32_e32 v33, v32, v30
	v_bfe_u32 v32, v32, s72, 2
	s_delay_alu instid0(VALU_DEP_2) | instskip(NEXT) | instid1(VALU_DEP_2)
	v_cmp_eq_u32_e64 s7, v33, v22
	v_cmp_eq_u32_e64 s8, 0, v32
	;; [unrolled: 1-line block ×5, first 2 shown]
	s_and_b32 s8, s7, s8
	s_wait_alu 0xfffe
	v_cndmask_b32_e64 v32, 0, 1, s8
	s_and_b32 s8, s7, s9
	s_wait_alu 0xfffe
	v_cndmask_b32_e64 v33, 0, 1, s8
	s_and_b32 s8, s7, s10
	s_and_b32 s7, s7, s11
	s_wait_alu 0xfffe
	v_cndmask_b32_e64 v34, 0, 1, s8
	v_cndmask_b32_e64 v35, 0, 1, s7
	v_cmp_ne_u32_e64 s7, 0, v32
	v_cmp_ne_u32_e64 s8, 0, v33
	s_delay_alu instid0(VALU_DEP_4) | instskip(NEXT) | instid1(VALU_DEP_4)
	v_cmp_ne_u32_e64 s9, 0, v34
	v_cmp_ne_u32_e64 s10, 0, v35
	s_bcnt1_i32_b32 s7, s7
	s_bcnt1_i32_b32 s8, s8
	s_wait_alu 0xfffe
	v_add_nc_u32_e32 v1, s7, v1
	s_bcnt1_i32_b32 s9, s9
	s_bcnt1_i32_b32 s10, s10
	v_add_nc_u32_e32 v2, s8, v2
	s_wait_alu 0xfffe
	v_add_nc_u32_e32 v3, s9, v3
	v_add_nc_u32_e32 v4, s10, v4
	s_or_b32 s13, vcc_lo, s13
	s_wait_alu 0xfffe
	s_and_not1_b32 exec_lo, exec_lo, s13
	s_cbranch_execnz .LBB91_74
; %bb.75:                               ;   in Loop: Header=BB91_20 Depth=1
	s_or_b32 exec_lo, exec_lo, s13
.LBB91_76:                              ;   in Loop: Header=BB91_20 Depth=1
	s_wait_alu 0xfffe
	s_or_b32 exec_lo, exec_lo, s12
	v_lshlrev_b32_e32 v6, 7, v29
	s_and_saveexec_b32 s7, s3
	s_cbranch_execnz .LBB91_50
	s_branch .LBB91_51
.LBB91_77:                              ;   in Loop: Header=BB91_20 Depth=1
	v_mov_b32_e32 v1, 0
	s_mov_b32 s8, 0
	s_and_not1_b32 vcc_lo, exec_lo, s60
	s_wait_alu 0xfffe
	s_cbranch_vccnz .LBB91_80
.LBB91_78:                              ;   in Loop: Header=BB91_20 Depth=1
	v_lshlrev_b32_e32 v2, 9, v29
	s_lshl_b32 s8, s8, 4
	s_wait_alu 0xfffe
	s_delay_alu instid0(VALU_DEP_1)
	v_add3_u32 v2, v2, s8, v28
	s_mov_b32 s8, s57
.LBB91_79:                              ;   Parent Loop BB91_20 Depth=1
                                        ; =>  This Inner Loop Header: Depth=2
	ds_load_b32 v3, v2
	v_add_nc_u32_e32 v2, 16, v2
	s_wait_alu 0xfffe
	s_add_co_i32 s8, s8, -1
	s_wait_alu 0xfffe
	s_cmp_lg_u32 s8, 0
	s_wait_dscnt 0x0
	v_add_nc_u32_e32 v1, v3, v1
	s_cbranch_scc1 .LBB91_79
.LBB91_80:                              ;   in Loop: Header=BB91_20 Depth=1
	v_add_lshl_u32 v2, v6, v16, 2
	ds_store_b32 v2, v1 offset:3072
.LBB91_81:                              ;   in Loop: Header=BB91_20 Depth=1
	s_wait_alu 0xfffe
	s_or_b32 exec_lo, exec_lo, s7
	v_lshlrev_b32_e32 v1, 2, v6
	s_wait_loadcnt_dscnt 0x0
	s_barrier_signal -1
	s_barrier_wait -1
	global_inv scope:SCOPE_SE
	ds_load_b128 v[1:4], v1 offset:3072
	s_lshl_b32 s8, 3, s72
	v_cmp_eq_u32_e32 vcc_lo, 1, v31
	s_wait_alu 0xfffe
	s_not_b32 s15, s8
	s_mov_b32 s11, -1
	s_mov_b32 s19, -1
                                        ; implicit-def: $sgpr16
                                        ; implicit-def: $sgpr13
	s_wait_dscnt 0x0
	v_readfirstlane_b32 s10, v1
	v_readfirstlane_b32 s17, v2
	;; [unrolled: 1-line block ×4, first 2 shown]
	s_cmp_eq_u32 s10, 1
	s_cselect_b32 s9, -1, 0
	s_wait_alu 0xfffe
	s_and_b32 s12, s9, vcc_lo
	s_wait_alu 0xfffe
	s_and_saveexec_b32 s9, s12
	s_cbranch_execz .LBB91_107
; %bb.82:                               ;   in Loop: Header=BB91_20 Depth=1
	ds_load_b32 v1, v7 offset:4104
	s_wait_loadcnt_dscnt 0x0
	s_barrier_signal -1
	s_barrier_wait -1
	global_inv scope:SCOPE_SE
	v_readfirstlane_b32 s19, v1
	s_and_saveexec_b32 s13, s1
; %bb.83:                               ;   in Loop: Header=BB91_20 Depth=1
	ds_store_b32 v18, v7
; %bb.84:                               ;   in Loop: Header=BB91_20 Depth=1
	s_wait_alu 0xfffe
	s_or_b32 exec_lo, exec_lo, s13
	v_and_b32_e32 v22, s15, v22
	v_or_b32_e32 v30, s8, v30
	s_mov_b32 s13, -1
	s_mov_b32 s16, 0
	s_cmp_eq_u32 s19, 0
	s_mov_b32 s18, 0
	s_mov_b32 s20, -1
	s_wait_loadcnt_dscnt 0x0
	s_barrier_signal -1
	s_barrier_wait -1
	global_inv scope:SCOPE_SE
                                        ; implicit-def: $vgpr15
	s_cbranch_scc1 .LBB91_95
; %bb.85:                               ;   in Loop: Header=BB91_20 Depth=1
	s_add_co_i32 s42, s19, s53
                                        ; implicit-def: $vgpr15
	s_wait_alu 0xfffe
	s_mul_u64 s[20:21], s[42:43], s[46:47]
	s_wait_alu 0xfffe
	s_mul_i32 s18, s21, s29
	s_mov_b32 s21, exec_lo
	s_wait_alu 0xfffe
	s_sub_co_i32 s18, s42, s18
	s_wait_alu 0xfffe
	s_sub_co_i32 s20, s18, s29
	s_cmp_ge_u32 s18, s29
	s_wait_alu 0xfffe
	s_cselect_b32 s18, s20, s18
	s_wait_alu 0xfffe
	s_sub_co_i32 s20, s18, s29
	s_cmp_ge_u32 s18, s29
	s_wait_alu 0xfffe
	s_cselect_b32 s18, s20, s18
	s_mov_b32 s20, 0
	s_wait_alu 0xfffe
	s_sub_co_i32 s22, s42, s18
	s_mov_b32 s18, 0
	s_wait_alu 0xfffe
	v_cmpx_gt_u32_e64 s22, v0
	s_cbranch_execz .LBB91_94
; %bb.86:                               ;   in Loop: Header=BB91_20 Depth=1
	v_dual_mov_b32 v1, v17 :: v_dual_mov_b32 v2, v0
                                        ; implicit-def: $sgpr23
	s_branch .LBB91_89
.LBB91_87:                              ;   in Loop: Header=BB91_89 Depth=2
	s_wait_alu 0xfffe
	s_or_b32 exec_lo, exec_lo, s24
	s_wait_loadcnt_dscnt 0x0
	s_barrier_signal -1
	s_barrier_wait -1
	global_inv scope:SCOPE_SE
	ds_load_b64 v[14:15], v7 offset:3072
	s_mov_b32 s24, -1
	s_mov_b32 s25, -1
	s_wait_loadcnt_dscnt 0x0
	s_barrier_signal -1
	s_barrier_wait -1
	global_inv scope:SCOPE_SE
	v_cmp_ne_u32_e32 vcc_lo, 0, v14
	s_cbranch_vccz .LBB91_92
.LBB91_88:                              ;   in Loop: Header=BB91_89 Depth=2
	s_wait_alu 0xfffe
	s_and_b32 s24, exec_lo, s24
	s_wait_alu 0xfffe
	s_or_b32 s18, s24, s18
	s_and_not1_b32 s23, s23, exec_lo
	s_and_b32 s24, s25, exec_lo
	s_wait_alu 0xfffe
	s_or_b32 s23, s23, s24
	s_and_not1_b32 exec_lo, exec_lo, s18
	s_cbranch_execz .LBB91_93
.LBB91_89:                              ;   Parent Loop BB91_20 Depth=1
                                        ; =>  This Inner Loop Header: Depth=2
	s_mov_b32 s24, exec_lo
	s_delay_alu instid0(VALU_DEP_1)
	v_cmpx_gt_u32_e64 s19, v2
	s_cbranch_execz .LBB91_87
; %bb.90:                               ;   in Loop: Header=BB91_89 Depth=2
	ds_load_b32 v14, v1
	s_wait_dscnt 0x0
	v_xor_b32_e32 v3, 0x80000000, v14
	s_delay_alu instid0(VALU_DEP_1) | instskip(NEXT) | instid1(VALU_DEP_1)
	v_and_b32_e32 v3, v3, v30
	v_cmp_eq_u32_e32 vcc_lo, v3, v22
	s_and_b32 exec_lo, exec_lo, vcc_lo
	s_cbranch_execz .LBB91_87
; %bb.91:                               ;   in Loop: Header=BB91_89 Depth=2
	ds_store_b64 v7, v[13:14] offset:3072
	s_branch .LBB91_87
.LBB91_92:                              ;   in Loop: Header=BB91_89 Depth=2
	v_add_nc_u32_e32 v2, s29, v2
	v_add_nc_u32_e32 v1, s52, v1
	s_mov_b32 s25, 0
	s_delay_alu instid0(VALU_DEP_2)
	v_cmp_le_u32_e32 vcc_lo, s22, v2
	s_or_not1_b32 s24, vcc_lo, exec_lo
	s_branch .LBB91_88
.LBB91_93:                              ;   in Loop: Header=BB91_20 Depth=1
	s_or_b32 exec_lo, exec_lo, s18
	s_wait_alu 0xfffe
	s_and_b32 s18, s23, exec_lo
.LBB91_94:                              ;   in Loop: Header=BB91_20 Depth=1
	s_or_b32 exec_lo, exec_lo, s21
.LBB91_95:                              ;   in Loop: Header=BB91_20 Depth=1
	s_wait_alu 0xfffe
	s_and_b32 vcc_lo, exec_lo, s20
	s_wait_alu 0xfffe
	s_cbranch_vccz .LBB91_106
; %bb.96:                               ;   in Loop: Header=BB91_20 Depth=1
                                        ; implicit-def: $vgpr15
	s_and_saveexec_b32 s13, s6
	s_cbranch_execz .LBB91_105
; %bb.97:                               ;   in Loop: Header=BB91_20 Depth=1
	v_dual_mov_b32 v6, v5 :: v_dual_mov_b32 v1, v0
	s_mov_b32 s16, 0
                                        ; implicit-def: $sgpr19
	s_branch .LBB91_100
.LBB91_98:                              ;   in Loop: Header=BB91_100 Depth=2
	s_wait_alu 0xfffe
	s_or_b32 exec_lo, exec_lo, s20
	s_wait_loadcnt_dscnt 0x0
	s_barrier_signal -1
	s_barrier_wait -1
	global_inv scope:SCOPE_SE
	ds_load_b64 v[14:15], v7 offset:3072
	s_mov_b32 s20, -1
	s_mov_b32 s21, -1
	s_wait_loadcnt_dscnt 0x0
	s_barrier_signal -1
	s_barrier_wait -1
	global_inv scope:SCOPE_SE
	v_cmp_ne_u32_e32 vcc_lo, 0, v14
	s_cbranch_vccz .LBB91_103
.LBB91_99:                              ;   in Loop: Header=BB91_100 Depth=2
	s_wait_alu 0xfffe
	s_and_b32 s20, exec_lo, s20
	s_wait_alu 0xfffe
	s_or_b32 s16, s20, s16
	s_and_not1_b32 s19, s19, exec_lo
	s_and_b32 s20, s21, exec_lo
	s_wait_alu 0xfffe
	s_or_b32 s19, s19, s20
	s_and_not1_b32 exec_lo, exec_lo, s16
	s_cbranch_execz .LBB91_104
.LBB91_100:                             ;   Parent Loop BB91_20 Depth=1
                                        ; =>  This Inner Loop Header: Depth=2
	s_mov_b32 s20, exec_lo
	s_delay_alu instid0(VALU_DEP_1)
	v_cmpx_gt_u32_e64 s28, v1
	s_cbranch_execz .LBB91_98
; %bb.101:                              ;   in Loop: Header=BB91_100 Depth=2
	v_lshlrev_b64_e32 v[2:3], 2, v[6:7]
	s_delay_alu instid0(VALU_DEP_1) | instskip(SKIP_1) | instid1(VALU_DEP_2)
	v_add_co_u32 v2, vcc_lo, s40, v2
	s_wait_alu 0xfffd
	v_add_co_ci_u32_e64 v3, null, s41, v3, vcc_lo
	global_load_b32 v14, v[2:3], off
	s_wait_loadcnt 0x0
	v_xor_b32_e32 v2, 0x80000000, v14
	s_delay_alu instid0(VALU_DEP_1) | instskip(NEXT) | instid1(VALU_DEP_1)
	v_and_b32_e32 v2, v2, v30
	v_cmp_eq_u32_e32 vcc_lo, v2, v22
	s_and_b32 exec_lo, exec_lo, vcc_lo
	s_cbranch_execz .LBB91_98
; %bb.102:                              ;   in Loop: Header=BB91_100 Depth=2
	ds_store_b64 v7, v[13:14] offset:3072
	s_branch .LBB91_98
.LBB91_103:                             ;   in Loop: Header=BB91_100 Depth=2
	v_add_nc_u32_e32 v1, s29, v1
	v_add_nc_u32_e32 v6, s54, v6
	s_mov_b32 s21, 0
	s_delay_alu instid0(VALU_DEP_2)
	v_cmp_le_u32_e32 vcc_lo, s62, v1
	s_or_not1_b32 s20, vcc_lo, exec_lo
	s_branch .LBB91_99
.LBB91_104:                             ;   in Loop: Header=BB91_20 Depth=1
	s_or_b32 exec_lo, exec_lo, s16
	s_delay_alu instid0(SALU_CYCLE_1)
	s_and_not1_b32 s16, s18, exec_lo
	s_wait_alu 0xfffe
	s_and_b32 s18, s19, exec_lo
	s_wait_alu 0xfffe
	s_or_b32 s18, s16, s18
.LBB91_105:                             ;   in Loop: Header=BB91_20 Depth=1
	s_wait_alu 0xfffe
	s_or_b32 exec_lo, exec_lo, s13
	s_mov_b32 s13, 0
	s_mov_b32 s16, -1
.LBB91_106:                             ;   in Loop: Header=BB91_20 Depth=1
	s_or_not1_b32 s19, s18, exec_lo
.LBB91_107:                             ;   in Loop: Header=BB91_20 Depth=1
	s_wait_alu 0xfffe
	s_or_b32 exec_lo, exec_lo, s9
	v_readfirstlane_b32 s18, v0
	s_and_not1_b32 s9, s70, exec_lo
	s_and_b32 s16, s16, exec_lo
	s_and_not1_b32 s20, s68, exec_lo
	s_and_b32 s13, s13, exec_lo
	s_and_not1_b32 s67, s67, exec_lo
	s_wait_alu 0xfffe
	s_or_b32 s70, s9, s16
	s_or_b32 s68, s20, s13
                                        ; implicit-def: $vgpr2
	s_and_saveexec_b32 s9, s19
	s_cbranch_execz .LBB91_19
; %bb.108:                              ;   in Loop: Header=BB91_20 Depth=1
	v_dual_mov_b32 v2, 1 :: v_dual_mov_b32 v1, 1
	s_xor_b32 s12, s12, -1
	s_mov_b32 s18, 0
	s_wait_alu 0xfffe
	s_and_saveexec_b32 s11, s12
	s_cbranch_execz .LBB91_117
; %bb.109:                              ;   in Loop: Header=BB91_20 Depth=1
	s_mov_b32 s12, exec_lo
	v_cmpx_ge_u32_e64 s10, v31
	s_wait_alu 0xfffe
	s_xor_b32 s12, exec_lo, s12
	s_cbranch_execz .LBB91_114
; %bb.110:                              ;   in Loop: Header=BB91_20 Depth=1
	ds_load_b32 v1, v7 offset:4104
	v_and_b32_e32 v22, s15, v22
	v_or_b32_e32 v30, s8, v30
	s_wait_dscnt 0x0
	v_cmp_ne_u32_e32 vcc_lo, 0, v1
	s_cbranch_vccnz .LBB91_114
; %bb.111:                              ;   in Loop: Header=BB91_20 Depth=1
	s_and_saveexec_b32 s13, s2
; %bb.112:                              ;   in Loop: Header=BB91_20 Depth=1
	v_mov_b32_e32 v1, s10
	ds_store_b32 v7, v1 offset:4108
; %bb.113:                              ;   in Loop: Header=BB91_20 Depth=1
	s_wait_alu 0xfffe
	s_or_b32 exec_lo, exec_lo, s13
	s_wait_loadcnt_dscnt 0x0
	s_barrier_signal -1
	s_barrier_wait -1
	global_inv scope:SCOPE_SE
.LBB91_114:                             ;   in Loop: Header=BB91_20 Depth=1
	s_wait_alu 0xfffe
	s_or_saveexec_b32 s12, s12
	v_mov_b32_e32 v1, 8
	s_mov_b32 s13, 0
	s_wait_alu 0xfffe
	s_xor_b32 exec_lo, exec_lo, s12
; %bb.115:                              ;   in Loop: Header=BB91_20 Depth=1
	v_subrev_nc_u32_e32 v31, s10, v31
	v_mov_b32_e32 v1, 0
	s_mov_b32 s13, exec_lo
; %bb.116:                              ;   in Loop: Header=BB91_20 Depth=1
	s_or_b32 exec_lo, exec_lo, s12
	s_delay_alu instid0(VALU_DEP_2)
	v_mov_b32_e32 v2, v31
	s_wait_alu 0xfffe
	s_and_b32 s18, s13, exec_lo
.LBB91_117:                             ;   in Loop: Header=BB91_20 Depth=1
	s_wait_alu 0xfffe
	s_or_b32 exec_lo, exec_lo, s11
	s_mov_b32 s10, -1
	s_mov_b32 s16, -1
                                        ; implicit-def: $sgpr12
                                        ; implicit-def: $sgpr13
	s_and_saveexec_b32 s11, s18
	s_wait_alu 0xfffe
	s_xor_b32 s11, exec_lo, s11
	s_cbranch_execz .LBB91_237
; %bb.118:                              ;   in Loop: Header=BB91_20 Depth=1
	v_cmp_eq_u32_e32 vcc_lo, 1, v2
	s_cmp_eq_u32 s17, 1
	s_mov_b32 s19, -1
	s_cselect_b32 s12, -1, 0
                                        ; implicit-def: $sgpr13
	s_wait_alu 0xfffe
	s_and_b32 s18, s12, vcc_lo
                                        ; implicit-def: $sgpr12
	s_wait_alu 0xfffe
	s_and_saveexec_b32 s16, s18
	s_cbranch_execz .LBB91_147
; %bb.119:                              ;   in Loop: Header=BB91_20 Depth=1
	ds_load_b32 v3, v7 offset:4104
	s_wait_loadcnt_dscnt 0x0
	s_barrier_signal -1
	s_barrier_wait -1
	global_inv scope:SCOPE_SE
	v_readfirstlane_b32 s20, v3
	s_and_saveexec_b32 s12, s1
; %bb.120:                              ;   in Loop: Header=BB91_20 Depth=1
	ds_store_b32 v18, v7
; %bb.121:                              ;   in Loop: Header=BB91_20 Depth=1
	s_wait_alu 0xfffe
	s_or_b32 exec_lo, exec_lo, s12
	s_lshl_b32 s12, 1, s72
	v_or_b32_e32 v30, s8, v30
	s_wait_alu 0xfffe
	v_and_or_b32 v22, v22, s15, s12
	s_mov_b32 s12, -1
	s_mov_b32 s13, 0
	s_cmp_eq_u32 s20, 0
	s_mov_b32 s19, 0
	s_mov_b32 s21, -1
	s_wait_loadcnt_dscnt 0x0
	s_barrier_signal -1
	s_barrier_wait -1
	global_inv scope:SCOPE_SE
                                        ; implicit-def: $vgpr15
	s_cbranch_scc1 .LBB91_135
; %bb.122:                              ;   in Loop: Header=BB91_20 Depth=1
	s_add_co_i32 s42, s20, s53
                                        ; implicit-def: $vgpr15
	s_wait_alu 0xfffe
	s_mul_u64 s[22:23], s[42:43], s[46:47]
	s_mov_b32 s22, exec_lo
	s_wait_alu 0xfffe
	s_mul_i32 s19, s23, s29
	s_wait_alu 0xfffe
	s_sub_co_i32 s19, s42, s19
	s_wait_alu 0xfffe
	s_sub_co_i32 s21, s19, s29
	s_cmp_ge_u32 s19, s29
	s_wait_alu 0xfffe
	s_cselect_b32 s19, s21, s19
	s_wait_alu 0xfffe
	s_sub_co_i32 s21, s19, s29
	s_cmp_ge_u32 s19, s29
	s_wait_alu 0xfffe
	s_cselect_b32 s19, s21, s19
	s_mov_b32 s21, 0
	s_wait_alu 0xfffe
	s_sub_co_i32 s23, s42, s19
	s_mov_b32 s19, 0
	s_wait_alu 0xfffe
	v_cmpx_gt_u32_e64 s23, v0
	s_cbranch_execz .LBB91_134
; %bb.123:                              ;   in Loop: Header=BB91_20 Depth=1
	v_dual_mov_b32 v3, v17 :: v_dual_mov_b32 v4, v0
                                        ; implicit-def: $sgpr24
	s_branch .LBB91_126
.LBB91_124:                             ;   in Loop: Header=BB91_126 Depth=2
	s_wait_alu 0xfffe
	s_or_b32 exec_lo, exec_lo, s25
	s_wait_loadcnt_dscnt 0x0
	s_barrier_signal -1
	s_barrier_wait -1
	global_inv scope:SCOPE_SE
	ds_load_b64 v[14:15], v7 offset:3072
	s_mov_b32 s25, -1
	s_mov_b32 s26, -1
	s_wait_loadcnt_dscnt 0x0
	s_barrier_signal -1
	s_barrier_wait -1
	global_inv scope:SCOPE_SE
	v_cmp_ne_u32_e32 vcc_lo, 0, v14
	s_cbranch_vccz .LBB91_129
.LBB91_125:                             ;   in Loop: Header=BB91_126 Depth=2
	s_wait_alu 0xfffe
	s_and_b32 s25, exec_lo, s25
	s_wait_alu 0xfffe
	s_or_b32 s19, s25, s19
	s_and_not1_b32 s24, s24, exec_lo
	s_and_b32 s25, s26, exec_lo
	s_wait_alu 0xfffe
	s_or_b32 s24, s24, s25
	s_and_not1_b32 exec_lo, exec_lo, s19
	s_cbranch_execz .LBB91_133
.LBB91_126:                             ;   Parent Loop BB91_20 Depth=1
                                        ; =>  This Inner Loop Header: Depth=2
	s_mov_b32 s25, exec_lo
	s_delay_alu instid0(VALU_DEP_1)
	v_cmpx_gt_u32_e64 s20, v4
	s_cbranch_execz .LBB91_124
; %bb.127:                              ;   in Loop: Header=BB91_126 Depth=2
	ds_load_b32 v14, v3
	s_wait_dscnt 0x0
	v_xor_b32_e32 v6, 0x80000000, v14
	s_delay_alu instid0(VALU_DEP_1) | instskip(NEXT) | instid1(VALU_DEP_1)
	v_and_b32_e32 v6, v6, v30
	v_cmp_eq_u32_e32 vcc_lo, v6, v22
	s_and_b32 exec_lo, exec_lo, vcc_lo
	s_cbranch_execz .LBB91_124
; %bb.128:                              ;   in Loop: Header=BB91_126 Depth=2
	ds_store_b64 v7, v[13:14] offset:3072
	s_branch .LBB91_124
.LBB91_129:                             ;   in Loop: Header=BB91_126 Depth=2
	v_add_nc_u32_e32 v4, s29, v4
	v_add_nc_u32_e32 v3, s52, v3
	s_mov_b32 s26, 0
	s_delay_alu instid0(VALU_DEP_2)
	v_cmp_le_u32_e32 vcc_lo, s23, v4
	s_or_not1_b32 s25, vcc_lo, exec_lo
	s_branch .LBB91_125
.LBB91_130:                             ;   in Loop: Header=BB91_20 Depth=1
	s_wait_alu 0xfffe
	s_or_b32 exec_lo, exec_lo, s10
	s_wait_loadcnt_dscnt 0x0
	s_barrier_signal -1
	s_barrier_wait -1
	global_inv scope:SCOPE_SE
	s_and_saveexec_b32 s7, s2
	s_cbranch_execz .LBB91_132
; %bb.131:                              ;   in Loop: Header=BB91_20 Depth=1
	ds_load_b32 v1, v7 offset:4112
	s_wait_dscnt 0x0
	ds_store_b32 v7, v1 offset:4104
.LBB91_132:                             ;   in Loop: Header=BB91_20 Depth=1
	s_wait_alu 0xfffe
	s_or_b32 exec_lo, exec_lo, s7
	s_wait_loadcnt_dscnt 0x0
	s_barrier_signal -1
	s_mov_b32 s7, -1
	s_barrier_wait -1
	s_and_b32 vcc_lo, exec_lo, s9
	s_wait_alu 0xfffe
	s_cbranch_vccnz .LBB91_36
	s_branch .LBB91_45
.LBB91_133:                             ;   in Loop: Header=BB91_20 Depth=1
	s_or_b32 exec_lo, exec_lo, s19
	s_wait_alu 0xfffe
	s_and_b32 s19, s24, exec_lo
.LBB91_134:                             ;   in Loop: Header=BB91_20 Depth=1
	s_or_b32 exec_lo, exec_lo, s22
.LBB91_135:                             ;   in Loop: Header=BB91_20 Depth=1
	s_wait_alu 0xfffe
	s_and_b32 vcc_lo, exec_lo, s21
	s_wait_alu 0xfffe
	s_cbranch_vccz .LBB91_146
; %bb.136:                              ;   in Loop: Header=BB91_20 Depth=1
                                        ; implicit-def: $vgpr15
	s_and_saveexec_b32 s12, s6
	s_cbranch_execz .LBB91_145
; %bb.137:                              ;   in Loop: Header=BB91_20 Depth=1
	v_dual_mov_b32 v6, v5 :: v_dual_mov_b32 v3, v0
	s_mov_b32 s13, 0
                                        ; implicit-def: $sgpr20
	s_branch .LBB91_140
.LBB91_138:                             ;   in Loop: Header=BB91_140 Depth=2
	s_wait_alu 0xfffe
	s_or_b32 exec_lo, exec_lo, s21
	s_wait_loadcnt_dscnt 0x0
	s_barrier_signal -1
	s_barrier_wait -1
	global_inv scope:SCOPE_SE
	ds_load_b64 v[14:15], v7 offset:3072
	s_mov_b32 s21, -1
	s_mov_b32 s22, -1
	s_wait_loadcnt_dscnt 0x0
	s_barrier_signal -1
	s_barrier_wait -1
	global_inv scope:SCOPE_SE
	v_cmp_eq_u32_e32 vcc_lo, 0, v14
	s_cbranch_vccnz .LBB91_143
.LBB91_139:                             ;   in Loop: Header=BB91_140 Depth=2
	s_wait_alu 0xfffe
	s_and_b32 s21, exec_lo, s21
	s_wait_alu 0xfffe
	s_or_b32 s13, s21, s13
	s_and_not1_b32 s20, s20, exec_lo
	s_and_b32 s21, s22, exec_lo
	s_wait_alu 0xfffe
	s_or_b32 s20, s20, s21
	s_and_not1_b32 exec_lo, exec_lo, s13
	s_cbranch_execz .LBB91_144
.LBB91_140:                             ;   Parent Loop BB91_20 Depth=1
                                        ; =>  This Inner Loop Header: Depth=2
	s_mov_b32 s21, exec_lo
	s_delay_alu instid0(VALU_DEP_1)
	v_cmpx_gt_u32_e64 s28, v3
	s_cbranch_execz .LBB91_138
; %bb.141:                              ;   in Loop: Header=BB91_140 Depth=2
	v_lshlrev_b64_e32 v[14:15], 2, v[6:7]
	s_delay_alu instid0(VALU_DEP_1) | instskip(SKIP_1) | instid1(VALU_DEP_2)
	v_add_co_u32 v14, vcc_lo, s40, v14
	s_wait_alu 0xfffd
	v_add_co_ci_u32_e64 v15, null, s41, v15, vcc_lo
	global_load_b32 v14, v[14:15], off
	s_wait_loadcnt 0x0
	v_xor_b32_e32 v4, 0x80000000, v14
	s_delay_alu instid0(VALU_DEP_1) | instskip(NEXT) | instid1(VALU_DEP_1)
	v_and_b32_e32 v4, v4, v30
	v_cmp_eq_u32_e32 vcc_lo, v4, v22
	s_and_b32 exec_lo, exec_lo, vcc_lo
	s_cbranch_execz .LBB91_138
; %bb.142:                              ;   in Loop: Header=BB91_140 Depth=2
	ds_store_b64 v7, v[13:14] offset:3072
	s_branch .LBB91_138
.LBB91_143:                             ;   in Loop: Header=BB91_140 Depth=2
	v_add_nc_u32_e32 v3, s29, v3
	v_add_nc_u32_e32 v6, s54, v6
	s_mov_b32 s22, 0
	s_delay_alu instid0(VALU_DEP_2)
	v_cmp_le_u32_e32 vcc_lo, s62, v3
	s_or_not1_b32 s21, vcc_lo, exec_lo
	s_branch .LBB91_139
.LBB91_144:                             ;   in Loop: Header=BB91_20 Depth=1
	s_or_b32 exec_lo, exec_lo, s13
	s_delay_alu instid0(SALU_CYCLE_1)
	s_and_not1_b32 s13, s19, exec_lo
	s_wait_alu 0xfffe
	s_and_b32 s19, s20, exec_lo
	s_wait_alu 0xfffe
	s_or_b32 s19, s13, s19
.LBB91_145:                             ;   in Loop: Header=BB91_20 Depth=1
	s_wait_alu 0xfffe
	s_or_b32 exec_lo, exec_lo, s12
	s_mov_b32 s12, 0
	s_mov_b32 s13, -1
.LBB91_146:                             ;   in Loop: Header=BB91_20 Depth=1
	s_or_not1_b32 s19, s19, exec_lo
.LBB91_147:                             ;   in Loop: Header=BB91_20 Depth=1
	s_wait_alu 0xfffe
	s_or_b32 exec_lo, exec_lo, s16
	s_mov_b32 s20, 0
	s_and_saveexec_b32 s16, s19
	s_cbranch_execz .LBB91_236
; %bb.148:                              ;   in Loop: Header=BB91_20 Depth=1
	v_mov_b32_e32 v3, 1
	v_mov_b32_e32 v1, 1
	s_xor_b32 s19, s18, -1
	s_mov_b32 s21, 0
	s_wait_alu 0xfffe
	s_and_saveexec_b32 s18, s19
	s_cbranch_execz .LBB91_157
; %bb.149:                              ;   in Loop: Header=BB91_20 Depth=1
	s_mov_b32 s19, exec_lo
	v_cmpx_ge_u32_e64 s17, v2
	s_wait_alu 0xfffe
	s_xor_b32 s19, exec_lo, s19
	s_cbranch_execz .LBB91_154
; %bb.150:                              ;   in Loop: Header=BB91_20 Depth=1
	ds_load_b32 v1, v7 offset:4104
	s_lshl_b32 s20, 1, s72
	v_or_b32_e32 v30, s8, v30
	s_wait_alu 0xfffe
	v_and_or_b32 v22, v22, s15, s20
	s_wait_dscnt 0x0
	v_cmp_ne_u32_e32 vcc_lo, 0, v1
	s_cbranch_vccnz .LBB91_154
; %bb.151:                              ;   in Loop: Header=BB91_20 Depth=1
	s_and_saveexec_b32 s20, s2
; %bb.152:                              ;   in Loop: Header=BB91_20 Depth=1
	v_mov_b32_e32 v1, s17
	ds_store_b32 v7, v1 offset:4108
; %bb.153:                              ;   in Loop: Header=BB91_20 Depth=1
	s_wait_alu 0xfffe
	s_or_b32 exec_lo, exec_lo, s20
	s_wait_loadcnt_dscnt 0x0
	s_barrier_signal -1
	s_barrier_wait -1
	global_inv scope:SCOPE_SE
.LBB91_154:                             ;   in Loop: Header=BB91_20 Depth=1
	s_wait_alu 0xfffe
	s_or_saveexec_b32 s19, s19
	v_mov_b32_e32 v1, 8
	s_mov_b32 s20, 0
	s_wait_alu 0xfffe
	s_xor_b32 exec_lo, exec_lo, s19
; %bb.155:                              ;   in Loop: Header=BB91_20 Depth=1
	v_subrev_nc_u32_e32 v2, s17, v2
	v_mov_b32_e32 v1, 0
	s_mov_b32 s20, exec_lo
; %bb.156:                              ;   in Loop: Header=BB91_20 Depth=1
	s_or_b32 exec_lo, exec_lo, s19
	s_delay_alu instid0(VALU_DEP_2)
	v_mov_b32_e32 v3, v2
	s_wait_alu 0xfffe
	s_and_b32 s21, s20, exec_lo
.LBB91_157:                             ;   in Loop: Header=BB91_20 Depth=1
	s_wait_alu 0xfffe
	s_or_b32 exec_lo, exec_lo, s18
	s_mov_b32 s20, -1
                                        ; implicit-def: $sgpr18
                                        ; implicit-def: $sgpr19
	s_and_saveexec_b32 s17, s21
	s_cbranch_execz .LBB91_235
; %bb.158:                              ;   in Loop: Header=BB91_20 Depth=1
	v_cmp_eq_u32_e32 vcc_lo, 1, v3
	s_cmp_eq_u32 s14, 1
	s_mov_b32 s22, -1
	s_cselect_b32 s18, -1, 0
                                        ; implicit-def: $sgpr19
	s_wait_alu 0xfffe
	s_and_b32 s21, s18, vcc_lo
                                        ; implicit-def: $sgpr18
	s_wait_alu 0xfffe
	s_and_saveexec_b32 s20, s21
	s_cbranch_execz .LBB91_184
; %bb.159:                              ;   in Loop: Header=BB91_20 Depth=1
	ds_load_b32 v2, v7 offset:4104
	s_wait_loadcnt_dscnt 0x0
	s_barrier_signal -1
	s_barrier_wait -1
	global_inv scope:SCOPE_SE
	v_readfirstlane_b32 s23, v2
	s_and_saveexec_b32 s18, s1
; %bb.160:                              ;   in Loop: Header=BB91_20 Depth=1
	ds_store_b32 v18, v7
; %bb.161:                              ;   in Loop: Header=BB91_20 Depth=1
	s_wait_alu 0xfffe
	s_or_b32 exec_lo, exec_lo, s18
	s_lshl_b32 s18, 2, s72
	v_or_b32_e32 v30, s8, v30
	s_wait_alu 0xfffe
	v_and_or_b32 v22, v22, s15, s18
	s_mov_b32 s18, -1
	s_mov_b32 s19, 0
	s_cmp_eq_u32 s23, 0
	s_mov_b32 s22, 0
	s_mov_b32 s24, -1
	s_wait_loadcnt_dscnt 0x0
	s_barrier_signal -1
	s_barrier_wait -1
	global_inv scope:SCOPE_SE
                                        ; implicit-def: $vgpr15
	s_cbranch_scc1 .LBB91_172
; %bb.162:                              ;   in Loop: Header=BB91_20 Depth=1
	s_add_co_i32 s42, s23, s53
                                        ; implicit-def: $vgpr15
	s_wait_alu 0xfffe
	s_mul_u64 s[24:25], s[42:43], s[46:47]
	s_wait_alu 0xfffe
	s_mul_i32 s22, s25, s29
	s_mov_b32 s25, exec_lo
	s_wait_alu 0xfffe
	s_sub_co_i32 s22, s42, s22
	s_wait_alu 0xfffe
	s_sub_co_i32 s24, s22, s29
	s_cmp_ge_u32 s22, s29
	s_wait_alu 0xfffe
	s_cselect_b32 s22, s24, s22
	s_wait_alu 0xfffe
	s_sub_co_i32 s24, s22, s29
	s_cmp_ge_u32 s22, s29
	s_wait_alu 0xfffe
	s_cselect_b32 s22, s24, s22
	s_mov_b32 s24, 0
	s_wait_alu 0xfffe
	s_sub_co_i32 s26, s42, s22
	s_mov_b32 s22, 0
	s_wait_alu 0xfffe
	v_cmpx_gt_u32_e64 s26, v0
	s_cbranch_execz .LBB91_171
; %bb.163:                              ;   in Loop: Header=BB91_20 Depth=1
	v_mov_b32_e32 v2, v17
	v_mov_b32_e32 v4, v0
                                        ; implicit-def: $sgpr42
	s_branch .LBB91_166
.LBB91_164:                             ;   in Loop: Header=BB91_166 Depth=2
	s_wait_alu 0xfffe
	s_or_b32 exec_lo, exec_lo, s73
	s_wait_loadcnt_dscnt 0x0
	s_barrier_signal -1
	s_barrier_wait -1
	global_inv scope:SCOPE_SE
	ds_load_b64 v[14:15], v7 offset:3072
	s_mov_b32 s73, -1
	s_mov_b32 s74, -1
	s_wait_loadcnt_dscnt 0x0
	s_barrier_signal -1
	s_barrier_wait -1
	global_inv scope:SCOPE_SE
	v_cmp_ne_u32_e32 vcc_lo, 0, v14
	s_cbranch_vccz .LBB91_169
.LBB91_165:                             ;   in Loop: Header=BB91_166 Depth=2
	s_wait_alu 0xfffe
	s_and_b32 s73, exec_lo, s73
	s_wait_alu 0xfffe
	s_or_b32 s22, s73, s22
	s_and_not1_b32 s42, s42, exec_lo
	s_and_b32 s73, s74, exec_lo
	s_wait_alu 0xfffe
	s_or_b32 s42, s42, s73
	s_and_not1_b32 exec_lo, exec_lo, s22
	s_cbranch_execz .LBB91_170
.LBB91_166:                             ;   Parent Loop BB91_20 Depth=1
                                        ; =>  This Inner Loop Header: Depth=2
	s_mov_b32 s73, exec_lo
	s_delay_alu instid0(VALU_DEP_1)
	v_cmpx_gt_u32_e64 s23, v4
	s_cbranch_execz .LBB91_164
; %bb.167:                              ;   in Loop: Header=BB91_166 Depth=2
	ds_load_b32 v14, v2
	s_wait_dscnt 0x0
	v_xor_b32_e32 v6, 0x80000000, v14
	s_delay_alu instid0(VALU_DEP_1) | instskip(NEXT) | instid1(VALU_DEP_1)
	v_and_b32_e32 v6, v6, v30
	v_cmp_eq_u32_e32 vcc_lo, v6, v22
	s_and_b32 exec_lo, exec_lo, vcc_lo
	s_cbranch_execz .LBB91_164
; %bb.168:                              ;   in Loop: Header=BB91_166 Depth=2
	ds_store_b64 v7, v[13:14] offset:3072
	s_branch .LBB91_164
.LBB91_169:                             ;   in Loop: Header=BB91_166 Depth=2
	v_add_nc_u32_e32 v4, s29, v4
	v_add_nc_u32_e32 v2, s52, v2
	s_mov_b32 s74, 0
	s_delay_alu instid0(VALU_DEP_2)
	v_cmp_le_u32_e32 vcc_lo, s26, v4
	s_or_not1_b32 s73, vcc_lo, exec_lo
	s_branch .LBB91_165
.LBB91_170:                             ;   in Loop: Header=BB91_20 Depth=1
	s_or_b32 exec_lo, exec_lo, s22
	s_wait_alu 0xfffe
	s_and_b32 s22, s42, exec_lo
.LBB91_171:                             ;   in Loop: Header=BB91_20 Depth=1
	s_or_b32 exec_lo, exec_lo, s25
.LBB91_172:                             ;   in Loop: Header=BB91_20 Depth=1
	s_wait_alu 0xfffe
	s_and_b32 vcc_lo, exec_lo, s24
	s_wait_alu 0xfffe
	s_cbranch_vccz .LBB91_183
; %bb.173:                              ;   in Loop: Header=BB91_20 Depth=1
                                        ; implicit-def: $vgpr15
	s_and_saveexec_b32 s18, s6
	s_cbranch_execz .LBB91_182
; %bb.174:                              ;   in Loop: Header=BB91_20 Depth=1
	v_mov_b32_e32 v6, v5
	v_mov_b32_e32 v2, v0
	s_mov_b32 s19, 0
                                        ; implicit-def: $sgpr23
	s_branch .LBB91_177
.LBB91_175:                             ;   in Loop: Header=BB91_177 Depth=2
	s_wait_alu 0xfffe
	s_or_b32 exec_lo, exec_lo, s24
	s_wait_loadcnt_dscnt 0x0
	s_barrier_signal -1
	s_barrier_wait -1
	global_inv scope:SCOPE_SE
	ds_load_b64 v[14:15], v7 offset:3072
	s_mov_b32 s24, -1
	s_mov_b32 s25, -1
	s_wait_loadcnt_dscnt 0x0
	s_barrier_signal -1
	s_barrier_wait -1
	global_inv scope:SCOPE_SE
	v_cmp_eq_u32_e32 vcc_lo, 0, v14
	s_cbranch_vccnz .LBB91_180
.LBB91_176:                             ;   in Loop: Header=BB91_177 Depth=2
	s_wait_alu 0xfffe
	s_and_b32 s24, exec_lo, s24
	s_wait_alu 0xfffe
	s_or_b32 s19, s24, s19
	s_and_not1_b32 s23, s23, exec_lo
	s_and_b32 s24, s25, exec_lo
	s_wait_alu 0xfffe
	s_or_b32 s23, s23, s24
	s_and_not1_b32 exec_lo, exec_lo, s19
	s_cbranch_execz .LBB91_181
.LBB91_177:                             ;   Parent Loop BB91_20 Depth=1
                                        ; =>  This Inner Loop Header: Depth=2
	s_mov_b32 s24, exec_lo
	s_delay_alu instid0(VALU_DEP_1)
	v_cmpx_gt_u32_e64 s28, v2
	s_cbranch_execz .LBB91_175
; %bb.178:                              ;   in Loop: Header=BB91_177 Depth=2
	v_lshlrev_b64_e32 v[14:15], 2, v[6:7]
	s_delay_alu instid0(VALU_DEP_1) | instskip(SKIP_1) | instid1(VALU_DEP_2)
	v_add_co_u32 v14, vcc_lo, s40, v14
	s_wait_alu 0xfffd
	v_add_co_ci_u32_e64 v15, null, s41, v15, vcc_lo
	global_load_b32 v14, v[14:15], off
	s_wait_loadcnt 0x0
	v_xor_b32_e32 v4, 0x80000000, v14
	s_delay_alu instid0(VALU_DEP_1) | instskip(NEXT) | instid1(VALU_DEP_1)
	v_and_b32_e32 v4, v4, v30
	v_cmp_eq_u32_e32 vcc_lo, v4, v22
	s_and_b32 exec_lo, exec_lo, vcc_lo
	s_cbranch_execz .LBB91_175
; %bb.179:                              ;   in Loop: Header=BB91_177 Depth=2
	ds_store_b64 v7, v[13:14] offset:3072
	s_branch .LBB91_175
.LBB91_180:                             ;   in Loop: Header=BB91_177 Depth=2
	v_add_nc_u32_e32 v2, s29, v2
	v_add_nc_u32_e32 v6, s54, v6
	s_mov_b32 s25, 0
	s_delay_alu instid0(VALU_DEP_2)
	v_cmp_le_u32_e32 vcc_lo, s62, v2
	s_or_not1_b32 s24, vcc_lo, exec_lo
	s_branch .LBB91_176
.LBB91_181:                             ;   in Loop: Header=BB91_20 Depth=1
	s_or_b32 exec_lo, exec_lo, s19
	s_delay_alu instid0(SALU_CYCLE_1)
	s_and_not1_b32 s19, s22, exec_lo
	s_wait_alu 0xfffe
	s_and_b32 s22, s23, exec_lo
	s_wait_alu 0xfffe
	s_or_b32 s22, s19, s22
.LBB91_182:                             ;   in Loop: Header=BB91_20 Depth=1
	s_wait_alu 0xfffe
	s_or_b32 exec_lo, exec_lo, s18
	s_mov_b32 s18, 0
	s_mov_b32 s19, -1
.LBB91_183:                             ;   in Loop: Header=BB91_20 Depth=1
	s_or_not1_b32 s22, s22, exec_lo
.LBB91_184:                             ;   in Loop: Header=BB91_20 Depth=1
	s_wait_alu 0xfffe
	s_or_b32 exec_lo, exec_lo, s20
	s_mov_b32 s23, 0
	s_and_saveexec_b32 s20, s22
	s_cbranch_execz .LBB91_234
; %bb.185:                              ;   in Loop: Header=BB91_20 Depth=1
	v_dual_mov_b32 v2, 1 :: v_dual_mov_b32 v1, 1
	s_xor_b32 s22, s21, -1
	s_wait_alu 0xfffe
	s_and_saveexec_b32 s21, s22
	s_cbranch_execz .LBB91_194
; %bb.186:                              ;   in Loop: Header=BB91_20 Depth=1
	s_mov_b32 s22, exec_lo
	v_cmpx_ge_u32_e64 s14, v3
	s_wait_alu 0xfffe
	s_xor_b32 s22, exec_lo, s22
	s_cbranch_execz .LBB91_191
; %bb.187:                              ;   in Loop: Header=BB91_20 Depth=1
	ds_load_b32 v1, v7 offset:4104
	s_lshl_b32 s23, 2, s72
	v_or_b32_e32 v30, s8, v30
	s_wait_alu 0xfffe
	v_and_or_b32 v22, v22, s15, s23
	s_wait_dscnt 0x0
	v_cmp_ne_u32_e32 vcc_lo, 0, v1
	s_cbranch_vccnz .LBB91_191
; %bb.188:                              ;   in Loop: Header=BB91_20 Depth=1
	s_and_saveexec_b32 s15, s2
; %bb.189:                              ;   in Loop: Header=BB91_20 Depth=1
	v_mov_b32_e32 v1, s14
	ds_store_b32 v7, v1 offset:4108
; %bb.190:                              ;   in Loop: Header=BB91_20 Depth=1
	s_wait_alu 0xfffe
	s_or_b32 exec_lo, exec_lo, s15
	s_wait_loadcnt_dscnt 0x0
	s_barrier_signal -1
	s_barrier_wait -1
	global_inv scope:SCOPE_SE
.LBB91_191:                             ;   in Loop: Header=BB91_20 Depth=1
	s_wait_alu 0xfffe
	s_or_saveexec_b32 s15, s22
	v_mov_b32_e32 v1, 8
	s_mov_b32 s22, 0
	s_wait_alu 0xfffe
	s_xor_b32 exec_lo, exec_lo, s15
; %bb.192:                              ;   in Loop: Header=BB91_20 Depth=1
	v_subrev_nc_u32_e32 v3, s14, v3
	v_mov_b32_e32 v1, 0
	s_mov_b32 s22, exec_lo
; %bb.193:                              ;   in Loop: Header=BB91_20 Depth=1
	s_or_b32 exec_lo, exec_lo, s15
	s_delay_alu instid0(VALU_DEP_2)
	v_mov_b32_e32 v2, v3
	s_wait_alu 0xfffe
	s_and_b32 s23, s22, exec_lo
.LBB91_194:                             ;   in Loop: Header=BB91_20 Depth=1
	s_wait_alu 0xfffe
	s_or_b32 exec_lo, exec_lo, s21
	s_mov_b32 s15, -1
                                        ; implicit-def: $sgpr22
                                        ; implicit-def: $sgpr21
	s_and_saveexec_b32 s14, s23
	s_cbranch_execz .LBB91_233
; %bb.195:                              ;   in Loop: Header=BB91_20 Depth=1
	v_cmp_eq_u32_e32 vcc_lo, 1, v2
	s_cmp_eq_u32 s7, 1
	s_mov_b32 s24, -1
	s_cselect_b32 s15, -1, 0
                                        ; implicit-def: $sgpr22
                                        ; implicit-def: $sgpr21
	s_wait_alu 0xfffe
	s_and_b32 s15, s15, vcc_lo
	s_wait_alu 0xfffe
	s_and_saveexec_b32 s23, s15
	s_cbranch_execz .LBB91_221
; %bb.196:                              ;   in Loop: Header=BB91_20 Depth=1
	ds_load_b32 v3, v7 offset:4104
	s_wait_loadcnt_dscnt 0x0
	s_barrier_signal -1
	s_barrier_wait -1
	global_inv scope:SCOPE_SE
	v_readfirstlane_b32 s25, v3
	s_and_saveexec_b32 s21, s1
; %bb.197:                              ;   in Loop: Header=BB91_20 Depth=1
	ds_store_b32 v18, v7
; %bb.198:                              ;   in Loop: Header=BB91_20 Depth=1
	s_wait_alu 0xfffe
	s_or_b32 exec_lo, exec_lo, s21
	v_or_b32_e32 v22, s8, v22
	v_or_b32_e32 v30, s8, v30
	s_mov_b32 s21, -1
	s_mov_b32 s22, 0
	s_cmp_eq_u32 s25, 0
	s_mov_b32 s24, 0
	s_mov_b32 s26, -1
	s_wait_loadcnt_dscnt 0x0
	s_barrier_signal -1
	s_barrier_wait -1
	global_inv scope:SCOPE_SE
                                        ; implicit-def: $vgpr15
	s_cbranch_scc1 .LBB91_209
; %bb.199:                              ;   in Loop: Header=BB91_20 Depth=1
	s_add_co_i32 s42, s25, s53
                                        ; implicit-def: $vgpr15
	s_wait_alu 0xfffe
	s_mul_u64 s[74:75], s[42:43], s[46:47]
	s_delay_alu instid0(SALU_CYCLE_1)
	s_mul_i32 s24, s75, s29
	s_wait_alu 0xfffe
	s_sub_co_i32 s24, s42, s24
	s_wait_alu 0xfffe
	s_sub_co_i32 s26, s24, s29
	s_cmp_ge_u32 s24, s29
	s_wait_alu 0xfffe
	s_cselect_b32 s24, s26, s24
	s_wait_alu 0xfffe
	s_sub_co_i32 s26, s24, s29
	s_cmp_ge_u32 s24, s29
	s_wait_alu 0xfffe
	s_cselect_b32 s24, s26, s24
	s_mov_b32 s26, 0
	s_wait_alu 0xfffe
	s_sub_co_i32 s73, s42, s24
	s_mov_b32 s24, 0
	s_mov_b32 s42, exec_lo
	s_wait_alu 0xfffe
	v_cmpx_gt_u32_e64 s73, v0
	s_cbranch_execz .LBB91_208
; %bb.200:                              ;   in Loop: Header=BB91_20 Depth=1
	v_dual_mov_b32 v3, v17 :: v_dual_mov_b32 v4, v0
                                        ; implicit-def: $sgpr74
	s_branch .LBB91_203
.LBB91_201:                             ;   in Loop: Header=BB91_203 Depth=2
	s_or_b32 exec_lo, exec_lo, s75
	s_wait_loadcnt_dscnt 0x0
	s_barrier_signal -1
	s_barrier_wait -1
	global_inv scope:SCOPE_SE
	ds_load_b64 v[14:15], v7 offset:3072
	s_mov_b32 s75, -1
	s_mov_b32 s76, -1
	s_wait_loadcnt_dscnt 0x0
	s_barrier_signal -1
	s_barrier_wait -1
	global_inv scope:SCOPE_SE
	v_cmp_ne_u32_e32 vcc_lo, 0, v14
	s_cbranch_vccz .LBB91_206
.LBB91_202:                             ;   in Loop: Header=BB91_203 Depth=2
	s_and_b32 s75, exec_lo, s75
	s_delay_alu instid0(SALU_CYCLE_1) | instskip(SKIP_3) | instid1(SALU_CYCLE_1)
	s_or_b32 s24, s75, s24
	s_and_not1_b32 s74, s74, exec_lo
	s_wait_alu 0xfffe
	s_and_b32 s75, s76, exec_lo
	s_or_b32 s74, s74, s75
	s_and_not1_b32 exec_lo, exec_lo, s24
	s_cbranch_execz .LBB91_207
.LBB91_203:                             ;   Parent Loop BB91_20 Depth=1
                                        ; =>  This Inner Loop Header: Depth=2
	s_mov_b32 s75, exec_lo
	s_delay_alu instid0(VALU_DEP_1)
	v_cmpx_gt_u32_e64 s25, v4
	s_cbranch_execz .LBB91_201
; %bb.204:                              ;   in Loop: Header=BB91_203 Depth=2
	ds_load_b32 v14, v3
	s_wait_dscnt 0x0
	v_xor_b32_e32 v6, 0x80000000, v14
	s_delay_alu instid0(VALU_DEP_1) | instskip(NEXT) | instid1(VALU_DEP_1)
	v_and_b32_e32 v6, v6, v30
	v_cmp_eq_u32_e32 vcc_lo, v6, v22
	s_and_b32 exec_lo, exec_lo, vcc_lo
	s_cbranch_execz .LBB91_201
; %bb.205:                              ;   in Loop: Header=BB91_203 Depth=2
	ds_store_b64 v7, v[13:14] offset:3072
	s_branch .LBB91_201
.LBB91_206:                             ;   in Loop: Header=BB91_203 Depth=2
	v_add_nc_u32_e32 v4, s29, v4
	v_add_nc_u32_e32 v3, s52, v3
	s_mov_b32 s76, 0
	s_delay_alu instid0(VALU_DEP_2)
	v_cmp_le_u32_e32 vcc_lo, s73, v4
	s_or_not1_b32 s75, vcc_lo, exec_lo
	s_branch .LBB91_202
.LBB91_207:                             ;   in Loop: Header=BB91_20 Depth=1
	s_or_b32 exec_lo, exec_lo, s24
	s_delay_alu instid0(SALU_CYCLE_1)
	s_and_b32 s24, s74, exec_lo
.LBB91_208:                             ;   in Loop: Header=BB91_20 Depth=1
	s_or_b32 exec_lo, exec_lo, s42
.LBB91_209:                             ;   in Loop: Header=BB91_20 Depth=1
	s_wait_alu 0xfffe
	s_and_b32 vcc_lo, exec_lo, s26
	s_wait_alu 0xfffe
	s_cbranch_vccz .LBB91_220
; %bb.210:                              ;   in Loop: Header=BB91_20 Depth=1
                                        ; implicit-def: $vgpr15
	s_and_saveexec_b32 s21, s6
	s_cbranch_execz .LBB91_219
; %bb.211:                              ;   in Loop: Header=BB91_20 Depth=1
	v_dual_mov_b32 v6, v5 :: v_dual_mov_b32 v3, v0
	s_mov_b32 s22, 0
                                        ; implicit-def: $sgpr25
	s_branch .LBB91_214
.LBB91_212:                             ;   in Loop: Header=BB91_214 Depth=2
	s_wait_alu 0xfffe
	s_or_b32 exec_lo, exec_lo, s26
	s_wait_loadcnt_dscnt 0x0
	s_barrier_signal -1
	s_barrier_wait -1
	global_inv scope:SCOPE_SE
	ds_load_b64 v[14:15], v7 offset:3072
	s_mov_b32 s26, -1
	s_mov_b32 s42, -1
	s_wait_loadcnt_dscnt 0x0
	s_barrier_signal -1
	s_barrier_wait -1
	global_inv scope:SCOPE_SE
	v_cmp_eq_u32_e32 vcc_lo, 0, v14
	s_cbranch_vccnz .LBB91_217
.LBB91_213:                             ;   in Loop: Header=BB91_214 Depth=2
	s_wait_alu 0xfffe
	s_and_b32 s26, exec_lo, s26
	s_wait_alu 0xfffe
	s_or_b32 s22, s26, s22
	s_and_not1_b32 s25, s25, exec_lo
	s_and_b32 s26, s42, exec_lo
	s_wait_alu 0xfffe
	s_or_b32 s25, s25, s26
	s_and_not1_b32 exec_lo, exec_lo, s22
	s_cbranch_execz .LBB91_218
.LBB91_214:                             ;   Parent Loop BB91_20 Depth=1
                                        ; =>  This Inner Loop Header: Depth=2
	s_mov_b32 s26, exec_lo
	s_delay_alu instid0(VALU_DEP_1)
	v_cmpx_gt_u32_e64 s28, v3
	s_cbranch_execz .LBB91_212
; %bb.215:                              ;   in Loop: Header=BB91_214 Depth=2
	v_lshlrev_b64_e32 v[14:15], 2, v[6:7]
	s_delay_alu instid0(VALU_DEP_1) | instskip(SKIP_1) | instid1(VALU_DEP_2)
	v_add_co_u32 v14, vcc_lo, s40, v14
	s_wait_alu 0xfffd
	v_add_co_ci_u32_e64 v15, null, s41, v15, vcc_lo
	global_load_b32 v14, v[14:15], off
	s_wait_loadcnt 0x0
	v_xor_b32_e32 v4, 0x80000000, v14
	s_delay_alu instid0(VALU_DEP_1) | instskip(NEXT) | instid1(VALU_DEP_1)
	v_and_b32_e32 v4, v4, v30
	v_cmp_eq_u32_e32 vcc_lo, v4, v22
	s_and_b32 exec_lo, exec_lo, vcc_lo
	s_cbranch_execz .LBB91_212
; %bb.216:                              ;   in Loop: Header=BB91_214 Depth=2
	ds_store_b64 v7, v[13:14] offset:3072
	s_branch .LBB91_212
.LBB91_217:                             ;   in Loop: Header=BB91_214 Depth=2
	v_add_nc_u32_e32 v3, s29, v3
	v_add_nc_u32_e32 v6, s54, v6
	s_mov_b32 s42, 0
	s_delay_alu instid0(VALU_DEP_2)
	v_cmp_le_u32_e32 vcc_lo, s62, v3
	s_or_not1_b32 s26, vcc_lo, exec_lo
	s_branch .LBB91_213
.LBB91_218:                             ;   in Loop: Header=BB91_20 Depth=1
	s_or_b32 exec_lo, exec_lo, s22
	s_delay_alu instid0(SALU_CYCLE_1)
	s_and_not1_b32 s22, s24, exec_lo
	s_wait_alu 0xfffe
	s_and_b32 s24, s25, exec_lo
	s_wait_alu 0xfffe
	s_or_b32 s24, s22, s24
.LBB91_219:                             ;   in Loop: Header=BB91_20 Depth=1
	s_wait_alu 0xfffe
	s_or_b32 exec_lo, exec_lo, s21
	s_mov_b32 s21, 0
	s_mov_b32 s22, -1
.LBB91_220:                             ;   in Loop: Header=BB91_20 Depth=1
	s_or_not1_b32 s24, s24, exec_lo
.LBB91_221:                             ;   in Loop: Header=BB91_20 Depth=1
	s_wait_alu 0xfffe
	s_or_b32 exec_lo, exec_lo, s23
	s_mov_b32 s25, 0
	s_and_saveexec_b32 s23, s24
	s_cbranch_execz .LBB91_232
; %bb.222:                              ;   in Loop: Header=BB91_20 Depth=1
	v_mov_b32_e32 v1, 1
	v_mov_b32_e32 v3, 1
	s_xor_b32 s24, s15, -1
	s_wait_alu 0xfffe
	s_and_saveexec_b32 s15, s24
	s_cbranch_execz .LBB91_231
; %bb.223:                              ;   in Loop: Header=BB91_20 Depth=1
	s_mov_b32 s24, exec_lo
	v_cmpx_ge_u32_e64 s7, v2
	s_wait_alu 0xfffe
	s_xor_b32 s24, exec_lo, s24
	s_cbranch_execz .LBB91_228
; %bb.224:                              ;   in Loop: Header=BB91_20 Depth=1
	ds_load_b32 v1, v7 offset:4104
	v_or_b32_e32 v22, s8, v22
	v_or_b32_e32 v30, s8, v30
	s_wait_dscnt 0x0
	v_cmp_ne_u32_e32 vcc_lo, 0, v1
	s_cbranch_vccnz .LBB91_228
; %bb.225:                              ;   in Loop: Header=BB91_20 Depth=1
	s_and_saveexec_b32 s8, s2
; %bb.226:                              ;   in Loop: Header=BB91_20 Depth=1
	v_mov_b32_e32 v1, s7
	ds_store_b32 v7, v1 offset:4108
; %bb.227:                              ;   in Loop: Header=BB91_20 Depth=1
	s_wait_alu 0xfffe
	s_or_b32 exec_lo, exec_lo, s8
	s_wait_loadcnt_dscnt 0x0
	s_barrier_signal -1
	s_barrier_wait -1
	global_inv scope:SCOPE_SE
.LBB91_228:                             ;   in Loop: Header=BB91_20 Depth=1
	s_wait_alu 0xfffe
	s_and_not1_saveexec_b32 s8, s24
; %bb.229:                              ;   in Loop: Header=BB91_20 Depth=1
	v_subrev_nc_u32_e32 v2, s7, v2
; %bb.230:                              ;   in Loop: Header=BB91_20 Depth=1
	s_wait_alu 0xfffe
	s_or_b32 exec_lo, exec_lo, s8
	v_mov_b32_e32 v1, 8
	s_delay_alu instid0(VALU_DEP_2)
	v_mov_b32_e32 v3, v2
.LBB91_231:                             ;   in Loop: Header=BB91_20 Depth=1
	s_wait_alu 0xfffe
	s_or_b32 exec_lo, exec_lo, s15
	s_delay_alu instid0(VALU_DEP_1)
	v_mov_b32_e32 v2, v3
	s_mov_b32 s25, exec_lo
.LBB91_232:                             ;   in Loop: Header=BB91_20 Depth=1
	s_wait_alu 0xfffe
	s_or_b32 exec_lo, exec_lo, s23
	s_delay_alu instid0(SALU_CYCLE_1)
	s_or_not1_b32 s15, s25, exec_lo
.LBB91_233:                             ;   in Loop: Header=BB91_20 Depth=1
	s_wait_alu 0xfffe
	s_or_b32 exec_lo, exec_lo, s14
	v_mov_b32_e32 v3, v2
	s_and_not1_b32 s7, s19, exec_lo
	s_and_b32 s8, s22, exec_lo
	s_and_not1_b32 s14, s18, exec_lo
	s_and_b32 s18, s21, exec_lo
	s_wait_alu 0xfffe
	s_or_b32 s19, s7, s8
	s_or_b32 s18, s14, s18
	s_and_b32 s23, s15, exec_lo
.LBB91_234:                             ;   in Loop: Header=BB91_20 Depth=1
	s_wait_alu 0xfffe
	s_or_b32 exec_lo, exec_lo, s20
	s_delay_alu instid0(SALU_CYCLE_1)
	s_or_not1_b32 s20, s23, exec_lo
.LBB91_235:                             ;   in Loop: Header=BB91_20 Depth=1
	s_wait_alu 0xfffe
	s_or_b32 exec_lo, exec_lo, s17
	v_mov_b32_e32 v2, v3
	s_and_not1_b32 s7, s13, exec_lo
	s_and_b32 s8, s19, exec_lo
	s_and_not1_b32 s12, s12, exec_lo
	s_and_b32 s14, s18, exec_lo
	s_wait_alu 0xfffe
	s_or_b32 s13, s7, s8
	s_or_b32 s12, s12, s14
	s_and_b32 s20, s20, exec_lo
.LBB91_236:                             ;   in Loop: Header=BB91_20 Depth=1
	s_wait_alu 0xfffe
	s_or_b32 exec_lo, exec_lo, s16
	s_delay_alu instid0(SALU_CYCLE_1)
	s_or_not1_b32 s16, s20, exec_lo
.LBB91_237:                             ;   in Loop: Header=BB91_20 Depth=1
	s_wait_alu 0xfffe
	s_or_b32 exec_lo, exec_lo, s11
	s_mov_b32 s8, 0
                                        ; implicit-def: $sgpr18
	s_and_saveexec_b32 s7, s16
	s_wait_alu 0xfffe
	s_xor_b32 s7, exec_lo, s7
	s_cbranch_execz .LBB91_18
; %bb.238:                              ;   in Loop: Header=BB91_20 Depth=1
	v_and_b32_e32 v1, 7, v1
	s_mov_b32 s10, -1
	s_mov_b32 s8, -1
	s_mov_b32 s11, exec_lo
                                        ; implicit-def: $sgpr18
	s_delay_alu instid0(VALU_DEP_1)
	v_cmpx_eq_u32_e32 0, v1
	s_cbranch_execz .LBB91_17
; %bb.239:                              ;   in Loop: Header=BB91_20 Depth=1
	s_add_co_i32 s18, s72, -2
	s_cmp_eq_u32 s72, 0
	v_xor_b32_e32 v29, 1, v29
	s_cselect_b32 s10, -1, 0
	s_xor_b32 s8, exec_lo, -1
	s_wait_alu 0xfffe
	s_or_not1_b32 s10, s10, exec_lo
	s_branch .LBB91_17
.LBB91_240:
	s_or_b32 exec_lo, exec_lo, s65
	s_xor_b32 s4, s71, -1
	s_xor_b32 s1, s69, -1
	;; [unrolled: 1-line block ×3, first 2 shown]
	s_mov_b32 s2, 0
	s_and_saveexec_b32 s5, s1
	s_wait_alu 0xfffe
	s_xor_b32 s1, exec_lo, s5
	s_cbranch_execnz .LBB91_245
; %bb.241:
	s_and_not1_saveexec_b32 s0, s1
	s_cbranch_execnz .LBB91_258
.LBB91_242:
	s_or_b32 exec_lo, exec_lo, s0
	s_wait_alu 0xfffe
	s_and_saveexec_b32 s0, s2
.LBB91_243:
	; divergent unreachable
.LBB91_244:
	s_endpgm
.LBB91_245:
	s_and_saveexec_b32 s2, s4
	s_wait_alu 0xfffe
	s_xor_b32 s4, exec_lo, s2
	s_cbranch_execz .LBB91_256
; %bb.246:
	s_and_saveexec_b32 s2, s3
	s_wait_alu 0xfffe
	s_xor_b32 s2, exec_lo, s2
; %bb.247:
	v_xor_b32_e32 v15, 0x80000000, v22
; %bb.248:
	s_wait_alu 0xfffe
	s_or_b32 exec_lo, exec_lo, s2
	s_mul_i32 s2, s50, s33
	s_mov_b32 s3, 0
	s_wait_alu 0xfffe
	s_add_co_i32 s2, s2, s27
	v_mov_b32_e32 v6, 0
	s_wait_alu 0xfffe
	s_lshl_b64 s[6:7], s[2:3], 2
	s_wait_alu 0xfffe
	s_add_nc_u64 s[6:7], s[38:39], s[6:7]
	global_store_b32 v6, v15, s[6:7]
	s_and_saveexec_b32 s2, s0
	s_cbranch_execz .LBB91_255
; %bb.249:
                                        ; implicit-def: $sgpr0
                                        ; implicit-def: $sgpr6
                                        ; implicit-def: $sgpr5
	s_branch .LBB91_251
.LBB91_250:                             ;   in Loop: Header=BB91_251 Depth=1
	s_wait_alu 0xfffe
	s_or_b32 exec_lo, exec_lo, s7
	s_delay_alu instid0(SALU_CYCLE_1)
	s_and_b32 s7, exec_lo, s6
	s_wait_alu 0xfffe
	s_or_b32 s3, s7, s3
	s_and_not1_b32 s0, s0, exec_lo
	s_and_b32 s7, s5, exec_lo
	s_wait_alu 0xfffe
	s_or_b32 s0, s0, s7
	s_and_not1_b32 exec_lo, exec_lo, s3
	s_cbranch_execz .LBB91_253
.LBB91_251:                             ; =>This Inner Loop Header: Depth=1
	v_lshlrev_b64_e32 v[1:2], 2, v[5:6]
	s_or_b32 s5, s5, exec_lo
	s_wait_alu 0xfffe
	s_or_b32 s6, s6, exec_lo
	s_mov_b32 s7, exec_lo
	s_delay_alu instid0(VALU_DEP_1)
	v_add_co_u32 v1, vcc_lo, s40, v1
	s_wait_alu 0xfffd
	v_add_co_ci_u32_e64 v2, null, s41, v2, vcc_lo
	global_load_b32 v2, v[1:2], off
	v_mov_b32_e32 v1, v0
                                        ; implicit-def: $vgpr0
	s_wait_loadcnt 0x0
	v_cmpx_ne_u32_e64 v2, v15
	s_cbranch_execz .LBB91_250
; %bb.252:                              ;   in Loop: Header=BB91_251 Depth=1
	s_delay_alu instid0(VALU_DEP_2)
	v_add_nc_u32_e32 v0, s29, v1
	v_add_nc_u32_e32 v5, s54, v5
	s_wait_alu 0xfffe
	s_and_not1_b32 s6, s6, exec_lo
	s_and_not1_b32 s5, s5, exec_lo
	v_cmp_le_u32_e32 vcc_lo, s28, v0
	s_and_b32 s8, vcc_lo, exec_lo
	s_wait_alu 0xfffe
	s_or_b32 s6, s6, s8
	s_branch .LBB91_250
.LBB91_253:
	s_or_b32 exec_lo, exec_lo, s3
	s_and_saveexec_b32 s3, s0
	s_wait_alu 0xfffe
	s_xor_b32 s3, exec_lo, s3
	s_cbranch_execz .LBB91_255
; %bb.254:
	s_mul_i32 s0, s51, s34
	s_mov_b32 s7, 0
	s_add_co_i32 s6, s0, s35
	v_mov_b32_e32 v2, 0
	s_wait_alu 0xfffe
	s_lshl_b64 s[6:7], s[6:7], 3
	s_wait_alu 0xfffe
	s_add_nc_u64 s[6:7], s[36:37], s[6:7]
	global_store_b64 v2, v[1:2], s[6:7]
.LBB91_255:
	s_wait_alu 0xfffe
	s_or_b32 exec_lo, exec_lo, s2
.LBB91_256:
	s_wait_alu 0xfffe
	s_or_saveexec_b32 s0, s4
	s_mov_b32 s2, 0
	s_xor_b32 exec_lo, exec_lo, s0
	s_cbranch_execnz .LBB91_259
.LBB91_257:
	s_or_b32 exec_lo, exec_lo, s0
	s_wait_alu 0xfffe
	s_and_b32 s2, s2, exec_lo
	s_and_not1_saveexec_b32 s0, s1
	s_cbranch_execz .LBB91_242
.LBB91_258:
	s_wait_alu 0xfffe
	s_or_b32 s2, s2, exec_lo
	s_trap 2
	s_or_b32 exec_lo, exec_lo, s0
	s_wait_alu 0xfffe
	s_and_saveexec_b32 s0, s2
	s_cbranch_execnz .LBB91_243
	s_branch .LBB91_244
.LBB91_259:
	s_mov_b32 s2, exec_lo
	s_trap 2
	s_branch .LBB91_257
	.section	.rodata,"a",@progbits
	.p2align	6, 0x0
	.amdhsa_kernel _ZN2at6native12_GLOBAL__N_112gatherMedianIijLin1EEEvNS_4cuda6detail10TensorInfoIT_T0_EENS5_IlS7_EENS5_IKS6_S7_EES7_S7_S7_b
		.amdhsa_group_segment_fixed_size 4120
		.amdhsa_private_segment_fixed_size 0
		.amdhsa_kernarg_size 920
		.amdhsa_user_sgpr_count 2
		.amdhsa_user_sgpr_dispatch_ptr 0
		.amdhsa_user_sgpr_queue_ptr 0
		.amdhsa_user_sgpr_kernarg_segment_ptr 1
		.amdhsa_user_sgpr_dispatch_id 0
		.amdhsa_user_sgpr_private_segment_size 0
		.amdhsa_wavefront_size32 1
		.amdhsa_uses_dynamic_stack 0
		.amdhsa_enable_private_segment 0
		.amdhsa_system_sgpr_workgroup_id_x 1
		.amdhsa_system_sgpr_workgroup_id_y 1
		.amdhsa_system_sgpr_workgroup_id_z 1
		.amdhsa_system_sgpr_workgroup_info 0
		.amdhsa_system_vgpr_workitem_id 0
		.amdhsa_next_free_vgpr 44
		.amdhsa_next_free_sgpr 80
		.amdhsa_reserve_vcc 1
		.amdhsa_float_round_mode_32 0
		.amdhsa_float_round_mode_16_64 0
		.amdhsa_float_denorm_mode_32 3
		.amdhsa_float_denorm_mode_16_64 3
		.amdhsa_fp16_overflow 0
		.amdhsa_workgroup_processor_mode 1
		.amdhsa_memory_ordered 1
		.amdhsa_forward_progress 1
		.amdhsa_inst_pref_size 87
		.amdhsa_round_robin_scheduling 0
		.amdhsa_exception_fp_ieee_invalid_op 0
		.amdhsa_exception_fp_denorm_src 0
		.amdhsa_exception_fp_ieee_div_zero 0
		.amdhsa_exception_fp_ieee_overflow 0
		.amdhsa_exception_fp_ieee_underflow 0
		.amdhsa_exception_fp_ieee_inexact 0
		.amdhsa_exception_int_div_zero 0
	.end_amdhsa_kernel
	.section	.text._ZN2at6native12_GLOBAL__N_112gatherMedianIijLin1EEEvNS_4cuda6detail10TensorInfoIT_T0_EENS5_IlS7_EENS5_IKS6_S7_EES7_S7_S7_b,"axG",@progbits,_ZN2at6native12_GLOBAL__N_112gatherMedianIijLin1EEEvNS_4cuda6detail10TensorInfoIT_T0_EENS5_IlS7_EENS5_IKS6_S7_EES7_S7_S7_b,comdat
.Lfunc_end91:
	.size	_ZN2at6native12_GLOBAL__N_112gatherMedianIijLin1EEEvNS_4cuda6detail10TensorInfoIT_T0_EENS5_IlS7_EENS5_IKS6_S7_EES7_S7_S7_b, .Lfunc_end91-_ZN2at6native12_GLOBAL__N_112gatherMedianIijLin1EEEvNS_4cuda6detail10TensorInfoIT_T0_EENS5_IlS7_EENS5_IKS6_S7_EES7_S7_S7_b
                                        ; -- End function
	.set _ZN2at6native12_GLOBAL__N_112gatherMedianIijLin1EEEvNS_4cuda6detail10TensorInfoIT_T0_EENS5_IlS7_EENS5_IKS6_S7_EES7_S7_S7_b.num_vgpr, 44
	.set _ZN2at6native12_GLOBAL__N_112gatherMedianIijLin1EEEvNS_4cuda6detail10TensorInfoIT_T0_EENS5_IlS7_EENS5_IKS6_S7_EES7_S7_S7_b.num_agpr, 0
	.set _ZN2at6native12_GLOBAL__N_112gatherMedianIijLin1EEEvNS_4cuda6detail10TensorInfoIT_T0_EENS5_IlS7_EENS5_IKS6_S7_EES7_S7_S7_b.numbered_sgpr, 80
	.set _ZN2at6native12_GLOBAL__N_112gatherMedianIijLin1EEEvNS_4cuda6detail10TensorInfoIT_T0_EENS5_IlS7_EENS5_IKS6_S7_EES7_S7_S7_b.num_named_barrier, 0
	.set _ZN2at6native12_GLOBAL__N_112gatherMedianIijLin1EEEvNS_4cuda6detail10TensorInfoIT_T0_EENS5_IlS7_EENS5_IKS6_S7_EES7_S7_S7_b.private_seg_size, 0
	.set _ZN2at6native12_GLOBAL__N_112gatherMedianIijLin1EEEvNS_4cuda6detail10TensorInfoIT_T0_EENS5_IlS7_EENS5_IKS6_S7_EES7_S7_S7_b.uses_vcc, 1
	.set _ZN2at6native12_GLOBAL__N_112gatherMedianIijLin1EEEvNS_4cuda6detail10TensorInfoIT_T0_EENS5_IlS7_EENS5_IKS6_S7_EES7_S7_S7_b.uses_flat_scratch, 0
	.set _ZN2at6native12_GLOBAL__N_112gatherMedianIijLin1EEEvNS_4cuda6detail10TensorInfoIT_T0_EENS5_IlS7_EENS5_IKS6_S7_EES7_S7_S7_b.has_dyn_sized_stack, 0
	.set _ZN2at6native12_GLOBAL__N_112gatherMedianIijLin1EEEvNS_4cuda6detail10TensorInfoIT_T0_EENS5_IlS7_EENS5_IKS6_S7_EES7_S7_S7_b.has_recursion, 0
	.set _ZN2at6native12_GLOBAL__N_112gatherMedianIijLin1EEEvNS_4cuda6detail10TensorInfoIT_T0_EENS5_IlS7_EENS5_IKS6_S7_EES7_S7_S7_b.has_indirect_call, 0
	.section	.AMDGPU.csdata,"",@progbits
; Kernel info:
; codeLenInByte = 11072
; TotalNumSgprs: 82
; NumVgprs: 44
; ScratchSize: 0
; MemoryBound: 0
; FloatMode: 240
; IeeeMode: 1
; LDSByteSize: 4120 bytes/workgroup (compile time only)
; SGPRBlocks: 0
; VGPRBlocks: 5
; NumSGPRsForWavesPerEU: 82
; NumVGPRsForWavesPerEU: 44
; Occupancy: 16
; WaveLimiterHint : 1
; COMPUTE_PGM_RSRC2:SCRATCH_EN: 0
; COMPUTE_PGM_RSRC2:USER_SGPR: 2
; COMPUTE_PGM_RSRC2:TRAP_HANDLER: 0
; COMPUTE_PGM_RSRC2:TGID_X_EN: 1
; COMPUTE_PGM_RSRC2:TGID_Y_EN: 1
; COMPUTE_PGM_RSRC2:TGID_Z_EN: 1
; COMPUTE_PGM_RSRC2:TIDIG_COMP_CNT: 0
	.section	.text._ZN2at6native12_GLOBAL__N_112gatherMedianIimLi1EEEvNS_4cuda6detail10TensorInfoIT_T0_EENS5_IlS7_EENS5_IKS6_S7_EES7_S7_S7_b,"axG",@progbits,_ZN2at6native12_GLOBAL__N_112gatherMedianIimLi1EEEvNS_4cuda6detail10TensorInfoIT_T0_EENS5_IlS7_EENS5_IKS6_S7_EES7_S7_S7_b,comdat
	.globl	_ZN2at6native12_GLOBAL__N_112gatherMedianIimLi1EEEvNS_4cuda6detail10TensorInfoIT_T0_EENS5_IlS7_EENS5_IKS6_S7_EES7_S7_S7_b ; -- Begin function _ZN2at6native12_GLOBAL__N_112gatherMedianIimLi1EEEvNS_4cuda6detail10TensorInfoIT_T0_EENS5_IlS7_EENS5_IKS6_S7_EES7_S7_S7_b
	.p2align	8
	.type	_ZN2at6native12_GLOBAL__N_112gatherMedianIimLi1EEEvNS_4cuda6detail10TensorInfoIT_T0_EENS5_IlS7_EENS5_IKS6_S7_EES7_S7_S7_b,@function
_ZN2at6native12_GLOBAL__N_112gatherMedianIimLi1EEEvNS_4cuda6detail10TensorInfoIT_T0_EENS5_IlS7_EENS5_IKS6_S7_EES7_S7_S7_b: ; @_ZN2at6native12_GLOBAL__N_112gatherMedianIimLi1EEEvNS_4cuda6detail10TensorInfoIT_T0_EENS5_IlS7_EENS5_IKS6_S7_EES7_S7_S7_b
; %bb.0:
	s_clause 0x1
	s_load_b64 s[4:5], s[0:1], 0x500
	s_load_b128 s[24:27], s[0:1], 0x4e0
	s_lshr_b32 s2, ttmp7, 16
	s_and_b32 s3, ttmp7, 0xffff
	s_mov_b32 s29, 0
	s_wait_kmcnt 0x0
	s_mul_i32 s2, s5, s2
	s_delay_alu instid0(SALU_CYCLE_1) | instskip(NEXT) | instid1(SALU_CYCLE_1)
	s_add_co_i32 s2, s2, s3
	s_mul_i32 s2, s2, s4
	s_delay_alu instid0(SALU_CYCLE_1) | instskip(NEXT) | instid1(SALU_CYCLE_1)
	s_add_co_i32 s28, s2, ttmp9
	v_cmp_le_u64_e64 s2, s[26:27], s[28:29]
	s_and_b32 vcc_lo, exec_lo, s2
	s_cbranch_vccnz .LBB92_272
; %bb.1:
	s_load_b64 s[34:35], s[0:1], 0x4f0
	v_cmp_eq_u32_e64 s2, 0, v0
	s_and_saveexec_b32 s3, s2
; %bb.2:
	v_mov_b32_e32 v1, 0
	s_delay_alu instid0(VALU_DEP_1)
	v_mov_b32_e32 v2, v1
	ds_store_b64 v1, v[1:2] offset:5136
; %bb.3:
	s_or_b32 exec_lo, exec_lo, s3
	v_mov_b32_e32 v1, 0
	v_mov_b32_e32 v27, s25
	s_wait_dscnt 0x0
	s_barrier_signal -1
	s_barrier_wait -1
	global_inv scope:SCOPE_SE
	s_wait_loadcnt 0x0
	s_barrier_signal -1
	s_barrier_wait -1
	global_inv scope:SCOPE_SE
	v_mov_b32_e32 v26, s24
	ds_load_b64 v[1:2], v1 offset:5136
	s_load_b32 s3, s[0:1], 0x4f8
	s_wait_dscnt 0x0
	v_cmp_gt_i64_e32 vcc_lo, 1, v[1:2]
	s_wait_kmcnt 0x0
	s_bitcmp1_b32 s3, 0
	s_cselect_b32 s3, -1, 0
	s_delay_alu instid0(SALU_CYCLE_1) | instskip(NEXT) | instid1(SALU_CYCLE_1)
	s_or_b32 s3, s3, vcc_lo
	s_and_not1_b32 vcc_lo, exec_lo, s3
	s_cbranch_vccnz .LBB92_5
; %bb.4:
	v_not_b32_e32 v1, v1
	v_not_b32_e32 v2, v2
	s_delay_alu instid0(VALU_DEP_2) | instskip(NEXT) | instid1(VALU_DEP_1)
	v_add_co_u32 v1, vcc_lo, s24, v1
	v_add_co_ci_u32_e64 v2, null, s25, v2, vcc_lo
	s_delay_alu instid0(VALU_DEP_1) | instskip(NEXT) | instid1(VALU_DEP_1)
	v_lshrrev_b64 v[1:2], 1, v[1:2]
	v_add_co_u32 v26, vcc_lo, v1, 1
	s_wait_alu 0xfffd
	s_delay_alu instid0(VALU_DEP_2)
	v_add_co_ci_u32_e64 v27, null, 0, v2, vcc_lo
.LBB92_5:
	s_clause 0x1
	s_load_b64 s[10:11], s[0:1], 0x410
	s_load_b64 s[8:9], s[0:1], 0x340
	s_add_nc_u64 s[6:7], s[0:1], 0x500
	s_and_saveexec_b32 s3, s2
	s_cbranch_execz .LBB92_7
; %bb.6:
	v_dual_mov_b32 v1, 0 :: v_dual_mov_b32 v4, s25
	s_delay_alu instid0(VALU_DEP_1)
	v_dual_mov_b32 v3, s24 :: v_dual_mov_b32 v2, v1
	ds_store_b32 v1, v1 offset:5144
	ds_store_b128 v1, v[1:4] offset:5120
.LBB92_7:
	s_or_b32 exec_lo, exec_lo, s3
	v_mad_co_u64_u32 v[2:3], null, s34, v0, 0
	s_clause 0x3
	s_load_b64 s[30:31], s[0:1], 0x270
	s_load_b64 s[26:27], s[0:1], 0x1a0
	;; [unrolled: 1-line block ×4, first 2 shown]
	s_wait_loadcnt_dscnt 0x0
	s_barrier_signal -1
	s_barrier_wait -1
	v_mbcnt_lo_u32_b32 v32, -1, 0
	global_inv scope:SCOPE_SE
	s_load_b32 s5, s[6:7], 0xc
	v_lshlrev_b32_e32 v35, 4, v0
	v_mad_co_u64_u32 v[3:4], null, s35, v0, v[3:4]
	v_lshlrev_b64_e64 v[6:7], v32, -1
	s_wait_kmcnt 0x0
	s_mul_u64 s[10:11], s[10:11], s[28:29]
	v_or_b32_e32 v7, 12, v35
	v_or_b32_e32 v9, 8, v35
	v_cmp_gt_u32_e32 vcc_lo, 32, v0
	v_cmp_gt_i32_e64 s3, 4, v32
	v_lshlrev_b64_e32 v[4:5], 2, v[2:3]
	v_mad_co_u64_u32 v[16:17], null, s34, v7, 0
	v_mad_co_u64_u32 v[18:19], null, s34, v9, 0
	s_lshl_b64 s[10:11], s[10:11], 2
	v_or_b32_e32 v12, 4, v35
	v_dual_mov_b32 v13, 0 :: v_dual_lshlrev_b32 v14, 2, v0
	s_add_nc_u64 s[44:45], s[8:9], s[10:11]
	s_and_b32 s33, vcc_lo, s3
	v_add_co_u32 v10, vcc_lo, s44, v4
	v_mad_co_u64_u32 v[20:21], null, s34, v12, 0
	v_dual_mov_b32 v1, v13 :: v_dual_mov_b32 v4, v17
	s_wait_alu 0xfffd
	v_add_co_ci_u32_e64 v11, null, s45, v5, vcc_lo
	v_dual_mov_b32 v5, v19 :: v_dual_mov_b32 v42, 0
	s_and_b32 s36, s5, 0xffff
	s_bfe_u32 s5, s5, 0xb0005
	s_cmp_gt_u32 s36, 31
	s_delay_alu instid0(VALU_DEP_1)
	v_mad_co_u64_u32 v[7:8], null, s35, v7, v[4:5]
	s_cselect_b32 s73, -1, 0
	s_cmp_lt_u32 ttmp9, s4
	v_add_nc_u32_e32 v33, 0xc00, v14
	v_not_b32_e32 v34, v6
	s_cselect_b32 s46, 12, 18
	s_add_co_i32 s4, s5, -1
	v_mov_b32_e32 v6, v21
	s_and_b32 s4, s4, 0xffff
	s_bfe_u32 s74, s36, 0x30005
	s_cmp_gt_u32 s4, 6
	s_mov_b32 s47, 0
	v_mad_co_u64_u32 v[4:5], null, s35, v9, v[5:6]
	s_cselect_b32 s75, -1, 0
	s_and_b32 s76, s5, 0x7f8
	v_mad_co_u64_u32 v[5:6], null, s35, v12, v[6:7]
	s_cmp_lg_u32 s74, 0
	s_movk_i32 s4, 0x3e0
	s_cselect_b32 s77, -1, 0
	s_lshl_b64 s[52:53], s[34:35], 2
	s_lshl_b64 s[54:55], s[34:35], 4
	v_mul_lo_u32 v40, 0, s52
	v_mul_lo_u32 v41, 0, s54
	v_cmp_gt_u64_e64 s0, s[24:25], v[0:1]
	v_cmp_lt_u64_e64 s72, 0x300, s[24:25]
	s_mov_b32 s37, s47
	v_lshlrev_b64_e32 v[21:22], 4, v[2:3]
	v_cmp_eq_u32_e64 s1, 0, v32
	v_cmp_gt_u32_e64 s3, 2, v0
	v_dual_mov_b32 v15, v13 :: v_dual_mov_b32 v36, v7
	v_and_or_b32 v17, v0, s4, 0xc00
	v_dual_mov_b32 v37, v4 :: v_dual_mov_b32 v38, v5
	v_lshl_or_b32 v39, v32, 3, 0xc00
	v_mov_b32_e32 v23, 1
	v_mov_b32_e32 v25, 0
	;; [unrolled: 1-line block ×3, first 2 shown]
	s_add_nc_u64 s[48:49], s[36:37], -1
	s_mul_u64 s[4:5], s[34:35], s[36:37]
	s_add_nc_u64 s[50:51], s[48:49], s[24:25]
	s_lshl_b32 s78, s36, 2
	s_wait_alu 0xfffe
	s_lshl_b64 s[42:43], s[4:5], 2
	s_mov_b32 s79, 30
	s_add_nc_u64 s[56:57], s[6:7], s[46:47]
	s_mov_b32 s81, 0x4f800000
	s_mov_b32 s80, 0
	;; [unrolled: 1-line block ×3, first 2 shown]
                                        ; implicit-def: $sgpr86
                                        ; implicit-def: $sgpr88
                                        ; implicit-def: $sgpr83
                                        ; implicit-def: $sgpr85
                                        ; implicit-def: $sgpr87
                                        ; implicit-def: $sgpr84
	s_branch .LBB92_11
.LBB92_8:                               ;   in Loop: Header=BB92_11 Depth=1
	s_wait_alu 0xfffe
	s_or_b32 exec_lo, exec_lo, s7
	s_delay_alu instid0(SALU_CYCLE_1)
	s_and_b32 s5, s5, exec_lo
	s_and_not1_b32 s20, s20, exec_lo
	s_and_not1_b32 s19, s19, exec_lo
	s_or_not1_b32 s16, s6, exec_lo
.LBB92_9:                               ;   in Loop: Header=BB92_11 Depth=1
	s_wait_alu 0xfffe
	s_or_b32 exec_lo, exec_lo, s4
	s_delay_alu instid0(SALU_CYCLE_1)
	s_and_not1_b32 s4, s84, exec_lo
	s_and_b32 s5, s5, exec_lo
	s_and_not1_b32 s6, s85, exec_lo
	s_wait_alu 0xfffe
	s_or_b32 s84, s4, s5
	s_and_not1_b32 s4, s87, exec_lo
	s_and_b32 s5, s20, exec_lo
	s_and_b32 s7, s19, exec_lo
	s_wait_alu 0xfffe
	s_or_b32 s87, s4, s5
	s_or_b32 s85, s6, s7
	s_or_not1_b32 s16, s16, exec_lo
.LBB92_10:                              ;   in Loop: Header=BB92_11 Depth=1
	s_wait_alu 0xfffe
	s_or_b32 exec_lo, exec_lo, s15
	s_delay_alu instid0(SALU_CYCLE_1)
	s_and_b32 s4, exec_lo, s16
	v_dual_mov_b32 v27, v7 :: v_dual_mov_b32 v26, v6
	s_wait_alu 0xfffe
	s_or_b32 s80, s4, s80
	s_and_not1_b32 s4, s83, exec_lo
	s_and_b32 s5, s84, exec_lo
	s_and_not1_b32 s6, s88, exec_lo
	s_wait_alu 0xfffe
	s_or_b32 s83, s4, s5
	s_and_b32 s4, s87, exec_lo
	s_and_not1_b32 s5, s86, exec_lo
	s_and_b32 s7, s85, exec_lo
	s_wait_alu 0xfffe
	s_or_b32 s88, s6, s4
	s_or_b32 s86, s5, s7
	s_and_not1_b32 exec_lo, exec_lo, s80
	s_cbranch_execz .LBB92_268
.LBB92_11:                              ; =>This Loop Header: Depth=1
                                        ;     Child Loop BB92_17 Depth 2
                                        ;     Child Loop BB92_30 Depth 2
	;; [unrolled: 1-line block ×16, first 2 shown]
	ds_load_b128 v[2:5], v13 offset:5120
	s_wait_dscnt 0x0
	v_readfirstlane_b32 s59, v3
	v_readfirstlane_b32 s58, v2
	s_cmp_lg_u64 s[58:59], 0
	s_cbranch_scc1 .LBB92_38
; %bb.12:                               ;   in Loop: Header=BB92_11 Depth=1
	s_and_b32 vcc_lo, exec_lo, s72
	s_wait_alu 0xfffe
	s_cbranch_vccz .LBB92_25
; %bb.13:                               ;   in Loop: Header=BB92_11 Depth=1
	v_cmp_gt_u64_e32 vcc_lo, 0x301, v[4:5]
	s_mov_b32 s6, 0
	s_mov_b32 s4, 0
	s_cbranch_vccz .LBB92_26
; %bb.14:                               ;   in Loop: Header=BB92_11 Depth=1
	s_and_saveexec_b32 s7, s0
	s_cbranch_execz .LBB92_135
; %bb.15:                               ;   in Loop: Header=BB92_11 Depth=1
	global_load_u16 v2, v13, s[56:57]
	global_load_b32 v7, v[10:11], off
	s_mov_b32 s8, 0
	s_wait_loadcnt 0x1
	v_and_b32_e32 v6, 0xffff, v2
	s_delay_alu instid0(VALU_DEP_1) | instskip(SKIP_2) | instid1(VALU_DEP_3)
	v_add_nc_u32_e32 v4, v0, v6
	v_mul_lo_u32 v5, v6, s53
	v_mul_hi_u32 v9, v6, s52
	v_mad_co_u64_u32 v[2:3], null, s52, v4, s[44:45]
	s_delay_alu instid0(VALU_DEP_1) | instskip(NEXT) | instid1(VALU_DEP_4)
	v_mad_co_u64_u32 v[3:4], null, s53, v4, v[3:4]
	v_add_nc_u32_e32 v4, v5, v40
	s_delay_alu instid0(VALU_DEP_1)
	v_add_nc_u32_e32 v9, v4, v9
	v_mov_b32_e32 v5, v1
	v_mul_lo_u32 v8, v6, s52
	v_mov_b32_e32 v4, v0
	s_branch .LBB92_17
.LBB92_16:                              ;   in Loop: Header=BB92_17 Depth=2
	s_wait_alu 0xfffe
	s_or_b32 exec_lo, exec_lo, s5
	v_add_co_u32 v2, vcc_lo, v2, v8
	s_wait_alu 0xfffd
	v_add_co_ci_u32_e64 v3, null, v3, v9, vcc_lo
	v_mov_b32_e32 v7, v12
	s_and_not1_b32 exec_lo, exec_lo, s8
	s_cbranch_execz .LBB92_135
.LBB92_17:                              ;   Parent Loop BB92_11 Depth=1
                                        ; =>  This Inner Loop Header: Depth=2
	s_delay_alu instid0(VALU_DEP_1)
	v_add_co_u32 v4, vcc_lo, v4, v6
	s_wait_alu 0xfffd
	v_add_co_ci_u32_e64 v5, null, 0, v5, vcc_lo
	s_wait_dscnt 0x0
	v_mov_b32_e32 v24, 0
	v_mov_b32_e32 v12, 0
	s_mov_b32 s5, exec_lo
	v_cmp_le_u64_e32 vcc_lo, s[24:25], v[4:5]
	v_cmpx_gt_u64_e64 s[24:25], v[4:5]
	s_cbranch_execz .LBB92_19
; %bb.18:                               ;   in Loop: Header=BB92_17 Depth=2
	global_load_b32 v12, v[2:3], off
.LBB92_19:                              ;   in Loop: Header=BB92_17 Depth=2
	s_wait_alu 0xfffe
	s_or_b32 exec_lo, exec_lo, s5
	s_wait_loadcnt 0x0
	v_xor_b32_e32 v28, 0x80000000, v7
	s_delay_alu instid0(VALU_DEP_1) | instskip(NEXT) | instid1(VALU_DEP_1)
	v_and_b32_e32 v28, v28, v42
	v_cmp_eq_u32_e64 s4, v28, v19
	s_cmp_lg_u32 s4, 0
	s_cselect_b32 s5, -1, 0
	s_wait_alu 0xfffe
	s_and_b32 s5, s1, s5
	s_wait_alu 0xfffe
	s_and_saveexec_b32 s9, s5
	s_cbranch_execz .LBB92_23
; %bb.20:                               ;   in Loop: Header=BB92_17 Depth=2
	s_mov_b32 s12, exec_lo
	s_bcnt1_i32_b32 s10, s4
	s_wait_alu 0xfffe
	v_mbcnt_lo_u32_b32 v24, s12, 0
	s_mov_b32 s11, exec_lo
                                        ; implicit-def: $vgpr28
	s_delay_alu instid0(VALU_DEP_1)
	v_cmpx_eq_u32_e32 0, v24
; %bb.21:                               ;   in Loop: Header=BB92_17 Depth=2
	s_bcnt1_i32_b32 s5, s12
	s_wait_alu 0xfffe
	s_mul_i32 s5, s10, s5
	s_wait_alu 0xfffe
	v_mov_b32_e32 v28, s5
	ds_add_rtn_u32 v28, v13, v28 offset:5144
; %bb.22:                               ;   in Loop: Header=BB92_17 Depth=2
	s_or_b32 exec_lo, exec_lo, s11
	s_wait_dscnt 0x0
	v_readfirstlane_b32 s5, v28
	s_wait_alu 0xf1ff
	s_delay_alu instid0(VALU_DEP_1)
	v_mad_u32_u24 v24, s10, v24, s5
.LBB92_23:                              ;   in Loop: Header=BB92_17 Depth=2
	s_wait_alu 0xfffe
	s_or_b32 exec_lo, exec_lo, s9
	ds_bpermute_b32 v24, v13, v24
	s_and_b32 s5, exec_lo, vcc_lo
	s_wait_alu 0xfffe
	s_or_b32 s8, s5, s8
	s_and_saveexec_b32 s5, s4
	s_cbranch_execz .LBB92_16
; %bb.24:                               ;   in Loop: Header=BB92_17 Depth=2
	v_and_b32_e32 v28, s4, v34
	s_delay_alu instid0(VALU_DEP_1) | instskip(NEXT) | instid1(VALU_DEP_1)
	v_bcnt_u32_b32 v28, v28, 0
	v_lshlrev_b32_e32 v28, 2, v28
	s_wait_dscnt 0x0
	s_delay_alu instid0(VALU_DEP_1)
	v_lshl_add_u32 v24, v24, 2, v28
	ds_store_b32 v24, v7
	s_branch .LBB92_16
.LBB92_25:                              ;   in Loop: Header=BB92_11 Depth=1
	s_mov_b32 s6, -1
	s_mov_b32 s4, 0
.LBB92_26:                              ;   in Loop: Header=BB92_11 Depth=1
	s_wait_alu 0xfffe
	s_and_b32 vcc_lo, exec_lo, s6
	s_wait_alu 0xfffe
	s_cbranch_vccz .LBB92_36
.LBB92_27:                              ;   in Loop: Header=BB92_11 Depth=1
	s_and_saveexec_b32 s5, s0
	s_cbranch_execz .LBB92_33
; %bb.28:                               ;   in Loop: Header=BB92_11 Depth=1
	global_load_u16 v2, v13, s[56:57]
	global_load_b32 v8, v[10:11], off
	s_mov_b32 s6, exec_lo
	s_wait_loadcnt 0x1
	v_dual_mov_b32 v2, v0 :: v_dual_and_b32 v9, 0xffff, v2
	s_delay_alu instid0(VALU_DEP_1) | instskip(NEXT) | instid1(VALU_DEP_1)
	v_add_nc_u32_e32 v12, v9, v0
	v_cmpx_gt_u64_e64 s[24:25], v[12:13]
	s_cbranch_execz .LBB92_32
; %bb.29:                               ;   in Loop: Header=BB92_11 Depth=1
	v_mul_lo_u32 v5, v9, s53
	v_mad_co_u64_u32 v[2:3], null, s52, v12, s[44:45]
	v_mul_hi_u32 v6, v9, s52
	v_mul_lo_u32 v24, v9, s52
	s_mov_b32 s7, 0
	s_delay_alu instid0(VALU_DEP_4) | instskip(NEXT) | instid1(VALU_DEP_4)
	v_add_nc_u32_e32 v7, v5, v40
	v_mad_co_u64_u32 v[3:4], null, s53, v12, v[3:4]
	v_dual_mov_b32 v4, v12 :: v_dual_mov_b32 v5, v13
	s_delay_alu instid0(VALU_DEP_3)
	v_dual_mov_b32 v7, v1 :: v_dual_add_nc_u32 v12, v7, v6
	v_mov_b32_e32 v6, v0
.LBB92_30:                              ;   Parent Loop BB92_11 Depth=1
                                        ; =>  This Inner Loop Header: Depth=2
	global_load_b32 v28, v[2:3], off
	v_dual_mov_b32 v30, v5 :: v_dual_mov_b32 v29, v4
	v_lshlrev_b32_e32 v6, 2, v6
	s_delay_alu instid0(VALU_DEP_2) | instskip(SKIP_1) | instid1(VALU_DEP_3)
	v_add_co_u32 v4, vcc_lo, v29, v9
	s_wait_alu 0xfffd
	v_add_co_ci_u32_e64 v5, null, 0, v30, vcc_lo
	v_add_co_u32 v2, vcc_lo, v2, v24
	s_wait_alu 0xfffd
	v_add_co_ci_u32_e64 v3, null, v3, v12, vcc_lo
	s_delay_alu instid0(VALU_DEP_3)
	v_cmp_le_u64_e64 s4, s[24:25], v[4:5]
	s_wait_loadcnt 0x1
	ds_store_b32 v6, v8
	v_dual_mov_b32 v6, v29 :: v_dual_mov_b32 v7, v30
	s_wait_alu 0xfffe
	s_or_b32 s7, s4, s7
	s_wait_loadcnt 0x0
	v_mov_b32_e32 v8, v28
	s_wait_alu 0xfffe
	s_and_not1_b32 exec_lo, exec_lo, s7
	s_cbranch_execnz .LBB92_30
; %bb.31:                               ;   in Loop: Header=BB92_11 Depth=1
	s_or_b32 exec_lo, exec_lo, s7
	v_sub_nc_u32_e32 v2, v4, v9
	v_mov_b32_e32 v8, v28
.LBB92_32:                              ;   in Loop: Header=BB92_11 Depth=1
	s_wait_alu 0xfffe
	s_or_b32 exec_lo, exec_lo, s6
	s_delay_alu instid0(VALU_DEP_2)
	v_lshlrev_b32_e32 v2, 2, v2
	s_wait_loadcnt 0x0
	ds_store_b32 v2, v8
.LBB92_33:                              ;   in Loop: Header=BB92_11 Depth=1
	s_wait_alu 0xfffe
	s_or_b32 exec_lo, exec_lo, s5
	s_wait_loadcnt_dscnt 0x0
	s_barrier_signal -1
	s_barrier_wait -1
	global_inv scope:SCOPE_SE
	s_and_saveexec_b32 s4, s2
; %bb.34:                               ;   in Loop: Header=BB92_11 Depth=1
	v_dual_mov_b32 v2, s24 :: v_dual_mov_b32 v3, s25
	ds_store_b64 v13, v[2:3] offset:5120
; %bb.35:                               ;   in Loop: Header=BB92_11 Depth=1
	s_wait_alu 0xfffe
	s_or_b32 exec_lo, exec_lo, s4
	s_mov_b32 s4, -1
	s_wait_loadcnt_dscnt 0x0
	s_barrier_signal -1
	s_barrier_wait -1
.LBB92_36:                              ;   in Loop: Header=BB92_11 Depth=1
	s_wait_alu 0xfffe
	s_and_b32 vcc_lo, exec_lo, s4
	s_mov_b64 s[58:59], 0
	s_wait_alu 0xfffe
	s_cbranch_vccz .LBB92_38
; %bb.37:                               ;   in Loop: Header=BB92_11 Depth=1
	s_wait_loadcnt 0x0
	global_inv scope:SCOPE_SE
	ds_load_b64 v[2:3], v13 offset:5120
	s_wait_dscnt 0x0
	v_readfirstlane_b32 s58, v2
.LBB92_38:                              ;   in Loop: Header=BB92_11 Depth=1
	s_delay_alu instid0(VALU_DEP_1)
	s_cmp_lt_i32 s58, 1
	s_mov_b32 s4, -1
                                        ; implicit-def: $vgpr2_vgpr3
                                        ; implicit-def: $vgpr6_vgpr7
	s_cbranch_scc1 .LBB92_48
; %bb.39:                               ;   in Loop: Header=BB92_11 Depth=1
	s_wait_alu 0xfffe
	s_and_b32 vcc_lo, exec_lo, s4
	s_wait_alu 0xfffe
	s_cbranch_vccnz .LBB92_62
.LBB92_40:                              ;   in Loop: Header=BB92_11 Depth=1
	s_lshl_b32 s4, s82, 7
	s_and_saveexec_b32 s5, s1
	s_cbranch_execz .LBB92_42
.LBB92_41:                              ;   in Loop: Header=BB92_11 Depth=1
	s_wait_alu 0xfffe
	v_lshl_add_u32 v12, s4, 3, v17
	ds_store_b128 v12, v[2:5]
	ds_store_b128 v12, v[6:9] offset:16
.LBB92_42:                              ;   in Loop: Header=BB92_11 Depth=1
	s_wait_alu 0xfffe
	s_or_b32 exec_lo, exec_lo, s5
	s_wait_loadcnt_dscnt 0x0
	s_barrier_signal -1
	s_barrier_wait -1
	global_inv scope:SCOPE_SE
	s_and_saveexec_b32 s5, s33
	s_cbranch_execz .LBB92_76
; %bb.43:                               ;   in Loop: Header=BB92_11 Depth=1
	v_mov_b32_e32 v2, 0
	v_mov_b32_e32 v3, 0
	s_and_not1_b32 vcc_lo, exec_lo, s73
	s_wait_alu 0xfffe
	s_cbranch_vccnz .LBB92_75
; %bb.44:                               ;   in Loop: Header=BB92_11 Depth=1
	v_mov_b32_e32 v2, 0
	v_mov_b32_e32 v3, 0
	s_and_not1_b32 vcc_lo, exec_lo, s75
	s_wait_alu 0xfffe
	s_cbranch_vccnz .LBB92_72
; %bb.45:                               ;   in Loop: Header=BB92_11 Depth=1
	v_lshl_add_u32 v4, s82, 10, v39
	s_mov_b32 s6, 0
.LBB92_46:                              ;   Parent Loop BB92_11 Depth=1
                                        ; =>  This Inner Loop Header: Depth=2
	ds_load_2addr_b64 v[5:8], v4 offset1:4
	ds_load_2addr_b64 v[28:31], v4 offset0:8 offset1:12
	ds_load_2addr_b64 v[43:46], v4 offset0:16 offset1:20
	s_wait_alu 0xfffe
	s_add_co_i32 s6, s6, 8
	s_wait_alu 0xfffe
	s_cmp_eq_u32 s76, s6
	s_wait_dscnt 0x2
	v_add_co_u32 v2, vcc_lo, v5, v2
	s_wait_alu 0xfffd
	v_add_co_ci_u32_e64 v3, null, v6, v3, vcc_lo
	s_delay_alu instid0(VALU_DEP_2) | instskip(SKIP_1) | instid1(VALU_DEP_2)
	v_add_co_u32 v2, vcc_lo, v7, v2
	s_wait_alu 0xfffd
	v_add_co_ci_u32_e64 v3, null, v8, v3, vcc_lo
	ds_load_2addr_b64 v[5:8], v4 offset0:24 offset1:28
	s_wait_dscnt 0x2
	v_add_co_u32 v2, vcc_lo, v28, v2
	s_wait_alu 0xfffd
	v_add_co_ci_u32_e64 v3, null, v29, v3, vcc_lo
	v_add_nc_u32_e32 v4, 0x100, v4
	s_delay_alu instid0(VALU_DEP_3) | instskip(SKIP_1) | instid1(VALU_DEP_3)
	v_add_co_u32 v2, vcc_lo, v30, v2
	s_wait_alu 0xfffd
	v_add_co_ci_u32_e64 v3, null, v31, v3, vcc_lo
	s_wait_dscnt 0x1
	s_delay_alu instid0(VALU_DEP_2) | instskip(SKIP_1) | instid1(VALU_DEP_2)
	v_add_co_u32 v2, vcc_lo, v43, v2
	s_wait_alu 0xfffd
	v_add_co_ci_u32_e64 v3, null, v44, v3, vcc_lo
	s_delay_alu instid0(VALU_DEP_2) | instskip(SKIP_1) | instid1(VALU_DEP_2)
	v_add_co_u32 v2, vcc_lo, v45, v2
	s_wait_alu 0xfffd
	v_add_co_ci_u32_e64 v3, null, v46, v3, vcc_lo
	s_wait_dscnt 0x0
	s_delay_alu instid0(VALU_DEP_2) | instskip(SKIP_1) | instid1(VALU_DEP_2)
	v_add_co_u32 v2, vcc_lo, v5, v2
	s_wait_alu 0xfffd
	v_add_co_ci_u32_e64 v3, null, v6, v3, vcc_lo
	s_delay_alu instid0(VALU_DEP_2) | instskip(SKIP_1) | instid1(VALU_DEP_2)
	v_add_co_u32 v2, vcc_lo, v7, v2
	s_wait_alu 0xfffd
	v_add_co_ci_u32_e64 v3, null, v8, v3, vcc_lo
	s_cbranch_scc0 .LBB92_46
; %bb.47:                               ;   in Loop: Header=BB92_11 Depth=1
	s_mov_b32 s6, s76
	s_and_not1_b32 vcc_lo, exec_lo, s77
	s_wait_alu 0xfffe
	s_cbranch_vccz .LBB92_73
	s_branch .LBB92_75
.LBB92_48:                              ;   in Loop: Header=BB92_11 Depth=1
	global_load_u16 v12, v13, s[56:57]
	s_mov_b32 s5, s25
	s_wait_loadcnt 0x0
	v_readfirstlane_b32 s4, v12
	s_wait_alu 0xfffe
	s_and_b32 s6, 0xffff, s4
	s_mov_b32 s4, s47
	s_wait_alu 0xfffe
	s_lshl_b32 s60, s6, 2
	s_cmp_lg_u64 s[4:5], 0
	s_cbranch_scc0 .LBB92_71
; %bb.49:                               ;   in Loop: Header=BB92_11 Depth=1
	s_wait_alu 0xfffe
	s_cvt_f32_u32 s4, s60
	s_mov_b32 s61, s47
	s_wait_alu 0xfffe
	s_sub_nc_u64 s[6:7], 0, s[60:61]
	s_fmamk_f32 s4, s81, 0x0, s4
	s_wait_alu 0xfffe
	s_delay_alu instid0(SALU_CYCLE_2) | instskip(NEXT) | instid1(TRANS32_DEP_1)
	v_s_rcp_f32 s4, s4
	s_mul_f32 s4, s4, 0x5f7ffffc
	s_wait_alu 0xfffe
	s_delay_alu instid0(SALU_CYCLE_2) | instskip(SKIP_1) | instid1(SALU_CYCLE_2)
	s_mul_f32 s5, s4, 0x2f800000
	s_wait_alu 0xfffe
	s_trunc_f32 s5, s5
	s_wait_alu 0xfffe
	s_delay_alu instid0(SALU_CYCLE_2) | instskip(SKIP_2) | instid1(SALU_CYCLE_1)
	s_fmamk_f32 s4, s5, 0xcf800000, s4
	s_cvt_u32_f32 s5, s5
	s_wait_alu 0xfffe
	s_cvt_u32_f32 s4, s4
	s_wait_alu 0xfffe
	s_delay_alu instid0(SALU_CYCLE_2)
	s_mul_u64 s[8:9], s[6:7], s[4:5]
	s_wait_alu 0xfffe
	s_mul_hi_u32 s11, s4, s9
	s_mul_i32 s10, s4, s9
	s_mul_hi_u32 s46, s4, s8
	s_mul_i32 s13, s5, s8
	s_wait_alu 0xfffe
	s_add_nc_u64 s[10:11], s[46:47], s[10:11]
	s_mul_hi_u32 s12, s5, s8
	s_mul_hi_u32 s14, s5, s9
	s_mul_i32 s8, s5, s9
	s_wait_alu 0xfffe
	s_add_co_u32 s9, s10, s13
	s_add_co_ci_u32 s46, s11, s12
	s_add_co_ci_u32 s9, s14, 0
	s_wait_alu 0xfffe
	s_add_nc_u64 s[8:9], s[46:47], s[8:9]
	s_wait_alu 0xfffe
	s_add_co_u32 s4, s4, s8
	s_cselect_b32 s8, -1, 0
	s_wait_alu 0xfffe
	s_cmp_lg_u32 s8, 0
	s_add_co_ci_u32 s5, s5, s9
	s_wait_alu 0xfffe
	s_mul_u64 s[6:7], s[6:7], s[4:5]
	s_wait_alu 0xfffe
	s_mul_hi_u32 s9, s4, s7
	s_mul_i32 s8, s4, s7
	s_mul_hi_u32 s46, s4, s6
	s_mul_i32 s11, s5, s6
	s_wait_alu 0xfffe
	s_add_nc_u64 s[8:9], s[46:47], s[8:9]
	s_mul_hi_u32 s10, s5, s6
	s_mul_hi_u32 s12, s5, s7
	s_mul_i32 s6, s5, s7
	s_wait_alu 0xfffe
	s_add_co_u32 s7, s8, s11
	s_add_co_ci_u32 s46, s9, s10
	s_add_co_ci_u32 s7, s12, 0
	s_wait_alu 0xfffe
	s_add_nc_u64 s[6:7], s[46:47], s[6:7]
	s_wait_alu 0xfffe
	s_add_co_u32 s4, s4, s6
	s_cselect_b32 s6, -1, 0
	s_wait_alu 0xfffe
	s_mul_hi_u32 s46, s24, s4
	s_cmp_lg_u32 s6, 0
	s_mul_hi_u32 s8, s25, s4
	s_add_co_ci_u32 s6, s5, s7
	s_mul_i32 s7, s25, s4
	s_wait_alu 0xfffe
	s_mul_hi_u32 s5, s24, s6
	s_mul_i32 s4, s24, s6
	s_mul_hi_u32 s9, s25, s6
	s_wait_alu 0xfffe
	s_add_nc_u64 s[4:5], s[46:47], s[4:5]
	s_mul_i32 s6, s25, s6
	s_wait_alu 0xfffe
	s_add_co_u32 s4, s4, s7
	s_add_co_ci_u32 s46, s5, s8
	s_add_co_ci_u32 s7, s9, 0
	s_wait_alu 0xfffe
	s_add_nc_u64 s[4:5], s[46:47], s[6:7]
	s_wait_alu 0xfffe
	s_mul_u64 s[4:5], s[60:61], s[4:5]
	s_wait_alu 0xfffe
	s_sub_co_u32 s4, s24, s4
	s_cselect_b32 s6, -1, 0
	s_wait_alu 0xfffe
	s_cmp_lg_u32 s6, 0
	s_sub_co_ci_u32 s5, s25, s5
	s_sub_co_u32 s6, s4, s60
	s_cselect_b32 s7, -1, 0
	s_wait_alu 0xfffe
	s_cmp_lg_u32 s7, 0
	s_sub_co_ci_u32 s7, s5, 0
	;; [unrolled: 5-line block ×3, first 2 shown]
	s_cmp_ge_u32 s6, s60
	s_cselect_b32 s10, -1, 0
	s_cmp_eq_u32 s7, 0
	s_wait_alu 0xfffe
	s_cselect_b32 s10, s10, -1
	s_wait_alu 0xfffe
	s_cmp_lg_u32 s10, 0
	s_cselect_b32 s7, s9, s7
	s_cselect_b32 s6, s8, s6
	s_cmp_ge_u32 s4, s60
	s_cselect_b32 s8, -1, 0
	s_cmp_eq_u32 s5, 0
	s_wait_alu 0xfffe
	s_cselect_b32 s8, s8, -1
	s_wait_alu 0xfffe
	s_cmp_lg_u32 s8, 0
	s_cselect_b32 s5, s7, s5
	s_cselect_b32 s4, s6, s4
	s_cbranch_execnz .LBB92_51
.LBB92_50:                              ;   in Loop: Header=BB92_11 Depth=1
	s_wait_alu 0xfffe
	v_cvt_f32_u32_e32 v2, s60
	s_sub_co_i32 s5, 0, s60
	s_delay_alu instid0(VALU_DEP_1) | instskip(NEXT) | instid1(TRANS32_DEP_1)
	v_rcp_iflag_f32_e32 v2, v2
	v_mul_f32_e32 v2, 0x4f7ffffe, v2
	s_delay_alu instid0(VALU_DEP_1) | instskip(NEXT) | instid1(VALU_DEP_1)
	v_cvt_u32_f32_e32 v2, v2
	v_readfirstlane_b32 s4, v2
	s_wait_alu 0xfffe
	s_mul_i32 s5, s5, s4
	s_wait_alu 0xfffe
	s_mul_hi_u32 s5, s4, s5
	s_wait_alu 0xfffe
	s_add_co_i32 s4, s4, s5
	s_wait_alu 0xfffe
	s_mul_hi_u32 s4, s24, s4
	s_wait_alu 0xfffe
	s_mul_i32 s4, s4, s60
	s_wait_alu 0xfffe
	s_sub_co_i32 s4, s24, s4
	s_wait_alu 0xfffe
	s_sub_co_i32 s5, s4, s60
	s_cmp_ge_u32 s4, s60
	s_wait_alu 0xfffe
	s_cselect_b32 s4, s5, s4
	s_wait_alu 0xfffe
	s_sub_co_i32 s5, s4, s60
	s_cmp_ge_u32 s4, s60
	s_wait_alu 0xfffe
	s_cselect_b32 s46, s5, s4
	s_wait_alu 0xfffe
	s_mov_b64 s[4:5], s[46:47]
.LBB92_51:                              ;   in Loop: Header=BB92_11 Depth=1
	v_mov_b32_e32 v2, 0
	v_dual_mov_b32 v6, 0 :: v_dual_mov_b32 v3, 0
	v_dual_mov_b32 v4, 0 :: v_dual_mov_b32 v7, 0
	;; [unrolled: 1-line block ×3, first 2 shown]
	v_dual_mov_b32 v9, 0 :: v_dual_and_b32 v12, 0xffff, v12
	s_wait_alu 0xfffe
	s_sub_nc_u64 s[62:63], s[24:25], s[4:5]
	s_mov_b32 s59, exec_lo
	s_wait_alu 0xfffe
	v_cmpx_gt_u64_e64 s[62:63], v[14:15]
	s_cbranch_execz .LBB92_55
; %bb.52:                               ;   in Loop: Header=BB92_11 Depth=1
	v_mul_lo_u32 v2, v12, s55
	v_mul_hi_u32 v3, v12, s54
	v_mul_lo_u32 v24, v12, s54
	v_dual_mov_b32 v31, v15 :: v_dual_mov_b32 v30, v14
	s_mov_b64 s[64:65], 0
	s_mov_b32 s61, 0
	s_mov_b64 s[66:67], 0
	s_delay_alu instid0(VALU_DEP_4) | instskip(SKIP_3) | instid1(VALU_DEP_2)
	v_add_nc_u32_e32 v2, v2, v41
	v_dual_mov_b32 v28, s44 :: v_dual_mov_b32 v29, s45
	s_mov_b64 s[68:69], 0
	s_mov_b64 s[70:71], 0
	v_add_nc_u32_e32 v43, v2, v3
.LBB92_53:                              ;   Parent Loop BB92_11 Depth=1
                                        ; =>  This Inner Loop Header: Depth=2
	s_delay_alu instid0(VALU_DEP_2)
	v_add_co_u32 v2, vcc_lo, v28, v21
	s_wait_alu 0xfffd
	v_add_co_ci_u32_e64 v3, null, v29, v22, vcc_lo
	v_add_co_u32 v4, vcc_lo, v28, v20
	s_wait_alu 0xfffd
	v_add_co_ci_u32_e64 v5, null, v29, v38, vcc_lo
	;; [unrolled: 3-line block ×4, first 2 shown]
	s_clause 0x3
	global_load_b32 v2, v[2:3], off
	global_load_b32 v3, v[4:5], off
	;; [unrolled: 1-line block ×4, first 2 shown]
	v_add_co_u32 v30, vcc_lo, v30, s60
	s_wait_alu 0xfffd
	v_add_co_ci_u32_e64 v31, null, 0, v31, vcc_lo
	v_add_co_u32 v28, vcc_lo, v28, v24
	s_wait_alu 0xfffd
	v_add_co_ci_u32_e64 v29, null, v29, v43, vcc_lo
	s_delay_alu instid0(VALU_DEP_3)
	v_cmp_le_u64_e32 vcc_lo, s[62:63], v[30:31]
	s_wait_loadcnt 0x3
	v_xor_b32_e32 v2, 0x80000000, v2
	s_wait_loadcnt 0x2
	v_xor_b32_e32 v3, 0x80000000, v3
	;; [unrolled: 2-line block ×4, first 2 shown]
	v_and_b32_e32 v6, v2, v42
	v_bfe_u32 v2, v2, s79, 2
	v_and_b32_e32 v7, v3, v42
	v_bfe_u32 v3, v3, s79, 2
	;; [unrolled: 2-line block ×3, first 2 shown]
	v_cmp_eq_u32_e64 s4, v6, v19
	v_cmp_eq_u32_e64 s8, 0, v2
	v_and_b32_e32 v9, v5, v42
	v_bfe_u32 v5, v5, s79, 2
	v_cmp_eq_u32_e64 s5, v7, v19
	v_cmp_eq_u32_e64 s9, 0, v3
	;; [unrolled: 1-line block ×4, first 2 shown]
	s_and_b32 s8, s4, s8
	v_cmp_eq_u32_e64 s7, v9, v19
	v_cmp_eq_u32_e64 s11, 0, v5
	;; [unrolled: 1-line block ×5, first 2 shown]
	s_wait_alu 0xfffe
	v_cndmask_b32_e64 v2, 0, 1, s8
	s_and_b32 s8, s5, s9
	v_cmp_eq_u32_e64 s13, 1, v3
	v_cmp_eq_u32_e64 s17, 2, v3
	v_cmp_eq_u32_e64 s21, 3, v3
	s_wait_alu 0xfffe
	v_cndmask_b32_e64 v3, 0, 1, s8
	s_and_b32 s8, s6, s10
	v_cmp_eq_u32_e64 s14, 1, v4
	v_cmp_eq_u32_e64 s18, 2, v4
	v_cmp_eq_u32_e64 s22, 3, v4
	;; [unrolled: 6-line block ×3, first 2 shown]
	s_wait_alu 0xfffe
	v_cndmask_b32_e64 v5, 0, 1, s8
	s_and_b32 s8, s4, s12
	s_wait_alu 0xfffe
	v_cndmask_b32_e64 v6, 0, 1, s8
	s_and_b32 s8, s5, s13
	;; [unrolled: 3-line block ×4, first 2 shown]
	v_cmp_ne_u32_e64 s9, 0, v7
	s_wait_alu 0xfffe
	v_cndmask_b32_e64 v9, 0, 1, s8
	s_and_b32 s8, s4, s16
	s_and_b32 s4, s4, s20
	s_wait_alu 0xfffe
	v_cndmask_b32_e64 v44, 0, 1, s8
	v_cndmask_b32_e64 v48, 0, 1, s4
	s_and_b32 s4, s5, s21
	s_and_b32 s8, s5, s17
	s_wait_alu 0xfffe
	v_cndmask_b32_e64 v49, 0, 1, s4
	s_and_b32 s4, s6, s22
	v_cndmask_b32_e64 v45, 0, 1, s8
	s_and_b32 s8, s6, s18
	s_wait_alu 0xfffe
	v_cndmask_b32_e64 v50, 0, 1, s4
	s_and_b32 s4, s7, s23
	v_cndmask_b32_e64 v46, 0, 1, s8
	s_and_b32 s8, s7, s19
	s_wait_alu 0xfffe
	v_cndmask_b32_e64 v51, 0, 1, s4
	v_cmp_ne_u32_e64 s4, 0, v2
	v_cmp_ne_u32_e64 s5, 0, v3
	v_cndmask_b32_e64 v47, 0, 1, s8
	v_cmp_ne_u32_e64 s6, 0, v4
	v_cmp_ne_u32_e64 s8, 0, v6
	;; [unrolled: 1-line block ×6, first 2 shown]
	s_bcnt1_i32_b32 s4, s4
	s_bcnt1_i32_b32 s5, s5
	v_cmp_ne_u32_e64 s11, 0, v9
	v_cmp_ne_u32_e64 s14, 0, v46
	;; [unrolled: 1-line block ×4, first 2 shown]
	s_bcnt1_i32_b32 s6, s6
	s_bcnt1_i32_b32 s8, s8
	s_bcnt1_i32_b32 s9, s9
	s_wait_alu 0xfffe
	s_add_co_i32 s4, s5, s4
	v_cmp_ne_u32_e64 s15, 0, v47
	v_cmp_ne_u32_e64 s18, 0, v50
	s_bcnt1_i32_b32 s7, s7
	s_bcnt1_i32_b32 s10, s10
	s_bcnt1_i32_b32 s12, s12
	s_bcnt1_i32_b32 s13, s13
	s_add_co_i32 s5, s9, s8
	s_wait_alu 0xfffe
	s_add_co_i32 s4, s4, s6
	v_cmp_ne_u32_e64 s19, 0, v51
	s_bcnt1_i32_b32 s11, s11
	s_bcnt1_i32_b32 s14, s14
	;; [unrolled: 1-line block ×4, first 2 shown]
	s_add_co_i32 s8, s13, s12
	s_add_co_i32 s5, s5, s10
	s_wait_alu 0xfffe
	s_add_co_i32 s46, s4, s7
	s_bcnt1_i32_b32 s15, s15
	s_bcnt1_i32_b32 s18, s18
	s_add_co_i32 s9, s17, s16
	s_add_co_i32 s6, s8, s14
	s_wait_alu 0xfffe
	s_add_nc_u64 s[70:71], s[70:71], s[46:47]
	s_add_co_i32 s46, s5, s11
	s_bcnt1_i32_b32 s19, s19
	s_add_co_i32 s8, s9, s18
	s_wait_alu 0xfffe
	s_add_nc_u64 s[68:69], s[68:69], s[46:47]
	s_add_co_i32 s46, s6, s15
	v_mov_b32_e32 v2, s70
	s_wait_alu 0xfffe
	s_add_nc_u64 s[66:67], s[66:67], s[46:47]
	s_add_co_i32 s46, s8, s19
	v_mov_b32_e32 v4, s68
	s_wait_alu 0xfffe
	s_add_nc_u64 s[64:65], s[64:65], s[46:47]
	v_mov_b32_e32 v3, s71
	v_dual_mov_b32 v5, s69 :: v_dual_mov_b32 v6, s66
	s_wait_alu 0xfffe
	v_dual_mov_b32 v7, s67 :: v_dual_mov_b32 v8, s64
	v_mov_b32_e32 v9, s65
	s_or_b32 s61, vcc_lo, s61
	s_wait_alu 0xfffe
	s_and_not1_b32 exec_lo, exec_lo, s61
	s_cbranch_execnz .LBB92_53
; %bb.54:                               ;   in Loop: Header=BB92_11 Depth=1
	s_or_b32 exec_lo, exec_lo, s61
.LBB92_55:                              ;   in Loop: Header=BB92_11 Depth=1
	s_delay_alu instid0(SALU_CYCLE_1)
	s_or_b32 exec_lo, exec_lo, s59
	v_add_co_u32 v28, s4, s62, v0
	s_wait_alu 0xf1ff
	v_add_co_ci_u32_e64 v29, null, s63, 0, s4
	s_mov_b32 s7, exec_lo
	v_cmpx_gt_u64_e64 s[24:25], v[28:29]
	s_cbranch_execz .LBB92_61
; %bb.56:                               ;   in Loop: Header=BB92_11 Depth=1
	v_mul_lo_u32 v24, v29, s34
	v_mul_lo_u32 v43, v28, s35
	v_mad_co_u64_u32 v[30:31], null, v28, s34, 0
	s_mov_b32 s8, 0
	v_add3_u32 v31, v31, v43, v24
	s_delay_alu instid0(VALU_DEP_1) | instskip(NEXT) | instid1(VALU_DEP_1)
	v_lshlrev_b64_e32 v[30:31], 2, v[30:31]
	v_add_co_u32 v30, vcc_lo, s44, v30
	s_wait_alu 0xfffd
	s_delay_alu instid0(VALU_DEP_2)
	v_add_co_ci_u32_e64 v31, null, s45, v31, vcc_lo
	global_load_b32 v30, v[30:31], off
	s_branch .LBB92_58
.LBB92_57:                              ;   in Loop: Header=BB92_58 Depth=2
	s_wait_alu 0xfffe
	s_or_b32 exec_lo, exec_lo, s5
	s_wait_loadcnt 0x0
	v_xor_b32_e32 v30, 0x80000000, v30
	s_and_b32 s6, exec_lo, vcc_lo
	s_wait_alu 0xfffe
	s_or_b32 s8, s6, s8
	s_delay_alu instid0(VALU_DEP_1) | instskip(SKIP_1) | instid1(VALU_DEP_2)
	v_and_b32_e32 v31, v30, v42
	v_bfe_u32 v30, v30, s79, 2
	v_cmp_eq_u32_e64 s4, v31, v19
	s_delay_alu instid0(VALU_DEP_2)
	v_cmp_eq_u32_e64 s5, 0, v30
	v_cmp_eq_u32_e32 vcc_lo, 1, v30
	v_cmp_eq_u32_e64 s6, 2, v30
	s_and_b32 s5, s4, s5
	s_wait_alu 0xfffe
	v_cndmask_b32_e64 v31, 0, 1, s5
	s_and_b32 s5, s4, vcc_lo
	v_cmp_eq_u32_e32 vcc_lo, 3, v30
	s_wait_alu 0xfffe
	v_cndmask_b32_e64 v43, 0, 1, s5
	s_and_b32 s5, s4, s6
	s_wait_alu 0xfffe
	v_cndmask_b32_e64 v30, 0, 1, s5
	v_cmp_ne_u32_e64 s5, 0, v31
	v_cmp_ne_u32_e64 s6, 0, v43
	s_and_b32 s4, s4, vcc_lo
	s_wait_alu 0xfffe
	v_cndmask_b32_e64 v31, 0, 1, s4
	s_bcnt1_i32_b32 s4, s5
	v_cmp_ne_u32_e32 vcc_lo, 0, v30
	s_bcnt1_i32_b32 s5, s6
	s_wait_alu 0xfffe
	v_add_co_u32 v2, s4, v2, s4
	s_wait_alu 0xf1ff
	v_add_co_ci_u32_e64 v3, null, 0, v3, s4
	v_add_co_u32 v4, s4, v4, s5
	s_wait_alu 0xf1ff
	v_add_co_ci_u32_e64 v5, null, 0, v5, s4
	s_bcnt1_i32_b32 s4, vcc_lo
	v_cmp_ne_u32_e32 vcc_lo, 0, v31
	s_wait_alu 0xfffe
	v_add_co_u32 v6, s4, v6, s4
	s_wait_alu 0xf1ff
	v_add_co_ci_u32_e64 v7, null, 0, v7, s4
	s_bcnt1_i32_b32 s4, vcc_lo
	v_mov_b32_e32 v30, v24
	s_wait_alu 0xfffe
	v_add_co_u32 v8, vcc_lo, v8, s4
	s_wait_alu 0xfffd
	v_add_co_ci_u32_e64 v9, null, 0, v9, vcc_lo
	s_and_not1_b32 exec_lo, exec_lo, s8
	s_cbranch_execz .LBB92_60
.LBB92_58:                              ;   Parent Loop BB92_11 Depth=1
                                        ; =>  This Inner Loop Header: Depth=2
	v_add_co_u32 v28, vcc_lo, v28, v12
	s_wait_alu 0xfffd
	v_add_co_ci_u32_e64 v29, null, 0, v29, vcc_lo
	v_mov_b32_e32 v24, 0
	s_mov_b32 s5, exec_lo
	s_delay_alu instid0(VALU_DEP_2)
	v_cmp_le_u64_e32 vcc_lo, s[24:25], v[28:29]
	v_cmpx_gt_u64_e64 s[24:25], v[28:29]
	s_cbranch_execz .LBB92_57
; %bb.59:                               ;   in Loop: Header=BB92_58 Depth=2
	v_mul_lo_u32 v24, v29, s34
	v_mul_lo_u32 v31, v28, s35
	v_mad_co_u64_u32 v[43:44], null, v28, s34, 0
	s_delay_alu instid0(VALU_DEP_1) | instskip(NEXT) | instid1(VALU_DEP_1)
	v_add3_u32 v44, v44, v31, v24
	v_lshlrev_b64_e32 v[43:44], 2, v[43:44]
	s_delay_alu instid0(VALU_DEP_1) | instskip(SKIP_1) | instid1(VALU_DEP_2)
	v_add_co_u32 v43, s4, s44, v43
	s_wait_alu 0xf1ff
	v_add_co_ci_u32_e64 v44, null, s45, v44, s4
	global_load_b32 v24, v[43:44], off
	s_branch .LBB92_57
.LBB92_60:                              ;   in Loop: Header=BB92_11 Depth=1
	s_or_b32 exec_lo, exec_lo, s8
.LBB92_61:                              ;   in Loop: Header=BB92_11 Depth=1
	s_wait_alu 0xfffe
	s_or_b32 exec_lo, exec_lo, s7
	s_branch .LBB92_40
.LBB92_62:                              ;   in Loop: Header=BB92_11 Depth=1
	global_load_u16 v2, v13, s[56:57]
	v_mov_b32_e32 v4, 0
	v_mov_b32_e32 v6, 0
	v_dual_mov_b32 v8, 0 :: v_dual_mov_b32 v7, 0
	v_mov_b32_e32 v9, 0
	s_mov_b32 s70, exec_lo
	v_mov_b32_e32 v5, 0
	s_wait_loadcnt 0x0
	v_readfirstlane_b32 s4, v2
	v_and_b32_e32 v12, 0xffff, v2
	s_and_b32 s68, 0xffff, s4
	s_wait_alu 0xfffe
	s_lshl_b32 s59, s68, 2
	s_wait_alu 0xfffe
	s_cvt_f32_u32 s4, s59
	s_sub_co_i32 s5, 0, s59
	s_wait_alu 0xfffe
	s_delay_alu instid0(SALU_CYCLE_1) | instskip(NEXT) | instid1(TRANS32_DEP_1)
	v_rcp_iflag_f32_e32 v3, s4
	v_readfirstlane_b32 s4, v3
	s_mul_f32 s4, s4, 0x4f7ffffe
	s_wait_alu 0xfffe
	s_delay_alu instid0(SALU_CYCLE_2) | instskip(SKIP_1) | instid1(SALU_CYCLE_2)
	s_cvt_u32_f32 s4, s4
	s_wait_alu 0xfffe
	s_mul_i32 s5, s5, s4
	s_wait_alu 0xfffe
	s_mul_hi_u32 s5, s4, s5
	s_wait_alu 0xfffe
	s_add_co_i32 s4, s4, s5
	s_wait_alu 0xfffe
	s_mul_hi_u32 s4, s58, s4
	s_wait_alu 0xfffe
	s_mul_i32 s5, s4, s59
	s_add_co_i32 s6, s4, 1
	s_wait_alu 0xfffe
	s_sub_co_i32 s5, s58, s5
	s_wait_alu 0xfffe
	s_sub_co_i32 s7, s5, s59
	s_cmp_ge_u32 s5, s59
	s_cselect_b32 s4, s6, s4
	s_wait_alu 0xfffe
	s_cselect_b32 s5, s7, s5
	s_add_co_i32 s6, s4, 1
	s_wait_alu 0xfffe
	s_cmp_ge_u32 s5, s59
	s_cselect_b32 s69, s6, s4
	s_wait_alu 0xfffe
	v_mul_hi_u32 v3, s69, v12
	v_mul_lo_u32 v2, s69, v12
	s_delay_alu instid0(VALU_DEP_1) | instskip(SKIP_2) | instid1(VALU_DEP_3)
	v_lshlrev_b64_e32 v[28:29], 2, v[2:3]
	v_mov_b32_e32 v2, 0
	v_mov_b32_e32 v3, 0
	v_cmpx_gt_u64_e64 v[28:29], v[14:15]
	s_cbranch_execz .LBB92_66
; %bb.63:                               ;   in Loop: Header=BB92_11 Depth=1
	v_dual_mov_b32 v24, v35 :: v_dual_mov_b32 v31, v15
	v_mov_b32_e32 v30, v14
	s_lshl_b32 s71, s68, 4
	s_mov_b64 s[60:61], 0
	s_mov_b32 s89, 0
	s_mov_b64 s[62:63], 0
	s_mov_b64 s[64:65], 0
	;; [unrolled: 1-line block ×3, first 2 shown]
.LBB92_64:                              ;   Parent Loop BB92_11 Depth=1
                                        ; =>  This Inner Loop Header: Depth=2
	ds_load_b128 v[2:5], v24
	v_add_co_u32 v30, vcc_lo, v30, s59
	s_wait_alu 0xfffd
	v_add_co_ci_u32_e64 v31, null, 0, v31, vcc_lo
	s_delay_alu instid0(VALU_DEP_1)
	v_cmp_ge_u64_e32 vcc_lo, v[30:31], v[28:29]
	s_wait_dscnt 0x0
	v_xor_b32_e32 v2, 0x80000000, v2
	v_xor_b32_e32 v3, 0x80000000, v3
	;; [unrolled: 1-line block ×4, first 2 shown]
	s_delay_alu instid0(VALU_DEP_4)
	v_and_b32_e32 v6, v2, v42
	v_bfe_u32 v2, v2, s79, 2
	v_and_b32_e32 v7, v3, v42
	v_bfe_u32 v3, v3, s79, 2
	;; [unrolled: 2-line block ×3, first 2 shown]
	v_cmp_eq_u32_e64 s4, v6, v19
	v_cmp_eq_u32_e64 s8, 0, v2
	v_and_b32_e32 v9, v5, v42
	v_bfe_u32 v5, v5, s79, 2
	v_cmp_eq_u32_e64 s5, v7, v19
	v_cmp_eq_u32_e64 s9, 0, v3
	;; [unrolled: 1-line block ×4, first 2 shown]
	s_and_b32 s8, s4, s8
	v_cmp_eq_u32_e64 s7, v9, v19
	v_cmp_eq_u32_e64 s11, 0, v5
	;; [unrolled: 1-line block ×5, first 2 shown]
	s_wait_alu 0xfffe
	v_cndmask_b32_e64 v2, 0, 1, s8
	s_and_b32 s8, s5, s9
	v_cmp_eq_u32_e64 s13, 1, v3
	v_cmp_eq_u32_e64 s17, 2, v3
	v_cmp_eq_u32_e64 s21, 3, v3
	s_wait_alu 0xfffe
	v_cndmask_b32_e64 v3, 0, 1, s8
	s_and_b32 s8, s6, s10
	v_cmp_eq_u32_e64 s14, 1, v4
	v_cmp_eq_u32_e64 s18, 2, v4
	v_cmp_eq_u32_e64 s22, 3, v4
	;; [unrolled: 6-line block ×3, first 2 shown]
	s_wait_alu 0xfffe
	v_cndmask_b32_e64 v5, 0, 1, s8
	s_and_b32 s8, s4, s12
	s_wait_alu 0xfffe
	v_cndmask_b32_e64 v6, 0, 1, s8
	s_and_b32 s8, s5, s13
	;; [unrolled: 3-line block ×4, first 2 shown]
	v_cmp_ne_u32_e64 s9, 0, v7
	s_wait_alu 0xfffe
	v_cndmask_b32_e64 v9, 0, 1, s8
	s_and_b32 s8, s4, s16
	s_and_b32 s4, s4, s20
	s_wait_alu 0xfffe
	v_cndmask_b32_e64 v43, 0, 1, s8
	v_cndmask_b32_e64 v47, 0, 1, s4
	s_and_b32 s4, s5, s21
	s_and_b32 s8, s5, s17
	s_wait_alu 0xfffe
	v_cndmask_b32_e64 v48, 0, 1, s4
	s_and_b32 s4, s6, s22
	v_cndmask_b32_e64 v44, 0, 1, s8
	s_and_b32 s8, s6, s18
	s_wait_alu 0xfffe
	v_cndmask_b32_e64 v49, 0, 1, s4
	s_and_b32 s4, s7, s23
	v_cndmask_b32_e64 v45, 0, 1, s8
	s_and_b32 s8, s7, s19
	s_wait_alu 0xfffe
	v_cndmask_b32_e64 v50, 0, 1, s4
	v_cmp_ne_u32_e64 s4, 0, v2
	v_cmp_ne_u32_e64 s5, 0, v3
	v_cndmask_b32_e64 v46, 0, 1, s8
	v_cmp_ne_u32_e64 s6, 0, v4
	v_cmp_ne_u32_e64 s8, 0, v6
	;; [unrolled: 1-line block ×6, first 2 shown]
	s_bcnt1_i32_b32 s4, s4
	s_bcnt1_i32_b32 s5, s5
	v_cmp_ne_u32_e64 s11, 0, v9
	v_cmp_ne_u32_e64 s14, 0, v45
	;; [unrolled: 1-line block ×4, first 2 shown]
	s_bcnt1_i32_b32 s6, s6
	s_bcnt1_i32_b32 s8, s8
	;; [unrolled: 1-line block ×3, first 2 shown]
	s_wait_alu 0xfffe
	s_add_co_i32 s4, s5, s4
	v_cmp_ne_u32_e64 s15, 0, v46
	v_cmp_ne_u32_e64 s18, 0, v49
	s_bcnt1_i32_b32 s7, s7
	s_bcnt1_i32_b32 s10, s10
	;; [unrolled: 1-line block ×4, first 2 shown]
	s_add_co_i32 s5, s9, s8
	s_wait_alu 0xfffe
	s_add_co_i32 s4, s4, s6
	v_cmp_ne_u32_e64 s19, 0, v50
	s_bcnt1_i32_b32 s11, s11
	s_bcnt1_i32_b32 s14, s14
	s_bcnt1_i32_b32 s16, s16
	s_bcnt1_i32_b32 s17, s17
	s_add_co_i32 s8, s13, s12
	s_add_co_i32 s5, s5, s10
	s_wait_alu 0xfffe
	s_add_co_i32 s46, s4, s7
	s_bcnt1_i32_b32 s15, s15
	s_bcnt1_i32_b32 s18, s18
	s_add_co_i32 s9, s17, s16
	s_add_co_i32 s6, s8, s14
	s_wait_alu 0xfffe
	s_add_nc_u64 s[66:67], s[66:67], s[46:47]
	s_add_co_i32 s46, s5, s11
	s_bcnt1_i32_b32 s19, s19
	s_add_co_i32 s8, s9, s18
	s_wait_alu 0xfffe
	s_add_nc_u64 s[64:65], s[64:65], s[46:47]
	s_add_co_i32 s46, s6, s15
	v_mov_b32_e32 v2, s66
	s_wait_alu 0xfffe
	s_add_nc_u64 s[62:63], s[62:63], s[46:47]
	s_add_co_i32 s46, s8, s19
	v_mov_b32_e32 v4, s64
	s_wait_alu 0xfffe
	s_add_nc_u64 s[60:61], s[60:61], s[46:47]
	v_mov_b32_e32 v6, s62
	s_wait_alu 0xfffe
	v_mov_b32_e32 v8, s60
	v_dual_mov_b32 v3, s67 :: v_dual_add_nc_u32 v24, s71, v24
	v_mov_b32_e32 v5, s65
	v_mov_b32_e32 v7, s63
	;; [unrolled: 1-line block ×3, first 2 shown]
	s_or_b32 s89, vcc_lo, s89
	s_delay_alu instid0(SALU_CYCLE_1)
	s_and_not1_b32 exec_lo, exec_lo, s89
	s_cbranch_execnz .LBB92_64
; %bb.65:                               ;   in Loop: Header=BB92_11 Depth=1
	s_or_b32 exec_lo, exec_lo, s89
.LBB92_66:                              ;   in Loop: Header=BB92_11 Depth=1
	s_delay_alu instid0(SALU_CYCLE_1)
	s_or_b32 exec_lo, exec_lo, s70
	v_add_co_u32 v28, vcc_lo, v28, v0
	s_wait_alu 0xfffd
	v_add_co_ci_u32_e64 v29, null, 0, v29, vcc_lo
	s_and_b32 s46, s58, 0x7fffffff
	s_mov_b32 s9, exec_lo
	s_wait_alu 0xfffe
	v_cmpx_gt_u64_e64 s[46:47], v[28:29]
	s_cbranch_execz .LBB92_70
; %bb.67:                               ;   in Loop: Header=BB92_11 Depth=1
	s_mul_i32 s69, s69, s68
	s_mov_b32 s10, 0
	s_wait_alu 0xfffe
	v_lshl_add_u32 v24, s69, 4, v14
.LBB92_68:                              ;   Parent Loop BB92_11 Depth=1
                                        ; =>  This Inner Loop Header: Depth=2
	ds_load_b32 v30, v24
	v_add_co_u32 v28, vcc_lo, v28, v12
	s_wait_alu 0xfffd
	v_add_co_ci_u32_e64 v29, null, 0, v29, vcc_lo
	v_add_nc_u32_e32 v24, s59, v24
	s_delay_alu instid0(VALU_DEP_2) | instskip(SKIP_2) | instid1(VALU_DEP_1)
	v_cmp_le_u64_e32 vcc_lo, s[46:47], v[28:29]
	s_wait_dscnt 0x0
	v_xor_b32_e32 v30, 0x80000000, v30
	v_and_b32_e32 v31, v30, v42
	v_bfe_u32 v30, v30, s79, 2
	s_delay_alu instid0(VALU_DEP_2) | instskip(NEXT) | instid1(VALU_DEP_2)
	v_cmp_eq_u32_e64 s4, v31, v19
	v_cmp_eq_u32_e64 s5, 0, v30
	;; [unrolled: 1-line block ×5, first 2 shown]
	s_and_b32 s5, s4, s5
	s_wait_alu 0xfffe
	v_cndmask_b32_e64 v30, 0, 1, s5
	s_and_b32 s5, s4, s6
	s_wait_alu 0xfffe
	v_cndmask_b32_e64 v31, 0, 1, s5
	s_and_b32 s5, s4, s7
	s_and_b32 s4, s4, s8
	s_wait_alu 0xfffe
	v_cndmask_b32_e64 v43, 0, 1, s5
	v_cndmask_b32_e64 v44, 0, 1, s4
	v_cmp_ne_u32_e64 s4, 0, v30
	v_cmp_ne_u32_e64 s5, 0, v31
	s_delay_alu instid0(VALU_DEP_4) | instskip(NEXT) | instid1(VALU_DEP_4)
	v_cmp_ne_u32_e64 s6, 0, v43
	v_cmp_ne_u32_e64 s7, 0, v44
	s_bcnt1_i32_b32 s4, s4
	s_bcnt1_i32_b32 s5, s5
	s_wait_alu 0xfffe
	v_add_co_u32 v2, s4, v2, s4
	s_bcnt1_i32_b32 s6, s6
	v_add_co_ci_u32_e64 v3, null, 0, v3, s4
	v_add_co_u32 v4, s4, v4, s5
	s_bcnt1_i32_b32 s7, s7
	v_add_co_ci_u32_e64 v5, null, 0, v5, s4
	s_wait_alu 0xfffe
	v_add_co_u32 v6, s4, v6, s6
	s_wait_alu 0xf1ff
	v_add_co_ci_u32_e64 v7, null, 0, v7, s4
	v_add_co_u32 v8, s4, v8, s7
	s_wait_alu 0xf1ff
	v_add_co_ci_u32_e64 v9, null, 0, v9, s4
	s_or_b32 s10, vcc_lo, s10
	s_wait_alu 0xfffe
	s_and_not1_b32 exec_lo, exec_lo, s10
	s_cbranch_execnz .LBB92_68
; %bb.69:                               ;   in Loop: Header=BB92_11 Depth=1
	s_or_b32 exec_lo, exec_lo, s10
.LBB92_70:                              ;   in Loop: Header=BB92_11 Depth=1
	s_wait_alu 0xfffe
	s_or_b32 exec_lo, exec_lo, s9
	s_lshl_b32 s4, s82, 7
	s_and_saveexec_b32 s5, s1
	s_cbranch_execnz .LBB92_41
	s_branch .LBB92_42
.LBB92_71:                              ;   in Loop: Header=BB92_11 Depth=1
                                        ; implicit-def: $sgpr4_sgpr5
	s_branch .LBB92_50
.LBB92_72:                              ;   in Loop: Header=BB92_11 Depth=1
	s_mov_b32 s6, 0
	s_and_not1_b32 vcc_lo, exec_lo, s77
	s_wait_alu 0xfffe
	s_cbranch_vccnz .LBB92_75
.LBB92_73:                              ;   in Loop: Header=BB92_11 Depth=1
	s_lshl_b32 s7, s82, 10
	s_lshl_b32 s6, s6, 5
	s_wait_alu 0xfffe
	v_add3_u32 v4, s7, s6, v39
	s_mov_b32 s6, s74
.LBB92_74:                              ;   Parent Loop BB92_11 Depth=1
                                        ; =>  This Inner Loop Header: Depth=2
	ds_load_b64 v[5:6], v4
	v_add_nc_u32_e32 v4, 32, v4
	s_wait_alu 0xfffe
	s_add_co_i32 s6, s6, -1
	s_wait_alu 0xfffe
	s_cmp_lg_u32 s6, 0
	s_wait_dscnt 0x0
	v_add_co_u32 v2, vcc_lo, v5, v2
	s_wait_alu 0xfffd
	v_add_co_ci_u32_e64 v3, null, v6, v3, vcc_lo
	s_cbranch_scc1 .LBB92_74
.LBB92_75:                              ;   in Loop: Header=BB92_11 Depth=1
	v_add_lshl_u32 v4, s4, v32, 3
	ds_store_b64 v4, v[2:3] offset:3072
.LBB92_76:                              ;   in Loop: Header=BB92_11 Depth=1
	s_wait_alu 0xfffe
	s_or_b32 exec_lo, exec_lo, s5
	s_lshl_b32 s4, s4, 3
	s_wait_loadcnt_dscnt 0x0
	s_wait_alu 0xfffe
	v_mov_b32_e32 v6, s4
	s_barrier_signal -1
	s_barrier_wait -1
	global_inv scope:SCOPE_SE
	v_cmp_eq_u64_e32 vcc_lo, 1, v[26:27]
	ds_load_b128 v[2:5], v6 offset:3072
	ds_load_b128 v[6:9], v6 offset:3088
	s_lshl_b32 s14, 3, s79
	s_mov_b32 s16, -1
	s_wait_alu 0xfffe
	s_not_b32 s18, s14
                                        ; implicit-def: $sgpr20
                                        ; implicit-def: $sgpr19
	s_wait_dscnt 0x1
	v_cmp_eq_u64_e64 s4, 1, v[2:3]
	s_wait_dscnt 0x0
	v_readfirstlane_b32 s8, v6
	v_readfirstlane_b32 s9, v7
	;; [unrolled: 1-line block ×4, first 2 shown]
	s_and_b32 s17, s4, vcc_lo
	s_mov_b32 s4, -1
	s_and_saveexec_b32 s15, s17
	s_cbranch_execz .LBB92_108
; %bb.77:                               ;   in Loop: Header=BB92_11 Depth=1
	ds_load_b64 v[6:7], v13 offset:5120
	s_wait_loadcnt_dscnt 0x0
	s_barrier_signal -1
	s_barrier_wait -1
	global_inv scope:SCOPE_SE
	v_readfirstlane_b32 s4, v6
	v_readfirstlane_b32 s5, v7
	s_and_saveexec_b32 s10, s3
; %bb.78:                               ;   in Loop: Header=BB92_11 Depth=1
	ds_store_b32 v33, v13
; %bb.79:                               ;   in Loop: Header=BB92_11 Depth=1
	s_wait_alu 0xfffe
	s_or_b32 exec_lo, exec_lo, s10
	v_and_b32_e32 v19, s18, v19
	v_or_b32_e32 v42, s14, v42
	s_mov_b32 s19, -1
	s_mov_b32 s20, 0
	s_cmp_eq_u64 s[4:5], 0
	s_mov_b32 s12, 0
	s_mov_b32 s13, -1
	s_wait_loadcnt_dscnt 0x0
	s_barrier_signal -1
	s_barrier_wait -1
	global_inv scope:SCOPE_SE
                                        ; implicit-def: $vgpr25
	s_cbranch_scc1 .LBB92_93
; %bb.80:                               ;   in Loop: Header=BB92_11 Depth=1
	s_add_nc_u64 s[10:11], s[4:5], s[48:49]
	s_mov_b32 s12, s47
	s_wait_alu 0xfffe
	s_mov_b32 s13, s11
	s_wait_alu 0xfffe
	s_cmp_lg_u64 s[12:13], 0
	s_cbranch_scc0 .LBB92_134
; %bb.81:                               ;   in Loop: Header=BB92_11 Depth=1
	s_cvt_f32_u32 s12, s36
	s_sub_nc_u64 s[22:23], 0, s[36:37]
	s_wait_alu 0xfffe
	s_delay_alu instid0(SALU_CYCLE_1) | instskip(SKIP_1) | instid1(SALU_CYCLE_2)
	s_fmamk_f32 s12, s81, 0x0, s12
	s_wait_alu 0xfffe
	v_s_rcp_f32 s12, s12
	s_delay_alu instid0(TRANS32_DEP_1) | instskip(SKIP_1) | instid1(SALU_CYCLE_2)
	s_mul_f32 s12, s12, 0x5f7ffffc
	s_wait_alu 0xfffe
	s_mul_f32 s13, s12, 0x2f800000
	s_wait_alu 0xfffe
	s_delay_alu instid0(SALU_CYCLE_2) | instskip(SKIP_1) | instid1(SALU_CYCLE_2)
	s_trunc_f32 s13, s13
	s_wait_alu 0xfffe
	s_fmamk_f32 s12, s13, 0xcf800000, s12
	s_cvt_u32_f32 s13, s13
	s_wait_alu 0xfffe
	s_delay_alu instid0(SALU_CYCLE_1) | instskip(SKIP_1) | instid1(SALU_CYCLE_2)
	s_cvt_u32_f32 s12, s12
	s_wait_alu 0xfffe
	s_mul_u64 s[58:59], s[22:23], s[12:13]
	s_wait_alu 0xfffe
	s_mul_hi_u32 s61, s12, s59
	s_mul_i32 s60, s12, s59
	s_mul_hi_u32 s46, s12, s58
	s_mul_i32 s62, s13, s58
	s_wait_alu 0xfffe
	s_add_nc_u64 s[60:61], s[46:47], s[60:61]
	s_mul_hi_u32 s21, s13, s58
	s_mul_hi_u32 s63, s13, s59
	s_wait_alu 0xfffe
	s_add_co_u32 s46, s60, s62
	s_add_co_ci_u32 s46, s61, s21
	s_mul_i32 s58, s13, s59
	s_add_co_ci_u32 s59, s63, 0
	s_wait_alu 0xfffe
	s_add_nc_u64 s[58:59], s[46:47], s[58:59]
	s_wait_alu 0xfffe
	s_add_co_u32 s12, s12, s58
	s_cselect_b32 s21, -1, 0
	s_delay_alu instid0(SALU_CYCLE_1) | instskip(SKIP_3) | instid1(SALU_CYCLE_1)
	s_cmp_lg_u32 s21, 0
	s_add_co_ci_u32 s13, s13, s59
	s_wait_alu 0xfffe
	s_mul_u64 s[22:23], s[22:23], s[12:13]
	s_mul_hi_u32 s59, s12, s23
	s_mul_i32 s58, s12, s23
	s_mul_hi_u32 s46, s12, s22
	s_mul_i32 s60, s13, s22
	s_wait_alu 0xfffe
	s_add_nc_u64 s[58:59], s[46:47], s[58:59]
	s_mul_hi_u32 s21, s13, s22
	s_mul_hi_u32 s61, s13, s23
	s_mul_i32 s22, s13, s23
	s_wait_alu 0xfffe
	s_add_co_u32 s23, s58, s60
	s_add_co_ci_u32 s46, s59, s21
	s_add_co_ci_u32 s23, s61, 0
	s_wait_alu 0xfffe
	s_add_nc_u64 s[22:23], s[46:47], s[22:23]
	s_delay_alu instid0(SALU_CYCLE_1)
	s_add_co_u32 s12, s12, s22
	s_cselect_b32 s21, -1, 0
	s_wait_alu 0xfffe
	s_mul_hi_u32 s46, s10, s12
	s_cmp_lg_u32 s21, 0
	s_mul_hi_u32 s21, s11, s12
	s_add_co_ci_u32 s22, s13, s23
	s_mul_i32 s23, s11, s12
	s_mul_hi_u32 s13, s10, s22
	s_mul_i32 s12, s10, s22
	s_mul_hi_u32 s58, s11, s22
	s_wait_alu 0xfffe
	s_add_nc_u64 s[12:13], s[46:47], s[12:13]
	s_mul_i32 s22, s11, s22
	s_wait_alu 0xfffe
	s_add_co_u32 s12, s12, s23
	s_add_co_ci_u32 s46, s13, s21
	s_add_co_ci_u32 s23, s58, 0
	s_wait_alu 0xfffe
	s_add_nc_u64 s[12:13], s[46:47], s[22:23]
	s_wait_alu 0xfffe
	s_mul_u64 s[12:13], s[36:37], s[12:13]
	s_wait_alu 0xfffe
	s_sub_co_u32 s12, s10, s12
	s_cselect_b32 s21, -1, 0
	s_delay_alu instid0(SALU_CYCLE_1) | instskip(SKIP_4) | instid1(SALU_CYCLE_1)
	s_cmp_lg_u32 s21, 0
	s_sub_co_ci_u32 s13, s11, s13
	s_wait_alu 0xfffe
	s_sub_co_u32 s21, s12, s36
	s_cselect_b32 s22, -1, 0
	s_cmp_lg_u32 s22, 0
	s_sub_co_ci_u32 s22, s13, 0
	s_sub_co_u32 s23, s21, s36
	s_cselect_b32 s46, -1, 0
	s_wait_alu 0xfffe
	s_cmp_lg_u32 s46, 0
	s_sub_co_ci_u32 s46, s22, 0
	s_cmp_ge_u32 s21, s36
	s_cselect_b32 s58, -1, 0
	s_cmp_eq_u32 s22, 0
	s_wait_alu 0xfffe
	s_cselect_b32 s58, s58, -1
	s_wait_alu 0xfffe
	s_cmp_lg_u32 s58, 0
	s_cselect_b32 s22, s46, s22
	s_cselect_b32 s21, s23, s21
	s_cmp_ge_u32 s12, s36
	s_cselect_b32 s23, -1, 0
	s_cmp_eq_u32 s13, 0
	s_cselect_b32 s23, s23, -1
	s_delay_alu instid0(SALU_CYCLE_1)
	s_cmp_lg_u32 s23, 0
	s_cselect_b32 s13, s22, s13
	s_cselect_b32 s12, s21, s12
	s_cbranch_execnz .LBB92_83
.LBB92_82:                              ;   in Loop: Header=BB92_11 Depth=1
	v_cvt_f32_u32_e32 v6, s36
	s_sub_co_i32 s13, 0, s36
	s_delay_alu instid0(VALU_DEP_1) | instskip(NEXT) | instid1(TRANS32_DEP_1)
	v_rcp_iflag_f32_e32 v6, v6
	v_mul_f32_e32 v6, 0x4f7ffffe, v6
	s_delay_alu instid0(VALU_DEP_1) | instskip(NEXT) | instid1(VALU_DEP_1)
	v_cvt_u32_f32_e32 v6, v6
	v_readfirstlane_b32 s12, v6
	s_wait_alu 0xfffe
	s_mul_i32 s13, s13, s12
	s_wait_alu 0xfffe
	s_mul_hi_u32 s13, s12, s13
	s_wait_alu 0xfffe
	s_add_co_i32 s12, s12, s13
	s_wait_alu 0xfffe
	s_mul_hi_u32 s12, s10, s12
	s_wait_alu 0xfffe
	s_mul_i32 s12, s12, s36
	s_wait_alu 0xfffe
	s_sub_co_i32 s12, s10, s12
	s_wait_alu 0xfffe
	s_sub_co_i32 s13, s12, s36
	s_cmp_ge_u32 s12, s36
	s_wait_alu 0xfffe
	s_cselect_b32 s12, s13, s12
	s_wait_alu 0xfffe
	s_sub_co_i32 s13, s12, s36
	s_cmp_ge_u32 s12, s36
	s_wait_alu 0xfffe
	s_cselect_b32 s46, s13, s12
	s_wait_alu 0xfffe
	s_mov_b64 s[12:13], s[46:47]
.LBB92_83:                              ;   in Loop: Header=BB92_11 Depth=1
	s_wait_alu 0xfffe
	s_sub_nc_u64 s[10:11], s[10:11], s[12:13]
	s_mov_b32 s13, 0
	s_mov_b32 s12, 0
	s_mov_b32 s21, exec_lo
                                        ; implicit-def: $vgpr25
	s_wait_alu 0xfffe
	v_cmpx_gt_u64_e64 s[10:11], v[0:1]
	s_cbranch_execz .LBB92_92
; %bb.84:                               ;   in Loop: Header=BB92_11 Depth=1
	v_dual_mov_b32 v8, v14 :: v_dual_mov_b32 v7, v1
	v_mov_b32_e32 v6, v0
                                        ; implicit-def: $sgpr22
	s_branch .LBB92_87
.LBB92_85:                              ;   in Loop: Header=BB92_87 Depth=2
	s_or_b32 exec_lo, exec_lo, s23
	s_wait_loadcnt_dscnt 0x0
	s_barrier_signal -1
	s_barrier_wait -1
	global_inv scope:SCOPE_SE
	ds_load_b64 v[24:25], v13 offset:3072
	s_mov_b32 s23, -1
	s_mov_b32 s46, -1
	s_wait_loadcnt_dscnt 0x0
	s_barrier_signal -1
	s_barrier_wait -1
	global_inv scope:SCOPE_SE
	v_cmp_ne_u32_e32 vcc_lo, 0, v24
	s_cbranch_vccz .LBB92_90
.LBB92_86:                              ;   in Loop: Header=BB92_87 Depth=2
	s_and_b32 s23, exec_lo, s23
	s_wait_alu 0xfffe
	s_or_b32 s12, s23, s12
	s_and_not1_b32 s22, s22, exec_lo
	s_and_b32 s23, s46, exec_lo
	s_delay_alu instid0(SALU_CYCLE_1)
	s_or_b32 s22, s22, s23
	s_wait_alu 0xfffe
	s_and_not1_b32 exec_lo, exec_lo, s12
	s_cbranch_execz .LBB92_91
.LBB92_87:                              ;   Parent Loop BB92_11 Depth=1
                                        ; =>  This Inner Loop Header: Depth=2
	s_mov_b32 s23, exec_lo
	s_delay_alu instid0(VALU_DEP_1)
	v_cmpx_gt_u64_e64 s[4:5], v[6:7]
	s_cbranch_execz .LBB92_85
; %bb.88:                               ;   in Loop: Header=BB92_87 Depth=2
	ds_load_b32 v24, v8
	s_wait_dscnt 0x0
	v_xor_b32_e32 v9, 0x80000000, v24
	s_delay_alu instid0(VALU_DEP_1) | instskip(NEXT) | instid1(VALU_DEP_1)
	v_and_b32_e32 v9, v9, v42
	v_cmp_eq_u32_e32 vcc_lo, v9, v19
	s_and_b32 exec_lo, exec_lo, vcc_lo
	s_cbranch_execz .LBB92_85
; %bb.89:                               ;   in Loop: Header=BB92_87 Depth=2
	ds_store_b64 v13, v[23:24] offset:3072
	s_branch .LBB92_85
.LBB92_90:                              ;   in Loop: Header=BB92_87 Depth=2
	v_add_co_u32 v6, vcc_lo, v6, s36
	s_wait_alu 0xfffd
	v_add_co_ci_u32_e64 v7, null, 0, v7, vcc_lo
	v_add_nc_u32_e32 v8, s78, v8
	s_mov_b32 s46, 0
	s_delay_alu instid0(VALU_DEP_2)
	v_cmp_le_u64_e32 vcc_lo, s[10:11], v[6:7]
	s_or_not1_b32 s23, vcc_lo, exec_lo
	s_branch .LBB92_86
.LBB92_91:                              ;   in Loop: Header=BB92_11 Depth=1
	s_or_b32 exec_lo, exec_lo, s12
	s_delay_alu instid0(SALU_CYCLE_1)
	s_and_b32 s12, s22, exec_lo
.LBB92_92:                              ;   in Loop: Header=BB92_11 Depth=1
	s_or_b32 exec_lo, exec_lo, s21
.LBB92_93:                              ;   in Loop: Header=BB92_11 Depth=1
	s_wait_alu 0xfffe
	s_and_b32 vcc_lo, exec_lo, s13
	s_wait_alu 0xfffe
	s_cbranch_vccz .LBB92_107
; %bb.94:                               ;   in Loop: Header=BB92_11 Depth=1
	s_mov_b32 s4, s47
	s_mov_b32 s5, s51
	s_wait_alu 0xfffe
	s_cmp_lg_u64 s[4:5], 0
	s_cbranch_scc0 .LBB92_138
; %bb.95:                               ;   in Loop: Header=BB92_11 Depth=1
	s_cvt_f32_u32 s4, s36
	s_sub_nc_u64 s[10:11], 0, s[36:37]
	s_wait_alu 0xfffe
	s_delay_alu instid0(SALU_CYCLE_1) | instskip(SKIP_1) | instid1(SALU_CYCLE_2)
	s_fmamk_f32 s4, s81, 0x0, s4
	s_wait_alu 0xfffe
	v_s_rcp_f32 s4, s4
	s_delay_alu instid0(TRANS32_DEP_1) | instskip(SKIP_1) | instid1(SALU_CYCLE_2)
	s_mul_f32 s4, s4, 0x5f7ffffc
	s_wait_alu 0xfffe
	s_mul_f32 s5, s4, 0x2f800000
	s_wait_alu 0xfffe
	s_delay_alu instid0(SALU_CYCLE_2) | instskip(SKIP_1) | instid1(SALU_CYCLE_2)
	s_trunc_f32 s5, s5
	s_wait_alu 0xfffe
	s_fmamk_f32 s4, s5, 0xcf800000, s4
	s_cvt_u32_f32 s5, s5
	s_wait_alu 0xfffe
	s_delay_alu instid0(SALU_CYCLE_1) | instskip(SKIP_1) | instid1(SALU_CYCLE_2)
	s_cvt_u32_f32 s4, s4
	s_wait_alu 0xfffe
	s_mul_u64 s[20:21], s[10:11], s[4:5]
	s_delay_alu instid0(SALU_CYCLE_1)
	s_mul_hi_u32 s23, s4, s21
	s_mul_i32 s22, s4, s21
	s_mul_hi_u32 s46, s4, s20
	s_mul_i32 s19, s5, s20
	s_wait_alu 0xfffe
	s_add_nc_u64 s[22:23], s[46:47], s[22:23]
	s_mul_hi_u32 s13, s5, s20
	s_mul_hi_u32 s58, s5, s21
	s_add_co_u32 s19, s22, s19
	s_wait_alu 0xfffe
	s_add_co_ci_u32 s46, s23, s13
	s_mul_i32 s20, s5, s21
	s_add_co_ci_u32 s21, s58, 0
	s_wait_alu 0xfffe
	s_add_nc_u64 s[20:21], s[46:47], s[20:21]
	s_delay_alu instid0(SALU_CYCLE_1)
	s_add_co_u32 s4, s4, s20
	s_cselect_b32 s13, -1, 0
	s_wait_alu 0xfffe
	s_cmp_lg_u32 s13, 0
	s_add_co_ci_u32 s5, s5, s21
	s_wait_alu 0xfffe
	s_mul_u64 s[10:11], s[10:11], s[4:5]
	s_wait_alu 0xfffe
	s_mul_hi_u32 s21, s4, s11
	s_mul_i32 s20, s4, s11
	s_mul_hi_u32 s46, s4, s10
	s_mul_i32 s19, s5, s10
	s_wait_alu 0xfffe
	s_add_nc_u64 s[20:21], s[46:47], s[20:21]
	s_mul_hi_u32 s13, s5, s10
	s_mul_hi_u32 s22, s5, s11
	s_mul_i32 s10, s5, s11
	s_add_co_u32 s11, s20, s19
	s_wait_alu 0xfffe
	s_add_co_ci_u32 s46, s21, s13
	s_add_co_ci_u32 s11, s22, 0
	s_wait_alu 0xfffe
	s_add_nc_u64 s[10:11], s[46:47], s[10:11]
	s_wait_alu 0xfffe
	s_add_co_u32 s4, s4, s10
	s_cselect_b32 s10, -1, 0
	s_wait_alu 0xfffe
	s_mul_hi_u32 s46, s50, s4
	s_cmp_lg_u32 s10, 0
	s_mul_hi_u32 s13, s51, s4
	s_add_co_ci_u32 s10, s5, s11
	s_mul_i32 s11, s51, s4
	s_wait_alu 0xfffe
	s_mul_hi_u32 s5, s50, s10
	s_mul_i32 s4, s50, s10
	s_mul_hi_u32 s19, s51, s10
	s_wait_alu 0xfffe
	s_add_nc_u64 s[4:5], s[46:47], s[4:5]
	s_mul_i32 s10, s51, s10
	s_wait_alu 0xfffe
	s_add_co_u32 s4, s4, s11
	s_add_co_ci_u32 s46, s5, s13
	s_add_co_ci_u32 s11, s19, 0
	s_wait_alu 0xfffe
	s_add_nc_u64 s[4:5], s[46:47], s[10:11]
	s_wait_alu 0xfffe
	s_mul_u64 s[4:5], s[36:37], s[4:5]
	s_wait_alu 0xfffe
	s_sub_co_u32 s4, s50, s4
	s_cselect_b32 s10, -1, 0
	s_wait_alu 0xfffe
	s_cmp_lg_u32 s10, 0
	s_sub_co_ci_u32 s5, s51, s5
	s_sub_co_u32 s10, s4, s36
	s_cselect_b32 s11, -1, 0
	s_wait_alu 0xfffe
	s_cmp_lg_u32 s11, 0
	s_sub_co_ci_u32 s11, s5, 0
	;; [unrolled: 5-line block ×3, first 2 shown]
	s_cmp_ge_u32 s10, s36
	s_cselect_b32 s20, -1, 0
	s_cmp_eq_u32 s11, 0
	s_cselect_b32 s20, s20, -1
	s_delay_alu instid0(SALU_CYCLE_1)
	s_cmp_lg_u32 s20, 0
	s_wait_alu 0xfffe
	s_cselect_b32 s11, s19, s11
	s_cselect_b32 s10, s13, s10
	s_cmp_ge_u32 s4, s36
	s_cselect_b32 s13, -1, 0
	s_cmp_eq_u32 s5, 0
	s_wait_alu 0xfffe
	s_cselect_b32 s13, s13, -1
	s_wait_alu 0xfffe
	s_cmp_lg_u32 s13, 0
	s_cselect_b32 s5, s11, s5
	s_cselect_b32 s4, s10, s4
	s_cbranch_execnz .LBB92_97
.LBB92_96:                              ;   in Loop: Header=BB92_11 Depth=1
	v_cvt_f32_u32_e32 v6, s36
	s_sub_co_i32 s5, 0, s36
	s_delay_alu instid0(VALU_DEP_1) | instskip(NEXT) | instid1(TRANS32_DEP_1)
	v_rcp_iflag_f32_e32 v6, v6
	v_mul_f32_e32 v6, 0x4f7ffffe, v6
	s_delay_alu instid0(VALU_DEP_1) | instskip(NEXT) | instid1(VALU_DEP_1)
	v_cvt_u32_f32_e32 v6, v6
	v_readfirstlane_b32 s4, v6
	s_wait_alu 0xfffe
	s_mul_i32 s5, s5, s4
	s_wait_alu 0xfffe
	s_mul_hi_u32 s5, s4, s5
	s_wait_alu 0xfffe
	s_add_co_i32 s4, s4, s5
	s_wait_alu 0xfffe
	s_mul_hi_u32 s4, s50, s4
	s_wait_alu 0xfffe
	s_mul_i32 s4, s4, s36
	s_wait_alu 0xfffe
	s_sub_co_i32 s4, s50, s4
	s_wait_alu 0xfffe
	s_sub_co_i32 s5, s4, s36
	s_cmp_ge_u32 s4, s36
	s_wait_alu 0xfffe
	s_cselect_b32 s4, s5, s4
	s_wait_alu 0xfffe
	s_sub_co_i32 s5, s4, s36
	s_cmp_ge_u32 s4, s36
	s_wait_alu 0xfffe
	s_cselect_b32 s46, s5, s4
	s_wait_alu 0xfffe
	s_mov_b64 s[4:5], s[46:47]
.LBB92_97:                              ;   in Loop: Header=BB92_11 Depth=1
	s_wait_alu 0xfffe
	s_sub_nc_u64 s[10:11], s[50:51], s[4:5]
	s_mov_b32 s5, exec_lo
                                        ; implicit-def: $vgpr25
	s_wait_alu 0xfffe
	v_cmpx_gt_u64_e64 s[10:11], v[0:1]
	s_cbranch_execz .LBB92_106
; %bb.98:                               ;   in Loop: Header=BB92_11 Depth=1
	v_dual_mov_b32 v6, v10 :: v_dual_mov_b32 v7, v11
	v_dual_mov_b32 v9, v1 :: v_dual_mov_b32 v8, v0
	s_mov_b32 s13, 0
                                        ; implicit-def: $sgpr19
	s_branch .LBB92_101
.LBB92_99:                              ;   in Loop: Header=BB92_101 Depth=2
	s_wait_alu 0xfffe
	s_or_b32 exec_lo, exec_lo, s4
	s_wait_loadcnt_dscnt 0x0
	s_barrier_signal -1
	s_barrier_wait -1
	global_inv scope:SCOPE_SE
	ds_load_b64 v[24:25], v13 offset:3072
	s_mov_b32 s4, -1
	s_mov_b32 s20, -1
	s_wait_loadcnt_dscnt 0x0
	s_barrier_signal -1
	s_barrier_wait -1
	global_inv scope:SCOPE_SE
	v_cmp_ne_u32_e32 vcc_lo, 0, v24
	s_cbranch_vccz .LBB92_104
.LBB92_100:                             ;   in Loop: Header=BB92_101 Depth=2
	s_wait_alu 0xfffe
	s_and_b32 s4, exec_lo, s4
	s_wait_alu 0xfffe
	s_or_b32 s13, s4, s13
	s_and_not1_b32 s4, s19, exec_lo
	s_and_b32 s19, s20, exec_lo
	s_wait_alu 0xfffe
	s_or_b32 s19, s4, s19
	s_and_not1_b32 exec_lo, exec_lo, s13
	s_cbranch_execz .LBB92_105
.LBB92_101:                             ;   Parent Loop BB92_11 Depth=1
                                        ; =>  This Inner Loop Header: Depth=2
	s_mov_b32 s4, exec_lo
	s_delay_alu instid0(VALU_DEP_1)
	v_cmpx_gt_u64_e64 s[24:25], v[8:9]
	s_cbranch_execz .LBB92_99
; %bb.102:                              ;   in Loop: Header=BB92_101 Depth=2
	global_load_b32 v24, v[6:7], off
	s_wait_loadcnt 0x0
	v_xor_b32_e32 v12, 0x80000000, v24
	s_delay_alu instid0(VALU_DEP_1) | instskip(NEXT) | instid1(VALU_DEP_1)
	v_and_b32_e32 v12, v12, v42
	v_cmp_eq_u32_e32 vcc_lo, v12, v19
	s_and_b32 exec_lo, exec_lo, vcc_lo
	s_cbranch_execz .LBB92_99
; %bb.103:                              ;   in Loop: Header=BB92_101 Depth=2
	ds_store_b64 v13, v[23:24] offset:3072
	s_branch .LBB92_99
.LBB92_104:                             ;   in Loop: Header=BB92_101 Depth=2
	v_add_co_u32 v8, vcc_lo, v8, s36
	s_wait_alu 0xfffd
	v_add_co_ci_u32_e64 v9, null, 0, v9, vcc_lo
	v_add_co_u32 v6, s4, v6, s42
	s_wait_alu 0xf1fe
	v_add_co_ci_u32_e64 v7, null, s43, v7, s4
	s_delay_alu instid0(VALU_DEP_3)
	v_cmp_le_u64_e32 vcc_lo, s[10:11], v[8:9]
	s_mov_b32 s20, 0
	s_or_not1_b32 s4, vcc_lo, exec_lo
	s_branch .LBB92_100
.LBB92_105:                             ;   in Loop: Header=BB92_11 Depth=1
	s_or_b32 exec_lo, exec_lo, s13
	s_delay_alu instid0(SALU_CYCLE_1)
	s_and_not1_b32 s4, s12, exec_lo
	s_wait_alu 0xfffe
	s_and_b32 s10, s19, exec_lo
	s_wait_alu 0xfffe
	s_or_b32 s12, s4, s10
.LBB92_106:                             ;   in Loop: Header=BB92_11 Depth=1
	s_or_b32 exec_lo, exec_lo, s5
	s_mov_b32 s19, 0
	s_mov_b32 s20, -1
.LBB92_107:                             ;   in Loop: Header=BB92_11 Depth=1
	s_wait_alu 0xfffe
	s_or_not1_b32 s4, s12, exec_lo
.LBB92_108:                             ;   in Loop: Header=BB92_11 Depth=1
	s_wait_alu 0xfffe
	s_or_b32 exec_lo, exec_lo, s15
	s_delay_alu instid0(SALU_CYCLE_1)
	s_and_not1_b32 s5, s87, exec_lo
	s_and_b32 s10, s20, exec_lo
	s_and_not1_b32 s11, s85, exec_lo
	s_and_b32 s12, s19, exec_lo
	s_and_not1_b32 s84, s84, exec_lo
	s_wait_alu 0xfffe
	s_or_b32 s87, s5, s10
	s_or_b32 s85, s11, s12
                                        ; implicit-def: $vgpr6_vgpr7
	s_and_saveexec_b32 s15, s4
	s_cbranch_execz .LBB92_10
; %bb.109:                              ;   in Loop: Header=BB92_11 Depth=1
	v_mov_b32_e32 v6, 1
	v_dual_mov_b32 v7, 0 :: v_dual_mov_b32 v12, 1
	s_xor_b32 s10, s17, -1
	s_mov_b32 s5, 0
	s_wait_alu 0xfffe
	s_and_saveexec_b32 s4, s10
	s_cbranch_execz .LBB92_118
; %bb.110:                              ;   in Loop: Header=BB92_11 Depth=1
	s_mov_b32 s5, exec_lo
	v_cmpx_le_u64_e64 v[26:27], v[2:3]
	s_wait_alu 0xfffe
	s_xor_b32 s5, exec_lo, s5
	s_cbranch_execz .LBB92_115
; %bb.111:                              ;   in Loop: Header=BB92_11 Depth=1
	ds_load_b64 v[6:7], v13 offset:5120
	v_and_b32_e32 v19, s18, v19
	v_or_b32_e32 v42, s14, v42
	s_wait_dscnt 0x0
	v_cmp_ne_u64_e32 vcc_lo, 0, v[6:7]
	s_cbranch_vccnz .LBB92_115
; %bb.112:                              ;   in Loop: Header=BB92_11 Depth=1
	s_and_saveexec_b32 s10, s2
; %bb.113:                              ;   in Loop: Header=BB92_11 Depth=1
	ds_store_b64 v13, v[2:3] offset:5128
; %bb.114:                              ;   in Loop: Header=BB92_11 Depth=1
	s_wait_alu 0xfffe
	s_or_b32 exec_lo, exec_lo, s10
	s_wait_loadcnt_dscnt 0x0
	s_barrier_signal -1
	s_barrier_wait -1
	global_inv scope:SCOPE_SE
.LBB92_115:                             ;   in Loop: Header=BB92_11 Depth=1
	s_wait_alu 0xfffe
	s_or_saveexec_b32 s5, s5
	v_mov_b32_e32 v12, 8
	s_mov_b32 s10, 0
	s_wait_alu 0xfffe
	s_xor_b32 exec_lo, exec_lo, s5
; %bb.116:                              ;   in Loop: Header=BB92_11 Depth=1
	v_sub_co_u32 v26, vcc_lo, v26, v2
	s_wait_alu 0xfffd
	v_sub_co_ci_u32_e64 v27, null, v27, v3, vcc_lo
	v_mov_b32_e32 v12, 0
	s_mov_b32 s10, exec_lo
; %bb.117:                              ;   in Loop: Header=BB92_11 Depth=1
	s_or_b32 exec_lo, exec_lo, s5
	s_delay_alu instid0(VALU_DEP_2)
	v_dual_mov_b32 v6, v26 :: v_dual_mov_b32 v7, v27
	s_wait_alu 0xfffe
	s_and_b32 s5, s10, exec_lo
.LBB92_118:                             ;   in Loop: Header=BB92_11 Depth=1
	s_wait_alu 0xfffe
	s_or_b32 exec_lo, exec_lo, s4
	s_mov_b32 s16, -1
	s_mov_b32 s4, -1
                                        ; implicit-def: $sgpr19
                                        ; implicit-def: $sgpr20
	s_and_saveexec_b32 s10, s5
	s_wait_alu 0xfffe
	s_xor_b32 s17, exec_lo, s10
	s_cbranch_execz .LBB92_263
; %bb.119:                              ;   in Loop: Header=BB92_11 Depth=1
	v_cmp_eq_u64_e32 vcc_lo, 1, v[4:5]
	v_cmp_eq_u64_e64 s4, 1, v[6:7]
                                        ; implicit-def: $sgpr20
                                        ; implicit-def: $sgpr19
	s_and_b32 s22, vcc_lo, s4
	s_mov_b32 s4, -1
	s_and_saveexec_b32 s21, s22
	s_cbranch_execz .LBB92_156
; %bb.120:                              ;   in Loop: Header=BB92_11 Depth=1
	ds_load_b64 v[2:3], v13 offset:5120
	s_wait_loadcnt_dscnt 0x0
	s_barrier_signal -1
	s_barrier_wait -1
	global_inv scope:SCOPE_SE
	v_readfirstlane_b32 s4, v2
	v_readfirstlane_b32 s5, v3
	s_and_saveexec_b32 s10, s3
; %bb.121:                              ;   in Loop: Header=BB92_11 Depth=1
	ds_store_b32 v33, v13
; %bb.122:                              ;   in Loop: Header=BB92_11 Depth=1
	s_wait_alu 0xfffe
	s_or_b32 exec_lo, exec_lo, s10
	s_lshl_b32 s10, 1, s79
	v_or_b32_e32 v42, s14, v42
	s_wait_alu 0xfffe
	v_and_or_b32 v19, v19, s18, s10
	s_mov_b32 s19, -1
	s_mov_b32 s20, 0
	s_cmp_eq_u64 s[4:5], 0
	s_mov_b32 s12, 0
	s_mov_b32 s13, -1
	s_wait_loadcnt_dscnt 0x0
	s_barrier_signal -1
	s_barrier_wait -1
	global_inv scope:SCOPE_SE
                                        ; implicit-def: $vgpr25
	s_cbranch_scc1 .LBB92_141
; %bb.123:                              ;   in Loop: Header=BB92_11 Depth=1
	s_add_nc_u64 s[10:11], s[4:5], s[48:49]
	s_mov_b32 s12, s47
	s_wait_alu 0xfffe
	s_mov_b32 s13, s11
	s_wait_alu 0xfffe
	s_cmp_lg_u64 s[12:13], 0
	s_cbranch_scc0 .LBB92_183
; %bb.124:                              ;   in Loop: Header=BB92_11 Depth=1
	s_cvt_f32_u32 s12, s36
	s_sub_nc_u64 s[58:59], 0, s[36:37]
	s_wait_alu 0xfffe
	s_delay_alu instid0(SALU_CYCLE_1) | instskip(SKIP_1) | instid1(SALU_CYCLE_2)
	s_fmamk_f32 s12, s81, 0x0, s12
	s_wait_alu 0xfffe
	v_s_rcp_f32 s12, s12
	s_delay_alu instid0(TRANS32_DEP_1) | instskip(SKIP_1) | instid1(SALU_CYCLE_2)
	s_mul_f32 s12, s12, 0x5f7ffffc
	s_wait_alu 0xfffe
	s_mul_f32 s13, s12, 0x2f800000
	s_wait_alu 0xfffe
	s_delay_alu instid0(SALU_CYCLE_2) | instskip(SKIP_1) | instid1(SALU_CYCLE_2)
	s_trunc_f32 s13, s13
	s_wait_alu 0xfffe
	s_fmamk_f32 s12, s13, 0xcf800000, s12
	s_cvt_u32_f32 s13, s13
	s_wait_alu 0xfffe
	s_delay_alu instid0(SALU_CYCLE_1) | instskip(SKIP_1) | instid1(SALU_CYCLE_2)
	s_cvt_u32_f32 s12, s12
	s_wait_alu 0xfffe
	s_mul_u64 s[60:61], s[58:59], s[12:13]
	s_wait_alu 0xfffe
	s_mul_hi_u32 s63, s12, s61
	s_mul_i32 s62, s12, s61
	s_mul_hi_u32 s46, s12, s60
	s_mul_i32 s64, s13, s60
	s_wait_alu 0xfffe
	s_add_nc_u64 s[62:63], s[46:47], s[62:63]
	s_mul_hi_u32 s23, s13, s60
	s_mul_hi_u32 s65, s13, s61
	s_wait_alu 0xfffe
	s_add_co_u32 s46, s62, s64
	s_add_co_ci_u32 s46, s63, s23
	s_mul_i32 s60, s13, s61
	s_add_co_ci_u32 s61, s65, 0
	s_wait_alu 0xfffe
	s_add_nc_u64 s[60:61], s[46:47], s[60:61]
	s_wait_alu 0xfffe
	s_add_co_u32 s12, s12, s60
	s_cselect_b32 s23, -1, 0
	s_delay_alu instid0(SALU_CYCLE_1)
	s_cmp_lg_u32 s23, 0
	s_add_co_ci_u32 s13, s13, s61
	s_wait_alu 0xfffe
	s_mul_u64 s[58:59], s[58:59], s[12:13]
	s_wait_alu 0xfffe
	s_mul_hi_u32 s61, s12, s59
	s_mul_i32 s60, s12, s59
	s_mul_hi_u32 s46, s12, s58
	s_mul_i32 s62, s13, s58
	s_wait_alu 0xfffe
	s_add_nc_u64 s[60:61], s[46:47], s[60:61]
	s_mul_hi_u32 s23, s13, s58
	s_mul_hi_u32 s63, s13, s59
	s_wait_alu 0xfffe
	s_add_co_u32 s46, s60, s62
	s_add_co_ci_u32 s46, s61, s23
	s_mul_i32 s58, s13, s59
	s_add_co_ci_u32 s59, s63, 0
	s_wait_alu 0xfffe
	s_add_nc_u64 s[58:59], s[46:47], s[58:59]
	s_wait_alu 0xfffe
	s_add_co_u32 s12, s12, s58
	s_cselect_b32 s23, -1, 0
	s_wait_alu 0xfffe
	s_mul_hi_u32 s46, s10, s12
	s_cmp_lg_u32 s23, 0
	s_mul_hi_u32 s23, s11, s12
	s_add_co_ci_u32 s58, s13, s59
	s_mul_i32 s59, s11, s12
	s_wait_alu 0xfffe
	s_mul_hi_u32 s13, s10, s58
	s_mul_i32 s12, s10, s58
	s_mul_hi_u32 s60, s11, s58
	s_wait_alu 0xfffe
	s_add_nc_u64 s[12:13], s[46:47], s[12:13]
	s_mul_i32 s58, s11, s58
	s_wait_alu 0xfffe
	s_add_co_u32 s12, s12, s59
	s_add_co_ci_u32 s46, s13, s23
	s_add_co_ci_u32 s59, s60, 0
	s_wait_alu 0xfffe
	s_add_nc_u64 s[12:13], s[46:47], s[58:59]
	s_wait_alu 0xfffe
	s_mul_u64 s[12:13], s[36:37], s[12:13]
	s_wait_alu 0xfffe
	s_sub_co_u32 s12, s10, s12
	s_cselect_b32 s23, -1, 0
	s_delay_alu instid0(SALU_CYCLE_1)
	s_cmp_lg_u32 s23, 0
	s_sub_co_ci_u32 s13, s11, s13
	s_wait_alu 0xfffe
	s_sub_co_u32 s23, s12, s36
	s_cselect_b32 s46, -1, 0
	s_wait_alu 0xfffe
	s_cmp_lg_u32 s46, 0
	s_sub_co_ci_u32 s46, s13, 0
	s_sub_co_u32 s58, s23, s36
	s_cselect_b32 s59, -1, 0
	s_wait_alu 0xfffe
	s_cmp_lg_u32 s59, 0
	s_sub_co_ci_u32 s59, s46, 0
	s_cmp_ge_u32 s23, s36
	s_cselect_b32 s60, -1, 0
	s_cmp_eq_u32 s46, 0
	s_wait_alu 0xfffe
	s_cselect_b32 s60, s60, -1
	s_wait_alu 0xfffe
	s_cmp_lg_u32 s60, 0
	s_cselect_b32 s46, s59, s46
	s_cselect_b32 s23, s58, s23
	s_cmp_ge_u32 s12, s36
	s_cselect_b32 s58, -1, 0
	s_cmp_eq_u32 s13, 0
	s_wait_alu 0xfffe
	s_cselect_b32 s58, s58, -1
	s_wait_alu 0xfffe
	s_cmp_lg_u32 s58, 0
	s_cselect_b32 s13, s46, s13
	s_cselect_b32 s12, s23, s12
	s_cbranch_execnz .LBB92_126
.LBB92_125:                             ;   in Loop: Header=BB92_11 Depth=1
	v_cvt_f32_u32_e32 v2, s36
	s_sub_co_i32 s13, 0, s36
	s_delay_alu instid0(VALU_DEP_1) | instskip(NEXT) | instid1(TRANS32_DEP_1)
	v_rcp_iflag_f32_e32 v2, v2
	v_mul_f32_e32 v2, 0x4f7ffffe, v2
	s_delay_alu instid0(VALU_DEP_1) | instskip(NEXT) | instid1(VALU_DEP_1)
	v_cvt_u32_f32_e32 v2, v2
	v_readfirstlane_b32 s12, v2
	s_wait_alu 0xfffe
	s_mul_i32 s13, s13, s12
	s_wait_alu 0xfffe
	s_mul_hi_u32 s13, s12, s13
	s_wait_alu 0xfffe
	s_add_co_i32 s12, s12, s13
	s_wait_alu 0xfffe
	s_mul_hi_u32 s12, s10, s12
	s_wait_alu 0xfffe
	s_mul_i32 s12, s12, s36
	s_wait_alu 0xfffe
	s_sub_co_i32 s12, s10, s12
	s_wait_alu 0xfffe
	s_sub_co_i32 s13, s12, s36
	s_cmp_ge_u32 s12, s36
	s_wait_alu 0xfffe
	s_cselect_b32 s12, s13, s12
	s_wait_alu 0xfffe
	s_sub_co_i32 s13, s12, s36
	s_cmp_ge_u32 s12, s36
	s_wait_alu 0xfffe
	s_cselect_b32 s46, s13, s12
	s_wait_alu 0xfffe
	s_mov_b64 s[12:13], s[46:47]
.LBB92_126:                             ;   in Loop: Header=BB92_11 Depth=1
	s_wait_alu 0xfffe
	s_sub_nc_u64 s[10:11], s[10:11], s[12:13]
	s_mov_b32 s13, 0
	s_mov_b32 s12, 0
	s_mov_b32 s23, exec_lo
                                        ; implicit-def: $vgpr25
	s_wait_alu 0xfffe
	v_cmpx_gt_u64_e64 s[10:11], v[0:1]
	s_cbranch_execz .LBB92_140
; %bb.127:                              ;   in Loop: Header=BB92_11 Depth=1
	v_dual_mov_b32 v8, v14 :: v_dual_mov_b32 v3, v1
	v_mov_b32_e32 v2, v0
                                        ; implicit-def: $sgpr46
	s_branch .LBB92_130
.LBB92_128:                             ;   in Loop: Header=BB92_130 Depth=2
	s_wait_alu 0xfffe
	s_or_b32 exec_lo, exec_lo, s58
	s_wait_loadcnt_dscnt 0x0
	s_barrier_signal -1
	s_barrier_wait -1
	global_inv scope:SCOPE_SE
	ds_load_b64 v[24:25], v13 offset:3072
	s_mov_b32 s58, -1
	s_mov_b32 s59, -1
	s_wait_loadcnt_dscnt 0x0
	s_barrier_signal -1
	s_barrier_wait -1
	global_inv scope:SCOPE_SE
	v_cmp_ne_u32_e32 vcc_lo, 0, v24
	s_cbranch_vccz .LBB92_133
.LBB92_129:                             ;   in Loop: Header=BB92_130 Depth=2
	s_wait_alu 0xfffe
	s_and_b32 s58, exec_lo, s58
	s_wait_alu 0xfffe
	s_or_b32 s12, s58, s12
	s_and_not1_b32 s46, s46, exec_lo
	s_and_b32 s58, s59, exec_lo
	s_wait_alu 0xfffe
	s_or_b32 s46, s46, s58
	s_and_not1_b32 exec_lo, exec_lo, s12
	s_cbranch_execz .LBB92_139
.LBB92_130:                             ;   Parent Loop BB92_11 Depth=1
                                        ; =>  This Inner Loop Header: Depth=2
	s_mov_b32 s58, exec_lo
	s_delay_alu instid0(VALU_DEP_1)
	v_cmpx_gt_u64_e64 s[4:5], v[2:3]
	s_cbranch_execz .LBB92_128
; %bb.131:                              ;   in Loop: Header=BB92_130 Depth=2
	ds_load_b32 v24, v8
	s_wait_dscnt 0x0
	v_xor_b32_e32 v9, 0x80000000, v24
	s_delay_alu instid0(VALU_DEP_1) | instskip(NEXT) | instid1(VALU_DEP_1)
	v_and_b32_e32 v9, v9, v42
	v_cmp_eq_u32_e32 vcc_lo, v9, v19
	s_and_b32 exec_lo, exec_lo, vcc_lo
	s_cbranch_execz .LBB92_128
; %bb.132:                              ;   in Loop: Header=BB92_130 Depth=2
	ds_store_b64 v13, v[23:24] offset:3072
	s_branch .LBB92_128
.LBB92_133:                             ;   in Loop: Header=BB92_130 Depth=2
	v_add_co_u32 v2, vcc_lo, v2, s36
	s_wait_alu 0xfffd
	v_add_co_ci_u32_e64 v3, null, 0, v3, vcc_lo
	v_add_nc_u32_e32 v8, s78, v8
	s_mov_b32 s59, 0
	s_delay_alu instid0(VALU_DEP_2)
	v_cmp_le_u64_e32 vcc_lo, s[10:11], v[2:3]
	s_or_not1_b32 s58, vcc_lo, exec_lo
	s_branch .LBB92_129
.LBB92_134:                             ;   in Loop: Header=BB92_11 Depth=1
                                        ; implicit-def: $sgpr12_sgpr13
	s_branch .LBB92_82
.LBB92_135:                             ;   in Loop: Header=BB92_11 Depth=1
	s_wait_alu 0xfffe
	s_or_b32 exec_lo, exec_lo, s7
	s_wait_loadcnt_dscnt 0x0
	s_barrier_signal -1
	s_barrier_wait -1
	global_inv scope:SCOPE_SE
	s_and_saveexec_b32 s4, s2
	s_cbranch_execz .LBB92_137
; %bb.136:                              ;   in Loop: Header=BB92_11 Depth=1
	ds_load_b32 v2, v13 offset:5144
	s_wait_dscnt 0x0
	v_ashrrev_i32_e32 v3, 31, v2
	ds_store_b64 v13, v[2:3] offset:5120
.LBB92_137:                             ;   in Loop: Header=BB92_11 Depth=1
	s_wait_alu 0xfffe
	s_or_b32 exec_lo, exec_lo, s4
	s_wait_loadcnt_dscnt 0x0
	s_barrier_signal -1
	s_mov_b32 s4, -1
	s_barrier_wait -1
	s_and_b32 vcc_lo, exec_lo, s6
	s_wait_alu 0xfffe
	s_cbranch_vccnz .LBB92_27
	s_branch .LBB92_36
.LBB92_138:                             ;   in Loop: Header=BB92_11 Depth=1
                                        ; implicit-def: $sgpr4_sgpr5
	s_branch .LBB92_96
.LBB92_139:                             ;   in Loop: Header=BB92_11 Depth=1
	s_or_b32 exec_lo, exec_lo, s12
	s_wait_alu 0xfffe
	s_and_b32 s12, s46, exec_lo
.LBB92_140:                             ;   in Loop: Header=BB92_11 Depth=1
	s_or_b32 exec_lo, exec_lo, s23
.LBB92_141:                             ;   in Loop: Header=BB92_11 Depth=1
	s_wait_alu 0xfffe
	s_and_b32 vcc_lo, exec_lo, s13
	s_wait_alu 0xfffe
	s_cbranch_vccz .LBB92_155
; %bb.142:                              ;   in Loop: Header=BB92_11 Depth=1
	s_mov_b32 s4, s47
	s_mov_b32 s5, s51
	s_wait_alu 0xfffe
	s_cmp_lg_u64 s[4:5], 0
	s_cbranch_scc0 .LBB92_184
; %bb.143:                              ;   in Loop: Header=BB92_11 Depth=1
	s_cvt_f32_u32 s4, s36
	s_sub_nc_u64 s[10:11], 0, s[36:37]
	s_wait_alu 0xfffe
	s_delay_alu instid0(SALU_CYCLE_1) | instskip(SKIP_1) | instid1(SALU_CYCLE_2)
	s_fmamk_f32 s4, s81, 0x0, s4
	s_wait_alu 0xfffe
	v_s_rcp_f32 s4, s4
	s_delay_alu instid0(TRANS32_DEP_1) | instskip(SKIP_1) | instid1(SALU_CYCLE_2)
	s_mul_f32 s4, s4, 0x5f7ffffc
	s_wait_alu 0xfffe
	s_mul_f32 s5, s4, 0x2f800000
	s_wait_alu 0xfffe
	s_delay_alu instid0(SALU_CYCLE_2) | instskip(SKIP_1) | instid1(SALU_CYCLE_2)
	s_trunc_f32 s5, s5
	s_wait_alu 0xfffe
	s_fmamk_f32 s4, s5, 0xcf800000, s4
	s_cvt_u32_f32 s5, s5
	s_wait_alu 0xfffe
	s_delay_alu instid0(SALU_CYCLE_1) | instskip(SKIP_1) | instid1(SALU_CYCLE_2)
	s_cvt_u32_f32 s4, s4
	s_wait_alu 0xfffe
	s_mul_u64 s[58:59], s[10:11], s[4:5]
	s_wait_alu 0xfffe
	s_mul_hi_u32 s61, s4, s59
	s_mul_i32 s60, s4, s59
	s_mul_hi_u32 s46, s4, s58
	s_mul_i32 s19, s5, s58
	s_wait_alu 0xfffe
	s_add_nc_u64 s[60:61], s[46:47], s[60:61]
	s_mul_hi_u32 s13, s5, s58
	s_mul_hi_u32 s20, s5, s59
	s_wait_alu 0xfffe
	s_add_co_u32 s19, s60, s19
	s_add_co_ci_u32 s46, s61, s13
	s_mul_i32 s58, s5, s59
	s_add_co_ci_u32 s59, s20, 0
	s_wait_alu 0xfffe
	s_add_nc_u64 s[58:59], s[46:47], s[58:59]
	s_wait_alu 0xfffe
	s_add_co_u32 s4, s4, s58
	s_cselect_b32 s13, -1, 0
	s_wait_alu 0xfffe
	s_cmp_lg_u32 s13, 0
	s_add_co_ci_u32 s5, s5, s59
	s_wait_alu 0xfffe
	s_mul_u64 s[10:11], s[10:11], s[4:5]
	s_wait_alu 0xfffe
	s_mul_hi_u32 s59, s4, s11
	s_mul_i32 s58, s4, s11
	s_mul_hi_u32 s46, s4, s10
	s_mul_i32 s19, s5, s10
	s_wait_alu 0xfffe
	s_add_nc_u64 s[58:59], s[46:47], s[58:59]
	s_mul_hi_u32 s13, s5, s10
	s_mul_hi_u32 s20, s5, s11
	s_mul_i32 s10, s5, s11
	s_wait_alu 0xfffe
	s_add_co_u32 s11, s58, s19
	s_add_co_ci_u32 s46, s59, s13
	s_add_co_ci_u32 s11, s20, 0
	s_wait_alu 0xfffe
	s_add_nc_u64 s[10:11], s[46:47], s[10:11]
	s_wait_alu 0xfffe
	s_add_co_u32 s4, s4, s10
	s_cselect_b32 s10, -1, 0
	s_wait_alu 0xfffe
	s_mul_hi_u32 s46, s50, s4
	s_cmp_lg_u32 s10, 0
	s_mul_hi_u32 s13, s51, s4
	s_add_co_ci_u32 s10, s5, s11
	s_mul_i32 s11, s51, s4
	s_wait_alu 0xfffe
	s_mul_hi_u32 s5, s50, s10
	s_mul_i32 s4, s50, s10
	s_mul_hi_u32 s19, s51, s10
	s_wait_alu 0xfffe
	s_add_nc_u64 s[4:5], s[46:47], s[4:5]
	s_mul_i32 s10, s51, s10
	s_wait_alu 0xfffe
	s_add_co_u32 s4, s4, s11
	s_add_co_ci_u32 s46, s5, s13
	s_add_co_ci_u32 s11, s19, 0
	s_wait_alu 0xfffe
	s_add_nc_u64 s[4:5], s[46:47], s[10:11]
	s_wait_alu 0xfffe
	s_mul_u64 s[4:5], s[36:37], s[4:5]
	s_wait_alu 0xfffe
	s_sub_co_u32 s4, s50, s4
	s_cselect_b32 s10, -1, 0
	s_wait_alu 0xfffe
	s_cmp_lg_u32 s10, 0
	s_sub_co_ci_u32 s5, s51, s5
	s_sub_co_u32 s10, s4, s36
	s_cselect_b32 s11, -1, 0
	s_wait_alu 0xfffe
	s_cmp_lg_u32 s11, 0
	s_sub_co_ci_u32 s11, s5, 0
	;; [unrolled: 5-line block ×3, first 2 shown]
	s_cmp_ge_u32 s10, s36
	s_cselect_b32 s20, -1, 0
	s_cmp_eq_u32 s11, 0
	s_cselect_b32 s20, s20, -1
	s_delay_alu instid0(SALU_CYCLE_1)
	s_cmp_lg_u32 s20, 0
	s_wait_alu 0xfffe
	s_cselect_b32 s11, s19, s11
	s_cselect_b32 s10, s13, s10
	s_cmp_ge_u32 s4, s36
	s_cselect_b32 s13, -1, 0
	s_cmp_eq_u32 s5, 0
	s_wait_alu 0xfffe
	s_cselect_b32 s13, s13, -1
	s_wait_alu 0xfffe
	s_cmp_lg_u32 s13, 0
	s_cselect_b32 s5, s11, s5
	s_cselect_b32 s4, s10, s4
	s_cbranch_execnz .LBB92_145
.LBB92_144:                             ;   in Loop: Header=BB92_11 Depth=1
	v_cvt_f32_u32_e32 v2, s36
	s_sub_co_i32 s5, 0, s36
	s_delay_alu instid0(VALU_DEP_1) | instskip(NEXT) | instid1(TRANS32_DEP_1)
	v_rcp_iflag_f32_e32 v2, v2
	v_mul_f32_e32 v2, 0x4f7ffffe, v2
	s_delay_alu instid0(VALU_DEP_1) | instskip(NEXT) | instid1(VALU_DEP_1)
	v_cvt_u32_f32_e32 v2, v2
	v_readfirstlane_b32 s4, v2
	s_wait_alu 0xfffe
	s_mul_i32 s5, s5, s4
	s_wait_alu 0xfffe
	s_mul_hi_u32 s5, s4, s5
	s_wait_alu 0xfffe
	s_add_co_i32 s4, s4, s5
	s_wait_alu 0xfffe
	s_mul_hi_u32 s4, s50, s4
	s_wait_alu 0xfffe
	s_mul_i32 s4, s4, s36
	s_wait_alu 0xfffe
	s_sub_co_i32 s4, s50, s4
	s_wait_alu 0xfffe
	s_sub_co_i32 s5, s4, s36
	s_cmp_ge_u32 s4, s36
	s_wait_alu 0xfffe
	s_cselect_b32 s4, s5, s4
	s_wait_alu 0xfffe
	s_sub_co_i32 s5, s4, s36
	s_cmp_ge_u32 s4, s36
	s_wait_alu 0xfffe
	s_cselect_b32 s46, s5, s4
	s_wait_alu 0xfffe
	s_mov_b64 s[4:5], s[46:47]
.LBB92_145:                             ;   in Loop: Header=BB92_11 Depth=1
	s_wait_alu 0xfffe
	s_sub_nc_u64 s[10:11], s[50:51], s[4:5]
	s_mov_b32 s5, exec_lo
                                        ; implicit-def: $vgpr25
	s_wait_alu 0xfffe
	v_cmpx_gt_u64_e64 s[10:11], v[0:1]
	s_cbranch_execz .LBB92_154
; %bb.146:                              ;   in Loop: Header=BB92_11 Depth=1
	v_dual_mov_b32 v2, v10 :: v_dual_mov_b32 v3, v11
	v_dual_mov_b32 v9, v1 :: v_dual_mov_b32 v8, v0
	s_mov_b32 s13, 0
                                        ; implicit-def: $sgpr19
	s_branch .LBB92_149
.LBB92_147:                             ;   in Loop: Header=BB92_149 Depth=2
	s_wait_alu 0xfffe
	s_or_b32 exec_lo, exec_lo, s4
	s_wait_loadcnt_dscnt 0x0
	s_barrier_signal -1
	s_barrier_wait -1
	global_inv scope:SCOPE_SE
	ds_load_b64 v[24:25], v13 offset:3072
	s_mov_b32 s4, -1
	s_mov_b32 s20, -1
	s_wait_loadcnt_dscnt 0x0
	s_barrier_signal -1
	s_barrier_wait -1
	global_inv scope:SCOPE_SE
	v_cmp_eq_u32_e32 vcc_lo, 0, v24
	s_cbranch_vccnz .LBB92_152
.LBB92_148:                             ;   in Loop: Header=BB92_149 Depth=2
	s_wait_alu 0xfffe
	s_and_b32 s4, exec_lo, s4
	s_wait_alu 0xfffe
	s_or_b32 s13, s4, s13
	s_and_not1_b32 s4, s19, exec_lo
	s_and_b32 s19, s20, exec_lo
	s_wait_alu 0xfffe
	s_or_b32 s19, s4, s19
	s_and_not1_b32 exec_lo, exec_lo, s13
	s_cbranch_execz .LBB92_153
.LBB92_149:                             ;   Parent Loop BB92_11 Depth=1
                                        ; =>  This Inner Loop Header: Depth=2
	s_mov_b32 s4, exec_lo
	s_delay_alu instid0(VALU_DEP_1)
	v_cmpx_gt_u64_e64 s[24:25], v[8:9]
	s_cbranch_execz .LBB92_147
; %bb.150:                              ;   in Loop: Header=BB92_149 Depth=2
	global_load_b32 v24, v[2:3], off
	s_wait_loadcnt 0x0
	v_xor_b32_e32 v25, 0x80000000, v24
	s_delay_alu instid0(VALU_DEP_1) | instskip(NEXT) | instid1(VALU_DEP_1)
	v_and_b32_e32 v25, v25, v42
	v_cmp_eq_u32_e32 vcc_lo, v25, v19
	s_and_b32 exec_lo, exec_lo, vcc_lo
	s_cbranch_execz .LBB92_147
; %bb.151:                              ;   in Loop: Header=BB92_149 Depth=2
	ds_store_b64 v13, v[23:24] offset:3072
	s_branch .LBB92_147
.LBB92_152:                             ;   in Loop: Header=BB92_149 Depth=2
	v_add_co_u32 v8, vcc_lo, v8, s36
	s_wait_alu 0xfffd
	v_add_co_ci_u32_e64 v9, null, 0, v9, vcc_lo
	v_add_co_u32 v2, s4, v2, s42
	s_wait_alu 0xf1fe
	v_add_co_ci_u32_e64 v3, null, s43, v3, s4
	s_delay_alu instid0(VALU_DEP_3)
	v_cmp_le_u64_e32 vcc_lo, s[10:11], v[8:9]
	s_mov_b32 s20, 0
	s_or_not1_b32 s4, vcc_lo, exec_lo
	s_branch .LBB92_148
.LBB92_153:                             ;   in Loop: Header=BB92_11 Depth=1
	s_or_b32 exec_lo, exec_lo, s13
	s_delay_alu instid0(SALU_CYCLE_1)
	s_and_not1_b32 s4, s12, exec_lo
	s_wait_alu 0xfffe
	s_and_b32 s10, s19, exec_lo
	s_wait_alu 0xfffe
	s_or_b32 s12, s4, s10
.LBB92_154:                             ;   in Loop: Header=BB92_11 Depth=1
	s_or_b32 exec_lo, exec_lo, s5
	s_mov_b32 s19, 0
	s_mov_b32 s20, -1
.LBB92_155:                             ;   in Loop: Header=BB92_11 Depth=1
	s_wait_alu 0xfffe
	s_or_not1_b32 s4, s12, exec_lo
.LBB92_156:                             ;   in Loop: Header=BB92_11 Depth=1
	s_or_b32 exec_lo, exec_lo, s21
	s_mov_b32 s5, 0
	s_wait_alu 0xfffe
	s_and_saveexec_b32 s21, s4
	s_cbranch_execz .LBB92_262
; %bb.157:                              ;   in Loop: Header=BB92_11 Depth=1
	v_mov_b32_e32 v2, 1
	v_dual_mov_b32 v3, 0 :: v_dual_mov_b32 v12, 1
	s_xor_b32 s10, s22, -1
	s_wait_alu 0xfffe
	s_and_saveexec_b32 s4, s10
	s_cbranch_execz .LBB92_167
; %bb.158:                              ;   in Loop: Header=BB92_11 Depth=1
	s_mov_b32 s5, exec_lo
	v_cmpx_le_u64_e64 v[6:7], v[4:5]
	s_wait_alu 0xfffe
	s_xor_b32 s5, exec_lo, s5
	s_cbranch_execz .LBB92_164
; %bb.159:                              ;   in Loop: Header=BB92_11 Depth=1
	ds_load_b64 v[2:3], v13 offset:5120
	s_lshl_b32 s10, 1, s79
	v_or_b32_e32 v42, s14, v42
	s_wait_alu 0xfffe
	v_and_or_b32 v19, v19, s18, s10
	s_wait_dscnt 0x0
	v_cmp_ne_u64_e32 vcc_lo, 0, v[2:3]
	s_cbranch_vccnz .LBB92_163
; %bb.160:                              ;   in Loop: Header=BB92_11 Depth=1
	s_and_saveexec_b32 s10, s2
; %bb.161:                              ;   in Loop: Header=BB92_11 Depth=1
	ds_store_b64 v13, v[4:5] offset:5128
; %bb.162:                              ;   in Loop: Header=BB92_11 Depth=1
	s_wait_alu 0xfffe
	s_or_b32 exec_lo, exec_lo, s10
	s_wait_loadcnt_dscnt 0x0
	s_barrier_signal -1
	s_barrier_wait -1
	global_inv scope:SCOPE_SE
.LBB92_163:                             ;   in Loop: Header=BB92_11 Depth=1
                                        ; implicit-def: $vgpr2_vgpr3_vgpr4_vgpr5
.LBB92_164:                             ;   in Loop: Header=BB92_11 Depth=1
	s_wait_alu 0xfffe
	s_or_saveexec_b32 s5, s5
	v_mov_b32_e32 v12, 8
	s_mov_b32 s10, 0
	s_wait_alu 0xfffe
	s_xor_b32 exec_lo, exec_lo, s5
; %bb.165:                              ;   in Loop: Header=BB92_11 Depth=1
	v_sub_co_u32 v6, vcc_lo, v6, v4
	s_wait_alu 0xfffd
	v_sub_co_ci_u32_e64 v7, null, v7, v5, vcc_lo
	v_mov_b32_e32 v12, 0
	s_mov_b32 s10, exec_lo
; %bb.166:                              ;   in Loop: Header=BB92_11 Depth=1
	s_or_b32 exec_lo, exec_lo, s5
	s_delay_alu instid0(VALU_DEP_2)
	v_dual_mov_b32 v2, v6 :: v_dual_mov_b32 v3, v7
	s_wait_alu 0xfffe
	s_and_b32 s5, s10, exec_lo
.LBB92_167:                             ;   in Loop: Header=BB92_11 Depth=1
	s_wait_alu 0xfffe
	s_or_b32 exec_lo, exec_lo, s4
	s_mov_b32 s4, -1
                                        ; implicit-def: $sgpr23
                                        ; implicit-def: $sgpr58
	s_and_saveexec_b32 s22, s5
	s_cbranch_execz .LBB92_261
; %bb.168:                              ;   in Loop: Header=BB92_11 Depth=1
	v_cmp_eq_u64_e32 vcc_lo, 1, v[2:3]
	s_cmp_eq_u64 s[8:9], 1
                                        ; implicit-def: $sgpr58
                                        ; implicit-def: $sgpr23
	s_cselect_b32 s4, -1, 0
	s_wait_alu 0xfffe
	s_and_b32 s59, s4, vcc_lo
	s_mov_b32 s4, -1
	s_wait_alu 0xfffe
	s_and_saveexec_b32 s60, s59
	s_cbranch_execz .LBB92_202
; %bb.169:                              ;   in Loop: Header=BB92_11 Depth=1
	ds_load_b64 v[4:5], v13 offset:5120
	s_wait_loadcnt_dscnt 0x0
	s_barrier_signal -1
	s_barrier_wait -1
	global_inv scope:SCOPE_SE
	v_readfirstlane_b32 s4, v4
	v_readfirstlane_b32 s5, v5
	s_and_saveexec_b32 s10, s3
; %bb.170:                              ;   in Loop: Header=BB92_11 Depth=1
	ds_store_b32 v33, v13
; %bb.171:                              ;   in Loop: Header=BB92_11 Depth=1
	s_wait_alu 0xfffe
	s_or_b32 exec_lo, exec_lo, s10
	s_lshl_b32 s10, 2, s79
	v_or_b32_e32 v42, s14, v42
	s_wait_alu 0xfffe
	v_and_or_b32 v19, v19, s18, s10
	s_mov_b32 s23, -1
	s_mov_b32 s58, 0
	s_cmp_eq_u64 s[4:5], 0
	s_mov_b32 s12, 0
	s_mov_b32 s13, -1
	s_wait_loadcnt_dscnt 0x0
	s_barrier_signal -1
	s_barrier_wait -1
	global_inv scope:SCOPE_SE
                                        ; implicit-def: $vgpr25
	s_cbranch_scc1 .LBB92_187
; %bb.172:                              ;   in Loop: Header=BB92_11 Depth=1
	s_add_nc_u64 s[10:11], s[4:5], s[48:49]
	s_mov_b32 s12, s47
	s_wait_alu 0xfffe
	s_mov_b32 s13, s11
	s_wait_alu 0xfffe
	s_cmp_lg_u64 s[12:13], 0
	s_cbranch_scc0 .LBB92_228
; %bb.173:                              ;   in Loop: Header=BB92_11 Depth=1
	s_cvt_f32_u32 s12, s36
	s_sub_nc_u64 s[62:63], 0, s[36:37]
	s_wait_alu 0xfffe
	s_delay_alu instid0(SALU_CYCLE_1) | instskip(SKIP_1) | instid1(SALU_CYCLE_2)
	s_fmamk_f32 s12, s81, 0x0, s12
	s_wait_alu 0xfffe
	v_s_rcp_f32 s12, s12
	s_delay_alu instid0(TRANS32_DEP_1) | instskip(SKIP_1) | instid1(SALU_CYCLE_2)
	s_mul_f32 s12, s12, 0x5f7ffffc
	s_wait_alu 0xfffe
	s_mul_f32 s13, s12, 0x2f800000
	s_wait_alu 0xfffe
	s_delay_alu instid0(SALU_CYCLE_2) | instskip(SKIP_1) | instid1(SALU_CYCLE_2)
	s_trunc_f32 s13, s13
	s_wait_alu 0xfffe
	s_fmamk_f32 s12, s13, 0xcf800000, s12
	s_cvt_u32_f32 s13, s13
	s_wait_alu 0xfffe
	s_delay_alu instid0(SALU_CYCLE_1) | instskip(SKIP_1) | instid1(SALU_CYCLE_2)
	s_cvt_u32_f32 s12, s12
	s_wait_alu 0xfffe
	s_mul_u64 s[64:65], s[62:63], s[12:13]
	s_wait_alu 0xfffe
	s_mul_hi_u32 s67, s12, s65
	s_mul_i32 s66, s12, s65
	s_mul_hi_u32 s46, s12, s64
	s_mul_i32 s68, s13, s64
	s_wait_alu 0xfffe
	s_add_nc_u64 s[66:67], s[46:47], s[66:67]
	s_mul_hi_u32 s61, s13, s64
	s_mul_hi_u32 s69, s13, s65
	s_wait_alu 0xfffe
	s_add_co_u32 s46, s66, s68
	s_add_co_ci_u32 s46, s67, s61
	s_mul_i32 s64, s13, s65
	s_add_co_ci_u32 s65, s69, 0
	s_wait_alu 0xfffe
	s_add_nc_u64 s[64:65], s[46:47], s[64:65]
	s_wait_alu 0xfffe
	s_add_co_u32 s12, s12, s64
	s_cselect_b32 s46, -1, 0
	s_wait_alu 0xfffe
	s_cmp_lg_u32 s46, 0
	s_add_co_ci_u32 s13, s13, s65
	s_wait_alu 0xfffe
	s_mul_u64 s[62:63], s[62:63], s[12:13]
	s_wait_alu 0xfffe
	s_mul_hi_u32 s65, s12, s63
	s_mul_i32 s64, s12, s63
	s_mul_hi_u32 s46, s12, s62
	s_mul_i32 s66, s13, s62
	s_wait_alu 0xfffe
	s_add_nc_u64 s[64:65], s[46:47], s[64:65]
	s_mul_hi_u32 s61, s13, s62
	s_mul_hi_u32 s67, s13, s63
	s_wait_alu 0xfffe
	s_add_co_u32 s46, s64, s66
	s_add_co_ci_u32 s46, s65, s61
	s_mul_i32 s62, s13, s63
	s_add_co_ci_u32 s63, s67, 0
	s_wait_alu 0xfffe
	s_add_nc_u64 s[62:63], s[46:47], s[62:63]
	s_wait_alu 0xfffe
	s_add_co_u32 s12, s12, s62
	s_cselect_b32 s61, -1, 0
	s_wait_alu 0xfffe
	s_mul_hi_u32 s46, s10, s12
	s_cmp_lg_u32 s61, 0
	s_mul_hi_u32 s61, s11, s12
	s_add_co_ci_u32 s62, s13, s63
	s_mul_i32 s63, s11, s12
	s_wait_alu 0xfffe
	s_mul_hi_u32 s13, s10, s62
	s_mul_i32 s12, s10, s62
	s_mul_hi_u32 s64, s11, s62
	s_wait_alu 0xfffe
	s_add_nc_u64 s[12:13], s[46:47], s[12:13]
	s_mul_i32 s62, s11, s62
	s_wait_alu 0xfffe
	s_add_co_u32 s12, s12, s63
	s_add_co_ci_u32 s46, s13, s61
	s_add_co_ci_u32 s63, s64, 0
	s_wait_alu 0xfffe
	s_add_nc_u64 s[12:13], s[46:47], s[62:63]
	s_wait_alu 0xfffe
	s_mul_u64 s[12:13], s[36:37], s[12:13]
	s_wait_alu 0xfffe
	s_sub_co_u32 s12, s10, s12
	s_cselect_b32 s46, -1, 0
	s_wait_alu 0xfffe
	s_cmp_lg_u32 s46, 0
	s_sub_co_ci_u32 s13, s11, s13
	s_sub_co_u32 s46, s12, s36
	s_cselect_b32 s61, -1, 0
	s_wait_alu 0xfffe
	s_cmp_lg_u32 s61, 0
	s_sub_co_ci_u32 s61, s13, 0
	;; [unrolled: 5-line block ×3, first 2 shown]
	s_cmp_ge_u32 s46, s36
	s_cselect_b32 s64, -1, 0
	s_cmp_eq_u32 s61, 0
	s_wait_alu 0xfffe
	s_cselect_b32 s64, s64, -1
	s_wait_alu 0xfffe
	s_cmp_lg_u32 s64, 0
	s_cselect_b32 s61, s63, s61
	s_cselect_b32 s46, s62, s46
	s_cmp_ge_u32 s12, s36
	s_cselect_b32 s62, -1, 0
	s_cmp_eq_u32 s13, 0
	s_wait_alu 0xfffe
	s_cselect_b32 s62, s62, -1
	s_wait_alu 0xfffe
	s_cmp_lg_u32 s62, 0
	s_cselect_b32 s13, s61, s13
	s_cselect_b32 s12, s46, s12
	s_cbranch_execnz .LBB92_175
.LBB92_174:                             ;   in Loop: Header=BB92_11 Depth=1
	v_cvt_f32_u32_e32 v4, s36
	s_sub_co_i32 s13, 0, s36
	s_delay_alu instid0(VALU_DEP_1) | instskip(NEXT) | instid1(TRANS32_DEP_1)
	v_rcp_iflag_f32_e32 v4, v4
	v_mul_f32_e32 v4, 0x4f7ffffe, v4
	s_delay_alu instid0(VALU_DEP_1) | instskip(NEXT) | instid1(VALU_DEP_1)
	v_cvt_u32_f32_e32 v4, v4
	v_readfirstlane_b32 s12, v4
	s_wait_alu 0xfffe
	s_mul_i32 s13, s13, s12
	s_wait_alu 0xfffe
	s_mul_hi_u32 s13, s12, s13
	s_wait_alu 0xfffe
	s_add_co_i32 s12, s12, s13
	s_wait_alu 0xfffe
	s_mul_hi_u32 s12, s10, s12
	s_wait_alu 0xfffe
	s_mul_i32 s12, s12, s36
	s_wait_alu 0xfffe
	s_sub_co_i32 s12, s10, s12
	s_wait_alu 0xfffe
	s_sub_co_i32 s13, s12, s36
	s_cmp_ge_u32 s12, s36
	s_wait_alu 0xfffe
	s_cselect_b32 s12, s13, s12
	s_wait_alu 0xfffe
	s_sub_co_i32 s13, s12, s36
	s_cmp_ge_u32 s12, s36
	s_wait_alu 0xfffe
	s_cselect_b32 s46, s13, s12
	s_wait_alu 0xfffe
	s_mov_b64 s[12:13], s[46:47]
.LBB92_175:                             ;   in Loop: Header=BB92_11 Depth=1
	s_wait_alu 0xfffe
	s_sub_nc_u64 s[10:11], s[10:11], s[12:13]
	s_mov_b32 s13, 0
	s_mov_b32 s12, 0
	s_mov_b32 s46, exec_lo
                                        ; implicit-def: $vgpr25
	s_wait_alu 0xfffe
	v_cmpx_gt_u64_e64 s[10:11], v[0:1]
	s_cbranch_execz .LBB92_186
; %bb.176:                              ;   in Loop: Header=BB92_11 Depth=1
	v_dual_mov_b32 v6, v14 :: v_dual_mov_b32 v5, v1
	v_mov_b32_e32 v4, v0
                                        ; implicit-def: $sgpr61
	s_branch .LBB92_179
.LBB92_177:                             ;   in Loop: Header=BB92_179 Depth=2
	s_wait_alu 0xfffe
	s_or_b32 exec_lo, exec_lo, s62
	s_wait_loadcnt_dscnt 0x0
	s_barrier_signal -1
	s_barrier_wait -1
	global_inv scope:SCOPE_SE
	ds_load_b64 v[24:25], v13 offset:3072
	s_mov_b32 s62, -1
	s_mov_b32 s63, -1
	s_wait_loadcnt_dscnt 0x0
	s_barrier_signal -1
	s_barrier_wait -1
	global_inv scope:SCOPE_SE
	v_cmp_ne_u32_e32 vcc_lo, 0, v24
	s_cbranch_vccz .LBB92_182
.LBB92_178:                             ;   in Loop: Header=BB92_179 Depth=2
	s_wait_alu 0xfffe
	s_and_b32 s62, exec_lo, s62
	s_wait_alu 0xfffe
	s_or_b32 s12, s62, s12
	s_and_not1_b32 s61, s61, exec_lo
	s_and_b32 s62, s63, exec_lo
	s_wait_alu 0xfffe
	s_or_b32 s61, s61, s62
	s_and_not1_b32 exec_lo, exec_lo, s12
	s_cbranch_execz .LBB92_185
.LBB92_179:                             ;   Parent Loop BB92_11 Depth=1
                                        ; =>  This Inner Loop Header: Depth=2
	s_mov_b32 s62, exec_lo
	s_delay_alu instid0(VALU_DEP_1)
	v_cmpx_gt_u64_e64 s[4:5], v[4:5]
	s_cbranch_execz .LBB92_177
; %bb.180:                              ;   in Loop: Header=BB92_179 Depth=2
	ds_load_b32 v24, v6
	s_wait_dscnt 0x0
	v_xor_b32_e32 v7, 0x80000000, v24
	s_delay_alu instid0(VALU_DEP_1) | instskip(NEXT) | instid1(VALU_DEP_1)
	v_and_b32_e32 v7, v7, v42
	v_cmp_eq_u32_e32 vcc_lo, v7, v19
	s_and_b32 exec_lo, exec_lo, vcc_lo
	s_cbranch_execz .LBB92_177
; %bb.181:                              ;   in Loop: Header=BB92_179 Depth=2
	ds_store_b64 v13, v[23:24] offset:3072
	s_branch .LBB92_177
.LBB92_182:                             ;   in Loop: Header=BB92_179 Depth=2
	v_add_co_u32 v4, vcc_lo, v4, s36
	s_wait_alu 0xfffd
	v_add_co_ci_u32_e64 v5, null, 0, v5, vcc_lo
	v_add_nc_u32_e32 v6, s78, v6
	s_mov_b32 s63, 0
	s_delay_alu instid0(VALU_DEP_2)
	v_cmp_le_u64_e32 vcc_lo, s[10:11], v[4:5]
	s_or_not1_b32 s62, vcc_lo, exec_lo
	s_branch .LBB92_178
.LBB92_183:                             ;   in Loop: Header=BB92_11 Depth=1
                                        ; implicit-def: $sgpr12_sgpr13
	s_branch .LBB92_125
.LBB92_184:                             ;   in Loop: Header=BB92_11 Depth=1
                                        ; implicit-def: $sgpr4_sgpr5
	s_branch .LBB92_144
.LBB92_185:                             ;   in Loop: Header=BB92_11 Depth=1
	s_or_b32 exec_lo, exec_lo, s12
	s_wait_alu 0xfffe
	s_and_b32 s12, s61, exec_lo
.LBB92_186:                             ;   in Loop: Header=BB92_11 Depth=1
	s_or_b32 exec_lo, exec_lo, s46
.LBB92_187:                             ;   in Loop: Header=BB92_11 Depth=1
	s_wait_alu 0xfffe
	s_and_b32 vcc_lo, exec_lo, s13
	s_wait_alu 0xfffe
	s_cbranch_vccz .LBB92_201
; %bb.188:                              ;   in Loop: Header=BB92_11 Depth=1
	s_mov_b32 s4, s47
	s_mov_b32 s5, s51
	s_wait_alu 0xfffe
	s_cmp_lg_u64 s[4:5], 0
	s_cbranch_scc0 .LBB92_229
; %bb.189:                              ;   in Loop: Header=BB92_11 Depth=1
	s_cvt_f32_u32 s4, s36
	s_sub_nc_u64 s[10:11], 0, s[36:37]
	s_wait_alu 0xfffe
	s_delay_alu instid0(SALU_CYCLE_1) | instskip(SKIP_1) | instid1(SALU_CYCLE_2)
	s_fmamk_f32 s4, s81, 0x0, s4
	s_wait_alu 0xfffe
	v_s_rcp_f32 s4, s4
	s_delay_alu instid0(TRANS32_DEP_1) | instskip(SKIP_1) | instid1(SALU_CYCLE_2)
	s_mul_f32 s4, s4, 0x5f7ffffc
	s_wait_alu 0xfffe
	s_mul_f32 s5, s4, 0x2f800000
	s_wait_alu 0xfffe
	s_delay_alu instid0(SALU_CYCLE_2) | instskip(SKIP_1) | instid1(SALU_CYCLE_2)
	s_trunc_f32 s5, s5
	s_wait_alu 0xfffe
	s_fmamk_f32 s4, s5, 0xcf800000, s4
	s_cvt_u32_f32 s5, s5
	s_wait_alu 0xfffe
	s_delay_alu instid0(SALU_CYCLE_1) | instskip(SKIP_1) | instid1(SALU_CYCLE_2)
	s_cvt_u32_f32 s4, s4
	s_wait_alu 0xfffe
	s_mul_u64 s[62:63], s[10:11], s[4:5]
	s_wait_alu 0xfffe
	s_mul_hi_u32 s65, s4, s63
	s_mul_i32 s64, s4, s63
	s_mul_hi_u32 s46, s4, s62
	s_mul_i32 s23, s5, s62
	s_wait_alu 0xfffe
	s_add_nc_u64 s[64:65], s[46:47], s[64:65]
	s_mul_hi_u32 s13, s5, s62
	s_mul_hi_u32 s58, s5, s63
	s_wait_alu 0xfffe
	s_add_co_u32 s23, s64, s23
	s_add_co_ci_u32 s46, s65, s13
	s_mul_i32 s62, s5, s63
	s_add_co_ci_u32 s63, s58, 0
	s_wait_alu 0xfffe
	s_add_nc_u64 s[62:63], s[46:47], s[62:63]
	s_wait_alu 0xfffe
	s_add_co_u32 s4, s4, s62
	s_cselect_b32 s13, -1, 0
	s_wait_alu 0xfffe
	s_cmp_lg_u32 s13, 0
	s_add_co_ci_u32 s5, s5, s63
	s_wait_alu 0xfffe
	s_mul_u64 s[10:11], s[10:11], s[4:5]
	s_wait_alu 0xfffe
	s_mul_hi_u32 s63, s4, s11
	s_mul_i32 s62, s4, s11
	s_mul_hi_u32 s46, s4, s10
	s_mul_i32 s23, s5, s10
	s_wait_alu 0xfffe
	s_add_nc_u64 s[62:63], s[46:47], s[62:63]
	s_mul_hi_u32 s13, s5, s10
	s_mul_hi_u32 s58, s5, s11
	s_mul_i32 s10, s5, s11
	s_wait_alu 0xfffe
	s_add_co_u32 s11, s62, s23
	s_add_co_ci_u32 s46, s63, s13
	s_add_co_ci_u32 s11, s58, 0
	s_wait_alu 0xfffe
	s_add_nc_u64 s[10:11], s[46:47], s[10:11]
	s_wait_alu 0xfffe
	s_add_co_u32 s4, s4, s10
	s_cselect_b32 s10, -1, 0
	s_wait_alu 0xfffe
	s_mul_hi_u32 s46, s50, s4
	s_cmp_lg_u32 s10, 0
	s_mul_hi_u32 s13, s51, s4
	s_add_co_ci_u32 s10, s5, s11
	s_mul_i32 s11, s51, s4
	s_wait_alu 0xfffe
	s_mul_hi_u32 s5, s50, s10
	s_mul_i32 s4, s50, s10
	s_mul_hi_u32 s23, s51, s10
	s_wait_alu 0xfffe
	s_add_nc_u64 s[4:5], s[46:47], s[4:5]
	s_mul_i32 s10, s51, s10
	s_wait_alu 0xfffe
	s_add_co_u32 s4, s4, s11
	s_add_co_ci_u32 s46, s5, s13
	s_add_co_ci_u32 s11, s23, 0
	s_wait_alu 0xfffe
	s_add_nc_u64 s[4:5], s[46:47], s[10:11]
	s_wait_alu 0xfffe
	s_mul_u64 s[4:5], s[36:37], s[4:5]
	s_wait_alu 0xfffe
	s_sub_co_u32 s4, s50, s4
	s_cselect_b32 s10, -1, 0
	s_wait_alu 0xfffe
	s_cmp_lg_u32 s10, 0
	s_sub_co_ci_u32 s5, s51, s5
	s_sub_co_u32 s10, s4, s36
	s_cselect_b32 s11, -1, 0
	s_wait_alu 0xfffe
	s_cmp_lg_u32 s11, 0
	s_sub_co_ci_u32 s11, s5, 0
	s_sub_co_u32 s13, s10, s36
	s_cselect_b32 s23, -1, 0
	s_delay_alu instid0(SALU_CYCLE_1)
	s_cmp_lg_u32 s23, 0
	s_wait_alu 0xfffe
	s_sub_co_ci_u32 s23, s11, 0
	s_cmp_ge_u32 s10, s36
	s_cselect_b32 s46, -1, 0
	s_cmp_eq_u32 s11, 0
	s_wait_alu 0xfffe
	s_cselect_b32 s46, s46, -1
	s_wait_alu 0xfffe
	s_cmp_lg_u32 s46, 0
	s_cselect_b32 s11, s23, s11
	s_cselect_b32 s10, s13, s10
	s_cmp_ge_u32 s4, s36
	s_cselect_b32 s13, -1, 0
	s_cmp_eq_u32 s5, 0
	s_wait_alu 0xfffe
	s_cselect_b32 s13, s13, -1
	s_wait_alu 0xfffe
	s_cmp_lg_u32 s13, 0
	s_cselect_b32 s5, s11, s5
	s_cselect_b32 s4, s10, s4
	s_cbranch_execnz .LBB92_191
.LBB92_190:                             ;   in Loop: Header=BB92_11 Depth=1
	v_cvt_f32_u32_e32 v4, s36
	s_sub_co_i32 s5, 0, s36
	s_delay_alu instid0(VALU_DEP_1) | instskip(NEXT) | instid1(TRANS32_DEP_1)
	v_rcp_iflag_f32_e32 v4, v4
	v_mul_f32_e32 v4, 0x4f7ffffe, v4
	s_delay_alu instid0(VALU_DEP_1) | instskip(NEXT) | instid1(VALU_DEP_1)
	v_cvt_u32_f32_e32 v4, v4
	v_readfirstlane_b32 s4, v4
	s_wait_alu 0xfffe
	s_mul_i32 s5, s5, s4
	s_wait_alu 0xfffe
	s_mul_hi_u32 s5, s4, s5
	s_wait_alu 0xfffe
	s_add_co_i32 s4, s4, s5
	s_wait_alu 0xfffe
	s_mul_hi_u32 s4, s50, s4
	s_wait_alu 0xfffe
	s_mul_i32 s4, s4, s36
	s_wait_alu 0xfffe
	s_sub_co_i32 s4, s50, s4
	s_wait_alu 0xfffe
	s_sub_co_i32 s5, s4, s36
	s_cmp_ge_u32 s4, s36
	s_wait_alu 0xfffe
	s_cselect_b32 s4, s5, s4
	s_wait_alu 0xfffe
	s_sub_co_i32 s5, s4, s36
	s_cmp_ge_u32 s4, s36
	s_wait_alu 0xfffe
	s_cselect_b32 s46, s5, s4
	s_wait_alu 0xfffe
	s_mov_b64 s[4:5], s[46:47]
.LBB92_191:                             ;   in Loop: Header=BB92_11 Depth=1
	s_wait_alu 0xfffe
	s_sub_nc_u64 s[10:11], s[50:51], s[4:5]
	s_mov_b32 s5, exec_lo
                                        ; implicit-def: $vgpr25
	s_wait_alu 0xfffe
	v_cmpx_gt_u64_e64 s[10:11], v[0:1]
	s_cbranch_execz .LBB92_200
; %bb.192:                              ;   in Loop: Header=BB92_11 Depth=1
	v_dual_mov_b32 v4, v10 :: v_dual_mov_b32 v5, v11
	v_dual_mov_b32 v7, v1 :: v_dual_mov_b32 v6, v0
	s_mov_b32 s13, 0
                                        ; implicit-def: $sgpr23
	s_branch .LBB92_195
.LBB92_193:                             ;   in Loop: Header=BB92_195 Depth=2
	s_wait_alu 0xfffe
	s_or_b32 exec_lo, exec_lo, s4
	s_wait_loadcnt_dscnt 0x0
	s_barrier_signal -1
	s_barrier_wait -1
	global_inv scope:SCOPE_SE
	ds_load_b64 v[24:25], v13 offset:3072
	s_mov_b32 s4, -1
	s_mov_b32 s46, -1
	s_wait_loadcnt_dscnt 0x0
	s_barrier_signal -1
	s_barrier_wait -1
	global_inv scope:SCOPE_SE
	v_cmp_eq_u32_e32 vcc_lo, 0, v24
	s_cbranch_vccnz .LBB92_198
.LBB92_194:                             ;   in Loop: Header=BB92_195 Depth=2
	s_wait_alu 0xfffe
	s_and_b32 s4, exec_lo, s4
	s_wait_alu 0xfffe
	s_or_b32 s13, s4, s13
	s_and_not1_b32 s4, s23, exec_lo
	s_and_b32 s23, s46, exec_lo
	s_wait_alu 0xfffe
	s_or_b32 s23, s4, s23
	s_and_not1_b32 exec_lo, exec_lo, s13
	s_cbranch_execz .LBB92_199
.LBB92_195:                             ;   Parent Loop BB92_11 Depth=1
                                        ; =>  This Inner Loop Header: Depth=2
	s_mov_b32 s4, exec_lo
	s_delay_alu instid0(VALU_DEP_1)
	v_cmpx_gt_u64_e64 s[24:25], v[6:7]
	s_cbranch_execz .LBB92_193
; %bb.196:                              ;   in Loop: Header=BB92_195 Depth=2
	global_load_b32 v24, v[4:5], off
	s_wait_loadcnt 0x0
	v_xor_b32_e32 v8, 0x80000000, v24
	s_delay_alu instid0(VALU_DEP_1) | instskip(NEXT) | instid1(VALU_DEP_1)
	v_and_b32_e32 v8, v8, v42
	v_cmp_eq_u32_e32 vcc_lo, v8, v19
	s_and_b32 exec_lo, exec_lo, vcc_lo
	s_cbranch_execz .LBB92_193
; %bb.197:                              ;   in Loop: Header=BB92_195 Depth=2
	ds_store_b64 v13, v[23:24] offset:3072
	s_branch .LBB92_193
.LBB92_198:                             ;   in Loop: Header=BB92_195 Depth=2
	v_add_co_u32 v6, vcc_lo, v6, s36
	s_wait_alu 0xfffd
	v_add_co_ci_u32_e64 v7, null, 0, v7, vcc_lo
	v_add_co_u32 v4, s4, v4, s42
	s_wait_alu 0xf1fe
	v_add_co_ci_u32_e64 v5, null, s43, v5, s4
	s_delay_alu instid0(VALU_DEP_3)
	v_cmp_le_u64_e32 vcc_lo, s[10:11], v[6:7]
	s_mov_b32 s46, 0
	s_or_not1_b32 s4, vcc_lo, exec_lo
	s_branch .LBB92_194
.LBB92_199:                             ;   in Loop: Header=BB92_11 Depth=1
	s_or_b32 exec_lo, exec_lo, s13
	s_delay_alu instid0(SALU_CYCLE_1)
	s_and_not1_b32 s4, s12, exec_lo
	s_and_b32 s10, s23, exec_lo
	s_wait_alu 0xfffe
	s_or_b32 s12, s4, s10
.LBB92_200:                             ;   in Loop: Header=BB92_11 Depth=1
	s_or_b32 exec_lo, exec_lo, s5
	s_mov_b32 s23, 0
	s_mov_b32 s58, -1
.LBB92_201:                             ;   in Loop: Header=BB92_11 Depth=1
	s_wait_alu 0xfffe
	s_or_not1_b32 s4, s12, exec_lo
.LBB92_202:                             ;   in Loop: Header=BB92_11 Depth=1
	s_wait_alu 0xfffe
	s_or_b32 exec_lo, exec_lo, s60
	s_mov_b32 s5, 0
	s_and_saveexec_b32 s12, s4
	s_cbranch_execz .LBB92_260
; %bb.203:                              ;   in Loop: Header=BB92_11 Depth=1
	v_mov_b32_e32 v4, 1
	v_dual_mov_b32 v5, 0 :: v_dual_mov_b32 v12, 1
	s_xor_b32 s10, s59, -1
	s_wait_alu 0xfffe
	s_and_saveexec_b32 s4, s10
	s_cbranch_execz .LBB92_212
; %bb.204:                              ;   in Loop: Header=BB92_11 Depth=1
	s_mov_b32 s5, exec_lo
	v_cmpx_ge_u64_e64 s[8:9], v[2:3]
	s_wait_alu 0xfffe
	s_xor_b32 s5, exec_lo, s5
	s_cbranch_execz .LBB92_209
; %bb.205:                              ;   in Loop: Header=BB92_11 Depth=1
	ds_load_b64 v[4:5], v13 offset:5120
	s_lshl_b32 s10, 2, s79
	v_or_b32_e32 v42, s14, v42
	s_wait_alu 0xfffe
	v_and_or_b32 v19, v19, s18, s10
	s_wait_dscnt 0x0
	v_cmp_ne_u64_e32 vcc_lo, 0, v[4:5]
	s_cbranch_vccnz .LBB92_209
; %bb.206:                              ;   in Loop: Header=BB92_11 Depth=1
	s_and_saveexec_b32 s10, s2
; %bb.207:                              ;   in Loop: Header=BB92_11 Depth=1
	v_dual_mov_b32 v4, s8 :: v_dual_mov_b32 v5, s9
	ds_store_b64 v13, v[4:5] offset:5128
; %bb.208:                              ;   in Loop: Header=BB92_11 Depth=1
	s_wait_alu 0xfffe
	s_or_b32 exec_lo, exec_lo, s10
	s_wait_loadcnt_dscnt 0x0
	s_barrier_signal -1
	s_barrier_wait -1
	global_inv scope:SCOPE_SE
.LBB92_209:                             ;   in Loop: Header=BB92_11 Depth=1
	s_wait_alu 0xfffe
	s_or_saveexec_b32 s5, s5
	v_mov_b32_e32 v12, 8
	s_mov_b32 s10, 0
	s_wait_alu 0xfffe
	s_xor_b32 exec_lo, exec_lo, s5
; %bb.210:                              ;   in Loop: Header=BB92_11 Depth=1
	v_sub_co_u32 v2, vcc_lo, v2, s8
	s_wait_alu 0xfffd
	v_subrev_co_ci_u32_e64 v3, null, s9, v3, vcc_lo
	v_mov_b32_e32 v12, 0
	s_mov_b32 s10, exec_lo
; %bb.211:                              ;   in Loop: Header=BB92_11 Depth=1
	s_or_b32 exec_lo, exec_lo, s5
	s_delay_alu instid0(VALU_DEP_2)
	v_dual_mov_b32 v5, v3 :: v_dual_mov_b32 v4, v2
	s_wait_alu 0xfffe
	s_and_b32 s5, s10, exec_lo
.LBB92_212:                             ;   in Loop: Header=BB92_11 Depth=1
	s_wait_alu 0xfffe
	s_or_b32 exec_lo, exec_lo, s4
	s_mov_b32 s4, -1
                                        ; implicit-def: $sgpr61
                                        ; implicit-def: $sgpr60
	s_and_saveexec_b32 s13, s5
	s_cbranch_execz .LBB92_259
; %bb.213:                              ;   in Loop: Header=BB92_11 Depth=1
	v_cmp_eq_u64_e32 vcc_lo, 1, v[4:5]
	s_cmp_eq_u64 s[6:7], 1
	s_mov_b32 s5, -1
	s_cselect_b32 s4, -1, 0
                                        ; implicit-def: $sgpr61
                                        ; implicit-def: $sgpr60
	s_wait_alu 0xfffe
	s_and_b32 s18, s4, vcc_lo
	s_wait_alu 0xfffe
	s_and_saveexec_b32 s59, s18
	s_cbranch_execz .LBB92_247
; %bb.214:                              ;   in Loop: Header=BB92_11 Depth=1
	ds_load_b64 v[2:3], v13 offset:5120
	s_wait_loadcnt_dscnt 0x0
	s_barrier_signal -1
	s_barrier_wait -1
	global_inv scope:SCOPE_SE
	v_readfirstlane_b32 s4, v2
	v_readfirstlane_b32 s5, v3
	s_and_saveexec_b32 s8, s3
; %bb.215:                              ;   in Loop: Header=BB92_11 Depth=1
	ds_store_b32 v33, v13
; %bb.216:                              ;   in Loop: Header=BB92_11 Depth=1
	s_wait_alu 0xfffe
	s_or_b32 exec_lo, exec_lo, s8
	v_or_b32_e32 v19, s14, v19
	v_or_b32_e32 v42, s14, v42
	s_mov_b32 s60, -1
	s_mov_b32 s61, 0
	s_cmp_eq_u64 s[4:5], 0
	s_mov_b32 s10, 0
	s_mov_b32 s11, -1
	s_wait_loadcnt_dscnt 0x0
	s_barrier_signal -1
	s_barrier_wait -1
	global_inv scope:SCOPE_SE
                                        ; implicit-def: $vgpr25
	s_cbranch_scc1 .LBB92_232
; %bb.217:                              ;   in Loop: Header=BB92_11 Depth=1
	s_add_nc_u64 s[8:9], s[4:5], s[48:49]
	s_mov_b32 s10, s47
	s_wait_alu 0xfffe
	s_mov_b32 s11, s9
	s_wait_alu 0xfffe
	s_cmp_lg_u64 s[10:11], 0
	s_cbranch_scc0 .LBB92_266
; %bb.218:                              ;   in Loop: Header=BB92_11 Depth=1
	s_cvt_f32_u32 s10, s36
	s_sub_nc_u64 s[62:63], 0, s[36:37]
	s_wait_alu 0xfffe
	s_delay_alu instid0(SALU_CYCLE_1) | instskip(SKIP_1) | instid1(SALU_CYCLE_2)
	s_fmamk_f32 s10, s81, 0x0, s10
	s_wait_alu 0xfffe
	v_s_rcp_f32 s10, s10
	s_delay_alu instid0(TRANS32_DEP_1) | instskip(SKIP_1) | instid1(SALU_CYCLE_2)
	s_mul_f32 s10, s10, 0x5f7ffffc
	s_wait_alu 0xfffe
	s_mul_f32 s11, s10, 0x2f800000
	s_wait_alu 0xfffe
	s_delay_alu instid0(SALU_CYCLE_2) | instskip(SKIP_1) | instid1(SALU_CYCLE_2)
	s_trunc_f32 s11, s11
	s_wait_alu 0xfffe
	s_fmamk_f32 s10, s11, 0xcf800000, s10
	s_cvt_u32_f32 s11, s11
	s_wait_alu 0xfffe
	s_delay_alu instid0(SALU_CYCLE_1) | instskip(SKIP_1) | instid1(SALU_CYCLE_2)
	s_cvt_u32_f32 s10, s10
	s_wait_alu 0xfffe
	s_mul_u64 s[64:65], s[62:63], s[10:11]
	s_wait_alu 0xfffe
	s_mul_hi_u32 s67, s10, s65
	s_mul_i32 s66, s10, s65
	s_mul_hi_u32 s46, s10, s64
	s_mul_i32 s69, s11, s64
	s_wait_alu 0xfffe
	s_add_nc_u64 s[66:67], s[46:47], s[66:67]
	s_mul_hi_u32 s68, s11, s64
	s_mul_hi_u32 s70, s11, s65
	s_wait_alu 0xfffe
	s_add_co_u32 s46, s66, s69
	s_add_co_ci_u32 s46, s67, s68
	s_mul_i32 s64, s11, s65
	s_add_co_ci_u32 s65, s70, 0
	s_wait_alu 0xfffe
	s_add_nc_u64 s[64:65], s[46:47], s[64:65]
	s_wait_alu 0xfffe
	s_add_co_u32 s10, s10, s64
	s_cselect_b32 s46, -1, 0
	s_wait_alu 0xfffe
	s_cmp_lg_u32 s46, 0
	s_add_co_ci_u32 s11, s11, s65
	s_wait_alu 0xfffe
	s_mul_u64 s[62:63], s[62:63], s[10:11]
	s_wait_alu 0xfffe
	s_mul_hi_u32 s65, s10, s63
	s_mul_i32 s64, s10, s63
	s_mul_hi_u32 s46, s10, s62
	s_mul_i32 s67, s11, s62
	s_wait_alu 0xfffe
	s_add_nc_u64 s[64:65], s[46:47], s[64:65]
	s_mul_hi_u32 s66, s11, s62
	s_mul_hi_u32 s68, s11, s63
	s_wait_alu 0xfffe
	s_add_co_u32 s46, s64, s67
	s_add_co_ci_u32 s46, s65, s66
	s_mul_i32 s62, s11, s63
	s_add_co_ci_u32 s63, s68, 0
	s_wait_alu 0xfffe
	s_add_nc_u64 s[62:63], s[46:47], s[62:63]
	s_wait_alu 0xfffe
	s_add_co_u32 s10, s10, s62
	s_cselect_b32 s62, -1, 0
	s_wait_alu 0xfffe
	s_mul_hi_u32 s46, s8, s10
	s_cmp_lg_u32 s62, 0
	s_mul_hi_u32 s64, s9, s10
	s_add_co_ci_u32 s62, s11, s63
	s_mul_i32 s63, s9, s10
	s_wait_alu 0xfffe
	s_mul_hi_u32 s11, s8, s62
	s_mul_i32 s10, s8, s62
	s_mul_hi_u32 s65, s9, s62
	s_wait_alu 0xfffe
	s_add_nc_u64 s[10:11], s[46:47], s[10:11]
	s_mul_i32 s62, s9, s62
	s_wait_alu 0xfffe
	s_add_co_u32 s10, s10, s63
	s_add_co_ci_u32 s46, s11, s64
	s_add_co_ci_u32 s63, s65, 0
	s_wait_alu 0xfffe
	s_add_nc_u64 s[10:11], s[46:47], s[62:63]
	s_wait_alu 0xfffe
	s_mul_u64 s[10:11], s[36:37], s[10:11]
	s_wait_alu 0xfffe
	s_sub_co_u32 s10, s8, s10
	s_cselect_b32 s46, -1, 0
	s_wait_alu 0xfffe
	s_cmp_lg_u32 s46, 0
	s_sub_co_ci_u32 s11, s9, s11
	s_sub_co_u32 s46, s10, s36
	s_cselect_b32 s62, -1, 0
	s_wait_alu 0xfffe
	s_cmp_lg_u32 s62, 0
	s_sub_co_ci_u32 s62, s11, 0
	;; [unrolled: 5-line block ×3, first 2 shown]
	s_cmp_ge_u32 s46, s36
	s_cselect_b32 s65, -1, 0
	s_cmp_eq_u32 s62, 0
	s_wait_alu 0xfffe
	s_cselect_b32 s65, s65, -1
	s_wait_alu 0xfffe
	s_cmp_lg_u32 s65, 0
	s_cselect_b32 s62, s64, s62
	s_cselect_b32 s46, s63, s46
	s_cmp_ge_u32 s10, s36
	s_cselect_b32 s63, -1, 0
	s_cmp_eq_u32 s11, 0
	s_wait_alu 0xfffe
	s_cselect_b32 s63, s63, -1
	s_wait_alu 0xfffe
	s_cmp_lg_u32 s63, 0
	s_cselect_b32 s11, s62, s11
	s_cselect_b32 s10, s46, s10
	s_cbranch_execnz .LBB92_220
.LBB92_219:                             ;   in Loop: Header=BB92_11 Depth=1
	v_cvt_f32_u32_e32 v2, s36
	s_sub_co_i32 s11, 0, s36
	s_delay_alu instid0(VALU_DEP_1) | instskip(NEXT) | instid1(TRANS32_DEP_1)
	v_rcp_iflag_f32_e32 v2, v2
	v_mul_f32_e32 v2, 0x4f7ffffe, v2
	s_delay_alu instid0(VALU_DEP_1) | instskip(NEXT) | instid1(VALU_DEP_1)
	v_cvt_u32_f32_e32 v2, v2
	v_readfirstlane_b32 s10, v2
	s_wait_alu 0xfffe
	s_mul_i32 s11, s11, s10
	s_wait_alu 0xfffe
	s_mul_hi_u32 s11, s10, s11
	s_wait_alu 0xfffe
	s_add_co_i32 s10, s10, s11
	s_wait_alu 0xfffe
	s_mul_hi_u32 s10, s8, s10
	s_wait_alu 0xfffe
	s_mul_i32 s10, s10, s36
	s_wait_alu 0xfffe
	s_sub_co_i32 s10, s8, s10
	s_wait_alu 0xfffe
	s_sub_co_i32 s11, s10, s36
	s_cmp_ge_u32 s10, s36
	s_wait_alu 0xfffe
	s_cselect_b32 s10, s11, s10
	s_wait_alu 0xfffe
	s_sub_co_i32 s11, s10, s36
	s_cmp_ge_u32 s10, s36
	s_wait_alu 0xfffe
	s_cselect_b32 s46, s11, s10
	s_wait_alu 0xfffe
	s_mov_b64 s[10:11], s[46:47]
.LBB92_220:                             ;   in Loop: Header=BB92_11 Depth=1
	s_wait_alu 0xfffe
	s_sub_nc_u64 s[8:9], s[8:9], s[10:11]
	s_mov_b32 s11, 0
	s_mov_b32 s10, 0
	s_mov_b32 s46, exec_lo
                                        ; implicit-def: $vgpr25
	s_wait_alu 0xfffe
	v_cmpx_gt_u64_e64 s[8:9], v[0:1]
	s_cbranch_execz .LBB92_231
; %bb.221:                              ;   in Loop: Header=BB92_11 Depth=1
	v_dual_mov_b32 v6, v14 :: v_dual_mov_b32 v3, v1
	v_mov_b32_e32 v2, v0
                                        ; implicit-def: $sgpr62
	s_branch .LBB92_224
.LBB92_222:                             ;   in Loop: Header=BB92_224 Depth=2
	s_wait_alu 0xfffe
	s_or_b32 exec_lo, exec_lo, s63
	s_wait_loadcnt_dscnt 0x0
	s_barrier_signal -1
	s_barrier_wait -1
	global_inv scope:SCOPE_SE
	ds_load_b64 v[24:25], v13 offset:3072
	s_mov_b32 s63, -1
	s_mov_b32 s64, -1
	s_wait_loadcnt_dscnt 0x0
	s_barrier_signal -1
	s_barrier_wait -1
	global_inv scope:SCOPE_SE
	v_cmp_ne_u32_e32 vcc_lo, 0, v24
	s_cbranch_vccz .LBB92_227
.LBB92_223:                             ;   in Loop: Header=BB92_224 Depth=2
	s_wait_alu 0xfffe
	s_and_b32 s63, exec_lo, s63
	s_wait_alu 0xfffe
	s_or_b32 s10, s63, s10
	s_and_not1_b32 s62, s62, exec_lo
	s_and_b32 s63, s64, exec_lo
	s_wait_alu 0xfffe
	s_or_b32 s62, s62, s63
	s_and_not1_b32 exec_lo, exec_lo, s10
	s_cbranch_execz .LBB92_230
.LBB92_224:                             ;   Parent Loop BB92_11 Depth=1
                                        ; =>  This Inner Loop Header: Depth=2
	s_mov_b32 s63, exec_lo
	s_delay_alu instid0(VALU_DEP_1)
	v_cmpx_gt_u64_e64 s[4:5], v[2:3]
	s_cbranch_execz .LBB92_222
; %bb.225:                              ;   in Loop: Header=BB92_224 Depth=2
	ds_load_b32 v24, v6
	s_wait_dscnt 0x0
	v_xor_b32_e32 v7, 0x80000000, v24
	s_delay_alu instid0(VALU_DEP_1) | instskip(NEXT) | instid1(VALU_DEP_1)
	v_and_b32_e32 v7, v7, v42
	v_cmp_eq_u32_e32 vcc_lo, v7, v19
	s_and_b32 exec_lo, exec_lo, vcc_lo
	s_cbranch_execz .LBB92_222
; %bb.226:                              ;   in Loop: Header=BB92_224 Depth=2
	ds_store_b64 v13, v[23:24] offset:3072
	s_branch .LBB92_222
.LBB92_227:                             ;   in Loop: Header=BB92_224 Depth=2
	v_add_co_u32 v2, vcc_lo, v2, s36
	s_wait_alu 0xfffd
	v_add_co_ci_u32_e64 v3, null, 0, v3, vcc_lo
	v_add_nc_u32_e32 v6, s78, v6
	s_mov_b32 s64, 0
	s_delay_alu instid0(VALU_DEP_2)
	v_cmp_le_u64_e32 vcc_lo, s[8:9], v[2:3]
	s_or_not1_b32 s63, vcc_lo, exec_lo
	s_branch .LBB92_223
.LBB92_228:                             ;   in Loop: Header=BB92_11 Depth=1
                                        ; implicit-def: $sgpr12_sgpr13
	s_branch .LBB92_174
.LBB92_229:                             ;   in Loop: Header=BB92_11 Depth=1
                                        ; implicit-def: $sgpr4_sgpr5
	s_branch .LBB92_190
.LBB92_230:                             ;   in Loop: Header=BB92_11 Depth=1
	s_or_b32 exec_lo, exec_lo, s10
	s_wait_alu 0xfffe
	s_and_b32 s10, s62, exec_lo
.LBB92_231:                             ;   in Loop: Header=BB92_11 Depth=1
	s_or_b32 exec_lo, exec_lo, s46
.LBB92_232:                             ;   in Loop: Header=BB92_11 Depth=1
	s_wait_alu 0xfffe
	s_and_b32 vcc_lo, exec_lo, s11
	s_wait_alu 0xfffe
	s_cbranch_vccz .LBB92_246
; %bb.233:                              ;   in Loop: Header=BB92_11 Depth=1
	s_mov_b32 s4, s47
	s_mov_b32 s5, s51
	s_wait_alu 0xfffe
	s_cmp_lg_u64 s[4:5], 0
	s_cbranch_scc0 .LBB92_267
; %bb.234:                              ;   in Loop: Header=BB92_11 Depth=1
	s_cvt_f32_u32 s4, s36
	s_sub_nc_u64 s[8:9], 0, s[36:37]
	s_wait_alu 0xfffe
	s_delay_alu instid0(SALU_CYCLE_1) | instskip(SKIP_1) | instid1(SALU_CYCLE_2)
	s_fmamk_f32 s4, s81, 0x0, s4
	s_wait_alu 0xfffe
	v_s_rcp_f32 s4, s4
	s_delay_alu instid0(TRANS32_DEP_1) | instskip(SKIP_1) | instid1(SALU_CYCLE_2)
	s_mul_f32 s4, s4, 0x5f7ffffc
	s_wait_alu 0xfffe
	s_mul_f32 s5, s4, 0x2f800000
	s_wait_alu 0xfffe
	s_delay_alu instid0(SALU_CYCLE_2) | instskip(SKIP_1) | instid1(SALU_CYCLE_2)
	s_trunc_f32 s5, s5
	s_wait_alu 0xfffe
	s_fmamk_f32 s4, s5, 0xcf800000, s4
	s_cvt_u32_f32 s5, s5
	s_wait_alu 0xfffe
	s_delay_alu instid0(SALU_CYCLE_1) | instskip(SKIP_1) | instid1(SALU_CYCLE_2)
	s_cvt_u32_f32 s4, s4
	s_wait_alu 0xfffe
	s_mul_u64 s[60:61], s[8:9], s[4:5]
	s_wait_alu 0xfffe
	s_mul_hi_u32 s63, s4, s61
	s_mul_i32 s62, s4, s61
	s_mul_hi_u32 s46, s4, s60
	s_mul_i32 s64, s5, s60
	s_wait_alu 0xfffe
	s_add_nc_u64 s[62:63], s[46:47], s[62:63]
	s_mul_hi_u32 s11, s5, s60
	s_mul_hi_u32 s65, s5, s61
	s_wait_alu 0xfffe
	s_add_co_u32 s46, s62, s64
	s_add_co_ci_u32 s46, s63, s11
	s_mul_i32 s60, s5, s61
	s_add_co_ci_u32 s61, s65, 0
	s_wait_alu 0xfffe
	s_add_nc_u64 s[60:61], s[46:47], s[60:61]
	s_wait_alu 0xfffe
	s_add_co_u32 s4, s4, s60
	s_cselect_b32 s11, -1, 0
	s_wait_alu 0xfffe
	s_cmp_lg_u32 s11, 0
	s_add_co_ci_u32 s5, s5, s61
	s_wait_alu 0xfffe
	s_mul_u64 s[8:9], s[8:9], s[4:5]
	s_wait_alu 0xfffe
	s_mul_hi_u32 s61, s4, s9
	s_mul_i32 s60, s4, s9
	s_mul_hi_u32 s46, s4, s8
	s_mul_i32 s62, s5, s8
	s_wait_alu 0xfffe
	s_add_nc_u64 s[60:61], s[46:47], s[60:61]
	s_mul_hi_u32 s11, s5, s8
	s_mul_hi_u32 s63, s5, s9
	s_mul_i32 s8, s5, s9
	s_wait_alu 0xfffe
	s_add_co_u32 s9, s60, s62
	s_add_co_ci_u32 s46, s61, s11
	s_add_co_ci_u32 s9, s63, 0
	s_wait_alu 0xfffe
	s_add_nc_u64 s[8:9], s[46:47], s[8:9]
	s_wait_alu 0xfffe
	s_add_co_u32 s4, s4, s8
	s_cselect_b32 s8, -1, 0
	s_wait_alu 0xfffe
	s_mul_hi_u32 s46, s50, s4
	s_cmp_lg_u32 s8, 0
	s_mul_hi_u32 s11, s51, s4
	s_add_co_ci_u32 s8, s5, s9
	s_mul_i32 s9, s51, s4
	s_wait_alu 0xfffe
	s_mul_hi_u32 s5, s50, s8
	s_mul_i32 s4, s50, s8
	s_mul_hi_u32 s60, s51, s8
	s_wait_alu 0xfffe
	s_add_nc_u64 s[4:5], s[46:47], s[4:5]
	s_mul_i32 s8, s51, s8
	s_wait_alu 0xfffe
	s_add_co_u32 s4, s4, s9
	s_add_co_ci_u32 s46, s5, s11
	s_add_co_ci_u32 s9, s60, 0
	s_wait_alu 0xfffe
	s_add_nc_u64 s[4:5], s[46:47], s[8:9]
	s_wait_alu 0xfffe
	s_mul_u64 s[4:5], s[36:37], s[4:5]
	s_wait_alu 0xfffe
	s_sub_co_u32 s4, s50, s4
	s_cselect_b32 s8, -1, 0
	s_wait_alu 0xfffe
	s_cmp_lg_u32 s8, 0
	s_sub_co_ci_u32 s5, s51, s5
	s_sub_co_u32 s8, s4, s36
	s_cselect_b32 s9, -1, 0
	s_wait_alu 0xfffe
	s_cmp_lg_u32 s9, 0
	s_sub_co_ci_u32 s9, s5, 0
	;; [unrolled: 5-line block ×3, first 2 shown]
	s_cmp_ge_u32 s8, s36
	s_cselect_b32 s60, -1, 0
	s_cmp_eq_u32 s9, 0
	s_wait_alu 0xfffe
	s_cselect_b32 s60, s60, -1
	s_wait_alu 0xfffe
	s_cmp_lg_u32 s60, 0
	s_cselect_b32 s9, s46, s9
	s_cselect_b32 s8, s11, s8
	s_cmp_ge_u32 s4, s36
	s_cselect_b32 s11, -1, 0
	s_cmp_eq_u32 s5, 0
	s_wait_alu 0xfffe
	s_cselect_b32 s11, s11, -1
	s_wait_alu 0xfffe
	s_cmp_lg_u32 s11, 0
	s_cselect_b32 s5, s9, s5
	s_cselect_b32 s4, s8, s4
	s_cbranch_execnz .LBB92_236
.LBB92_235:                             ;   in Loop: Header=BB92_11 Depth=1
	v_cvt_f32_u32_e32 v2, s36
	s_sub_co_i32 s5, 0, s36
	s_delay_alu instid0(VALU_DEP_1) | instskip(NEXT) | instid1(TRANS32_DEP_1)
	v_rcp_iflag_f32_e32 v2, v2
	v_mul_f32_e32 v2, 0x4f7ffffe, v2
	s_delay_alu instid0(VALU_DEP_1) | instskip(NEXT) | instid1(VALU_DEP_1)
	v_cvt_u32_f32_e32 v2, v2
	v_readfirstlane_b32 s4, v2
	s_wait_alu 0xfffe
	s_mul_i32 s5, s5, s4
	s_wait_alu 0xfffe
	s_mul_hi_u32 s5, s4, s5
	s_wait_alu 0xfffe
	s_add_co_i32 s4, s4, s5
	s_wait_alu 0xfffe
	s_mul_hi_u32 s4, s50, s4
	s_wait_alu 0xfffe
	s_mul_i32 s4, s4, s36
	s_wait_alu 0xfffe
	s_sub_co_i32 s4, s50, s4
	s_wait_alu 0xfffe
	s_sub_co_i32 s5, s4, s36
	s_cmp_ge_u32 s4, s36
	s_wait_alu 0xfffe
	s_cselect_b32 s4, s5, s4
	s_wait_alu 0xfffe
	s_sub_co_i32 s5, s4, s36
	s_cmp_ge_u32 s4, s36
	s_wait_alu 0xfffe
	s_cselect_b32 s46, s5, s4
	s_wait_alu 0xfffe
	s_mov_b64 s[4:5], s[46:47]
.LBB92_236:                             ;   in Loop: Header=BB92_11 Depth=1
	s_wait_alu 0xfffe
	s_sub_nc_u64 s[8:9], s[50:51], s[4:5]
	s_mov_b32 s5, exec_lo
                                        ; implicit-def: $vgpr25
	s_wait_alu 0xfffe
	v_cmpx_gt_u64_e64 s[8:9], v[0:1]
	s_cbranch_execz .LBB92_245
; %bb.237:                              ;   in Loop: Header=BB92_11 Depth=1
	v_dual_mov_b32 v2, v10 :: v_dual_mov_b32 v3, v11
	v_dual_mov_b32 v7, v1 :: v_dual_mov_b32 v6, v0
	s_mov_b32 s11, 0
                                        ; implicit-def: $sgpr46
	s_branch .LBB92_240
.LBB92_238:                             ;   in Loop: Header=BB92_240 Depth=2
	s_wait_alu 0xfffe
	s_or_b32 exec_lo, exec_lo, s4
	s_wait_loadcnt_dscnt 0x0
	s_barrier_signal -1
	s_barrier_wait -1
	global_inv scope:SCOPE_SE
	ds_load_b64 v[24:25], v13 offset:3072
	s_mov_b32 s4, -1
	s_mov_b32 s60, -1
	s_wait_loadcnt_dscnt 0x0
	s_barrier_signal -1
	s_barrier_wait -1
	global_inv scope:SCOPE_SE
	v_cmp_eq_u32_e32 vcc_lo, 0, v24
	s_cbranch_vccnz .LBB92_243
.LBB92_239:                             ;   in Loop: Header=BB92_240 Depth=2
	s_wait_alu 0xfffe
	s_and_b32 s4, exec_lo, s4
	s_wait_alu 0xfffe
	s_or_b32 s11, s4, s11
	s_and_not1_b32 s4, s46, exec_lo
	s_and_b32 s46, s60, exec_lo
	s_wait_alu 0xfffe
	s_or_b32 s46, s4, s46
	s_and_not1_b32 exec_lo, exec_lo, s11
	s_cbranch_execz .LBB92_244
.LBB92_240:                             ;   Parent Loop BB92_11 Depth=1
                                        ; =>  This Inner Loop Header: Depth=2
	s_mov_b32 s4, exec_lo
	s_delay_alu instid0(VALU_DEP_1)
	v_cmpx_gt_u64_e64 s[24:25], v[6:7]
	s_cbranch_execz .LBB92_238
; %bb.241:                              ;   in Loop: Header=BB92_240 Depth=2
	global_load_b32 v24, v[2:3], off
	s_wait_loadcnt 0x0
	v_xor_b32_e32 v8, 0x80000000, v24
	s_delay_alu instid0(VALU_DEP_1) | instskip(NEXT) | instid1(VALU_DEP_1)
	v_and_b32_e32 v8, v8, v42
	v_cmp_eq_u32_e32 vcc_lo, v8, v19
	s_and_b32 exec_lo, exec_lo, vcc_lo
	s_cbranch_execz .LBB92_238
; %bb.242:                              ;   in Loop: Header=BB92_240 Depth=2
	ds_store_b64 v13, v[23:24] offset:3072
	s_branch .LBB92_238
.LBB92_243:                             ;   in Loop: Header=BB92_240 Depth=2
	v_add_co_u32 v6, vcc_lo, v6, s36
	s_wait_alu 0xfffd
	v_add_co_ci_u32_e64 v7, null, 0, v7, vcc_lo
	v_add_co_u32 v2, s4, v2, s42
	s_wait_alu 0xf1fe
	v_add_co_ci_u32_e64 v3, null, s43, v3, s4
	s_delay_alu instid0(VALU_DEP_3)
	v_cmp_le_u64_e32 vcc_lo, s[8:9], v[6:7]
	s_mov_b32 s60, 0
	s_or_not1_b32 s4, vcc_lo, exec_lo
	s_branch .LBB92_239
.LBB92_244:                             ;   in Loop: Header=BB92_11 Depth=1
	s_or_b32 exec_lo, exec_lo, s11
	s_delay_alu instid0(SALU_CYCLE_1)
	s_and_not1_b32 s4, s10, exec_lo
	s_wait_alu 0xfffe
	s_and_b32 s8, s46, exec_lo
	s_wait_alu 0xfffe
	s_or_b32 s10, s4, s8
.LBB92_245:                             ;   in Loop: Header=BB92_11 Depth=1
	s_or_b32 exec_lo, exec_lo, s5
	s_mov_b32 s60, 0
	s_mov_b32 s61, -1
.LBB92_246:                             ;   in Loop: Header=BB92_11 Depth=1
	s_wait_alu 0xfffe
	s_or_not1_b32 s5, s10, exec_lo
.LBB92_247:                             ;   in Loop: Header=BB92_11 Depth=1
	s_wait_alu 0xfffe
	s_or_b32 exec_lo, exec_lo, s59
	s_mov_b32 s8, 0
	s_and_saveexec_b32 s4, s5
	s_cbranch_execz .LBB92_258
; %bb.248:                              ;   in Loop: Header=BB92_11 Depth=1
	v_mov_b32_e32 v2, 1
	v_dual_mov_b32 v3, 0 :: v_dual_mov_b32 v12, 1
	s_xor_b32 s8, s18, -1
	s_wait_alu 0xfffe
	s_and_saveexec_b32 s5, s8
	s_cbranch_execz .LBB92_257
; %bb.249:                              ;   in Loop: Header=BB92_11 Depth=1
	s_mov_b32 s8, exec_lo
	v_cmpx_ge_u64_e64 s[6:7], v[4:5]
	s_wait_alu 0xfffe
	s_xor_b32 s8, exec_lo, s8
	s_cbranch_execz .LBB92_254
; %bb.250:                              ;   in Loop: Header=BB92_11 Depth=1
	ds_load_b64 v[2:3], v13 offset:5120
	v_or_b32_e32 v19, s14, v19
	v_or_b32_e32 v42, s14, v42
	s_wait_dscnt 0x0
	v_cmp_ne_u64_e32 vcc_lo, 0, v[2:3]
	s_cbranch_vccnz .LBB92_254
; %bb.251:                              ;   in Loop: Header=BB92_11 Depth=1
	s_and_saveexec_b32 s9, s2
; %bb.252:                              ;   in Loop: Header=BB92_11 Depth=1
	v_dual_mov_b32 v2, s6 :: v_dual_mov_b32 v3, s7
	ds_store_b64 v13, v[2:3] offset:5128
; %bb.253:                              ;   in Loop: Header=BB92_11 Depth=1
	s_wait_alu 0xfffe
	s_or_b32 exec_lo, exec_lo, s9
	s_wait_loadcnt_dscnt 0x0
	s_barrier_signal -1
	s_barrier_wait -1
	global_inv scope:SCOPE_SE
.LBB92_254:                             ;   in Loop: Header=BB92_11 Depth=1
	s_wait_alu 0xfffe
	s_and_not1_saveexec_b32 s8, s8
; %bb.255:                              ;   in Loop: Header=BB92_11 Depth=1
	v_sub_co_u32 v4, vcc_lo, v4, s6
	s_wait_alu 0xfffd
	v_subrev_co_ci_u32_e64 v5, null, s7, v5, vcc_lo
; %bb.256:                              ;   in Loop: Header=BB92_11 Depth=1
	s_wait_alu 0xfffe
	s_or_b32 exec_lo, exec_lo, s8
	v_mov_b32_e32 v2, v4
	s_delay_alu instid0(VALU_DEP_2)
	v_dual_mov_b32 v12, 8 :: v_dual_mov_b32 v3, v5
.LBB92_257:                             ;   in Loop: Header=BB92_11 Depth=1
	s_wait_alu 0xfffe
	s_or_b32 exec_lo, exec_lo, s5
	s_delay_alu instid0(VALU_DEP_1)
	v_dual_mov_b32 v5, v3 :: v_dual_mov_b32 v4, v2
	s_mov_b32 s8, exec_lo
.LBB92_258:                             ;   in Loop: Header=BB92_11 Depth=1
	s_wait_alu 0xfffe
	s_or_b32 exec_lo, exec_lo, s4
	s_delay_alu instid0(SALU_CYCLE_1)
	s_or_not1_b32 s4, s8, exec_lo
.LBB92_259:                             ;   in Loop: Header=BB92_11 Depth=1
	s_wait_alu 0xfffe
	s_or_b32 exec_lo, exec_lo, s13
	v_dual_mov_b32 v2, v4 :: v_dual_mov_b32 v3, v5
	s_and_not1_b32 s5, s58, exec_lo
	s_and_b32 s6, s61, exec_lo
	s_and_not1_b32 s7, s23, exec_lo
	s_and_b32 s8, s60, exec_lo
	s_wait_alu 0xfffe
	s_or_b32 s58, s5, s6
	s_or_b32 s23, s7, s8
	s_and_b32 s5, s4, exec_lo
.LBB92_260:                             ;   in Loop: Header=BB92_11 Depth=1
	s_wait_alu 0xfffe
	s_or_b32 exec_lo, exec_lo, s12
	s_delay_alu instid0(SALU_CYCLE_1)
	s_or_not1_b32 s4, s5, exec_lo
.LBB92_261:                             ;   in Loop: Header=BB92_11 Depth=1
	s_or_b32 exec_lo, exec_lo, s22
	v_dual_mov_b32 v7, v3 :: v_dual_mov_b32 v6, v2
	s_and_not1_b32 s5, s20, exec_lo
	s_and_b32 s6, s58, exec_lo
	s_and_not1_b32 s7, s19, exec_lo
	s_and_b32 s8, s23, exec_lo
	s_wait_alu 0xfffe
	s_or_b32 s20, s5, s6
	s_or_b32 s19, s7, s8
	s_and_b32 s5, s4, exec_lo
.LBB92_262:                             ;   in Loop: Header=BB92_11 Depth=1
	s_or_b32 exec_lo, exec_lo, s21
	s_wait_alu 0xfffe
	s_or_not1_b32 s4, s5, exec_lo
.LBB92_263:                             ;   in Loop: Header=BB92_11 Depth=1
	s_or_b32 exec_lo, exec_lo, s17
	s_mov_b32 s5, 0
	s_wait_alu 0xfffe
	s_and_saveexec_b32 s6, s4
	s_wait_alu 0xfffe
	s_xor_b32 s4, exec_lo, s6
	s_cbranch_execz .LBB92_9
; %bb.264:                              ;   in Loop: Header=BB92_11 Depth=1
	v_and_b32_e32 v2, 7, v12
	s_mov_b32 s6, -1
	s_mov_b32 s5, -1
	s_mov_b32 s7, exec_lo
	s_delay_alu instid0(VALU_DEP_1)
	v_cmpx_eq_u32_e32 0, v2
	s_cbranch_execz .LBB92_8
; %bb.265:                              ;   in Loop: Header=BB92_11 Depth=1
	s_xor_b32 s82, s82, 1
	s_add_co_i32 s8, s79, -2
	s_cmp_eq_u32 s79, 0
	s_wait_alu 0xfffe
	s_mov_b32 s79, s8
	s_cselect_b32 s6, -1, 0
	s_xor_b32 s5, exec_lo, -1
	s_wait_alu 0xfffe
	s_or_not1_b32 s6, s6, exec_lo
	s_branch .LBB92_8
.LBB92_266:                             ;   in Loop: Header=BB92_11 Depth=1
                                        ; implicit-def: $sgpr10_sgpr11
	s_branch .LBB92_219
.LBB92_267:                             ;   in Loop: Header=BB92_11 Depth=1
                                        ; implicit-def: $sgpr4_sgpr5
	s_branch .LBB92_235
.LBB92_268:
	s_or_b32 exec_lo, exec_lo, s80
	s_xor_b32 s4, s88, -1
	s_xor_b32 s1, s86, -1
	;; [unrolled: 1-line block ×3, first 2 shown]
	s_mov_b32 s2, 0
	s_and_saveexec_b32 s5, s1
	s_wait_alu 0xfffe
	s_xor_b32 s1, exec_lo, s5
	s_cbranch_execnz .LBB92_273
; %bb.269:
	s_and_not1_saveexec_b32 s0, s1
	s_cbranch_execnz .LBB92_286
.LBB92_270:
	s_wait_alu 0xfffe
	s_or_b32 exec_lo, exec_lo, s0
	s_and_saveexec_b32 s0, s2
.LBB92_271:
	; divergent unreachable
.LBB92_272:
	s_endpgm
.LBB92_273:
	s_and_saveexec_b32 s2, s4
	s_delay_alu instid0(SALU_CYCLE_1)
	s_xor_b32 s2, exec_lo, s2
	s_cbranch_execz .LBB92_284
; %bb.274:
	s_and_saveexec_b32 s4, s3
	s_wait_alu 0xfffe
	s_xor_b32 s3, exec_lo, s4
; %bb.275:
	v_xor_b32_e32 v25, 0x80000000, v19
; %bb.276:
	s_or_b32 exec_lo, exec_lo, s3
	s_mul_u64 s[4:5], s[40:41], s[28:29]
	v_mov_b32_e32 v2, 0
	s_wait_alu 0xfffe
	s_lshl_b64 s[4:5], s[4:5], 2
	s_wait_alu 0xfffe
	s_add_nc_u64 s[4:5], s[38:39], s[4:5]
	global_store_b32 v2, v25, s[4:5]
	s_and_saveexec_b32 s3, s0
	s_cbranch_execz .LBB92_283
; %bb.277:
	s_mov_b32 s4, 0
                                        ; implicit-def: $sgpr5
                                        ; implicit-def: $sgpr7
                                        ; implicit-def: $sgpr6
	s_branch .LBB92_279
.LBB92_278:                             ;   in Loop: Header=BB92_279 Depth=1
	s_wait_alu 0xfffe
	s_or_b32 exec_lo, exec_lo, s8
	s_delay_alu instid0(SALU_CYCLE_1)
	s_and_b32 s0, exec_lo, s7
	s_wait_alu 0xfffe
	s_or_b32 s4, s0, s4
	s_and_not1_b32 s0, s5, exec_lo
	s_and_b32 s5, s6, exec_lo
	s_wait_alu 0xfffe
	s_or_b32 s5, s0, s5
	s_and_not1_b32 exec_lo, exec_lo, s4
	s_cbranch_execz .LBB92_281
.LBB92_279:                             ; =>This Inner Loop Header: Depth=1
	global_load_b32 v4, v[10:11], off
	v_dual_mov_b32 v3, v1 :: v_dual_mov_b32 v2, v0
	s_or_b32 s6, s6, exec_lo
	s_or_b32 s7, s7, exec_lo
	s_mov_b32 s8, exec_lo
                                        ; implicit-def: $vgpr0_vgpr1
	s_wait_loadcnt 0x0
	v_cmpx_ne_u32_e64 v4, v25
	s_cbranch_execz .LBB92_278
; %bb.280:                              ;   in Loop: Header=BB92_279 Depth=1
	v_add_co_u32 v0, vcc_lo, v2, s36
	s_wait_alu 0xfffd
	v_add_co_ci_u32_e64 v1, null, 0, v3, vcc_lo
	v_add_co_u32 v10, s0, v10, s42
	s_wait_alu 0xf1ff
	v_add_co_ci_u32_e64 v11, null, s43, v11, s0
	s_delay_alu instid0(VALU_DEP_3)
	v_cmp_le_u64_e32 vcc_lo, s[24:25], v[0:1]
	s_wait_alu 0xfffe
	s_and_not1_b32 s0, s7, exec_lo
	s_and_not1_b32 s6, s6, exec_lo
	s_and_b32 s7, vcc_lo, exec_lo
	s_wait_alu 0xfffe
	s_or_b32 s7, s0, s7
	s_branch .LBB92_278
.LBB92_281:
	s_or_b32 exec_lo, exec_lo, s4
	s_wait_alu 0xfffe
	s_and_saveexec_b32 s0, s5
	s_wait_alu 0xfffe
	s_xor_b32 s0, exec_lo, s0
	s_cbranch_execz .LBB92_283
; %bb.282:
	s_mul_u64 s[4:5], s[30:31], s[28:29]
	v_mov_b32_e32 v0, 0
	s_wait_alu 0xfffe
	s_lshl_b64 s[4:5], s[4:5], 3
	s_wait_alu 0xfffe
	s_add_nc_u64 s[4:5], s[26:27], s[4:5]
	global_store_b64 v0, v[2:3], s[4:5]
.LBB92_283:
	s_or_b32 exec_lo, exec_lo, s3
.LBB92_284:
	s_or_saveexec_b32 s0, s2
	s_mov_b32 s2, 0
	s_wait_alu 0xfffe
	s_xor_b32 exec_lo, exec_lo, s0
	s_cbranch_execnz .LBB92_287
.LBB92_285:
	s_or_b32 exec_lo, exec_lo, s0
	s_delay_alu instid0(SALU_CYCLE_1)
	s_and_b32 s2, s2, exec_lo
	s_and_not1_saveexec_b32 s0, s1
	s_cbranch_execz .LBB92_270
.LBB92_286:
	s_or_b32 s2, s2, exec_lo
	s_trap 2
	s_wait_alu 0xfffe
	s_or_b32 exec_lo, exec_lo, s0
	s_and_saveexec_b32 s0, s2
	s_cbranch_execnz .LBB92_271
	s_branch .LBB92_272
.LBB92_287:
	s_mov_b32 s2, exec_lo
	s_trap 2
	s_branch .LBB92_285
	.section	.rodata,"a",@progbits
	.p2align	6, 0x0
	.amdhsa_kernel _ZN2at6native12_GLOBAL__N_112gatherMedianIimLi1EEEvNS_4cuda6detail10TensorInfoIT_T0_EENS5_IlS7_EENS5_IKS6_S7_EES7_S7_S7_b
		.amdhsa_group_segment_fixed_size 5152
		.amdhsa_private_segment_fixed_size 0
		.amdhsa_kernarg_size 1536
		.amdhsa_user_sgpr_count 2
		.amdhsa_user_sgpr_dispatch_ptr 0
		.amdhsa_user_sgpr_queue_ptr 0
		.amdhsa_user_sgpr_kernarg_segment_ptr 1
		.amdhsa_user_sgpr_dispatch_id 0
		.amdhsa_user_sgpr_private_segment_size 0
		.amdhsa_wavefront_size32 1
		.amdhsa_uses_dynamic_stack 0
		.amdhsa_enable_private_segment 0
		.amdhsa_system_sgpr_workgroup_id_x 1
		.amdhsa_system_sgpr_workgroup_id_y 1
		.amdhsa_system_sgpr_workgroup_id_z 1
		.amdhsa_system_sgpr_workgroup_info 0
		.amdhsa_system_vgpr_workitem_id 0
		.amdhsa_next_free_vgpr 52
		.amdhsa_next_free_sgpr 90
		.amdhsa_reserve_vcc 1
		.amdhsa_float_round_mode_32 0
		.amdhsa_float_round_mode_16_64 0
		.amdhsa_float_denorm_mode_32 3
		.amdhsa_float_denorm_mode_16_64 3
		.amdhsa_fp16_overflow 0
		.amdhsa_workgroup_processor_mode 1
		.amdhsa_memory_ordered 1
		.amdhsa_forward_progress 1
		.amdhsa_inst_pref_size 135
		.amdhsa_round_robin_scheduling 0
		.amdhsa_exception_fp_ieee_invalid_op 0
		.amdhsa_exception_fp_denorm_src 0
		.amdhsa_exception_fp_ieee_div_zero 0
		.amdhsa_exception_fp_ieee_overflow 0
		.amdhsa_exception_fp_ieee_underflow 0
		.amdhsa_exception_fp_ieee_inexact 0
		.amdhsa_exception_int_div_zero 0
	.end_amdhsa_kernel
	.section	.text._ZN2at6native12_GLOBAL__N_112gatherMedianIimLi1EEEvNS_4cuda6detail10TensorInfoIT_T0_EENS5_IlS7_EENS5_IKS6_S7_EES7_S7_S7_b,"axG",@progbits,_ZN2at6native12_GLOBAL__N_112gatherMedianIimLi1EEEvNS_4cuda6detail10TensorInfoIT_T0_EENS5_IlS7_EENS5_IKS6_S7_EES7_S7_S7_b,comdat
.Lfunc_end92:
	.size	_ZN2at6native12_GLOBAL__N_112gatherMedianIimLi1EEEvNS_4cuda6detail10TensorInfoIT_T0_EENS5_IlS7_EENS5_IKS6_S7_EES7_S7_S7_b, .Lfunc_end92-_ZN2at6native12_GLOBAL__N_112gatherMedianIimLi1EEEvNS_4cuda6detail10TensorInfoIT_T0_EENS5_IlS7_EENS5_IKS6_S7_EES7_S7_S7_b
                                        ; -- End function
	.set _ZN2at6native12_GLOBAL__N_112gatherMedianIimLi1EEEvNS_4cuda6detail10TensorInfoIT_T0_EENS5_IlS7_EENS5_IKS6_S7_EES7_S7_S7_b.num_vgpr, 52
	.set _ZN2at6native12_GLOBAL__N_112gatherMedianIimLi1EEEvNS_4cuda6detail10TensorInfoIT_T0_EENS5_IlS7_EENS5_IKS6_S7_EES7_S7_S7_b.num_agpr, 0
	.set _ZN2at6native12_GLOBAL__N_112gatherMedianIimLi1EEEvNS_4cuda6detail10TensorInfoIT_T0_EENS5_IlS7_EENS5_IKS6_S7_EES7_S7_S7_b.numbered_sgpr, 90
	.set _ZN2at6native12_GLOBAL__N_112gatherMedianIimLi1EEEvNS_4cuda6detail10TensorInfoIT_T0_EENS5_IlS7_EENS5_IKS6_S7_EES7_S7_S7_b.num_named_barrier, 0
	.set _ZN2at6native12_GLOBAL__N_112gatherMedianIimLi1EEEvNS_4cuda6detail10TensorInfoIT_T0_EENS5_IlS7_EENS5_IKS6_S7_EES7_S7_S7_b.private_seg_size, 0
	.set _ZN2at6native12_GLOBAL__N_112gatherMedianIimLi1EEEvNS_4cuda6detail10TensorInfoIT_T0_EENS5_IlS7_EENS5_IKS6_S7_EES7_S7_S7_b.uses_vcc, 1
	.set _ZN2at6native12_GLOBAL__N_112gatherMedianIimLi1EEEvNS_4cuda6detail10TensorInfoIT_T0_EENS5_IlS7_EENS5_IKS6_S7_EES7_S7_S7_b.uses_flat_scratch, 0
	.set _ZN2at6native12_GLOBAL__N_112gatherMedianIimLi1EEEvNS_4cuda6detail10TensorInfoIT_T0_EENS5_IlS7_EENS5_IKS6_S7_EES7_S7_S7_b.has_dyn_sized_stack, 0
	.set _ZN2at6native12_GLOBAL__N_112gatherMedianIimLi1EEEvNS_4cuda6detail10TensorInfoIT_T0_EENS5_IlS7_EENS5_IKS6_S7_EES7_S7_S7_b.has_recursion, 0
	.set _ZN2at6native12_GLOBAL__N_112gatherMedianIimLi1EEEvNS_4cuda6detail10TensorInfoIT_T0_EENS5_IlS7_EENS5_IKS6_S7_EES7_S7_S7_b.has_indirect_call, 0
	.section	.AMDGPU.csdata,"",@progbits
; Kernel info:
; codeLenInByte = 17188
; TotalNumSgprs: 92
; NumVgprs: 52
; ScratchSize: 0
; MemoryBound: 0
; FloatMode: 240
; IeeeMode: 1
; LDSByteSize: 5152 bytes/workgroup (compile time only)
; SGPRBlocks: 0
; VGPRBlocks: 6
; NumSGPRsForWavesPerEU: 92
; NumVGPRsForWavesPerEU: 52
; Occupancy: 16
; WaveLimiterHint : 1
; COMPUTE_PGM_RSRC2:SCRATCH_EN: 0
; COMPUTE_PGM_RSRC2:USER_SGPR: 2
; COMPUTE_PGM_RSRC2:TRAP_HANDLER: 0
; COMPUTE_PGM_RSRC2:TGID_X_EN: 1
; COMPUTE_PGM_RSRC2:TGID_Y_EN: 1
; COMPUTE_PGM_RSRC2:TGID_Z_EN: 1
; COMPUTE_PGM_RSRC2:TIDIG_COMP_CNT: 0
	.section	.text._ZN2at6native12_GLOBAL__N_112gatherMedianIimLi2EEEvNS_4cuda6detail10TensorInfoIT_T0_EENS5_IlS7_EENS5_IKS6_S7_EES7_S7_S7_b,"axG",@progbits,_ZN2at6native12_GLOBAL__N_112gatherMedianIimLi2EEEvNS_4cuda6detail10TensorInfoIT_T0_EENS5_IlS7_EENS5_IKS6_S7_EES7_S7_S7_b,comdat
	.globl	_ZN2at6native12_GLOBAL__N_112gatherMedianIimLi2EEEvNS_4cuda6detail10TensorInfoIT_T0_EENS5_IlS7_EENS5_IKS6_S7_EES7_S7_S7_b ; -- Begin function _ZN2at6native12_GLOBAL__N_112gatherMedianIimLi2EEEvNS_4cuda6detail10TensorInfoIT_T0_EENS5_IlS7_EENS5_IKS6_S7_EES7_S7_S7_b
	.p2align	8
	.type	_ZN2at6native12_GLOBAL__N_112gatherMedianIimLi2EEEvNS_4cuda6detail10TensorInfoIT_T0_EENS5_IlS7_EENS5_IKS6_S7_EES7_S7_S7_b,@function
_ZN2at6native12_GLOBAL__N_112gatherMedianIimLi2EEEvNS_4cuda6detail10TensorInfoIT_T0_EENS5_IlS7_EENS5_IKS6_S7_EES7_S7_S7_b: ; @_ZN2at6native12_GLOBAL__N_112gatherMedianIimLi2EEEvNS_4cuda6detail10TensorInfoIT_T0_EENS5_IlS7_EENS5_IKS6_S7_EES7_S7_S7_b
; %bb.0:
	s_clause 0x1
	s_load_b64 s[8:9], s[0:1], 0x500
	s_load_b128 s[24:27], s[0:1], 0x4e0
	s_lshr_b32 s2, ttmp7, 16
	s_and_b32 s3, ttmp7, 0xffff
	s_mov_b32 s35, 0
	s_wait_kmcnt 0x0
	s_mul_i32 s2, s9, s2
	s_delay_alu instid0(SALU_CYCLE_1) | instskip(NEXT) | instid1(SALU_CYCLE_1)
	s_add_co_i32 s2, s2, s3
	s_mul_i32 s2, s2, s8
	s_delay_alu instid0(SALU_CYCLE_1) | instskip(NEXT) | instid1(SALU_CYCLE_1)
	s_add_co_i32 s34, s2, ttmp9
	v_cmp_le_u64_e64 s2, s[26:27], s[34:35]
	s_and_b32 vcc_lo, exec_lo, s2
	s_cbranch_vccnz .LBB93_276
; %bb.1:
	s_clause 0x1
	s_load_b64 s[44:45], s[0:1], 0x10
	s_load_b64 s[26:27], s[0:1], 0x1b0
	s_mov_b64 s[40:41], 0
	s_mov_b64 s[46:47], 0
	s_wait_kmcnt 0x0
	v_cmp_lt_u64_e64 s2, s[34:35], s[44:45]
	s_and_b32 vcc_lo, exec_lo, s2
	s_cbranch_vccnz .LBB93_3
; %bb.2:
	v_cvt_f32_u32_e32 v1, s44
	s_sub_co_i32 s3, 0, s44
	s_mov_b32 s47, 0
	s_delay_alu instid0(VALU_DEP_1) | instskip(NEXT) | instid1(TRANS32_DEP_1)
	v_rcp_iflag_f32_e32 v1, v1
	v_mul_f32_e32 v1, 0x4f7ffffe, v1
	s_delay_alu instid0(VALU_DEP_1) | instskip(NEXT) | instid1(VALU_DEP_1)
	v_cvt_u32_f32_e32 v1, v1
	v_readfirstlane_b32 s2, v1
	s_mul_i32 s3, s3, s2
	s_delay_alu instid0(SALU_CYCLE_1) | instskip(NEXT) | instid1(SALU_CYCLE_1)
	s_mul_hi_u32 s3, s2, s3
	s_add_co_i32 s2, s2, s3
	s_delay_alu instid0(SALU_CYCLE_1) | instskip(NEXT) | instid1(SALU_CYCLE_1)
	s_mul_hi_u32 s2, s34, s2
	s_mul_i32 s3, s2, s44
	s_add_co_i32 s4, s2, 1
	s_sub_co_i32 s3, s34, s3
	s_delay_alu instid0(SALU_CYCLE_1)
	s_sub_co_i32 s5, s3, s44
	s_cmp_ge_u32 s3, s44
	s_cselect_b32 s2, s4, s2
	s_cselect_b32 s3, s5, s3
	s_add_co_i32 s4, s2, 1
	s_cmp_ge_u32 s3, s44
	s_cselect_b32 s46, s4, s2
.LBB93_3:
	s_clause 0x1
	s_load_b64 s[42:43], s[0:1], 0x4f0
	s_load_b64 s[10:11], s[0:1], 0x350
	v_cmp_lt_u64_e64 s2, s[34:35], s[26:27]
	s_and_b32 vcc_lo, exec_lo, s2
	s_cbranch_vccz .LBB93_277
; %bb.4:
	s_wait_kmcnt 0x0
	v_cmp_lt_u64_e64 s2, s[34:35], s[10:11]
	s_mov_b64 s[14:15], 0
	s_and_b32 vcc_lo, exec_lo, s2
	s_cbranch_vccz .LBB93_278
.LBB93_5:
	v_cmp_eq_u32_e64 s2, 0, v0
	s_and_saveexec_b32 s3, s2
.LBB93_6:
	v_mov_b32_e32 v1, 0
	s_delay_alu instid0(VALU_DEP_1)
	v_mov_b32_e32 v2, v1
	ds_store_b64 v1, v[1:2] offset:5136
.LBB93_7:
	s_or_b32 exec_lo, exec_lo, s3
	v_dual_mov_b32 v1, 0 :: v_dual_mov_b32 v18, s24
	s_wait_dscnt 0x0
	s_barrier_signal -1
	s_barrier_wait -1
	global_inv scope:SCOPE_SE
	s_wait_loadcnt 0x0
	s_barrier_signal -1
	s_barrier_wait -1
	global_inv scope:SCOPE_SE
	ds_load_b64 v[1:2], v1 offset:5136
	s_load_b32 s3, s[0:1], 0x4f8
	v_mov_b32_e32 v19, s25
	s_wait_dscnt 0x0
	v_cmp_gt_i64_e32 vcc_lo, 1, v[1:2]
	s_wait_kmcnt 0x0
	s_bitcmp1_b32 s3, 0
	s_cselect_b32 s3, -1, 0
	s_delay_alu instid0(SALU_CYCLE_1) | instskip(NEXT) | instid1(SALU_CYCLE_1)
	s_or_b32 s3, s3, vcc_lo
	s_and_not1_b32 vcc_lo, exec_lo, s3
	s_cbranch_vccnz .LBB93_9
; %bb.8:
	v_not_b32_e32 v1, v1
	v_not_b32_e32 v2, v2
	s_delay_alu instid0(VALU_DEP_2) | instskip(NEXT) | instid1(VALU_DEP_1)
	v_add_co_u32 v1, vcc_lo, s24, v1
	v_add_co_ci_u32_e64 v2, null, s25, v2, vcc_lo
	s_delay_alu instid0(VALU_DEP_1) | instskip(NEXT) | instid1(VALU_DEP_1)
	v_lshrrev_b64 v[1:2], 1, v[1:2]
	v_add_co_u32 v18, vcc_lo, v1, 1
	s_wait_alu 0xfffd
	s_delay_alu instid0(VALU_DEP_2)
	v_add_co_ci_u32_e64 v19, null, 0, v2, vcc_lo
.LBB93_9:
	s_clause 0x1
	s_load_b128 s[4:7], s[0:1], 0x410
	s_load_b64 s[16:17], s[0:1], 0x340
	s_add_nc_u64 s[12:13], s[0:1], 0x500
	s_and_saveexec_b32 s3, s2
	s_cbranch_execz .LBB93_11
; %bb.10:
	v_dual_mov_b32 v1, 0 :: v_dual_mov_b32 v4, s25
	s_delay_alu instid0(VALU_DEP_1)
	v_dual_mov_b32 v3, s24 :: v_dual_mov_b32 v2, v1
	ds_store_b32 v1, v1 offset:5144
	ds_store_b128 v1, v[1:4] offset:5120
.LBB93_11:
	s_or_b32 exec_lo, exec_lo, s3
	s_mul_u64 s[10:11], s[14:15], s[10:11]
	s_wait_kmcnt 0x0
	s_mul_u64 s[4:5], s[14:15], s[4:5]
	s_wait_alu 0xfffe
	s_sub_nc_u64 s[10:11], s[34:35], s[10:11]
	s_lshl_b64 s[4:5], s[4:5], 2
	s_wait_alu 0xfffe
	s_mul_u64 s[6:7], s[10:11], s[6:7]
	s_add_nc_u64 s[4:5], s[16:17], s[4:5]
	s_lshl_b64 s[6:7], s[6:7], 2
	s_clause 0x3
	s_load_b128 s[28:31], s[0:1], 0x270
	s_load_b64 s[48:49], s[0:1], 0x1a0
	s_load_b128 s[36:39], s[0:1], 0xd0
	s_load_b64 s[54:55], s[0:1], 0x0
	s_add_nc_u64 s[50:51], s[4:5], s[6:7]
	s_wait_loadcnt_dscnt 0x0
	s_barrier_signal -1
	s_barrier_wait -1
	global_inv scope:SCOPE_SE
	s_load_b32 s4, s[12:13], 0xc
	v_mad_co_u64_u32 v[2:3], null, s42, v0, 0
	v_mov_b32_e32 v10, 0
	v_mbcnt_lo_u32_b32 v24, -1, 0
	v_cmp_gt_u32_e32 vcc_lo, 32, v0
	v_lshlrev_b32_e32 v11, 2, v0
	s_mov_b32 s57, 0
	v_cmp_lt_u64_e64 s74, 0x300, s[24:25]
	v_mov_b32_e32 v1, v3
	v_cmp_gt_i32_e64 s3, 4, v24
	v_mov_b32_e32 v12, v10
	s_mov_b32 s53, s57
	v_cmp_eq_u32_e64 s1, 0, v24
	v_mad_co_u64_u32 v[3:4], null, s43, v0, v[1:2]
	s_and_b32 s33, vcc_lo, s3
	v_mov_b32_e32 v1, v10
	v_lshlrev_b64_e64 v[4:5], v24, -1
	v_cmp_gt_u32_e64 s3, 2, v0
	s_wait_kmcnt 0x0
	s_and_b32 s52, s4, 0xffff
	s_bfe_u32 s4, s4, 0xb0005
	s_cmp_gt_u32 s52, 31
	v_lshlrev_b64_e32 v[2:3], 2, v[2:3]
	s_cselect_b32 s75, -1, 0
	s_cmp_lt_u32 ttmp9, s8
	v_cmp_gt_u64_e64 s0, s[24:25], v[0:1]
	s_cselect_b32 s56, 12, 18
	s_add_co_i32 s5, s4, -1
	s_bfe_u32 s76, s52, 0x30005
	s_and_b32 s5, s5, 0xffff
	v_add_co_u32 v13, vcc_lo, s50, v2
	s_cmp_gt_u32 s5, 6
	s_movk_i32 s5, 0x3e0
	v_add_nc_u32_e32 v25, 0xc00, v11
	s_wait_alu 0xfffd
	v_add_co_ci_u32_e64 v14, null, s51, v3, vcc_lo
	v_not_b32_e32 v26, v4
	s_cselect_b32 s77, -1, 0
	s_and_b32 s78, s4, 0x7f8
	v_and_or_b32 v28, v0, s5, 0xc00
	v_lshlrev_b32_e32 v29, 4, v0
	v_lshl_or_b32 v30, v24, 3, 0xc00
	v_mov_b32_e32 v15, 1
	v_mov_b32_e32 v17, 0
	;; [unrolled: 1-line block ×4, first 2 shown]
	s_add_nc_u64 s[58:59], s[52:53], -1
	s_cmp_lg_u32 s76, 0
	s_add_nc_u64 s[60:61], s[58:59], s[24:25]
	s_cselect_b32 s79, -1, 0
	s_lshl_b32 s80, s52, 2
	s_mov_b32 s81, 30
	s_add_nc_u64 s[62:63], s[12:13], s[56:57]
	s_mov_b32 s83, 0x4f800000
	s_mov_b32 s82, 0
	;; [unrolled: 1-line block ×3, first 2 shown]
                                        ; implicit-def: $sgpr88
                                        ; implicit-def: $sgpr90
                                        ; implicit-def: $sgpr85
                                        ; implicit-def: $sgpr87
                                        ; implicit-def: $sgpr89
                                        ; implicit-def: $sgpr86
	s_branch .LBB93_15
.LBB93_12:                              ;   in Loop: Header=BB93_15 Depth=1
	s_wait_alu 0xfffe
	s_or_b32 exec_lo, exec_lo, s7
	s_delay_alu instid0(SALU_CYCLE_1)
	s_and_b32 s5, s5, exec_lo
	s_and_not1_b32 s20, s20, exec_lo
	s_and_not1_b32 s19, s19, exec_lo
	s_or_not1_b32 s16, s6, exec_lo
.LBB93_13:                              ;   in Loop: Header=BB93_15 Depth=1
	s_wait_alu 0xfffe
	s_or_b32 exec_lo, exec_lo, s4
	s_delay_alu instid0(SALU_CYCLE_1)
	s_and_not1_b32 s4, s86, exec_lo
	s_and_b32 s5, s5, exec_lo
	s_and_not1_b32 s6, s87, exec_lo
	s_wait_alu 0xfffe
	s_or_b32 s86, s4, s5
	s_and_not1_b32 s4, s89, exec_lo
	s_and_b32 s5, s20, exec_lo
	s_and_b32 s7, s19, exec_lo
	s_wait_alu 0xfffe
	s_or_b32 s89, s4, s5
	s_or_b32 s87, s6, s7
	s_or_not1_b32 s16, s16, exec_lo
.LBB93_14:                              ;   in Loop: Header=BB93_15 Depth=1
	s_wait_alu 0xfffe
	s_or_b32 exec_lo, exec_lo, s15
	s_delay_alu instid0(SALU_CYCLE_1)
	s_and_b32 s4, exec_lo, s16
	v_dual_mov_b32 v19, v7 :: v_dual_mov_b32 v18, v6
	s_wait_alu 0xfffe
	s_or_b32 s82, s4, s82
	s_and_not1_b32 s4, s85, exec_lo
	s_and_b32 s5, s86, exec_lo
	s_and_not1_b32 s6, s90, exec_lo
	s_wait_alu 0xfffe
	s_or_b32 s85, s4, s5
	s_and_b32 s4, s89, exec_lo
	s_and_not1_b32 s5, s88, exec_lo
	s_and_b32 s7, s87, exec_lo
	s_wait_alu 0xfffe
	s_or_b32 s90, s6, s4
	s_or_b32 s88, s5, s7
	s_and_not1_b32 exec_lo, exec_lo, s82
	s_cbranch_execz .LBB93_272
.LBB93_15:                              ; =>This Loop Header: Depth=1
                                        ;     Child Loop BB93_21 Depth 2
                                        ;     Child Loop BB93_34 Depth 2
	;; [unrolled: 1-line block ×16, first 2 shown]
	ds_load_b128 v[2:5], v10 offset:5120
	s_wait_dscnt 0x0
	v_readfirstlane_b32 s65, v3
	v_readfirstlane_b32 s64, v2
	s_cmp_lg_u64 s[64:65], 0
	s_cbranch_scc1 .LBB93_42
; %bb.16:                               ;   in Loop: Header=BB93_15 Depth=1
	s_and_b32 vcc_lo, exec_lo, s74
	s_wait_alu 0xfffe
	s_cbranch_vccz .LBB93_29
; %bb.17:                               ;   in Loop: Header=BB93_15 Depth=1
	v_cmp_gt_u64_e32 vcc_lo, 0x301, v[4:5]
	s_mov_b32 s6, 0
	s_mov_b32 s4, 0
	s_cbranch_vccz .LBB93_30
; %bb.18:                               ;   in Loop: Header=BB93_15 Depth=1
	s_and_saveexec_b32 s7, s0
	s_cbranch_execz .LBB93_139
; %bb.19:                               ;   in Loop: Header=BB93_15 Depth=1
	global_load_u16 v2, v10, s[62:63]
	global_load_b32 v5, v[13:14], off
	s_mov_b32 s8, 0
	s_wait_loadcnt 0x1
	v_dual_mov_b32 v3, v1 :: v_dual_and_b32 v4, 0xffff, v2
	v_mov_b32_e32 v2, v0
	s_branch .LBB93_21
.LBB93_20:                              ;   in Loop: Header=BB93_21 Depth=2
	s_wait_alu 0xfffe
	s_or_b32 exec_lo, exec_lo, s5
	v_mov_b32_e32 v5, v6
	s_and_not1_b32 exec_lo, exec_lo, s8
	s_cbranch_execz .LBB93_139
.LBB93_21:                              ;   Parent Loop BB93_15 Depth=1
                                        ; =>  This Inner Loop Header: Depth=2
	s_delay_alu instid0(VALU_DEP_1)
	v_add_co_u32 v2, vcc_lo, v2, v4
	s_wait_alu 0xfffd
	v_add_co_ci_u32_e64 v3, null, 0, v3, vcc_lo
	s_wait_dscnt 0x0
	v_dual_mov_b32 v7, 0 :: v_dual_mov_b32 v6, 0
	s_mov_b32 s5, exec_lo
	s_delay_alu instid0(VALU_DEP_2)
	v_cmp_le_u64_e32 vcc_lo, s[24:25], v[2:3]
	v_cmpx_gt_u64_e64 s[24:25], v[2:3]
	s_cbranch_execz .LBB93_23
; %bb.22:                               ;   in Loop: Header=BB93_21 Depth=2
	v_mul_lo_u32 v6, v3, s42
	v_mul_lo_u32 v16, v2, s43
	v_mad_co_u64_u32 v[8:9], null, v2, s42, 0
	s_delay_alu instid0(VALU_DEP_1) | instskip(NEXT) | instid1(VALU_DEP_1)
	v_add3_u32 v9, v9, v16, v6
	v_lshlrev_b64_e32 v[8:9], 2, v[8:9]
	s_delay_alu instid0(VALU_DEP_1) | instskip(SKIP_1) | instid1(VALU_DEP_2)
	v_add_co_u32 v8, s4, s50, v8
	s_wait_alu 0xf1fe
	v_add_co_ci_u32_e64 v9, null, s51, v9, s4
	global_load_b32 v6, v[8:9], off
.LBB93_23:                              ;   in Loop: Header=BB93_21 Depth=2
	s_wait_alu 0xfffe
	s_or_b32 exec_lo, exec_lo, s5
	s_wait_loadcnt 0x0
	v_xor_b32_e32 v8, 0x80000000, v5
	s_delay_alu instid0(VALU_DEP_1) | instskip(NEXT) | instid1(VALU_DEP_1)
	v_and_b32_e32 v8, v8, v31
	v_cmp_eq_u32_e64 s4, v8, v27
	s_cmp_lg_u32 s4, 0
	s_cselect_b32 s5, -1, 0
	s_wait_alu 0xfffe
	s_and_b32 s5, s1, s5
	s_wait_alu 0xfffe
	s_and_saveexec_b32 s9, s5
	s_cbranch_execz .LBB93_27
; %bb.24:                               ;   in Loop: Header=BB93_21 Depth=2
	s_mov_b32 s12, exec_lo
	s_bcnt1_i32_b32 s10, s4
	s_wait_alu 0xfffe
	v_mbcnt_lo_u32_b32 v7, s12, 0
	s_mov_b32 s11, exec_lo
                                        ; implicit-def: $vgpr8
	s_delay_alu instid0(VALU_DEP_1)
	v_cmpx_eq_u32_e32 0, v7
; %bb.25:                               ;   in Loop: Header=BB93_21 Depth=2
	s_bcnt1_i32_b32 s5, s12
	s_wait_alu 0xfffe
	s_mul_i32 s5, s10, s5
	s_wait_alu 0xfffe
	v_mov_b32_e32 v8, s5
	ds_add_rtn_u32 v8, v10, v8 offset:5144
; %bb.26:                               ;   in Loop: Header=BB93_21 Depth=2
	s_or_b32 exec_lo, exec_lo, s11
	s_wait_dscnt 0x0
	v_readfirstlane_b32 s5, v8
	s_wait_alu 0xf1ff
	s_delay_alu instid0(VALU_DEP_1)
	v_mad_u32_u24 v7, s10, v7, s5
.LBB93_27:                              ;   in Loop: Header=BB93_21 Depth=2
	s_wait_alu 0xfffe
	s_or_b32 exec_lo, exec_lo, s9
	ds_bpermute_b32 v7, v10, v7
	s_and_b32 s5, exec_lo, vcc_lo
	s_wait_alu 0xfffe
	s_or_b32 s8, s5, s8
	s_and_saveexec_b32 s5, s4
	s_cbranch_execz .LBB93_20
; %bb.28:                               ;   in Loop: Header=BB93_21 Depth=2
	v_and_b32_e32 v8, s4, v26
	s_delay_alu instid0(VALU_DEP_1) | instskip(NEXT) | instid1(VALU_DEP_1)
	v_bcnt_u32_b32 v8, v8, 0
	v_lshlrev_b32_e32 v8, 2, v8
	s_wait_dscnt 0x0
	s_delay_alu instid0(VALU_DEP_1)
	v_lshl_add_u32 v7, v7, 2, v8
	ds_store_b32 v7, v5
	s_branch .LBB93_20
.LBB93_29:                              ;   in Loop: Header=BB93_15 Depth=1
	s_mov_b32 s6, -1
	s_mov_b32 s4, 0
.LBB93_30:                              ;   in Loop: Header=BB93_15 Depth=1
	s_wait_alu 0xfffe
	s_and_b32 vcc_lo, exec_lo, s6
	s_wait_alu 0xfffe
	s_cbranch_vccz .LBB93_40
.LBB93_31:                              ;   in Loop: Header=BB93_15 Depth=1
	s_and_saveexec_b32 s4, s0
	s_cbranch_execz .LBB93_37
; %bb.32:                               ;   in Loop: Header=BB93_15 Depth=1
	global_load_u16 v2, v10, s[62:63]
	global_load_b32 v6, v[13:14], off
	s_mov_b32 s5, exec_lo
	s_wait_loadcnt 0x1
	v_dual_mov_b32 v2, v0 :: v_dual_and_b32 v7, 0xffff, v2
	s_delay_alu instid0(VALU_DEP_1) | instskip(NEXT) | instid1(VALU_DEP_1)
	v_add_nc_u32_e32 v9, v7, v0
	v_cmpx_gt_u64_e64 s[24:25], v[9:10]
	s_cbranch_execz .LBB93_36
; %bb.33:                               ;   in Loop: Header=BB93_15 Depth=1
	v_dual_mov_b32 v4, v9 :: v_dual_mov_b32 v5, v10
	v_dual_mov_b32 v3, v1 :: v_dual_mov_b32 v2, v0
	s_mov_b32 s6, 0
.LBB93_34:                              ;   Parent Loop BB93_15 Depth=1
                                        ; =>  This Inner Loop Header: Depth=2
	s_delay_alu instid0(VALU_DEP_2) | instskip(NEXT) | instid1(VALU_DEP_2)
	v_dual_mov_b32 v21, v5 :: v_dual_mov_b32 v20, v4
	v_lshlrev_b32_e32 v2, 2, v2
	s_delay_alu instid0(VALU_DEP_2) | instskip(NEXT) | instid1(VALU_DEP_3)
	v_mul_lo_u32 v5, v21, s42
	v_mul_lo_u32 v8, v20, s43
	v_mad_co_u64_u32 v[3:4], null, v20, s42, 0
	s_wait_loadcnt 0x0
	ds_store_b32 v2, v6
	v_add3_u32 v4, v4, v8, v5
	s_delay_alu instid0(VALU_DEP_1) | instskip(NEXT) | instid1(VALU_DEP_1)
	v_lshlrev_b64_e32 v[3:4], 2, v[3:4]
	v_add_co_u32 v3, vcc_lo, s50, v3
	s_wait_alu 0xfffd
	s_delay_alu instid0(VALU_DEP_2)
	v_add_co_ci_u32_e64 v4, null, s51, v4, vcc_lo
	global_load_b32 v8, v[3:4], off
	v_add_co_u32 v4, vcc_lo, v20, v7
	s_wait_alu 0xfffd
	v_add_co_ci_u32_e64 v5, null, 0, v21, vcc_lo
	v_dual_mov_b32 v2, v20 :: v_dual_mov_b32 v3, v21
	s_delay_alu instid0(VALU_DEP_2)
	v_cmp_le_u64_e32 vcc_lo, s[24:25], v[4:5]
	s_wait_alu 0xfffe
	s_or_b32 s6, vcc_lo, s6
	s_wait_loadcnt 0x0
	v_mov_b32_e32 v6, v8
	s_wait_alu 0xfffe
	s_and_not1_b32 exec_lo, exec_lo, s6
	s_cbranch_execnz .LBB93_34
; %bb.35:                               ;   in Loop: Header=BB93_15 Depth=1
	s_or_b32 exec_lo, exec_lo, s6
	v_sub_nc_u32_e32 v2, v4, v7
	v_mov_b32_e32 v6, v8
.LBB93_36:                              ;   in Loop: Header=BB93_15 Depth=1
	s_wait_alu 0xfffe
	s_or_b32 exec_lo, exec_lo, s5
	s_delay_alu instid0(VALU_DEP_2)
	v_lshlrev_b32_e32 v2, 2, v2
	s_wait_loadcnt 0x0
	ds_store_b32 v2, v6
.LBB93_37:                              ;   in Loop: Header=BB93_15 Depth=1
	s_wait_alu 0xfffe
	s_or_b32 exec_lo, exec_lo, s4
	s_wait_loadcnt_dscnt 0x0
	s_barrier_signal -1
	s_barrier_wait -1
	global_inv scope:SCOPE_SE
	s_and_saveexec_b32 s4, s2
; %bb.38:                               ;   in Loop: Header=BB93_15 Depth=1
	v_dual_mov_b32 v2, s24 :: v_dual_mov_b32 v3, s25
	ds_store_b64 v10, v[2:3] offset:5120
; %bb.39:                               ;   in Loop: Header=BB93_15 Depth=1
	s_wait_alu 0xfffe
	s_or_b32 exec_lo, exec_lo, s4
	s_mov_b32 s4, -1
	s_wait_loadcnt_dscnt 0x0
	s_barrier_signal -1
	s_barrier_wait -1
.LBB93_40:                              ;   in Loop: Header=BB93_15 Depth=1
	s_wait_alu 0xfffe
	s_and_b32 vcc_lo, exec_lo, s4
	s_mov_b64 s[64:65], 0
	s_wait_alu 0xfffe
	s_cbranch_vccz .LBB93_42
; %bb.41:                               ;   in Loop: Header=BB93_15 Depth=1
	s_wait_loadcnt 0x0
	global_inv scope:SCOPE_SE
	ds_load_b64 v[2:3], v10 offset:5120
	s_wait_dscnt 0x0
	v_readfirstlane_b32 s64, v2
.LBB93_42:                              ;   in Loop: Header=BB93_15 Depth=1
	s_delay_alu instid0(VALU_DEP_1)
	s_cmp_lt_i32 s64, 1
	s_mov_b32 s4, -1
                                        ; implicit-def: $vgpr2_vgpr3
                                        ; implicit-def: $vgpr6_vgpr7
	s_cbranch_scc1 .LBB93_52
; %bb.43:                               ;   in Loop: Header=BB93_15 Depth=1
	s_wait_alu 0xfffe
	s_and_b32 vcc_lo, exec_lo, s4
	s_wait_alu 0xfffe
	s_cbranch_vccnz .LBB93_66
.LBB93_44:                              ;   in Loop: Header=BB93_15 Depth=1
	s_lshl_b32 s4, s84, 7
	s_and_saveexec_b32 s5, s1
	s_cbranch_execz .LBB93_46
.LBB93_45:                              ;   in Loop: Header=BB93_15 Depth=1
	s_wait_alu 0xfffe
	v_lshl_add_u32 v16, s4, 3, v28
	ds_store_b128 v16, v[2:5]
	ds_store_b128 v16, v[6:9] offset:16
.LBB93_46:                              ;   in Loop: Header=BB93_15 Depth=1
	s_wait_alu 0xfffe
	s_or_b32 exec_lo, exec_lo, s5
	s_wait_loadcnt_dscnt 0x0
	s_barrier_signal -1
	s_barrier_wait -1
	global_inv scope:SCOPE_SE
	s_and_saveexec_b32 s5, s33
	s_cbranch_execz .LBB93_80
; %bb.47:                               ;   in Loop: Header=BB93_15 Depth=1
	v_mov_b32_e32 v2, 0
	v_mov_b32_e32 v3, 0
	s_and_not1_b32 vcc_lo, exec_lo, s75
	s_wait_alu 0xfffe
	s_cbranch_vccnz .LBB93_79
; %bb.48:                               ;   in Loop: Header=BB93_15 Depth=1
	v_mov_b32_e32 v2, 0
	v_mov_b32_e32 v3, 0
	s_and_not1_b32 vcc_lo, exec_lo, s77
	s_wait_alu 0xfffe
	s_cbranch_vccnz .LBB93_76
; %bb.49:                               ;   in Loop: Header=BB93_15 Depth=1
	v_lshl_add_u32 v4, s84, 10, v30
	s_mov_b32 s6, 0
.LBB93_50:                              ;   Parent Loop BB93_15 Depth=1
                                        ; =>  This Inner Loop Header: Depth=2
	ds_load_2addr_b64 v[5:8], v4 offset1:4
	ds_load_2addr_b64 v[20:23], v4 offset0:8 offset1:12
	ds_load_2addr_b64 v[32:35], v4 offset0:16 offset1:20
	s_wait_alu 0xfffe
	s_add_co_i32 s6, s6, 8
	s_wait_alu 0xfffe
	s_cmp_eq_u32 s78, s6
	s_wait_dscnt 0x2
	v_add_co_u32 v2, vcc_lo, v5, v2
	s_wait_alu 0xfffd
	v_add_co_ci_u32_e64 v3, null, v6, v3, vcc_lo
	s_delay_alu instid0(VALU_DEP_2) | instskip(SKIP_1) | instid1(VALU_DEP_2)
	v_add_co_u32 v2, vcc_lo, v7, v2
	s_wait_alu 0xfffd
	v_add_co_ci_u32_e64 v3, null, v8, v3, vcc_lo
	ds_load_2addr_b64 v[5:8], v4 offset0:24 offset1:28
	s_wait_dscnt 0x2
	v_add_co_u32 v2, vcc_lo, v20, v2
	s_wait_alu 0xfffd
	v_add_co_ci_u32_e64 v3, null, v21, v3, vcc_lo
	v_add_nc_u32_e32 v4, 0x100, v4
	s_delay_alu instid0(VALU_DEP_3) | instskip(SKIP_1) | instid1(VALU_DEP_3)
	v_add_co_u32 v2, vcc_lo, v22, v2
	s_wait_alu 0xfffd
	v_add_co_ci_u32_e64 v3, null, v23, v3, vcc_lo
	s_wait_dscnt 0x1
	s_delay_alu instid0(VALU_DEP_2) | instskip(SKIP_1) | instid1(VALU_DEP_2)
	v_add_co_u32 v2, vcc_lo, v32, v2
	s_wait_alu 0xfffd
	v_add_co_ci_u32_e64 v3, null, v33, v3, vcc_lo
	s_delay_alu instid0(VALU_DEP_2) | instskip(SKIP_1) | instid1(VALU_DEP_2)
	v_add_co_u32 v2, vcc_lo, v34, v2
	s_wait_alu 0xfffd
	v_add_co_ci_u32_e64 v3, null, v35, v3, vcc_lo
	s_wait_dscnt 0x0
	s_delay_alu instid0(VALU_DEP_2) | instskip(SKIP_1) | instid1(VALU_DEP_2)
	v_add_co_u32 v2, vcc_lo, v5, v2
	s_wait_alu 0xfffd
	v_add_co_ci_u32_e64 v3, null, v6, v3, vcc_lo
	s_delay_alu instid0(VALU_DEP_2) | instskip(SKIP_1) | instid1(VALU_DEP_2)
	v_add_co_u32 v2, vcc_lo, v7, v2
	s_wait_alu 0xfffd
	v_add_co_ci_u32_e64 v3, null, v8, v3, vcc_lo
	s_cbranch_scc0 .LBB93_50
; %bb.51:                               ;   in Loop: Header=BB93_15 Depth=1
	s_mov_b32 s6, s78
	s_and_not1_b32 vcc_lo, exec_lo, s79
	s_wait_alu 0xfffe
	s_cbranch_vccz .LBB93_77
	s_branch .LBB93_79
.LBB93_52:                              ;   in Loop: Header=BB93_15 Depth=1
	global_load_u16 v16, v10, s[62:63]
	s_mov_b32 s5, s25
	s_wait_loadcnt 0x0
	v_readfirstlane_b32 s4, v16
	s_wait_alu 0xfffe
	s_and_b32 s6, 0xffff, s4
	s_mov_b32 s4, s57
	s_wait_alu 0xfffe
	s_lshl_b32 s16, s6, 2
	s_cmp_lg_u64 s[4:5], 0
	s_cbranch_scc0 .LBB93_75
; %bb.53:                               ;   in Loop: Header=BB93_15 Depth=1
	s_wait_alu 0xfffe
	s_cvt_f32_u32 s4, s16
	s_mov_b32 s17, s57
	s_wait_alu 0xfffe
	s_sub_nc_u64 s[6:7], 0, s[16:17]
	s_fmamk_f32 s4, s83, 0x0, s4
	s_wait_alu 0xfffe
	s_delay_alu instid0(SALU_CYCLE_2) | instskip(NEXT) | instid1(TRANS32_DEP_1)
	v_s_rcp_f32 s4, s4
	s_mul_f32 s4, s4, 0x5f7ffffc
	s_wait_alu 0xfffe
	s_delay_alu instid0(SALU_CYCLE_2) | instskip(SKIP_1) | instid1(SALU_CYCLE_2)
	s_mul_f32 s5, s4, 0x2f800000
	s_wait_alu 0xfffe
	s_trunc_f32 s5, s5
	s_wait_alu 0xfffe
	s_delay_alu instid0(SALU_CYCLE_2) | instskip(SKIP_2) | instid1(SALU_CYCLE_1)
	s_fmamk_f32 s4, s5, 0xcf800000, s4
	s_cvt_u32_f32 s5, s5
	s_wait_alu 0xfffe
	s_cvt_u32_f32 s4, s4
	s_wait_alu 0xfffe
	s_delay_alu instid0(SALU_CYCLE_2)
	s_mul_u64 s[8:9], s[6:7], s[4:5]
	s_wait_alu 0xfffe
	s_mul_hi_u32 s11, s4, s9
	s_mul_i32 s10, s4, s9
	s_mul_hi_u32 s56, s4, s8
	s_mul_i32 s13, s5, s8
	s_wait_alu 0xfffe
	s_add_nc_u64 s[10:11], s[56:57], s[10:11]
	s_mul_hi_u32 s12, s5, s8
	s_mul_hi_u32 s14, s5, s9
	s_mul_i32 s8, s5, s9
	s_wait_alu 0xfffe
	s_add_co_u32 s9, s10, s13
	s_add_co_ci_u32 s56, s11, s12
	s_add_co_ci_u32 s9, s14, 0
	s_wait_alu 0xfffe
	s_add_nc_u64 s[8:9], s[56:57], s[8:9]
	s_wait_alu 0xfffe
	s_add_co_u32 s4, s4, s8
	s_cselect_b32 s8, -1, 0
	s_wait_alu 0xfffe
	s_cmp_lg_u32 s8, 0
	s_add_co_ci_u32 s5, s5, s9
	s_wait_alu 0xfffe
	s_mul_u64 s[6:7], s[6:7], s[4:5]
	s_wait_alu 0xfffe
	s_mul_hi_u32 s9, s4, s7
	s_mul_i32 s8, s4, s7
	s_mul_hi_u32 s56, s4, s6
	s_mul_i32 s11, s5, s6
	s_wait_alu 0xfffe
	s_add_nc_u64 s[8:9], s[56:57], s[8:9]
	s_mul_hi_u32 s10, s5, s6
	s_mul_hi_u32 s12, s5, s7
	s_mul_i32 s6, s5, s7
	s_wait_alu 0xfffe
	s_add_co_u32 s7, s8, s11
	s_add_co_ci_u32 s56, s9, s10
	s_add_co_ci_u32 s7, s12, 0
	s_wait_alu 0xfffe
	s_add_nc_u64 s[6:7], s[56:57], s[6:7]
	s_wait_alu 0xfffe
	s_add_co_u32 s4, s4, s6
	s_cselect_b32 s6, -1, 0
	s_wait_alu 0xfffe
	s_mul_hi_u32 s56, s24, s4
	s_cmp_lg_u32 s6, 0
	s_mul_hi_u32 s8, s25, s4
	s_add_co_ci_u32 s6, s5, s7
	s_mul_i32 s7, s25, s4
	s_wait_alu 0xfffe
	s_mul_hi_u32 s5, s24, s6
	s_mul_i32 s4, s24, s6
	s_mul_hi_u32 s9, s25, s6
	s_wait_alu 0xfffe
	s_add_nc_u64 s[4:5], s[56:57], s[4:5]
	s_mul_i32 s6, s25, s6
	s_wait_alu 0xfffe
	s_add_co_u32 s4, s4, s7
	s_add_co_ci_u32 s56, s5, s8
	s_add_co_ci_u32 s7, s9, 0
	s_wait_alu 0xfffe
	s_add_nc_u64 s[4:5], s[56:57], s[6:7]
	s_wait_alu 0xfffe
	s_mul_u64 s[4:5], s[16:17], s[4:5]
	s_wait_alu 0xfffe
	s_sub_co_u32 s4, s24, s4
	s_cselect_b32 s6, -1, 0
	s_wait_alu 0xfffe
	s_cmp_lg_u32 s6, 0
	s_sub_co_ci_u32 s5, s25, s5
	s_sub_co_u32 s6, s4, s16
	s_cselect_b32 s7, -1, 0
	s_wait_alu 0xfffe
	s_cmp_lg_u32 s7, 0
	s_sub_co_ci_u32 s7, s5, 0
	;; [unrolled: 5-line block ×3, first 2 shown]
	s_cmp_ge_u32 s6, s16
	s_cselect_b32 s10, -1, 0
	s_cmp_eq_u32 s7, 0
	s_wait_alu 0xfffe
	s_cselect_b32 s10, s10, -1
	s_wait_alu 0xfffe
	s_cmp_lg_u32 s10, 0
	s_cselect_b32 s7, s9, s7
	s_cselect_b32 s6, s8, s6
	s_cmp_ge_u32 s4, s16
	s_cselect_b32 s8, -1, 0
	s_cmp_eq_u32 s5, 0
	s_wait_alu 0xfffe
	s_cselect_b32 s8, s8, -1
	s_wait_alu 0xfffe
	s_cmp_lg_u32 s8, 0
	s_cselect_b32 s5, s7, s5
	s_cselect_b32 s4, s6, s4
	s_cbranch_execnz .LBB93_55
.LBB93_54:                              ;   in Loop: Header=BB93_15 Depth=1
	s_wait_alu 0xfffe
	v_cvt_f32_u32_e32 v2, s16
	s_sub_co_i32 s5, 0, s16
	s_delay_alu instid0(VALU_DEP_1) | instskip(NEXT) | instid1(TRANS32_DEP_1)
	v_rcp_iflag_f32_e32 v2, v2
	v_mul_f32_e32 v2, 0x4f7ffffe, v2
	s_delay_alu instid0(VALU_DEP_1) | instskip(NEXT) | instid1(VALU_DEP_1)
	v_cvt_u32_f32_e32 v2, v2
	v_readfirstlane_b32 s4, v2
	s_wait_alu 0xfffe
	s_mul_i32 s5, s5, s4
	s_wait_alu 0xfffe
	s_mul_hi_u32 s5, s4, s5
	s_wait_alu 0xfffe
	s_add_co_i32 s4, s4, s5
	s_wait_alu 0xfffe
	s_mul_hi_u32 s4, s24, s4
	s_wait_alu 0xfffe
	s_mul_i32 s4, s4, s16
	s_wait_alu 0xfffe
	s_sub_co_i32 s4, s24, s4
	s_wait_alu 0xfffe
	s_sub_co_i32 s5, s4, s16
	s_cmp_ge_u32 s4, s16
	s_wait_alu 0xfffe
	s_cselect_b32 s4, s5, s4
	s_wait_alu 0xfffe
	s_sub_co_i32 s5, s4, s16
	s_cmp_ge_u32 s4, s16
	s_wait_alu 0xfffe
	s_cselect_b32 s56, s5, s4
	s_wait_alu 0xfffe
	s_mov_b64 s[4:5], s[56:57]
.LBB93_55:                              ;   in Loop: Header=BB93_15 Depth=1
	v_mov_b32_e32 v2, 0
	v_dual_mov_b32 v6, 0 :: v_dual_mov_b32 v3, 0
	v_dual_mov_b32 v4, 0 :: v_dual_mov_b32 v7, 0
	;; [unrolled: 1-line block ×3, first 2 shown]
	v_mov_b32_e32 v9, 0
	s_wait_alu 0xfffe
	s_sub_nc_u64 s[18:19], s[24:25], s[4:5]
	s_mov_b32 s15, exec_lo
	s_wait_alu 0xfffe
	v_cmpx_gt_u64_e64 s[18:19], v[11:12]
	s_cbranch_execz .LBB93_59
; %bb.56:                               ;   in Loop: Header=BB93_15 Depth=1
	v_dual_mov_b32 v21, v12 :: v_dual_mov_b32 v20, v11
	s_mov_b64 s[20:21], 0
	s_mov_b32 s17, 0
	s_mov_b64 s[22:23], 0
	s_mov_b64 s[66:67], 0
	;; [unrolled: 1-line block ×3, first 2 shown]
.LBB93_57:                              ;   Parent Loop BB93_15 Depth=1
                                        ; =>  This Inner Loop Header: Depth=2
	v_mul_lo_u32 v4, v21, s42
	v_mul_lo_u32 v5, v20, s43
	v_mad_co_u64_u32 v[2:3], null, v20, s42, 0
	s_lshl_b64 s[4:5], s[42:43], 2
	v_add3_u32 v3, v3, v5, v4
	s_delay_alu instid0(VALU_DEP_1) | instskip(NEXT) | instid1(VALU_DEP_1)
	v_lshlrev_b64_e32 v[2:3], 2, v[2:3]
	v_add_co_u32 v2, vcc_lo, s50, v2
	s_wait_alu 0xfffd
	s_delay_alu instid0(VALU_DEP_2) | instskip(SKIP_1) | instid1(VALU_DEP_2)
	v_add_co_ci_u32_e64 v3, null, s51, v3, vcc_lo
	s_wait_alu 0xfffe
	v_add_co_u32 v4, vcc_lo, v2, s4
	s_wait_alu 0xfffd
	s_delay_alu instid0(VALU_DEP_2)
	v_add_co_ci_u32_e64 v5, null, s5, v3, vcc_lo
	global_load_b32 v6, v[2:3], off
	v_add_co_u32 v2, vcc_lo, v4, s4
	s_wait_alu 0xfffd
	v_add_co_ci_u32_e64 v3, null, s5, v5, vcc_lo
	s_clause 0x1
	global_load_b32 v4, v[4:5], off
	global_load_b32 v5, v[2:3], off
	v_add_co_u32 v2, vcc_lo, v2, s4
	s_wait_alu 0xfffd
	v_add_co_ci_u32_e64 v3, null, s5, v3, vcc_lo
	v_add_co_u32 v20, vcc_lo, v20, s16
	s_wait_alu 0xfffd
	v_add_co_ci_u32_e64 v21, null, 0, v21, vcc_lo
	global_load_b32 v2, v[2:3], off
	v_cmp_le_u64_e32 vcc_lo, s[18:19], v[20:21]
	s_wait_loadcnt 0x3
	v_xor_b32_e32 v3, 0x80000000, v6
	s_delay_alu instid0(VALU_DEP_1)
	v_and_b32_e32 v6, v3, v31
	s_wait_loadcnt 0x2
	v_xor_b32_e32 v4, 0x80000000, v4
	v_bfe_u32 v3, v3, s81, 2
	s_wait_loadcnt 0x1
	v_xor_b32_e32 v5, 0x80000000, v5
	v_cmp_eq_u32_e64 s4, v6, v27
	v_and_b32_e32 v6, v4, v31
	v_bfe_u32 v4, v4, s81, 2
	v_cmp_eq_u32_e64 s5, 0, v3
	v_cmp_eq_u32_e64 s6, 1, v3
	;; [unrolled: 1-line block ×4, first 2 shown]
	s_wait_loadcnt 0x0
	v_xor_b32_e32 v2, 0x80000000, v2
	v_cmp_eq_u32_e64 s9, v6, v27
	v_and_b32_e32 v3, v5, v31
	v_bfe_u32 v5, v5, s81, 2
	v_cmp_eq_u32_e64 s10, 0, v4
	s_and_b32 s5, s4, s5
	s_and_b32 s6, s4, s6
	;; [unrolled: 1-line block ×3, first 2 shown]
	s_wait_alu 0xfffe
	v_cndmask_b32_e64 v6, 0, 1, s5
	v_cmp_eq_u32_e64 s5, 1, v4
	v_cndmask_b32_e64 v7, 0, 1, s6
	v_cmp_eq_u32_e64 s6, 2, v4
	;; [unrolled: 2-line block ×3, first 2 shown]
	s_and_b32 s4, s4, s8
	v_cmp_eq_u32_e64 s8, 0, v5
	s_wait_alu 0xfffe
	v_cndmask_b32_e64 v4, 0, 1, s4
	v_cmp_eq_u32_e64 s4, v3, v27
	v_and_b32_e32 v3, v2, v31
	v_bfe_u32 v2, v2, s81, 2
	s_and_b32 s10, s9, s10
	v_cmp_ne_u32_e64 s11, 0, v6
	s_wait_alu 0xfffe
	v_cndmask_b32_e64 v6, 0, 1, s10
	v_cmp_eq_u32_e64 s10, 1, v5
	s_and_b32 s5, s9, s5
	s_and_b32 s6, s9, s6
	;; [unrolled: 1-line block ×3, first 2 shown]
	v_cmp_ne_u32_e64 s12, 0, v7
	s_wait_alu 0xfffe
	v_cndmask_b32_e64 v7, 0, 1, s5
	v_cmp_eq_u32_e64 s5, 2, v5
	v_cmp_ne_u32_e64 s13, 0, v8
	v_cndmask_b32_e64 v8, 0, 1, s6
	v_cmp_eq_u32_e64 s6, 3, v5
	v_cmp_ne_u32_e64 s14, 0, v4
	v_cndmask_b32_e64 v4, 0, 1, s7
	v_cmp_eq_u32_e64 s7, v3, v27
	v_cmp_eq_u32_e64 s9, 0, v2
	s_and_b32 s8, s4, s8
	s_and_b32 s10, s4, s10
	s_wait_alu 0xfffe
	v_cndmask_b32_e64 v3, 0, 1, s8
	v_cmp_eq_u32_e64 s8, 1, v2
	v_cndmask_b32_e64 v5, 0, 1, s10
	v_cmp_eq_u32_e64 s10, 2, v2
	s_and_b32 s5, s4, s5
	s_and_b32 s4, s4, s6
	;; [unrolled: 1-line block ×3, first 2 shown]
	s_bcnt1_i32_b32 s56, s11
	v_cmp_ne_u32_e64 s11, 0, v6
	s_wait_alu 0xfffe
	v_cndmask_b32_e64 v6, 0, 1, s5
	v_cmp_eq_u32_e64 s5, 3, v2
	s_bcnt1_i32_b32 s71, s14
	v_cmp_ne_u32_e64 s14, 0, v4
	v_cndmask_b32_e64 v2, 0, 1, s4
	v_cmp_ne_u32_e64 s4, 0, v3
	v_cndmask_b32_e64 v3, 0, 1, s6
	s_and_b32 s8, s7, s8
	s_and_b32 s9, s7, s10
	s_wait_alu 0xfffe
	v_cndmask_b32_e64 v4, 0, 1, s8
	s_bcnt1_i32_b32 s65, s12
	v_cmp_ne_u32_e64 s12, 0, v7
	v_cmp_ne_u32_e64 s6, 0, v5
	v_cndmask_b32_e64 v5, 0, 1, s9
	s_and_b32 s5, s7, s5
	s_bcnt1_i32_b32 s70, s13
	v_cmp_ne_u32_e64 s13, 0, v8
	s_bcnt1_i32_b32 s10, s14
	s_bcnt1_i32_b32 s14, s4
	v_cmp_ne_u32_e64 s4, 0, v3
	s_bcnt1_i32_b32 s11, s11
	v_cmp_ne_u32_e64 s9, 0, v2
	s_wait_alu 0xfffe
	v_cndmask_b32_e64 v2, 0, 1, s5
	v_cmp_ne_u32_e64 s8, 0, v6
	v_cmp_ne_u32_e64 s5, 0, v4
	s_bcnt1_i32_b32 s12, s12
	s_add_co_i32 s11, s11, s56
	s_bcnt1_i32_b32 s56, s6
	v_cmp_ne_u32_e64 s6, 0, v5
	s_bcnt1_i32_b32 s13, s13
	s_wait_alu 0xfffe
	s_add_co_i32 s12, s12, s65
	s_add_co_i32 s11, s11, s14
	s_bcnt1_i32_b32 s4, s4
	v_cmp_ne_u32_e64 s7, 0, v2
	s_add_co_i32 s13, s13, s70
	s_bcnt1_i32_b32 s8, s8
	s_wait_alu 0xfffe
	s_add_co_i32 s12, s12, s56
	s_bcnt1_i32_b32 s5, s5
	s_add_co_i32 s56, s11, s4
	s_add_co_i32 s10, s10, s71
	s_bcnt1_i32_b32 s9, s9
	s_add_co_i32 s8, s13, s8
	s_bcnt1_i32_b32 s6, s6
	s_wait_alu 0xfffe
	s_add_nc_u64 s[68:69], s[68:69], s[56:57]
	s_add_co_i32 s56, s12, s5
	s_add_co_i32 s9, s10, s9
	s_bcnt1_i32_b32 s7, s7
	s_wait_alu 0xfffe
	s_add_nc_u64 s[66:67], s[66:67], s[56:57]
	s_add_co_i32 s56, s8, s6
	s_wait_alu 0xfffe
	v_mov_b32_e32 v4, s66
	s_add_nc_u64 s[22:23], s[22:23], s[56:57]
	s_add_co_i32 s56, s9, s7
	v_mov_b32_e32 v2, s68
	s_wait_alu 0xfffe
	s_add_nc_u64 s[20:21], s[20:21], s[56:57]
	v_dual_mov_b32 v6, s22 :: v_dual_mov_b32 v3, s69
	v_mov_b32_e32 v5, s67
	s_wait_alu 0xfffe
	v_dual_mov_b32 v7, s23 :: v_dual_mov_b32 v8, s20
	v_mov_b32_e32 v9, s21
	s_or_b32 s17, vcc_lo, s17
	s_wait_alu 0xfffe
	s_and_not1_b32 exec_lo, exec_lo, s17
	s_cbranch_execnz .LBB93_57
; %bb.58:                               ;   in Loop: Header=BB93_15 Depth=1
	s_or_b32 exec_lo, exec_lo, s17
.LBB93_59:                              ;   in Loop: Header=BB93_15 Depth=1
	s_delay_alu instid0(SALU_CYCLE_1)
	s_or_b32 exec_lo, exec_lo, s15
	v_add_co_u32 v20, s4, s18, v0
	v_and_b32_e32 v16, 0xffff, v16
	s_wait_alu 0xf1ff
	v_add_co_ci_u32_e64 v21, null, s19, 0, s4
	s_mov_b32 s7, exec_lo
	v_cmpx_gt_u64_e64 s[24:25], v[20:21]
	s_cbranch_execz .LBB93_65
; %bb.60:                               ;   in Loop: Header=BB93_15 Depth=1
	v_mul_lo_u32 v32, v21, s42
	v_mul_lo_u32 v33, v20, s43
	v_mad_co_u64_u32 v[22:23], null, v20, s42, 0
	s_mov_b32 s8, 0
	v_add3_u32 v23, v23, v33, v32
	s_delay_alu instid0(VALU_DEP_1) | instskip(NEXT) | instid1(VALU_DEP_1)
	v_lshlrev_b64_e32 v[22:23], 2, v[22:23]
	v_add_co_u32 v22, vcc_lo, s50, v22
	s_wait_alu 0xfffd
	s_delay_alu instid0(VALU_DEP_2)
	v_add_co_ci_u32_e64 v23, null, s51, v23, vcc_lo
	global_load_b32 v23, v[22:23], off
	s_branch .LBB93_62
.LBB93_61:                              ;   in Loop: Header=BB93_62 Depth=2
	s_wait_alu 0xfffe
	s_or_b32 exec_lo, exec_lo, s5
	s_wait_loadcnt 0x0
	v_xor_b32_e32 v23, 0x80000000, v23
	s_and_b32 s6, exec_lo, vcc_lo
	s_wait_alu 0xfffe
	s_or_b32 s8, s6, s8
	s_delay_alu instid0(VALU_DEP_1) | instskip(SKIP_1) | instid1(VALU_DEP_2)
	v_and_b32_e32 v32, v23, v31
	v_bfe_u32 v23, v23, s81, 2
	v_cmp_eq_u32_e64 s4, v32, v27
	s_delay_alu instid0(VALU_DEP_2)
	v_cmp_eq_u32_e64 s5, 0, v23
	v_cmp_eq_u32_e32 vcc_lo, 1, v23
	v_cmp_eq_u32_e64 s6, 2, v23
	s_and_b32 s5, s4, s5
	s_wait_alu 0xfffe
	v_cndmask_b32_e64 v32, 0, 1, s5
	s_and_b32 s5, s4, vcc_lo
	v_cmp_eq_u32_e32 vcc_lo, 3, v23
	s_wait_alu 0xfffe
	v_cndmask_b32_e64 v33, 0, 1, s5
	s_and_b32 s5, s4, s6
	s_wait_alu 0xfffe
	v_cndmask_b32_e64 v23, 0, 1, s5
	v_cmp_ne_u32_e64 s5, 0, v32
	v_cmp_ne_u32_e64 s6, 0, v33
	s_and_b32 s4, s4, vcc_lo
	s_wait_alu 0xfffe
	v_cndmask_b32_e64 v32, 0, 1, s4
	s_bcnt1_i32_b32 s4, s5
	v_cmp_ne_u32_e32 vcc_lo, 0, v23
	s_bcnt1_i32_b32 s5, s6
	s_wait_alu 0xfffe
	v_add_co_u32 v2, s4, v2, s4
	s_wait_alu 0xf1ff
	v_add_co_ci_u32_e64 v3, null, 0, v3, s4
	v_add_co_u32 v4, s4, v4, s5
	s_wait_alu 0xf1ff
	v_add_co_ci_u32_e64 v5, null, 0, v5, s4
	s_bcnt1_i32_b32 s4, vcc_lo
	v_cmp_ne_u32_e32 vcc_lo, 0, v32
	s_wait_alu 0xfffe
	v_add_co_u32 v6, s4, v6, s4
	s_wait_alu 0xf1ff
	v_add_co_ci_u32_e64 v7, null, 0, v7, s4
	s_bcnt1_i32_b32 s4, vcc_lo
	v_mov_b32_e32 v23, v22
	s_wait_alu 0xfffe
	v_add_co_u32 v8, vcc_lo, v8, s4
	s_wait_alu 0xfffd
	v_add_co_ci_u32_e64 v9, null, 0, v9, vcc_lo
	s_and_not1_b32 exec_lo, exec_lo, s8
	s_cbranch_execz .LBB93_64
.LBB93_62:                              ;   Parent Loop BB93_15 Depth=1
                                        ; =>  This Inner Loop Header: Depth=2
	v_add_co_u32 v20, vcc_lo, v20, v16
	s_wait_alu 0xfffd
	v_add_co_ci_u32_e64 v21, null, 0, v21, vcc_lo
	v_mov_b32_e32 v22, 0
	s_mov_b32 s5, exec_lo
	s_delay_alu instid0(VALU_DEP_2)
	v_cmp_le_u64_e32 vcc_lo, s[24:25], v[20:21]
	v_cmpx_gt_u64_e64 s[24:25], v[20:21]
	s_cbranch_execz .LBB93_61
; %bb.63:                               ;   in Loop: Header=BB93_62 Depth=2
	v_mul_lo_u32 v22, v21, s42
	v_mul_lo_u32 v34, v20, s43
	v_mad_co_u64_u32 v[32:33], null, v20, s42, 0
	s_delay_alu instid0(VALU_DEP_1) | instskip(NEXT) | instid1(VALU_DEP_1)
	v_add3_u32 v33, v33, v34, v22
	v_lshlrev_b64_e32 v[32:33], 2, v[32:33]
	s_delay_alu instid0(VALU_DEP_1) | instskip(SKIP_1) | instid1(VALU_DEP_2)
	v_add_co_u32 v32, s4, s50, v32
	s_wait_alu 0xf1ff
	v_add_co_ci_u32_e64 v33, null, s51, v33, s4
	global_load_b32 v22, v[32:33], off
	s_branch .LBB93_61
.LBB93_64:                              ;   in Loop: Header=BB93_15 Depth=1
	s_or_b32 exec_lo, exec_lo, s8
.LBB93_65:                              ;   in Loop: Header=BB93_15 Depth=1
	s_wait_alu 0xfffe
	s_or_b32 exec_lo, exec_lo, s7
	s_branch .LBB93_44
.LBB93_66:                              ;   in Loop: Header=BB93_15 Depth=1
	global_load_u16 v2, v10, s[62:63]
	v_mov_b32_e32 v4, 0
	v_mov_b32_e32 v6, 0
	v_dual_mov_b32 v8, 0 :: v_dual_mov_b32 v7, 0
	v_mov_b32_e32 v9, 0
	s_mov_b32 s93, exec_lo
	v_mov_b32_e32 v5, 0
	s_wait_loadcnt 0x0
	v_readfirstlane_b32 s4, v2
	v_and_b32_e32 v16, 0xffff, v2
	s_and_b32 s91, 0xffff, s4
	s_delay_alu instid0(SALU_CYCLE_1) | instskip(SKIP_4) | instid1(SALU_CYCLE_1)
	s_lshl_b32 s65, s91, 2
	s_wait_alu 0xfffe
	s_cvt_f32_u32 s4, s65
	s_sub_co_i32 s5, 0, s65
	s_wait_alu 0xfffe
	v_rcp_iflag_f32_e32 v3, s4
	s_delay_alu instid0(TRANS32_DEP_1) | instskip(SKIP_2) | instid1(SALU_CYCLE_2)
	v_readfirstlane_b32 s4, v3
	s_mul_f32 s4, s4, 0x4f7ffffe
	s_wait_alu 0xfffe
	s_cvt_u32_f32 s4, s4
	s_wait_alu 0xfffe
	s_delay_alu instid0(SALU_CYCLE_2)
	s_mul_i32 s5, s5, s4
	s_wait_alu 0xfffe
	s_mul_hi_u32 s5, s4, s5
	s_wait_alu 0xfffe
	s_add_co_i32 s4, s4, s5
	s_wait_alu 0xfffe
	s_mul_hi_u32 s4, s64, s4
	s_wait_alu 0xfffe
	s_mul_i32 s5, s4, s65
	s_add_co_i32 s6, s4, 1
	s_wait_alu 0xfffe
	s_sub_co_i32 s5, s64, s5
	s_wait_alu 0xfffe
	s_sub_co_i32 s7, s5, s65
	s_cmp_ge_u32 s5, s65
	s_cselect_b32 s4, s6, s4
	s_wait_alu 0xfffe
	s_cselect_b32 s5, s7, s5
	s_add_co_i32 s6, s4, 1
	s_wait_alu 0xfffe
	s_cmp_ge_u32 s5, s65
	s_cselect_b32 s92, s6, s4
	s_wait_alu 0xfffe
	v_mul_hi_u32 v3, s92, v16
	v_mul_lo_u32 v2, s92, v16
	s_delay_alu instid0(VALU_DEP_1) | instskip(SKIP_2) | instid1(VALU_DEP_3)
	v_lshlrev_b64_e32 v[20:21], 2, v[2:3]
	v_mov_b32_e32 v2, 0
	v_mov_b32_e32 v3, 0
	v_cmpx_gt_u64_e64 v[20:21], v[11:12]
	s_cbranch_execz .LBB93_70
; %bb.67:                               ;   in Loop: Header=BB93_15 Depth=1
	v_dual_mov_b32 v32, v29 :: v_dual_mov_b32 v23, v12
	v_mov_b32_e32 v22, v11
	s_lshl_b32 s94, s91, 4
	s_mov_b64 s[66:67], 0
	s_mov_b32 s95, 0
	s_mov_b64 s[68:69], 0
	s_mov_b64 s[70:71], 0
	s_mov_b64 s[72:73], 0
.LBB93_68:                              ;   Parent Loop BB93_15 Depth=1
                                        ; =>  This Inner Loop Header: Depth=2
	ds_load_b128 v[2:5], v32
	v_add_co_u32 v22, vcc_lo, v22, s65
	s_wait_alu 0xfffd
	v_add_co_ci_u32_e64 v23, null, 0, v23, vcc_lo
	s_delay_alu instid0(VALU_DEP_1)
	v_cmp_ge_u64_e32 vcc_lo, v[22:23], v[20:21]
	s_wait_dscnt 0x0
	v_xor_b32_e32 v2, 0x80000000, v2
	v_xor_b32_e32 v3, 0x80000000, v3
	;; [unrolled: 1-line block ×4, first 2 shown]
	s_delay_alu instid0(VALU_DEP_4)
	v_and_b32_e32 v6, v2, v31
	v_bfe_u32 v2, v2, s81, 2
	v_and_b32_e32 v7, v3, v31
	v_bfe_u32 v3, v3, s81, 2
	;; [unrolled: 2-line block ×3, first 2 shown]
	v_cmp_eq_u32_e64 s4, v6, v27
	v_cmp_eq_u32_e64 s8, 0, v2
	v_and_b32_e32 v9, v5, v31
	v_bfe_u32 v5, v5, s81, 2
	v_cmp_eq_u32_e64 s5, v7, v27
	v_cmp_eq_u32_e64 s9, 0, v3
	;; [unrolled: 1-line block ×4, first 2 shown]
	s_and_b32 s8, s4, s8
	v_cmp_eq_u32_e64 s7, v9, v27
	v_cmp_eq_u32_e64 s11, 0, v5
	;; [unrolled: 1-line block ×5, first 2 shown]
	s_wait_alu 0xfffe
	v_cndmask_b32_e64 v2, 0, 1, s8
	s_and_b32 s8, s5, s9
	v_cmp_eq_u32_e64 s13, 1, v3
	v_cmp_eq_u32_e64 s17, 2, v3
	v_cmp_eq_u32_e64 s21, 3, v3
	s_wait_alu 0xfffe
	v_cndmask_b32_e64 v3, 0, 1, s8
	s_and_b32 s8, s6, s10
	v_cmp_eq_u32_e64 s14, 1, v4
	v_cmp_eq_u32_e64 s18, 2, v4
	v_cmp_eq_u32_e64 s22, 3, v4
	s_wait_alu 0xfffe
	v_cndmask_b32_e64 v4, 0, 1, s8
	s_and_b32 s8, s7, s11
	v_cmp_eq_u32_e64 s15, 1, v5
	v_cmp_eq_u32_e64 s19, 2, v5
	v_cmp_eq_u32_e64 s23, 3, v5
	s_wait_alu 0xfffe
	v_cndmask_b32_e64 v5, 0, 1, s8
	s_and_b32 s8, s4, s12
	s_wait_alu 0xfffe
	v_cndmask_b32_e64 v6, 0, 1, s8
	s_and_b32 s8, s5, s13
	;; [unrolled: 3-line block ×4, first 2 shown]
	v_cmp_ne_u32_e64 s9, 0, v7
	s_wait_alu 0xfffe
	v_cndmask_b32_e64 v9, 0, 1, s8
	s_and_b32 s8, s4, s16
	s_and_b32 s4, s4, s20
	s_wait_alu 0xfffe
	v_cndmask_b32_e64 v33, 0, 1, s8
	v_cndmask_b32_e64 v37, 0, 1, s4
	s_and_b32 s4, s5, s21
	s_and_b32 s8, s5, s17
	s_wait_alu 0xfffe
	v_cndmask_b32_e64 v38, 0, 1, s4
	s_and_b32 s4, s6, s22
	v_cndmask_b32_e64 v34, 0, 1, s8
	s_and_b32 s8, s6, s18
	s_wait_alu 0xfffe
	v_cndmask_b32_e64 v39, 0, 1, s4
	s_and_b32 s4, s7, s23
	v_cndmask_b32_e64 v35, 0, 1, s8
	s_and_b32 s8, s7, s19
	s_wait_alu 0xfffe
	v_cndmask_b32_e64 v40, 0, 1, s4
	v_cmp_ne_u32_e64 s4, 0, v2
	v_cmp_ne_u32_e64 s5, 0, v3
	v_cndmask_b32_e64 v36, 0, 1, s8
	v_cmp_ne_u32_e64 s6, 0, v4
	v_cmp_ne_u32_e64 s8, 0, v6
	;; [unrolled: 1-line block ×6, first 2 shown]
	s_bcnt1_i32_b32 s4, s4
	s_bcnt1_i32_b32 s5, s5
	v_cmp_ne_u32_e64 s11, 0, v9
	v_cmp_ne_u32_e64 s14, 0, v35
	;; [unrolled: 1-line block ×4, first 2 shown]
	s_bcnt1_i32_b32 s6, s6
	s_bcnt1_i32_b32 s8, s8
	;; [unrolled: 1-line block ×3, first 2 shown]
	s_wait_alu 0xfffe
	s_add_co_i32 s4, s5, s4
	v_cmp_ne_u32_e64 s15, 0, v36
	v_cmp_ne_u32_e64 s18, 0, v39
	s_bcnt1_i32_b32 s7, s7
	s_bcnt1_i32_b32 s10, s10
	;; [unrolled: 1-line block ×4, first 2 shown]
	s_add_co_i32 s5, s9, s8
	s_wait_alu 0xfffe
	s_add_co_i32 s4, s4, s6
	v_cmp_ne_u32_e64 s19, 0, v40
	s_bcnt1_i32_b32 s11, s11
	s_bcnt1_i32_b32 s14, s14
	;; [unrolled: 1-line block ×4, first 2 shown]
	s_add_co_i32 s8, s13, s12
	s_add_co_i32 s5, s5, s10
	s_wait_alu 0xfffe
	s_add_co_i32 s56, s4, s7
	s_bcnt1_i32_b32 s15, s15
	s_bcnt1_i32_b32 s18, s18
	s_add_co_i32 s9, s17, s16
	s_add_co_i32 s6, s8, s14
	s_wait_alu 0xfffe
	s_add_nc_u64 s[72:73], s[72:73], s[56:57]
	s_add_co_i32 s56, s5, s11
	s_bcnt1_i32_b32 s19, s19
	s_add_co_i32 s8, s9, s18
	s_wait_alu 0xfffe
	s_add_nc_u64 s[70:71], s[70:71], s[56:57]
	s_add_co_i32 s56, s6, s15
	v_mov_b32_e32 v2, s72
	s_wait_alu 0xfffe
	s_add_nc_u64 s[68:69], s[68:69], s[56:57]
	s_add_co_i32 s56, s8, s19
	v_mov_b32_e32 v4, s70
	s_wait_alu 0xfffe
	s_add_nc_u64 s[66:67], s[66:67], s[56:57]
	v_mov_b32_e32 v6, s68
	s_wait_alu 0xfffe
	v_mov_b32_e32 v8, s66
	v_dual_mov_b32 v3, s73 :: v_dual_add_nc_u32 v32, s94, v32
	v_mov_b32_e32 v5, s71
	v_mov_b32_e32 v7, s69
	;; [unrolled: 1-line block ×3, first 2 shown]
	s_or_b32 s95, vcc_lo, s95
	s_wait_alu 0xfffe
	s_and_not1_b32 exec_lo, exec_lo, s95
	s_cbranch_execnz .LBB93_68
; %bb.69:                               ;   in Loop: Header=BB93_15 Depth=1
	s_or_b32 exec_lo, exec_lo, s95
.LBB93_70:                              ;   in Loop: Header=BB93_15 Depth=1
	s_delay_alu instid0(SALU_CYCLE_1)
	s_or_b32 exec_lo, exec_lo, s93
	v_add_co_u32 v20, vcc_lo, v20, v0
	s_wait_alu 0xfffd
	v_add_co_ci_u32_e64 v21, null, 0, v21, vcc_lo
	s_and_b32 s56, s64, 0x7fffffff
	s_mov_b32 s9, exec_lo
	s_wait_alu 0xfffe
	v_cmpx_gt_u64_e64 s[56:57], v[20:21]
	s_cbranch_execz .LBB93_74
; %bb.71:                               ;   in Loop: Header=BB93_15 Depth=1
	s_mul_i32 s92, s92, s91
	s_mov_b32 s10, 0
	s_wait_alu 0xfffe
	v_lshl_add_u32 v22, s92, 4, v11
.LBB93_72:                              ;   Parent Loop BB93_15 Depth=1
                                        ; =>  This Inner Loop Header: Depth=2
	ds_load_b32 v23, v22
	v_add_co_u32 v20, vcc_lo, v20, v16
	s_wait_alu 0xfffd
	v_add_co_ci_u32_e64 v21, null, 0, v21, vcc_lo
	v_add_nc_u32_e32 v22, s65, v22
	s_delay_alu instid0(VALU_DEP_2) | instskip(SKIP_2) | instid1(VALU_DEP_1)
	v_cmp_le_u64_e32 vcc_lo, s[56:57], v[20:21]
	s_wait_dscnt 0x0
	v_xor_b32_e32 v23, 0x80000000, v23
	v_and_b32_e32 v32, v23, v31
	v_bfe_u32 v23, v23, s81, 2
	s_delay_alu instid0(VALU_DEP_2) | instskip(NEXT) | instid1(VALU_DEP_2)
	v_cmp_eq_u32_e64 s4, v32, v27
	v_cmp_eq_u32_e64 s5, 0, v23
	;; [unrolled: 1-line block ×5, first 2 shown]
	s_and_b32 s5, s4, s5
	s_wait_alu 0xfffe
	v_cndmask_b32_e64 v23, 0, 1, s5
	s_and_b32 s5, s4, s6
	s_wait_alu 0xfffe
	v_cndmask_b32_e64 v32, 0, 1, s5
	s_and_b32 s5, s4, s7
	s_and_b32 s4, s4, s8
	s_wait_alu 0xfffe
	v_cndmask_b32_e64 v33, 0, 1, s5
	v_cndmask_b32_e64 v34, 0, 1, s4
	v_cmp_ne_u32_e64 s4, 0, v23
	v_cmp_ne_u32_e64 s5, 0, v32
	s_delay_alu instid0(VALU_DEP_4) | instskip(NEXT) | instid1(VALU_DEP_4)
	v_cmp_ne_u32_e64 s6, 0, v33
	v_cmp_ne_u32_e64 s7, 0, v34
	s_bcnt1_i32_b32 s4, s4
	s_bcnt1_i32_b32 s5, s5
	s_wait_alu 0xfffe
	v_add_co_u32 v2, s4, v2, s4
	s_bcnt1_i32_b32 s6, s6
	v_add_co_ci_u32_e64 v3, null, 0, v3, s4
	v_add_co_u32 v4, s4, v4, s5
	s_bcnt1_i32_b32 s7, s7
	v_add_co_ci_u32_e64 v5, null, 0, v5, s4
	s_wait_alu 0xfffe
	v_add_co_u32 v6, s4, v6, s6
	s_wait_alu 0xf1ff
	v_add_co_ci_u32_e64 v7, null, 0, v7, s4
	v_add_co_u32 v8, s4, v8, s7
	s_wait_alu 0xf1ff
	v_add_co_ci_u32_e64 v9, null, 0, v9, s4
	s_or_b32 s10, vcc_lo, s10
	s_wait_alu 0xfffe
	s_and_not1_b32 exec_lo, exec_lo, s10
	s_cbranch_execnz .LBB93_72
; %bb.73:                               ;   in Loop: Header=BB93_15 Depth=1
	s_or_b32 exec_lo, exec_lo, s10
.LBB93_74:                              ;   in Loop: Header=BB93_15 Depth=1
	s_wait_alu 0xfffe
	s_or_b32 exec_lo, exec_lo, s9
	s_lshl_b32 s4, s84, 7
	s_and_saveexec_b32 s5, s1
	s_cbranch_execnz .LBB93_45
	s_branch .LBB93_46
.LBB93_75:                              ;   in Loop: Header=BB93_15 Depth=1
                                        ; implicit-def: $sgpr4_sgpr5
	s_branch .LBB93_54
.LBB93_76:                              ;   in Loop: Header=BB93_15 Depth=1
	s_mov_b32 s6, 0
	s_and_not1_b32 vcc_lo, exec_lo, s79
	s_wait_alu 0xfffe
	s_cbranch_vccnz .LBB93_79
.LBB93_77:                              ;   in Loop: Header=BB93_15 Depth=1
	s_lshl_b32 s7, s84, 10
	s_lshl_b32 s6, s6, 5
	s_wait_alu 0xfffe
	v_add3_u32 v4, s7, s6, v30
	s_mov_b32 s6, s76
.LBB93_78:                              ;   Parent Loop BB93_15 Depth=1
                                        ; =>  This Inner Loop Header: Depth=2
	ds_load_b64 v[5:6], v4
	v_add_nc_u32_e32 v4, 32, v4
	s_wait_alu 0xfffe
	s_add_co_i32 s6, s6, -1
	s_wait_alu 0xfffe
	s_cmp_lg_u32 s6, 0
	s_wait_dscnt 0x0
	v_add_co_u32 v2, vcc_lo, v5, v2
	s_wait_alu 0xfffd
	v_add_co_ci_u32_e64 v3, null, v6, v3, vcc_lo
	s_cbranch_scc1 .LBB93_78
.LBB93_79:                              ;   in Loop: Header=BB93_15 Depth=1
	v_add_lshl_u32 v4, s4, v24, 3
	ds_store_b64 v4, v[2:3] offset:3072
.LBB93_80:                              ;   in Loop: Header=BB93_15 Depth=1
	s_wait_alu 0xfffe
	s_or_b32 exec_lo, exec_lo, s5
	s_lshl_b32 s4, s4, 3
	s_wait_loadcnt_dscnt 0x0
	s_wait_alu 0xfffe
	v_mov_b32_e32 v6, s4
	s_barrier_signal -1
	s_barrier_wait -1
	global_inv scope:SCOPE_SE
	v_cmp_eq_u64_e32 vcc_lo, 1, v[18:19]
	ds_load_b128 v[2:5], v6 offset:3072
	ds_load_b128 v[6:9], v6 offset:3088
	s_lshl_b32 s14, 3, s81
	s_mov_b32 s16, -1
	s_wait_alu 0xfffe
	s_not_b32 s18, s14
                                        ; implicit-def: $sgpr20
                                        ; implicit-def: $sgpr19
	s_wait_dscnt 0x1
	v_cmp_eq_u64_e64 s4, 1, v[2:3]
	s_wait_dscnt 0x0
	v_readfirstlane_b32 s8, v6
	v_readfirstlane_b32 s9, v7
	;; [unrolled: 1-line block ×4, first 2 shown]
	s_and_b32 s17, s4, vcc_lo
	s_mov_b32 s4, -1
	s_wait_alu 0xfffe
	s_and_saveexec_b32 s15, s17
	s_cbranch_execz .LBB93_112
; %bb.81:                               ;   in Loop: Header=BB93_15 Depth=1
	ds_load_b64 v[6:7], v10 offset:5120
	s_wait_loadcnt_dscnt 0x0
	s_barrier_signal -1
	s_barrier_wait -1
	global_inv scope:SCOPE_SE
	v_readfirstlane_b32 s4, v6
	v_readfirstlane_b32 s5, v7
	s_and_saveexec_b32 s10, s3
; %bb.82:                               ;   in Loop: Header=BB93_15 Depth=1
	ds_store_b32 v25, v10
; %bb.83:                               ;   in Loop: Header=BB93_15 Depth=1
	s_wait_alu 0xfffe
	s_or_b32 exec_lo, exec_lo, s10
	v_and_b32_e32 v27, s18, v27
	v_or_b32_e32 v31, s14, v31
	s_mov_b32 s19, -1
	s_mov_b32 s20, 0
	s_cmp_eq_u64 s[4:5], 0
	s_mov_b32 s12, 0
	s_mov_b32 s13, -1
	s_wait_loadcnt_dscnt 0x0
	s_barrier_signal -1
	s_barrier_wait -1
	global_inv scope:SCOPE_SE
                                        ; implicit-def: $vgpr17
	s_cbranch_scc1 .LBB93_97
; %bb.84:                               ;   in Loop: Header=BB93_15 Depth=1
	s_add_nc_u64 s[10:11], s[4:5], s[58:59]
	s_mov_b32 s12, s57
	s_wait_alu 0xfffe
	s_mov_b32 s13, s11
	s_wait_alu 0xfffe
	s_cmp_lg_u64 s[12:13], 0
	s_cbranch_scc0 .LBB93_138
; %bb.85:                               ;   in Loop: Header=BB93_15 Depth=1
	s_cvt_f32_u32 s12, s52
	s_sub_nc_u64 s[22:23], 0, s[52:53]
	s_wait_alu 0xfffe
	s_delay_alu instid0(SALU_CYCLE_1) | instskip(SKIP_1) | instid1(SALU_CYCLE_2)
	s_fmamk_f32 s12, s83, 0x0, s12
	s_wait_alu 0xfffe
	v_s_rcp_f32 s12, s12
	s_delay_alu instid0(TRANS32_DEP_1) | instskip(SKIP_1) | instid1(SALU_CYCLE_2)
	s_mul_f32 s12, s12, 0x5f7ffffc
	s_wait_alu 0xfffe
	s_mul_f32 s13, s12, 0x2f800000
	s_wait_alu 0xfffe
	s_delay_alu instid0(SALU_CYCLE_2) | instskip(SKIP_1) | instid1(SALU_CYCLE_2)
	s_trunc_f32 s13, s13
	s_wait_alu 0xfffe
	s_fmamk_f32 s12, s13, 0xcf800000, s12
	s_cvt_u32_f32 s13, s13
	s_wait_alu 0xfffe
	s_delay_alu instid0(SALU_CYCLE_1) | instskip(SKIP_1) | instid1(SALU_CYCLE_2)
	s_cvt_u32_f32 s12, s12
	s_wait_alu 0xfffe
	s_mul_u64 s[64:65], s[22:23], s[12:13]
	s_wait_alu 0xfffe
	s_mul_hi_u32 s67, s12, s65
	s_mul_i32 s66, s12, s65
	s_mul_hi_u32 s56, s12, s64
	s_mul_i32 s68, s13, s64
	s_wait_alu 0xfffe
	s_add_nc_u64 s[66:67], s[56:57], s[66:67]
	s_mul_hi_u32 s21, s13, s64
	s_mul_hi_u32 s69, s13, s65
	s_wait_alu 0xfffe
	s_add_co_u32 s56, s66, s68
	s_add_co_ci_u32 s56, s67, s21
	s_mul_i32 s64, s13, s65
	s_add_co_ci_u32 s65, s69, 0
	s_wait_alu 0xfffe
	s_add_nc_u64 s[64:65], s[56:57], s[64:65]
	s_wait_alu 0xfffe
	s_add_co_u32 s12, s12, s64
	s_cselect_b32 s21, -1, 0
	s_wait_alu 0xfffe
	s_cmp_lg_u32 s21, 0
	s_add_co_ci_u32 s13, s13, s65
	s_wait_alu 0xfffe
	s_mul_u64 s[22:23], s[22:23], s[12:13]
	s_wait_alu 0xfffe
	s_mul_hi_u32 s65, s12, s23
	s_mul_i32 s64, s12, s23
	s_mul_hi_u32 s56, s12, s22
	s_mul_i32 s66, s13, s22
	s_wait_alu 0xfffe
	s_add_nc_u64 s[64:65], s[56:57], s[64:65]
	s_mul_hi_u32 s21, s13, s22
	s_mul_hi_u32 s67, s13, s23
	s_mul_i32 s22, s13, s23
	s_wait_alu 0xfffe
	s_add_co_u32 s23, s64, s66
	s_add_co_ci_u32 s56, s65, s21
	s_add_co_ci_u32 s23, s67, 0
	s_wait_alu 0xfffe
	s_add_nc_u64 s[22:23], s[56:57], s[22:23]
	s_wait_alu 0xfffe
	s_add_co_u32 s12, s12, s22
	s_cselect_b32 s21, -1, 0
	s_wait_alu 0xfffe
	s_mul_hi_u32 s56, s10, s12
	s_cmp_lg_u32 s21, 0
	s_mul_hi_u32 s21, s11, s12
	s_add_co_ci_u32 s22, s13, s23
	s_mul_i32 s23, s11, s12
	s_wait_alu 0xfffe
	s_mul_hi_u32 s13, s10, s22
	s_mul_i32 s12, s10, s22
	s_mul_hi_u32 s64, s11, s22
	s_wait_alu 0xfffe
	s_add_nc_u64 s[12:13], s[56:57], s[12:13]
	s_mul_i32 s22, s11, s22
	s_wait_alu 0xfffe
	s_add_co_u32 s12, s12, s23
	s_add_co_ci_u32 s56, s13, s21
	s_add_co_ci_u32 s23, s64, 0
	s_wait_alu 0xfffe
	s_add_nc_u64 s[12:13], s[56:57], s[22:23]
	s_wait_alu 0xfffe
	s_mul_u64 s[12:13], s[52:53], s[12:13]
	s_wait_alu 0xfffe
	s_sub_co_u32 s12, s10, s12
	s_cselect_b32 s21, -1, 0
	s_wait_alu 0xfffe
	s_cmp_lg_u32 s21, 0
	s_sub_co_ci_u32 s13, s11, s13
	s_sub_co_u32 s21, s12, s52
	s_cselect_b32 s22, -1, 0
	s_wait_alu 0xfffe
	s_cmp_lg_u32 s22, 0
	s_sub_co_ci_u32 s22, s13, 0
	;; [unrolled: 5-line block ×3, first 2 shown]
	s_cmp_ge_u32 s21, s52
	s_cselect_b32 s64, -1, 0
	s_cmp_eq_u32 s22, 0
	s_wait_alu 0xfffe
	s_cselect_b32 s64, s64, -1
	s_wait_alu 0xfffe
	s_cmp_lg_u32 s64, 0
	s_cselect_b32 s22, s56, s22
	s_cselect_b32 s21, s23, s21
	s_cmp_ge_u32 s12, s52
	s_cselect_b32 s23, -1, 0
	s_cmp_eq_u32 s13, 0
	s_wait_alu 0xfffe
	s_cselect_b32 s23, s23, -1
	s_wait_alu 0xfffe
	s_cmp_lg_u32 s23, 0
	s_cselect_b32 s13, s22, s13
	s_cselect_b32 s12, s21, s12
	s_cbranch_execnz .LBB93_87
.LBB93_86:                              ;   in Loop: Header=BB93_15 Depth=1
	v_cvt_f32_u32_e32 v6, s52
	s_sub_co_i32 s13, 0, s52
	s_delay_alu instid0(VALU_DEP_1) | instskip(NEXT) | instid1(TRANS32_DEP_1)
	v_rcp_iflag_f32_e32 v6, v6
	v_mul_f32_e32 v6, 0x4f7ffffe, v6
	s_delay_alu instid0(VALU_DEP_1) | instskip(NEXT) | instid1(VALU_DEP_1)
	v_cvt_u32_f32_e32 v6, v6
	v_readfirstlane_b32 s12, v6
	s_wait_alu 0xfffe
	s_mul_i32 s13, s13, s12
	s_wait_alu 0xfffe
	s_mul_hi_u32 s13, s12, s13
	s_wait_alu 0xfffe
	s_add_co_i32 s12, s12, s13
	s_wait_alu 0xfffe
	s_mul_hi_u32 s12, s10, s12
	s_wait_alu 0xfffe
	s_mul_i32 s12, s12, s52
	s_wait_alu 0xfffe
	s_sub_co_i32 s12, s10, s12
	s_wait_alu 0xfffe
	s_sub_co_i32 s13, s12, s52
	s_cmp_ge_u32 s12, s52
	s_wait_alu 0xfffe
	s_cselect_b32 s12, s13, s12
	s_wait_alu 0xfffe
	s_sub_co_i32 s13, s12, s52
	s_cmp_ge_u32 s12, s52
	s_wait_alu 0xfffe
	s_cselect_b32 s56, s13, s12
	s_wait_alu 0xfffe
	s_mov_b64 s[12:13], s[56:57]
.LBB93_87:                              ;   in Loop: Header=BB93_15 Depth=1
	s_wait_alu 0xfffe
	s_sub_nc_u64 s[10:11], s[10:11], s[12:13]
	s_mov_b32 s13, 0
	s_mov_b32 s12, 0
	s_mov_b32 s21, exec_lo
                                        ; implicit-def: $vgpr17
	s_wait_alu 0xfffe
	v_cmpx_gt_u64_e64 s[10:11], v[0:1]
	s_cbranch_execz .LBB93_96
; %bb.88:                               ;   in Loop: Header=BB93_15 Depth=1
	v_dual_mov_b32 v8, v11 :: v_dual_mov_b32 v7, v1
	v_mov_b32_e32 v6, v0
                                        ; implicit-def: $sgpr22
	s_branch .LBB93_91
.LBB93_89:                              ;   in Loop: Header=BB93_91 Depth=2
	s_wait_alu 0xfffe
	s_or_b32 exec_lo, exec_lo, s23
	s_wait_loadcnt_dscnt 0x0
	s_barrier_signal -1
	s_barrier_wait -1
	global_inv scope:SCOPE_SE
	ds_load_b64 v[16:17], v10 offset:3072
	s_mov_b32 s23, -1
	s_mov_b32 s56, -1
	s_wait_loadcnt_dscnt 0x0
	s_barrier_signal -1
	s_barrier_wait -1
	global_inv scope:SCOPE_SE
	v_cmp_ne_u32_e32 vcc_lo, 0, v16
	s_cbranch_vccz .LBB93_94
.LBB93_90:                              ;   in Loop: Header=BB93_91 Depth=2
	s_wait_alu 0xfffe
	s_and_b32 s23, exec_lo, s23
	s_wait_alu 0xfffe
	s_or_b32 s12, s23, s12
	s_and_not1_b32 s22, s22, exec_lo
	s_and_b32 s23, s56, exec_lo
	s_wait_alu 0xfffe
	s_or_b32 s22, s22, s23
	s_and_not1_b32 exec_lo, exec_lo, s12
	s_cbranch_execz .LBB93_95
.LBB93_91:                              ;   Parent Loop BB93_15 Depth=1
                                        ; =>  This Inner Loop Header: Depth=2
	s_mov_b32 s23, exec_lo
	s_delay_alu instid0(VALU_DEP_1)
	v_cmpx_gt_u64_e64 s[4:5], v[6:7]
	s_cbranch_execz .LBB93_89
; %bb.92:                               ;   in Loop: Header=BB93_91 Depth=2
	ds_load_b32 v16, v8
	s_wait_dscnt 0x0
	v_xor_b32_e32 v9, 0x80000000, v16
	s_delay_alu instid0(VALU_DEP_1) | instskip(NEXT) | instid1(VALU_DEP_1)
	v_and_b32_e32 v9, v9, v31
	v_cmp_eq_u32_e32 vcc_lo, v9, v27
	s_and_b32 exec_lo, exec_lo, vcc_lo
	s_cbranch_execz .LBB93_89
; %bb.93:                               ;   in Loop: Header=BB93_91 Depth=2
	ds_store_b64 v10, v[15:16] offset:3072
	s_branch .LBB93_89
.LBB93_94:                              ;   in Loop: Header=BB93_91 Depth=2
	v_add_co_u32 v6, vcc_lo, v6, s52
	s_wait_alu 0xfffd
	v_add_co_ci_u32_e64 v7, null, 0, v7, vcc_lo
	v_add_nc_u32_e32 v8, s80, v8
	s_mov_b32 s56, 0
	s_delay_alu instid0(VALU_DEP_2)
	v_cmp_le_u64_e32 vcc_lo, s[10:11], v[6:7]
	s_or_not1_b32 s23, vcc_lo, exec_lo
	s_branch .LBB93_90
.LBB93_95:                              ;   in Loop: Header=BB93_15 Depth=1
	s_or_b32 exec_lo, exec_lo, s12
	s_wait_alu 0xfffe
	s_and_b32 s12, s22, exec_lo
.LBB93_96:                              ;   in Loop: Header=BB93_15 Depth=1
	s_or_b32 exec_lo, exec_lo, s21
.LBB93_97:                              ;   in Loop: Header=BB93_15 Depth=1
	s_wait_alu 0xfffe
	s_and_b32 vcc_lo, exec_lo, s13
	s_wait_alu 0xfffe
	s_cbranch_vccz .LBB93_111
; %bb.98:                               ;   in Loop: Header=BB93_15 Depth=1
	s_mov_b32 s4, s57
	s_mov_b32 s5, s61
	s_wait_alu 0xfffe
	s_cmp_lg_u64 s[4:5], 0
	s_cbranch_scc0 .LBB93_142
; %bb.99:                               ;   in Loop: Header=BB93_15 Depth=1
	s_cvt_f32_u32 s4, s52
	s_sub_nc_u64 s[10:11], 0, s[52:53]
	s_wait_alu 0xfffe
	s_delay_alu instid0(SALU_CYCLE_1) | instskip(SKIP_1) | instid1(SALU_CYCLE_2)
	s_fmamk_f32 s4, s83, 0x0, s4
	s_wait_alu 0xfffe
	v_s_rcp_f32 s4, s4
	s_delay_alu instid0(TRANS32_DEP_1) | instskip(SKIP_1) | instid1(SALU_CYCLE_2)
	s_mul_f32 s4, s4, 0x5f7ffffc
	s_wait_alu 0xfffe
	s_mul_f32 s5, s4, 0x2f800000
	s_wait_alu 0xfffe
	s_delay_alu instid0(SALU_CYCLE_2) | instskip(SKIP_1) | instid1(SALU_CYCLE_2)
	s_trunc_f32 s5, s5
	s_wait_alu 0xfffe
	s_fmamk_f32 s4, s5, 0xcf800000, s4
	s_cvt_u32_f32 s5, s5
	s_wait_alu 0xfffe
	s_delay_alu instid0(SALU_CYCLE_1) | instskip(SKIP_1) | instid1(SALU_CYCLE_2)
	s_cvt_u32_f32 s4, s4
	s_wait_alu 0xfffe
	s_mul_u64 s[20:21], s[10:11], s[4:5]
	s_wait_alu 0xfffe
	s_mul_hi_u32 s23, s4, s21
	s_mul_i32 s22, s4, s21
	s_mul_hi_u32 s56, s4, s20
	s_mul_i32 s19, s5, s20
	s_wait_alu 0xfffe
	s_add_nc_u64 s[22:23], s[56:57], s[22:23]
	s_mul_hi_u32 s13, s5, s20
	s_mul_hi_u32 s64, s5, s21
	s_wait_alu 0xfffe
	s_add_co_u32 s19, s22, s19
	s_add_co_ci_u32 s56, s23, s13
	s_mul_i32 s20, s5, s21
	s_add_co_ci_u32 s21, s64, 0
	s_wait_alu 0xfffe
	s_add_nc_u64 s[20:21], s[56:57], s[20:21]
	s_wait_alu 0xfffe
	s_add_co_u32 s4, s4, s20
	s_cselect_b32 s13, -1, 0
	s_wait_alu 0xfffe
	s_cmp_lg_u32 s13, 0
	s_add_co_ci_u32 s5, s5, s21
	s_wait_alu 0xfffe
	s_mul_u64 s[10:11], s[10:11], s[4:5]
	s_wait_alu 0xfffe
	s_mul_hi_u32 s21, s4, s11
	s_mul_i32 s20, s4, s11
	s_mul_hi_u32 s56, s4, s10
	s_mul_i32 s19, s5, s10
	s_wait_alu 0xfffe
	s_add_nc_u64 s[20:21], s[56:57], s[20:21]
	s_mul_hi_u32 s13, s5, s10
	s_mul_hi_u32 s22, s5, s11
	s_mul_i32 s10, s5, s11
	s_wait_alu 0xfffe
	s_add_co_u32 s11, s20, s19
	s_add_co_ci_u32 s56, s21, s13
	s_add_co_ci_u32 s11, s22, 0
	s_wait_alu 0xfffe
	s_add_nc_u64 s[10:11], s[56:57], s[10:11]
	s_wait_alu 0xfffe
	s_add_co_u32 s4, s4, s10
	s_cselect_b32 s10, -1, 0
	s_wait_alu 0xfffe
	s_mul_hi_u32 s56, s60, s4
	s_cmp_lg_u32 s10, 0
	s_mul_hi_u32 s13, s61, s4
	s_add_co_ci_u32 s10, s5, s11
	s_mul_i32 s11, s61, s4
	s_wait_alu 0xfffe
	s_mul_hi_u32 s5, s60, s10
	s_mul_i32 s4, s60, s10
	s_mul_hi_u32 s19, s61, s10
	s_wait_alu 0xfffe
	s_add_nc_u64 s[4:5], s[56:57], s[4:5]
	s_mul_i32 s10, s61, s10
	s_wait_alu 0xfffe
	s_add_co_u32 s4, s4, s11
	s_add_co_ci_u32 s56, s5, s13
	s_add_co_ci_u32 s11, s19, 0
	s_wait_alu 0xfffe
	s_add_nc_u64 s[4:5], s[56:57], s[10:11]
	s_wait_alu 0xfffe
	s_mul_u64 s[4:5], s[52:53], s[4:5]
	s_wait_alu 0xfffe
	s_sub_co_u32 s4, s60, s4
	s_cselect_b32 s10, -1, 0
	s_wait_alu 0xfffe
	s_cmp_lg_u32 s10, 0
	s_sub_co_ci_u32 s5, s61, s5
	s_sub_co_u32 s10, s4, s52
	s_cselect_b32 s11, -1, 0
	s_wait_alu 0xfffe
	s_cmp_lg_u32 s11, 0
	s_sub_co_ci_u32 s11, s5, 0
	;; [unrolled: 5-line block ×3, first 2 shown]
	s_cmp_ge_u32 s10, s52
	s_cselect_b32 s20, -1, 0
	s_cmp_eq_u32 s11, 0
	s_wait_alu 0xfffe
	s_cselect_b32 s20, s20, -1
	s_wait_alu 0xfffe
	s_cmp_lg_u32 s20, 0
	s_cselect_b32 s11, s19, s11
	s_cselect_b32 s10, s13, s10
	s_cmp_ge_u32 s4, s52
	s_cselect_b32 s13, -1, 0
	s_cmp_eq_u32 s5, 0
	s_wait_alu 0xfffe
	s_cselect_b32 s13, s13, -1
	s_wait_alu 0xfffe
	s_cmp_lg_u32 s13, 0
	s_cselect_b32 s5, s11, s5
	s_cselect_b32 s4, s10, s4
	s_cbranch_execnz .LBB93_101
.LBB93_100:                             ;   in Loop: Header=BB93_15 Depth=1
	v_cvt_f32_u32_e32 v6, s52
	s_sub_co_i32 s5, 0, s52
	s_delay_alu instid0(VALU_DEP_1) | instskip(NEXT) | instid1(TRANS32_DEP_1)
	v_rcp_iflag_f32_e32 v6, v6
	v_mul_f32_e32 v6, 0x4f7ffffe, v6
	s_delay_alu instid0(VALU_DEP_1) | instskip(NEXT) | instid1(VALU_DEP_1)
	v_cvt_u32_f32_e32 v6, v6
	v_readfirstlane_b32 s4, v6
	s_wait_alu 0xfffe
	s_mul_i32 s5, s5, s4
	s_wait_alu 0xfffe
	s_mul_hi_u32 s5, s4, s5
	s_wait_alu 0xfffe
	s_add_co_i32 s4, s4, s5
	s_wait_alu 0xfffe
	s_mul_hi_u32 s4, s60, s4
	s_wait_alu 0xfffe
	s_mul_i32 s4, s4, s52
	s_wait_alu 0xfffe
	s_sub_co_i32 s4, s60, s4
	s_wait_alu 0xfffe
	s_sub_co_i32 s5, s4, s52
	s_cmp_ge_u32 s4, s52
	s_wait_alu 0xfffe
	s_cselect_b32 s4, s5, s4
	s_wait_alu 0xfffe
	s_sub_co_i32 s5, s4, s52
	s_cmp_ge_u32 s4, s52
	s_wait_alu 0xfffe
	s_cselect_b32 s56, s5, s4
	s_wait_alu 0xfffe
	s_mov_b64 s[4:5], s[56:57]
.LBB93_101:                             ;   in Loop: Header=BB93_15 Depth=1
	s_wait_alu 0xfffe
	s_sub_nc_u64 s[4:5], s[60:61], s[4:5]
	s_mov_b32 s10, exec_lo
                                        ; implicit-def: $vgpr17
	s_wait_alu 0xfffe
	v_cmpx_gt_u64_e64 s[4:5], v[0:1]
	s_cbranch_execz .LBB93_110
; %bb.102:                              ;   in Loop: Header=BB93_15 Depth=1
	v_dual_mov_b32 v7, v1 :: v_dual_mov_b32 v6, v0
	s_mov_b32 s11, 0
                                        ; implicit-def: $sgpr13
	s_branch .LBB93_105
.LBB93_103:                             ;   in Loop: Header=BB93_105 Depth=2
	s_wait_alu 0xfffe
	s_or_b32 exec_lo, exec_lo, s19
	s_wait_loadcnt_dscnt 0x0
	s_barrier_signal -1
	s_barrier_wait -1
	global_inv scope:SCOPE_SE
	ds_load_b64 v[16:17], v10 offset:3072
	s_mov_b32 s20, -1
	s_mov_b32 s19, -1
	s_wait_loadcnt_dscnt 0x0
	s_barrier_signal -1
	s_barrier_wait -1
	global_inv scope:SCOPE_SE
	v_cmp_ne_u32_e32 vcc_lo, 0, v16
	s_cbranch_vccz .LBB93_108
.LBB93_104:                             ;   in Loop: Header=BB93_105 Depth=2
	s_wait_alu 0xfffe
	s_and_b32 s20, exec_lo, s20
	s_wait_alu 0xfffe
	s_or_b32 s11, s20, s11
	s_and_not1_b32 s13, s13, exec_lo
	s_and_b32 s19, s19, exec_lo
	s_wait_alu 0xfffe
	s_or_b32 s13, s13, s19
	s_and_not1_b32 exec_lo, exec_lo, s11
	s_cbranch_execz .LBB93_109
.LBB93_105:                             ;   Parent Loop BB93_15 Depth=1
                                        ; =>  This Inner Loop Header: Depth=2
	s_mov_b32 s19, exec_lo
	s_delay_alu instid0(VALU_DEP_1)
	v_cmpx_gt_u64_e64 s[24:25], v[6:7]
	s_cbranch_execz .LBB93_103
; %bb.106:                              ;   in Loop: Header=BB93_105 Depth=2
	v_mul_lo_u32 v16, v7, s42
	v_mul_lo_u32 v17, v6, s43
	v_mad_co_u64_u32 v[8:9], null, v6, s42, 0
	s_delay_alu instid0(VALU_DEP_1) | instskip(NEXT) | instid1(VALU_DEP_1)
	v_add3_u32 v9, v9, v17, v16
	v_lshlrev_b64_e32 v[8:9], 2, v[8:9]
	s_delay_alu instid0(VALU_DEP_1) | instskip(SKIP_1) | instid1(VALU_DEP_2)
	v_add_co_u32 v8, vcc_lo, s50, v8
	s_wait_alu 0xfffd
	v_add_co_ci_u32_e64 v9, null, s51, v9, vcc_lo
	global_load_b32 v16, v[8:9], off
	s_wait_loadcnt 0x0
	v_xor_b32_e32 v8, 0x80000000, v16
	s_delay_alu instid0(VALU_DEP_1) | instskip(NEXT) | instid1(VALU_DEP_1)
	v_and_b32_e32 v8, v8, v31
	v_cmp_eq_u32_e32 vcc_lo, v8, v27
	s_and_b32 exec_lo, exec_lo, vcc_lo
	s_cbranch_execz .LBB93_103
; %bb.107:                              ;   in Loop: Header=BB93_105 Depth=2
	ds_store_b64 v10, v[15:16] offset:3072
	s_branch .LBB93_103
.LBB93_108:                             ;   in Loop: Header=BB93_105 Depth=2
	v_add_co_u32 v6, vcc_lo, v6, s52
	s_wait_alu 0xfffd
	v_add_co_ci_u32_e64 v7, null, 0, v7, vcc_lo
	s_mov_b32 s19, 0
	v_cmp_le_u64_e32 vcc_lo, s[4:5], v[6:7]
	s_or_not1_b32 s20, vcc_lo, exec_lo
	s_branch .LBB93_104
.LBB93_109:                             ;   in Loop: Header=BB93_15 Depth=1
	s_or_b32 exec_lo, exec_lo, s11
	s_delay_alu instid0(SALU_CYCLE_1)
	s_and_not1_b32 s4, s12, exec_lo
	s_wait_alu 0xfffe
	s_and_b32 s5, s13, exec_lo
	s_wait_alu 0xfffe
	s_or_b32 s12, s4, s5
.LBB93_110:                             ;   in Loop: Header=BB93_15 Depth=1
	s_or_b32 exec_lo, exec_lo, s10
	s_mov_b32 s19, 0
	s_mov_b32 s20, -1
.LBB93_111:                             ;   in Loop: Header=BB93_15 Depth=1
	s_wait_alu 0xfffe
	s_or_not1_b32 s4, s12, exec_lo
.LBB93_112:                             ;   in Loop: Header=BB93_15 Depth=1
	s_wait_alu 0xfffe
	s_or_b32 exec_lo, exec_lo, s15
	s_delay_alu instid0(SALU_CYCLE_1)
	s_and_not1_b32 s5, s89, exec_lo
	s_and_b32 s10, s20, exec_lo
	s_and_not1_b32 s11, s87, exec_lo
	s_and_b32 s12, s19, exec_lo
	s_and_not1_b32 s86, s86, exec_lo
	s_wait_alu 0xfffe
	s_or_b32 s89, s5, s10
	s_or_b32 s87, s11, s12
                                        ; implicit-def: $vgpr6_vgpr7
	s_and_saveexec_b32 s15, s4
	s_cbranch_execz .LBB93_14
; %bb.113:                              ;   in Loop: Header=BB93_15 Depth=1
	v_mov_b32_e32 v6, 1
	v_dual_mov_b32 v7, 0 :: v_dual_mov_b32 v8, 1
	s_xor_b32 s10, s17, -1
	s_mov_b32 s5, 0
	s_wait_alu 0xfffe
	s_and_saveexec_b32 s4, s10
	s_cbranch_execz .LBB93_122
; %bb.114:                              ;   in Loop: Header=BB93_15 Depth=1
	s_mov_b32 s5, exec_lo
	v_cmpx_le_u64_e64 v[18:19], v[2:3]
	s_wait_alu 0xfffe
	s_xor_b32 s5, exec_lo, s5
	s_cbranch_execz .LBB93_119
; %bb.115:                              ;   in Loop: Header=BB93_15 Depth=1
	ds_load_b64 v[6:7], v10 offset:5120
	v_and_b32_e32 v27, s18, v27
	v_or_b32_e32 v31, s14, v31
	s_wait_dscnt 0x0
	v_cmp_ne_u64_e32 vcc_lo, 0, v[6:7]
	s_cbranch_vccnz .LBB93_119
; %bb.116:                              ;   in Loop: Header=BB93_15 Depth=1
	s_and_saveexec_b32 s10, s2
; %bb.117:                              ;   in Loop: Header=BB93_15 Depth=1
	ds_store_b64 v10, v[2:3] offset:5128
; %bb.118:                              ;   in Loop: Header=BB93_15 Depth=1
	s_wait_alu 0xfffe
	s_or_b32 exec_lo, exec_lo, s10
	s_wait_loadcnt_dscnt 0x0
	s_barrier_signal -1
	s_barrier_wait -1
	global_inv scope:SCOPE_SE
.LBB93_119:                             ;   in Loop: Header=BB93_15 Depth=1
	s_wait_alu 0xfffe
	s_or_saveexec_b32 s5, s5
	v_mov_b32_e32 v8, 8
	s_mov_b32 s10, 0
	s_wait_alu 0xfffe
	s_xor_b32 exec_lo, exec_lo, s5
; %bb.120:                              ;   in Loop: Header=BB93_15 Depth=1
	v_sub_co_u32 v18, vcc_lo, v18, v2
	s_wait_alu 0xfffd
	v_sub_co_ci_u32_e64 v19, null, v19, v3, vcc_lo
	v_mov_b32_e32 v8, 0
	s_mov_b32 s10, exec_lo
; %bb.121:                              ;   in Loop: Header=BB93_15 Depth=1
	s_or_b32 exec_lo, exec_lo, s5
	s_delay_alu instid0(VALU_DEP_2)
	v_dual_mov_b32 v6, v18 :: v_dual_mov_b32 v7, v19
	s_wait_alu 0xfffe
	s_and_b32 s5, s10, exec_lo
.LBB93_122:                             ;   in Loop: Header=BB93_15 Depth=1
	s_wait_alu 0xfffe
	s_or_b32 exec_lo, exec_lo, s4
	s_mov_b32 s16, -1
	s_mov_b32 s4, -1
                                        ; implicit-def: $sgpr19
                                        ; implicit-def: $sgpr20
	s_and_saveexec_b32 s10, s5
	s_wait_alu 0xfffe
	s_xor_b32 s17, exec_lo, s10
	s_cbranch_execz .LBB93_267
; %bb.123:                              ;   in Loop: Header=BB93_15 Depth=1
	v_cmp_eq_u64_e32 vcc_lo, 1, v[4:5]
	v_cmp_eq_u64_e64 s4, 1, v[6:7]
                                        ; implicit-def: $sgpr20
                                        ; implicit-def: $sgpr19
	s_and_b32 s22, vcc_lo, s4
	s_mov_b32 s4, -1
	s_wait_alu 0xfffe
	s_and_saveexec_b32 s21, s22
	s_cbranch_execz .LBB93_160
; %bb.124:                              ;   in Loop: Header=BB93_15 Depth=1
	ds_load_b64 v[2:3], v10 offset:5120
	s_wait_loadcnt_dscnt 0x0
	s_barrier_signal -1
	s_barrier_wait -1
	global_inv scope:SCOPE_SE
	v_readfirstlane_b32 s4, v2
	v_readfirstlane_b32 s5, v3
	s_and_saveexec_b32 s10, s3
; %bb.125:                              ;   in Loop: Header=BB93_15 Depth=1
	ds_store_b32 v25, v10
; %bb.126:                              ;   in Loop: Header=BB93_15 Depth=1
	s_wait_alu 0xfffe
	s_or_b32 exec_lo, exec_lo, s10
	s_lshl_b32 s10, 1, s81
	v_or_b32_e32 v31, s14, v31
	s_wait_alu 0xfffe
	v_and_or_b32 v27, v27, s18, s10
	s_mov_b32 s19, -1
	s_mov_b32 s20, 0
	s_cmp_eq_u64 s[4:5], 0
	s_mov_b32 s12, 0
	s_mov_b32 s13, -1
	s_wait_loadcnt_dscnt 0x0
	s_barrier_signal -1
	s_barrier_wait -1
	global_inv scope:SCOPE_SE
                                        ; implicit-def: $vgpr17
	s_cbranch_scc1 .LBB93_145
; %bb.127:                              ;   in Loop: Header=BB93_15 Depth=1
	s_add_nc_u64 s[10:11], s[4:5], s[58:59]
	s_mov_b32 s12, s57
	s_wait_alu 0xfffe
	s_mov_b32 s13, s11
	s_wait_alu 0xfffe
	s_cmp_lg_u64 s[12:13], 0
	s_cbranch_scc0 .LBB93_187
; %bb.128:                              ;   in Loop: Header=BB93_15 Depth=1
	s_cvt_f32_u32 s12, s52
	s_sub_nc_u64 s[64:65], 0, s[52:53]
	s_wait_alu 0xfffe
	s_delay_alu instid0(SALU_CYCLE_1) | instskip(SKIP_1) | instid1(SALU_CYCLE_2)
	s_fmamk_f32 s12, s83, 0x0, s12
	s_wait_alu 0xfffe
	v_s_rcp_f32 s12, s12
	s_delay_alu instid0(TRANS32_DEP_1) | instskip(SKIP_1) | instid1(SALU_CYCLE_2)
	s_mul_f32 s12, s12, 0x5f7ffffc
	s_wait_alu 0xfffe
	s_mul_f32 s13, s12, 0x2f800000
	s_wait_alu 0xfffe
	s_delay_alu instid0(SALU_CYCLE_2) | instskip(SKIP_1) | instid1(SALU_CYCLE_2)
	s_trunc_f32 s13, s13
	s_wait_alu 0xfffe
	s_fmamk_f32 s12, s13, 0xcf800000, s12
	s_cvt_u32_f32 s13, s13
	s_wait_alu 0xfffe
	s_delay_alu instid0(SALU_CYCLE_1) | instskip(SKIP_1) | instid1(SALU_CYCLE_2)
	s_cvt_u32_f32 s12, s12
	s_wait_alu 0xfffe
	s_mul_u64 s[66:67], s[64:65], s[12:13]
	s_wait_alu 0xfffe
	s_mul_hi_u32 s69, s12, s67
	s_mul_i32 s68, s12, s67
	s_mul_hi_u32 s56, s12, s66
	s_mul_i32 s70, s13, s66
	s_wait_alu 0xfffe
	s_add_nc_u64 s[68:69], s[56:57], s[68:69]
	s_mul_hi_u32 s23, s13, s66
	s_mul_hi_u32 s71, s13, s67
	s_wait_alu 0xfffe
	s_add_co_u32 s56, s68, s70
	s_add_co_ci_u32 s56, s69, s23
	s_mul_i32 s66, s13, s67
	s_add_co_ci_u32 s67, s71, 0
	s_wait_alu 0xfffe
	s_add_nc_u64 s[66:67], s[56:57], s[66:67]
	s_wait_alu 0xfffe
	s_add_co_u32 s12, s12, s66
	s_cselect_b32 s23, -1, 0
	s_wait_alu 0xfffe
	s_cmp_lg_u32 s23, 0
	s_add_co_ci_u32 s13, s13, s67
	s_wait_alu 0xfffe
	s_mul_u64 s[64:65], s[64:65], s[12:13]
	s_wait_alu 0xfffe
	s_mul_hi_u32 s67, s12, s65
	s_mul_i32 s66, s12, s65
	s_mul_hi_u32 s56, s12, s64
	s_mul_i32 s68, s13, s64
	s_wait_alu 0xfffe
	s_add_nc_u64 s[66:67], s[56:57], s[66:67]
	s_mul_hi_u32 s23, s13, s64
	s_mul_hi_u32 s69, s13, s65
	s_wait_alu 0xfffe
	s_add_co_u32 s56, s66, s68
	s_add_co_ci_u32 s56, s67, s23
	s_mul_i32 s64, s13, s65
	s_add_co_ci_u32 s65, s69, 0
	s_wait_alu 0xfffe
	s_add_nc_u64 s[64:65], s[56:57], s[64:65]
	s_wait_alu 0xfffe
	s_add_co_u32 s12, s12, s64
	s_cselect_b32 s23, -1, 0
	s_wait_alu 0xfffe
	s_mul_hi_u32 s56, s10, s12
	s_cmp_lg_u32 s23, 0
	s_mul_hi_u32 s23, s11, s12
	s_add_co_ci_u32 s64, s13, s65
	s_mul_i32 s65, s11, s12
	s_wait_alu 0xfffe
	s_mul_hi_u32 s13, s10, s64
	s_mul_i32 s12, s10, s64
	s_mul_hi_u32 s66, s11, s64
	s_wait_alu 0xfffe
	s_add_nc_u64 s[12:13], s[56:57], s[12:13]
	s_mul_i32 s64, s11, s64
	s_wait_alu 0xfffe
	s_add_co_u32 s12, s12, s65
	s_add_co_ci_u32 s56, s13, s23
	s_add_co_ci_u32 s65, s66, 0
	s_wait_alu 0xfffe
	s_add_nc_u64 s[12:13], s[56:57], s[64:65]
	s_wait_alu 0xfffe
	s_mul_u64 s[12:13], s[52:53], s[12:13]
	s_wait_alu 0xfffe
	s_sub_co_u32 s12, s10, s12
	s_cselect_b32 s23, -1, 0
	s_wait_alu 0xfffe
	s_cmp_lg_u32 s23, 0
	s_sub_co_ci_u32 s13, s11, s13
	s_sub_co_u32 s23, s12, s52
	s_cselect_b32 s56, -1, 0
	s_wait_alu 0xfffe
	s_cmp_lg_u32 s56, 0
	s_sub_co_ci_u32 s56, s13, 0
	;; [unrolled: 5-line block ×3, first 2 shown]
	s_cmp_ge_u32 s23, s52
	s_cselect_b32 s66, -1, 0
	s_cmp_eq_u32 s56, 0
	s_wait_alu 0xfffe
	s_cselect_b32 s66, s66, -1
	s_wait_alu 0xfffe
	s_cmp_lg_u32 s66, 0
	s_cselect_b32 s56, s65, s56
	s_cselect_b32 s23, s64, s23
	s_cmp_ge_u32 s12, s52
	s_cselect_b32 s64, -1, 0
	s_cmp_eq_u32 s13, 0
	s_wait_alu 0xfffe
	s_cselect_b32 s64, s64, -1
	s_wait_alu 0xfffe
	s_cmp_lg_u32 s64, 0
	s_cselect_b32 s13, s56, s13
	s_cselect_b32 s12, s23, s12
	s_cbranch_execnz .LBB93_130
.LBB93_129:                             ;   in Loop: Header=BB93_15 Depth=1
	v_cvt_f32_u32_e32 v2, s52
	s_sub_co_i32 s13, 0, s52
	s_delay_alu instid0(VALU_DEP_1) | instskip(NEXT) | instid1(TRANS32_DEP_1)
	v_rcp_iflag_f32_e32 v2, v2
	v_mul_f32_e32 v2, 0x4f7ffffe, v2
	s_delay_alu instid0(VALU_DEP_1) | instskip(NEXT) | instid1(VALU_DEP_1)
	v_cvt_u32_f32_e32 v2, v2
	v_readfirstlane_b32 s12, v2
	s_wait_alu 0xfffe
	s_mul_i32 s13, s13, s12
	s_wait_alu 0xfffe
	s_mul_hi_u32 s13, s12, s13
	s_wait_alu 0xfffe
	s_add_co_i32 s12, s12, s13
	s_wait_alu 0xfffe
	s_mul_hi_u32 s12, s10, s12
	s_wait_alu 0xfffe
	s_mul_i32 s12, s12, s52
	s_wait_alu 0xfffe
	s_sub_co_i32 s12, s10, s12
	s_wait_alu 0xfffe
	s_sub_co_i32 s13, s12, s52
	s_cmp_ge_u32 s12, s52
	s_wait_alu 0xfffe
	s_cselect_b32 s12, s13, s12
	s_wait_alu 0xfffe
	s_sub_co_i32 s13, s12, s52
	s_cmp_ge_u32 s12, s52
	s_wait_alu 0xfffe
	s_cselect_b32 s56, s13, s12
	s_wait_alu 0xfffe
	s_mov_b64 s[12:13], s[56:57]
.LBB93_130:                             ;   in Loop: Header=BB93_15 Depth=1
	s_wait_alu 0xfffe
	s_sub_nc_u64 s[10:11], s[10:11], s[12:13]
	s_mov_b32 s13, 0
	s_mov_b32 s12, 0
	s_mov_b32 s23, exec_lo
                                        ; implicit-def: $vgpr17
	s_wait_alu 0xfffe
	v_cmpx_gt_u64_e64 s[10:11], v[0:1]
	s_cbranch_execz .LBB93_144
; %bb.131:                              ;   in Loop: Header=BB93_15 Depth=1
	v_mov_b32_e32 v3, v1
	v_dual_mov_b32 v9, v11 :: v_dual_mov_b32 v2, v0
                                        ; implicit-def: $sgpr56
	s_branch .LBB93_134
.LBB93_132:                             ;   in Loop: Header=BB93_134 Depth=2
	s_wait_alu 0xfffe
	s_or_b32 exec_lo, exec_lo, s64
	s_wait_loadcnt_dscnt 0x0
	s_barrier_signal -1
	s_barrier_wait -1
	global_inv scope:SCOPE_SE
	ds_load_b64 v[16:17], v10 offset:3072
	s_mov_b32 s64, -1
	s_mov_b32 s65, -1
	s_wait_loadcnt_dscnt 0x0
	s_barrier_signal -1
	s_barrier_wait -1
	global_inv scope:SCOPE_SE
	v_cmp_ne_u32_e32 vcc_lo, 0, v16
	s_cbranch_vccz .LBB93_137
.LBB93_133:                             ;   in Loop: Header=BB93_134 Depth=2
	s_wait_alu 0xfffe
	s_and_b32 s64, exec_lo, s64
	s_wait_alu 0xfffe
	s_or_b32 s12, s64, s12
	s_and_not1_b32 s56, s56, exec_lo
	s_and_b32 s64, s65, exec_lo
	s_wait_alu 0xfffe
	s_or_b32 s56, s56, s64
	s_and_not1_b32 exec_lo, exec_lo, s12
	s_cbranch_execz .LBB93_143
.LBB93_134:                             ;   Parent Loop BB93_15 Depth=1
                                        ; =>  This Inner Loop Header: Depth=2
	s_mov_b32 s64, exec_lo
	s_delay_alu instid0(VALU_DEP_1)
	v_cmpx_gt_u64_e64 s[4:5], v[2:3]
	s_cbranch_execz .LBB93_132
; %bb.135:                              ;   in Loop: Header=BB93_134 Depth=2
	ds_load_b32 v16, v9
	s_wait_dscnt 0x0
	v_xor_b32_e32 v17, 0x80000000, v16
	s_delay_alu instid0(VALU_DEP_1) | instskip(NEXT) | instid1(VALU_DEP_1)
	v_and_b32_e32 v17, v17, v31
	v_cmp_eq_u32_e32 vcc_lo, v17, v27
	s_and_b32 exec_lo, exec_lo, vcc_lo
	s_cbranch_execz .LBB93_132
; %bb.136:                              ;   in Loop: Header=BB93_134 Depth=2
	ds_store_b64 v10, v[15:16] offset:3072
	s_branch .LBB93_132
.LBB93_137:                             ;   in Loop: Header=BB93_134 Depth=2
	v_add_co_u32 v2, vcc_lo, v2, s52
	s_wait_alu 0xfffd
	v_add_co_ci_u32_e64 v3, null, 0, v3, vcc_lo
	v_add_nc_u32_e32 v9, s80, v9
	s_mov_b32 s65, 0
	s_delay_alu instid0(VALU_DEP_2)
	v_cmp_le_u64_e32 vcc_lo, s[10:11], v[2:3]
	s_or_not1_b32 s64, vcc_lo, exec_lo
	s_branch .LBB93_133
.LBB93_138:                             ;   in Loop: Header=BB93_15 Depth=1
                                        ; implicit-def: $sgpr12_sgpr13
	s_branch .LBB93_86
.LBB93_139:                             ;   in Loop: Header=BB93_15 Depth=1
	s_wait_alu 0xfffe
	s_or_b32 exec_lo, exec_lo, s7
	s_wait_loadcnt_dscnt 0x0
	s_barrier_signal -1
	s_barrier_wait -1
	global_inv scope:SCOPE_SE
	s_and_saveexec_b32 s4, s2
	s_cbranch_execz .LBB93_141
; %bb.140:                              ;   in Loop: Header=BB93_15 Depth=1
	ds_load_b32 v2, v10 offset:5144
	s_wait_dscnt 0x0
	v_ashrrev_i32_e32 v3, 31, v2
	ds_store_b64 v10, v[2:3] offset:5120
.LBB93_141:                             ;   in Loop: Header=BB93_15 Depth=1
	s_wait_alu 0xfffe
	s_or_b32 exec_lo, exec_lo, s4
	s_wait_loadcnt_dscnt 0x0
	s_barrier_signal -1
	s_mov_b32 s4, -1
	s_barrier_wait -1
	s_and_b32 vcc_lo, exec_lo, s6
	s_wait_alu 0xfffe
	s_cbranch_vccnz .LBB93_31
	s_branch .LBB93_40
.LBB93_142:                             ;   in Loop: Header=BB93_15 Depth=1
                                        ; implicit-def: $sgpr4_sgpr5
	s_branch .LBB93_100
.LBB93_143:                             ;   in Loop: Header=BB93_15 Depth=1
	s_or_b32 exec_lo, exec_lo, s12
	s_wait_alu 0xfffe
	s_and_b32 s12, s56, exec_lo
.LBB93_144:                             ;   in Loop: Header=BB93_15 Depth=1
	s_or_b32 exec_lo, exec_lo, s23
.LBB93_145:                             ;   in Loop: Header=BB93_15 Depth=1
	s_wait_alu 0xfffe
	s_and_b32 vcc_lo, exec_lo, s13
	s_wait_alu 0xfffe
	s_cbranch_vccz .LBB93_159
; %bb.146:                              ;   in Loop: Header=BB93_15 Depth=1
	s_mov_b32 s4, s57
	s_mov_b32 s5, s61
	s_wait_alu 0xfffe
	s_cmp_lg_u64 s[4:5], 0
	s_cbranch_scc0 .LBB93_188
; %bb.147:                              ;   in Loop: Header=BB93_15 Depth=1
	s_cvt_f32_u32 s4, s52
	s_sub_nc_u64 s[10:11], 0, s[52:53]
	s_wait_alu 0xfffe
	s_delay_alu instid0(SALU_CYCLE_1) | instskip(SKIP_1) | instid1(SALU_CYCLE_2)
	s_fmamk_f32 s4, s83, 0x0, s4
	s_wait_alu 0xfffe
	v_s_rcp_f32 s4, s4
	s_delay_alu instid0(TRANS32_DEP_1) | instskip(SKIP_1) | instid1(SALU_CYCLE_2)
	s_mul_f32 s4, s4, 0x5f7ffffc
	s_wait_alu 0xfffe
	s_mul_f32 s5, s4, 0x2f800000
	s_wait_alu 0xfffe
	s_delay_alu instid0(SALU_CYCLE_2) | instskip(SKIP_1) | instid1(SALU_CYCLE_2)
	s_trunc_f32 s5, s5
	s_wait_alu 0xfffe
	s_fmamk_f32 s4, s5, 0xcf800000, s4
	s_cvt_u32_f32 s5, s5
	s_wait_alu 0xfffe
	s_delay_alu instid0(SALU_CYCLE_1) | instskip(SKIP_1) | instid1(SALU_CYCLE_2)
	s_cvt_u32_f32 s4, s4
	s_wait_alu 0xfffe
	s_mul_u64 s[64:65], s[10:11], s[4:5]
	s_wait_alu 0xfffe
	s_mul_hi_u32 s67, s4, s65
	s_mul_i32 s66, s4, s65
	s_mul_hi_u32 s56, s4, s64
	s_mul_i32 s19, s5, s64
	s_wait_alu 0xfffe
	s_add_nc_u64 s[66:67], s[56:57], s[66:67]
	s_mul_hi_u32 s13, s5, s64
	s_mul_hi_u32 s20, s5, s65
	s_wait_alu 0xfffe
	s_add_co_u32 s19, s66, s19
	s_add_co_ci_u32 s56, s67, s13
	s_mul_i32 s64, s5, s65
	s_add_co_ci_u32 s65, s20, 0
	s_wait_alu 0xfffe
	s_add_nc_u64 s[64:65], s[56:57], s[64:65]
	s_wait_alu 0xfffe
	s_add_co_u32 s4, s4, s64
	s_cselect_b32 s13, -1, 0
	s_wait_alu 0xfffe
	s_cmp_lg_u32 s13, 0
	s_add_co_ci_u32 s5, s5, s65
	s_wait_alu 0xfffe
	s_mul_u64 s[10:11], s[10:11], s[4:5]
	s_wait_alu 0xfffe
	s_mul_hi_u32 s65, s4, s11
	s_mul_i32 s64, s4, s11
	s_mul_hi_u32 s56, s4, s10
	s_mul_i32 s19, s5, s10
	s_wait_alu 0xfffe
	s_add_nc_u64 s[64:65], s[56:57], s[64:65]
	s_mul_hi_u32 s13, s5, s10
	s_mul_hi_u32 s20, s5, s11
	s_mul_i32 s10, s5, s11
	s_wait_alu 0xfffe
	s_add_co_u32 s11, s64, s19
	s_add_co_ci_u32 s56, s65, s13
	s_add_co_ci_u32 s11, s20, 0
	s_wait_alu 0xfffe
	s_add_nc_u64 s[10:11], s[56:57], s[10:11]
	s_wait_alu 0xfffe
	s_add_co_u32 s4, s4, s10
	s_cselect_b32 s10, -1, 0
	s_wait_alu 0xfffe
	s_mul_hi_u32 s56, s60, s4
	s_cmp_lg_u32 s10, 0
	s_mul_hi_u32 s13, s61, s4
	s_add_co_ci_u32 s10, s5, s11
	s_mul_i32 s11, s61, s4
	s_wait_alu 0xfffe
	s_mul_hi_u32 s5, s60, s10
	s_mul_i32 s4, s60, s10
	s_mul_hi_u32 s19, s61, s10
	s_wait_alu 0xfffe
	s_add_nc_u64 s[4:5], s[56:57], s[4:5]
	s_mul_i32 s10, s61, s10
	s_wait_alu 0xfffe
	s_add_co_u32 s4, s4, s11
	s_add_co_ci_u32 s56, s5, s13
	s_add_co_ci_u32 s11, s19, 0
	s_wait_alu 0xfffe
	s_add_nc_u64 s[4:5], s[56:57], s[10:11]
	s_wait_alu 0xfffe
	s_mul_u64 s[4:5], s[52:53], s[4:5]
	s_wait_alu 0xfffe
	s_sub_co_u32 s4, s60, s4
	s_cselect_b32 s10, -1, 0
	s_wait_alu 0xfffe
	s_cmp_lg_u32 s10, 0
	s_sub_co_ci_u32 s5, s61, s5
	s_sub_co_u32 s10, s4, s52
	s_cselect_b32 s11, -1, 0
	s_wait_alu 0xfffe
	s_cmp_lg_u32 s11, 0
	s_sub_co_ci_u32 s11, s5, 0
	s_sub_co_u32 s13, s10, s52
	s_cselect_b32 s19, -1, 0
	s_wait_alu 0xfffe
	s_cmp_lg_u32 s19, 0
	s_sub_co_ci_u32 s19, s11, 0
	s_cmp_ge_u32 s10, s52
	s_cselect_b32 s20, -1, 0
	s_cmp_eq_u32 s11, 0
	s_wait_alu 0xfffe
	s_cselect_b32 s20, s20, -1
	s_wait_alu 0xfffe
	s_cmp_lg_u32 s20, 0
	s_cselect_b32 s11, s19, s11
	s_cselect_b32 s10, s13, s10
	s_cmp_ge_u32 s4, s52
	s_cselect_b32 s13, -1, 0
	s_cmp_eq_u32 s5, 0
	s_wait_alu 0xfffe
	s_cselect_b32 s13, s13, -1
	s_wait_alu 0xfffe
	s_cmp_lg_u32 s13, 0
	s_cselect_b32 s5, s11, s5
	s_cselect_b32 s4, s10, s4
	s_cbranch_execnz .LBB93_149
.LBB93_148:                             ;   in Loop: Header=BB93_15 Depth=1
	v_cvt_f32_u32_e32 v2, s52
	s_sub_co_i32 s5, 0, s52
	s_delay_alu instid0(VALU_DEP_1) | instskip(NEXT) | instid1(TRANS32_DEP_1)
	v_rcp_iflag_f32_e32 v2, v2
	v_mul_f32_e32 v2, 0x4f7ffffe, v2
	s_delay_alu instid0(VALU_DEP_1) | instskip(NEXT) | instid1(VALU_DEP_1)
	v_cvt_u32_f32_e32 v2, v2
	v_readfirstlane_b32 s4, v2
	s_wait_alu 0xfffe
	s_mul_i32 s5, s5, s4
	s_wait_alu 0xfffe
	s_mul_hi_u32 s5, s4, s5
	s_wait_alu 0xfffe
	s_add_co_i32 s4, s4, s5
	s_wait_alu 0xfffe
	s_mul_hi_u32 s4, s60, s4
	s_wait_alu 0xfffe
	s_mul_i32 s4, s4, s52
	s_wait_alu 0xfffe
	s_sub_co_i32 s4, s60, s4
	s_wait_alu 0xfffe
	s_sub_co_i32 s5, s4, s52
	s_cmp_ge_u32 s4, s52
	s_wait_alu 0xfffe
	s_cselect_b32 s4, s5, s4
	s_wait_alu 0xfffe
	s_sub_co_i32 s5, s4, s52
	s_cmp_ge_u32 s4, s52
	s_wait_alu 0xfffe
	s_cselect_b32 s56, s5, s4
	s_wait_alu 0xfffe
	s_mov_b64 s[4:5], s[56:57]
.LBB93_149:                             ;   in Loop: Header=BB93_15 Depth=1
	s_wait_alu 0xfffe
	s_sub_nc_u64 s[4:5], s[60:61], s[4:5]
	s_mov_b32 s10, exec_lo
                                        ; implicit-def: $vgpr17
	s_wait_alu 0xfffe
	v_cmpx_gt_u64_e64 s[4:5], v[0:1]
	s_cbranch_execz .LBB93_158
; %bb.150:                              ;   in Loop: Header=BB93_15 Depth=1
	v_dual_mov_b32 v3, v1 :: v_dual_mov_b32 v2, v0
	s_mov_b32 s11, 0
                                        ; implicit-def: $sgpr13
	s_branch .LBB93_153
.LBB93_151:                             ;   in Loop: Header=BB93_153 Depth=2
	s_wait_alu 0xfffe
	s_or_b32 exec_lo, exec_lo, s19
	s_wait_loadcnt_dscnt 0x0
	s_barrier_signal -1
	s_barrier_wait -1
	global_inv scope:SCOPE_SE
	ds_load_b64 v[16:17], v10 offset:3072
	s_mov_b32 s20, -1
	s_mov_b32 s19, -1
	s_wait_loadcnt_dscnt 0x0
	s_barrier_signal -1
	s_barrier_wait -1
	global_inv scope:SCOPE_SE
	v_cmp_eq_u32_e32 vcc_lo, 0, v16
	s_cbranch_vccnz .LBB93_156
.LBB93_152:                             ;   in Loop: Header=BB93_153 Depth=2
	s_wait_alu 0xfffe
	s_and_b32 s20, exec_lo, s20
	s_wait_alu 0xfffe
	s_or_b32 s11, s20, s11
	s_and_not1_b32 s13, s13, exec_lo
	s_and_b32 s19, s19, exec_lo
	s_wait_alu 0xfffe
	s_or_b32 s13, s13, s19
	s_and_not1_b32 exec_lo, exec_lo, s11
	s_cbranch_execz .LBB93_157
.LBB93_153:                             ;   Parent Loop BB93_15 Depth=1
                                        ; =>  This Inner Loop Header: Depth=2
	s_mov_b32 s19, exec_lo
	s_delay_alu instid0(VALU_DEP_1)
	v_cmpx_gt_u64_e64 s[24:25], v[2:3]
	s_cbranch_execz .LBB93_151
; %bb.154:                              ;   in Loop: Header=BB93_153 Depth=2
	v_mul_lo_u32 v9, v3, s42
	v_mul_lo_u32 v18, v2, s43
	v_mad_co_u64_u32 v[16:17], null, v2, s42, 0
	s_delay_alu instid0(VALU_DEP_1) | instskip(NEXT) | instid1(VALU_DEP_1)
	v_add3_u32 v17, v17, v18, v9
	v_lshlrev_b64_e32 v[16:17], 2, v[16:17]
	s_delay_alu instid0(VALU_DEP_1) | instskip(SKIP_1) | instid1(VALU_DEP_2)
	v_add_co_u32 v16, vcc_lo, s50, v16
	s_wait_alu 0xfffd
	v_add_co_ci_u32_e64 v17, null, s51, v17, vcc_lo
	global_load_b32 v16, v[16:17], off
	s_wait_loadcnt 0x0
	v_xor_b32_e32 v9, 0x80000000, v16
	s_delay_alu instid0(VALU_DEP_1) | instskip(NEXT) | instid1(VALU_DEP_1)
	v_and_b32_e32 v9, v9, v31
	v_cmp_eq_u32_e32 vcc_lo, v9, v27
	s_and_b32 exec_lo, exec_lo, vcc_lo
	s_cbranch_execz .LBB93_151
; %bb.155:                              ;   in Loop: Header=BB93_153 Depth=2
	ds_store_b64 v10, v[15:16] offset:3072
	s_branch .LBB93_151
.LBB93_156:                             ;   in Loop: Header=BB93_153 Depth=2
	v_add_co_u32 v2, vcc_lo, v2, s52
	s_wait_alu 0xfffd
	v_add_co_ci_u32_e64 v3, null, 0, v3, vcc_lo
	s_mov_b32 s19, 0
	v_cmp_le_u64_e32 vcc_lo, s[4:5], v[2:3]
	s_or_not1_b32 s20, vcc_lo, exec_lo
	s_branch .LBB93_152
.LBB93_157:                             ;   in Loop: Header=BB93_15 Depth=1
	s_or_b32 exec_lo, exec_lo, s11
	s_delay_alu instid0(SALU_CYCLE_1)
	s_and_not1_b32 s4, s12, exec_lo
	s_wait_alu 0xfffe
	s_and_b32 s5, s13, exec_lo
	s_wait_alu 0xfffe
	s_or_b32 s12, s4, s5
.LBB93_158:                             ;   in Loop: Header=BB93_15 Depth=1
	s_or_b32 exec_lo, exec_lo, s10
	s_mov_b32 s19, 0
	s_mov_b32 s20, -1
.LBB93_159:                             ;   in Loop: Header=BB93_15 Depth=1
	s_wait_alu 0xfffe
	s_or_not1_b32 s4, s12, exec_lo
.LBB93_160:                             ;   in Loop: Header=BB93_15 Depth=1
	s_wait_alu 0xfffe
	s_or_b32 exec_lo, exec_lo, s21
	s_mov_b32 s5, 0
	s_and_saveexec_b32 s21, s4
	s_cbranch_execz .LBB93_266
; %bb.161:                              ;   in Loop: Header=BB93_15 Depth=1
	v_mov_b32_e32 v2, 1
	v_dual_mov_b32 v3, 0 :: v_dual_mov_b32 v8, 1
	s_xor_b32 s10, s22, -1
	s_wait_alu 0xfffe
	s_and_saveexec_b32 s4, s10
	s_cbranch_execz .LBB93_171
; %bb.162:                              ;   in Loop: Header=BB93_15 Depth=1
	s_mov_b32 s5, exec_lo
	v_cmpx_le_u64_e64 v[6:7], v[4:5]
	s_wait_alu 0xfffe
	s_xor_b32 s5, exec_lo, s5
	s_cbranch_execz .LBB93_168
; %bb.163:                              ;   in Loop: Header=BB93_15 Depth=1
	ds_load_b64 v[2:3], v10 offset:5120
	s_lshl_b32 s10, 1, s81
	v_or_b32_e32 v31, s14, v31
	s_wait_alu 0xfffe
	v_and_or_b32 v27, v27, s18, s10
	s_wait_dscnt 0x0
	v_cmp_ne_u64_e32 vcc_lo, 0, v[2:3]
	s_cbranch_vccnz .LBB93_167
; %bb.164:                              ;   in Loop: Header=BB93_15 Depth=1
	s_and_saveexec_b32 s10, s2
; %bb.165:                              ;   in Loop: Header=BB93_15 Depth=1
	ds_store_b64 v10, v[4:5] offset:5128
; %bb.166:                              ;   in Loop: Header=BB93_15 Depth=1
	s_wait_alu 0xfffe
	s_or_b32 exec_lo, exec_lo, s10
	s_wait_loadcnt_dscnt 0x0
	s_barrier_signal -1
	s_barrier_wait -1
	global_inv scope:SCOPE_SE
.LBB93_167:                             ;   in Loop: Header=BB93_15 Depth=1
                                        ; implicit-def: $vgpr2_vgpr3_vgpr4_vgpr5
.LBB93_168:                             ;   in Loop: Header=BB93_15 Depth=1
	s_wait_alu 0xfffe
	s_or_saveexec_b32 s5, s5
	v_mov_b32_e32 v8, 8
	s_mov_b32 s10, 0
	s_wait_alu 0xfffe
	s_xor_b32 exec_lo, exec_lo, s5
; %bb.169:                              ;   in Loop: Header=BB93_15 Depth=1
	v_sub_co_u32 v6, vcc_lo, v6, v4
	s_wait_alu 0xfffd
	v_sub_co_ci_u32_e64 v7, null, v7, v5, vcc_lo
	v_mov_b32_e32 v8, 0
	s_mov_b32 s10, exec_lo
; %bb.170:                              ;   in Loop: Header=BB93_15 Depth=1
	s_or_b32 exec_lo, exec_lo, s5
	s_delay_alu instid0(VALU_DEP_2)
	v_dual_mov_b32 v2, v6 :: v_dual_mov_b32 v3, v7
	s_wait_alu 0xfffe
	s_and_b32 s5, s10, exec_lo
.LBB93_171:                             ;   in Loop: Header=BB93_15 Depth=1
	s_wait_alu 0xfffe
	s_or_b32 exec_lo, exec_lo, s4
	s_mov_b32 s4, -1
                                        ; implicit-def: $sgpr23
                                        ; implicit-def: $sgpr64
	s_and_saveexec_b32 s22, s5
	s_cbranch_execz .LBB93_265
; %bb.172:                              ;   in Loop: Header=BB93_15 Depth=1
	v_cmp_eq_u64_e32 vcc_lo, 1, v[2:3]
	s_cmp_eq_u64 s[8:9], 1
                                        ; implicit-def: $sgpr64
                                        ; implicit-def: $sgpr23
	s_cselect_b32 s4, -1, 0
	s_wait_alu 0xfffe
	s_and_b32 s65, s4, vcc_lo
	s_mov_b32 s4, -1
	s_wait_alu 0xfffe
	s_and_saveexec_b32 s66, s65
	s_cbranch_execz .LBB93_206
; %bb.173:                              ;   in Loop: Header=BB93_15 Depth=1
	ds_load_b64 v[4:5], v10 offset:5120
	s_wait_loadcnt_dscnt 0x0
	s_barrier_signal -1
	s_barrier_wait -1
	global_inv scope:SCOPE_SE
	v_readfirstlane_b32 s4, v4
	v_readfirstlane_b32 s5, v5
	s_and_saveexec_b32 s10, s3
; %bb.174:                              ;   in Loop: Header=BB93_15 Depth=1
	ds_store_b32 v25, v10
; %bb.175:                              ;   in Loop: Header=BB93_15 Depth=1
	s_wait_alu 0xfffe
	s_or_b32 exec_lo, exec_lo, s10
	s_lshl_b32 s10, 2, s81
	v_or_b32_e32 v31, s14, v31
	s_wait_alu 0xfffe
	v_and_or_b32 v27, v27, s18, s10
	s_mov_b32 s23, -1
	s_mov_b32 s64, 0
	s_cmp_eq_u64 s[4:5], 0
	s_mov_b32 s12, 0
	s_mov_b32 s13, -1
	s_wait_loadcnt_dscnt 0x0
	s_barrier_signal -1
	s_barrier_wait -1
	global_inv scope:SCOPE_SE
                                        ; implicit-def: $vgpr17
	s_cbranch_scc1 .LBB93_191
; %bb.176:                              ;   in Loop: Header=BB93_15 Depth=1
	s_add_nc_u64 s[10:11], s[4:5], s[58:59]
	s_mov_b32 s12, s57
	s_wait_alu 0xfffe
	s_mov_b32 s13, s11
	s_wait_alu 0xfffe
	s_cmp_lg_u64 s[12:13], 0
	s_cbranch_scc0 .LBB93_232
; %bb.177:                              ;   in Loop: Header=BB93_15 Depth=1
	s_cvt_f32_u32 s12, s52
	s_sub_nc_u64 s[68:69], 0, s[52:53]
	s_wait_alu 0xfffe
	s_delay_alu instid0(SALU_CYCLE_1) | instskip(SKIP_1) | instid1(SALU_CYCLE_2)
	s_fmamk_f32 s12, s83, 0x0, s12
	s_wait_alu 0xfffe
	v_s_rcp_f32 s12, s12
	s_delay_alu instid0(TRANS32_DEP_1) | instskip(SKIP_1) | instid1(SALU_CYCLE_2)
	s_mul_f32 s12, s12, 0x5f7ffffc
	s_wait_alu 0xfffe
	s_mul_f32 s13, s12, 0x2f800000
	s_wait_alu 0xfffe
	s_delay_alu instid0(SALU_CYCLE_2) | instskip(SKIP_1) | instid1(SALU_CYCLE_2)
	s_trunc_f32 s13, s13
	s_wait_alu 0xfffe
	s_fmamk_f32 s12, s13, 0xcf800000, s12
	s_cvt_u32_f32 s13, s13
	s_wait_alu 0xfffe
	s_delay_alu instid0(SALU_CYCLE_1) | instskip(SKIP_1) | instid1(SALU_CYCLE_2)
	s_cvt_u32_f32 s12, s12
	s_wait_alu 0xfffe
	s_mul_u64 s[70:71], s[68:69], s[12:13]
	s_wait_alu 0xfffe
	s_mul_hi_u32 s73, s12, s71
	s_mul_i32 s72, s12, s71
	s_mul_hi_u32 s56, s12, s70
	s_mul_i32 s91, s13, s70
	s_wait_alu 0xfffe
	s_add_nc_u64 s[72:73], s[56:57], s[72:73]
	s_mul_hi_u32 s67, s13, s70
	s_mul_hi_u32 s92, s13, s71
	s_wait_alu 0xfffe
	s_add_co_u32 s56, s72, s91
	s_add_co_ci_u32 s56, s73, s67
	s_mul_i32 s70, s13, s71
	s_add_co_ci_u32 s71, s92, 0
	s_wait_alu 0xfffe
	s_add_nc_u64 s[70:71], s[56:57], s[70:71]
	s_wait_alu 0xfffe
	s_add_co_u32 s12, s12, s70
	s_cselect_b32 s56, -1, 0
	s_wait_alu 0xfffe
	s_cmp_lg_u32 s56, 0
	s_add_co_ci_u32 s13, s13, s71
	s_wait_alu 0xfffe
	s_mul_u64 s[68:69], s[68:69], s[12:13]
	s_wait_alu 0xfffe
	s_mul_hi_u32 s71, s12, s69
	s_mul_i32 s70, s12, s69
	s_mul_hi_u32 s56, s12, s68
	s_mul_i32 s72, s13, s68
	s_wait_alu 0xfffe
	s_add_nc_u64 s[70:71], s[56:57], s[70:71]
	s_mul_hi_u32 s67, s13, s68
	s_mul_hi_u32 s73, s13, s69
	s_wait_alu 0xfffe
	s_add_co_u32 s56, s70, s72
	s_add_co_ci_u32 s56, s71, s67
	s_mul_i32 s68, s13, s69
	s_add_co_ci_u32 s69, s73, 0
	s_wait_alu 0xfffe
	s_add_nc_u64 s[68:69], s[56:57], s[68:69]
	s_wait_alu 0xfffe
	s_add_co_u32 s12, s12, s68
	s_cselect_b32 s67, -1, 0
	s_wait_alu 0xfffe
	s_mul_hi_u32 s56, s10, s12
	s_cmp_lg_u32 s67, 0
	s_mul_hi_u32 s67, s11, s12
	s_add_co_ci_u32 s68, s13, s69
	s_mul_i32 s69, s11, s12
	s_wait_alu 0xfffe
	s_mul_hi_u32 s13, s10, s68
	s_mul_i32 s12, s10, s68
	s_mul_hi_u32 s70, s11, s68
	s_wait_alu 0xfffe
	s_add_nc_u64 s[12:13], s[56:57], s[12:13]
	s_mul_i32 s68, s11, s68
	s_wait_alu 0xfffe
	s_add_co_u32 s12, s12, s69
	s_add_co_ci_u32 s56, s13, s67
	s_add_co_ci_u32 s69, s70, 0
	s_wait_alu 0xfffe
	s_add_nc_u64 s[12:13], s[56:57], s[68:69]
	s_wait_alu 0xfffe
	s_mul_u64 s[12:13], s[52:53], s[12:13]
	s_wait_alu 0xfffe
	s_sub_co_u32 s12, s10, s12
	s_cselect_b32 s56, -1, 0
	s_wait_alu 0xfffe
	s_cmp_lg_u32 s56, 0
	s_sub_co_ci_u32 s13, s11, s13
	s_sub_co_u32 s56, s12, s52
	s_cselect_b32 s67, -1, 0
	s_wait_alu 0xfffe
	s_cmp_lg_u32 s67, 0
	s_sub_co_ci_u32 s67, s13, 0
	;; [unrolled: 5-line block ×3, first 2 shown]
	s_cmp_ge_u32 s56, s52
	s_cselect_b32 s70, -1, 0
	s_cmp_eq_u32 s67, 0
	s_wait_alu 0xfffe
	s_cselect_b32 s70, s70, -1
	s_wait_alu 0xfffe
	s_cmp_lg_u32 s70, 0
	s_cselect_b32 s67, s69, s67
	s_cselect_b32 s56, s68, s56
	s_cmp_ge_u32 s12, s52
	s_cselect_b32 s68, -1, 0
	s_cmp_eq_u32 s13, 0
	s_wait_alu 0xfffe
	s_cselect_b32 s68, s68, -1
	s_wait_alu 0xfffe
	s_cmp_lg_u32 s68, 0
	s_cselect_b32 s13, s67, s13
	s_cselect_b32 s12, s56, s12
	s_cbranch_execnz .LBB93_179
.LBB93_178:                             ;   in Loop: Header=BB93_15 Depth=1
	v_cvt_f32_u32_e32 v4, s52
	s_sub_co_i32 s13, 0, s52
	s_delay_alu instid0(VALU_DEP_1) | instskip(NEXT) | instid1(TRANS32_DEP_1)
	v_rcp_iflag_f32_e32 v4, v4
	v_mul_f32_e32 v4, 0x4f7ffffe, v4
	s_delay_alu instid0(VALU_DEP_1) | instskip(NEXT) | instid1(VALU_DEP_1)
	v_cvt_u32_f32_e32 v4, v4
	v_readfirstlane_b32 s12, v4
	s_wait_alu 0xfffe
	s_mul_i32 s13, s13, s12
	s_wait_alu 0xfffe
	s_mul_hi_u32 s13, s12, s13
	s_wait_alu 0xfffe
	s_add_co_i32 s12, s12, s13
	s_wait_alu 0xfffe
	s_mul_hi_u32 s12, s10, s12
	s_wait_alu 0xfffe
	s_mul_i32 s12, s12, s52
	s_wait_alu 0xfffe
	s_sub_co_i32 s12, s10, s12
	s_wait_alu 0xfffe
	s_sub_co_i32 s13, s12, s52
	s_cmp_ge_u32 s12, s52
	s_wait_alu 0xfffe
	s_cselect_b32 s12, s13, s12
	s_wait_alu 0xfffe
	s_sub_co_i32 s13, s12, s52
	s_cmp_ge_u32 s12, s52
	s_wait_alu 0xfffe
	s_cselect_b32 s56, s13, s12
	s_wait_alu 0xfffe
	s_mov_b64 s[12:13], s[56:57]
.LBB93_179:                             ;   in Loop: Header=BB93_15 Depth=1
	s_wait_alu 0xfffe
	s_sub_nc_u64 s[10:11], s[10:11], s[12:13]
	s_mov_b32 s13, 0
	s_mov_b32 s12, 0
	s_mov_b32 s56, exec_lo
                                        ; implicit-def: $vgpr17
	s_wait_alu 0xfffe
	v_cmpx_gt_u64_e64 s[10:11], v[0:1]
	s_cbranch_execz .LBB93_190
; %bb.180:                              ;   in Loop: Header=BB93_15 Depth=1
	v_dual_mov_b32 v6, v11 :: v_dual_mov_b32 v5, v1
	v_mov_b32_e32 v4, v0
                                        ; implicit-def: $sgpr67
	s_branch .LBB93_183
.LBB93_181:                             ;   in Loop: Header=BB93_183 Depth=2
	s_wait_alu 0xfffe
	s_or_b32 exec_lo, exec_lo, s68
	s_wait_loadcnt_dscnt 0x0
	s_barrier_signal -1
	s_barrier_wait -1
	global_inv scope:SCOPE_SE
	ds_load_b64 v[16:17], v10 offset:3072
	s_mov_b32 s68, -1
	s_mov_b32 s69, -1
	s_wait_loadcnt_dscnt 0x0
	s_barrier_signal -1
	s_barrier_wait -1
	global_inv scope:SCOPE_SE
	v_cmp_ne_u32_e32 vcc_lo, 0, v16
	s_cbranch_vccz .LBB93_186
.LBB93_182:                             ;   in Loop: Header=BB93_183 Depth=2
	s_wait_alu 0xfffe
	s_and_b32 s68, exec_lo, s68
	s_wait_alu 0xfffe
	s_or_b32 s12, s68, s12
	s_and_not1_b32 s67, s67, exec_lo
	s_and_b32 s68, s69, exec_lo
	s_wait_alu 0xfffe
	s_or_b32 s67, s67, s68
	s_and_not1_b32 exec_lo, exec_lo, s12
	s_cbranch_execz .LBB93_189
.LBB93_183:                             ;   Parent Loop BB93_15 Depth=1
                                        ; =>  This Inner Loop Header: Depth=2
	s_mov_b32 s68, exec_lo
	s_delay_alu instid0(VALU_DEP_1)
	v_cmpx_gt_u64_e64 s[4:5], v[4:5]
	s_cbranch_execz .LBB93_181
; %bb.184:                              ;   in Loop: Header=BB93_183 Depth=2
	ds_load_b32 v16, v6
	s_wait_dscnt 0x0
	v_xor_b32_e32 v7, 0x80000000, v16
	s_delay_alu instid0(VALU_DEP_1) | instskip(NEXT) | instid1(VALU_DEP_1)
	v_and_b32_e32 v7, v7, v31
	v_cmp_eq_u32_e32 vcc_lo, v7, v27
	s_and_b32 exec_lo, exec_lo, vcc_lo
	s_cbranch_execz .LBB93_181
; %bb.185:                              ;   in Loop: Header=BB93_183 Depth=2
	ds_store_b64 v10, v[15:16] offset:3072
	s_branch .LBB93_181
.LBB93_186:                             ;   in Loop: Header=BB93_183 Depth=2
	v_add_co_u32 v4, vcc_lo, v4, s52
	s_wait_alu 0xfffd
	v_add_co_ci_u32_e64 v5, null, 0, v5, vcc_lo
	v_add_nc_u32_e32 v6, s80, v6
	s_mov_b32 s69, 0
	s_delay_alu instid0(VALU_DEP_2)
	v_cmp_le_u64_e32 vcc_lo, s[10:11], v[4:5]
	s_or_not1_b32 s68, vcc_lo, exec_lo
	s_branch .LBB93_182
.LBB93_187:                             ;   in Loop: Header=BB93_15 Depth=1
                                        ; implicit-def: $sgpr12_sgpr13
	s_branch .LBB93_129
.LBB93_188:                             ;   in Loop: Header=BB93_15 Depth=1
                                        ; implicit-def: $sgpr4_sgpr5
	s_branch .LBB93_148
.LBB93_189:                             ;   in Loop: Header=BB93_15 Depth=1
	s_or_b32 exec_lo, exec_lo, s12
	s_wait_alu 0xfffe
	s_and_b32 s12, s67, exec_lo
.LBB93_190:                             ;   in Loop: Header=BB93_15 Depth=1
	s_or_b32 exec_lo, exec_lo, s56
.LBB93_191:                             ;   in Loop: Header=BB93_15 Depth=1
	s_wait_alu 0xfffe
	s_and_b32 vcc_lo, exec_lo, s13
	s_wait_alu 0xfffe
	s_cbranch_vccz .LBB93_205
; %bb.192:                              ;   in Loop: Header=BB93_15 Depth=1
	s_mov_b32 s4, s57
	s_mov_b32 s5, s61
	s_wait_alu 0xfffe
	s_cmp_lg_u64 s[4:5], 0
	s_cbranch_scc0 .LBB93_233
; %bb.193:                              ;   in Loop: Header=BB93_15 Depth=1
	s_cvt_f32_u32 s4, s52
	s_sub_nc_u64 s[10:11], 0, s[52:53]
	s_wait_alu 0xfffe
	s_delay_alu instid0(SALU_CYCLE_1) | instskip(SKIP_1) | instid1(SALU_CYCLE_2)
	s_fmamk_f32 s4, s83, 0x0, s4
	s_wait_alu 0xfffe
	v_s_rcp_f32 s4, s4
	s_delay_alu instid0(TRANS32_DEP_1) | instskip(SKIP_1) | instid1(SALU_CYCLE_2)
	s_mul_f32 s4, s4, 0x5f7ffffc
	s_wait_alu 0xfffe
	s_mul_f32 s5, s4, 0x2f800000
	s_wait_alu 0xfffe
	s_delay_alu instid0(SALU_CYCLE_2) | instskip(SKIP_1) | instid1(SALU_CYCLE_2)
	s_trunc_f32 s5, s5
	s_wait_alu 0xfffe
	s_fmamk_f32 s4, s5, 0xcf800000, s4
	s_cvt_u32_f32 s5, s5
	s_wait_alu 0xfffe
	s_delay_alu instid0(SALU_CYCLE_1) | instskip(SKIP_1) | instid1(SALU_CYCLE_2)
	s_cvt_u32_f32 s4, s4
	s_wait_alu 0xfffe
	s_mul_u64 s[68:69], s[10:11], s[4:5]
	s_wait_alu 0xfffe
	s_mul_hi_u32 s71, s4, s69
	s_mul_i32 s70, s4, s69
	s_mul_hi_u32 s56, s4, s68
	s_mul_i32 s23, s5, s68
	s_wait_alu 0xfffe
	s_add_nc_u64 s[70:71], s[56:57], s[70:71]
	s_mul_hi_u32 s13, s5, s68
	s_mul_hi_u32 s64, s5, s69
	s_wait_alu 0xfffe
	s_add_co_u32 s23, s70, s23
	s_add_co_ci_u32 s56, s71, s13
	s_mul_i32 s68, s5, s69
	s_add_co_ci_u32 s69, s64, 0
	s_wait_alu 0xfffe
	s_add_nc_u64 s[68:69], s[56:57], s[68:69]
	s_wait_alu 0xfffe
	s_add_co_u32 s4, s4, s68
	s_cselect_b32 s13, -1, 0
	s_wait_alu 0xfffe
	s_cmp_lg_u32 s13, 0
	s_add_co_ci_u32 s5, s5, s69
	s_wait_alu 0xfffe
	s_mul_u64 s[10:11], s[10:11], s[4:5]
	s_wait_alu 0xfffe
	s_mul_hi_u32 s69, s4, s11
	s_mul_i32 s68, s4, s11
	s_mul_hi_u32 s56, s4, s10
	s_mul_i32 s23, s5, s10
	s_wait_alu 0xfffe
	s_add_nc_u64 s[68:69], s[56:57], s[68:69]
	s_mul_hi_u32 s13, s5, s10
	s_mul_hi_u32 s64, s5, s11
	s_mul_i32 s10, s5, s11
	s_wait_alu 0xfffe
	s_add_co_u32 s11, s68, s23
	s_add_co_ci_u32 s56, s69, s13
	s_add_co_ci_u32 s11, s64, 0
	s_wait_alu 0xfffe
	s_add_nc_u64 s[10:11], s[56:57], s[10:11]
	s_wait_alu 0xfffe
	s_add_co_u32 s4, s4, s10
	s_cselect_b32 s10, -1, 0
	s_wait_alu 0xfffe
	s_mul_hi_u32 s56, s60, s4
	s_cmp_lg_u32 s10, 0
	s_mul_hi_u32 s13, s61, s4
	s_add_co_ci_u32 s10, s5, s11
	s_mul_i32 s11, s61, s4
	s_wait_alu 0xfffe
	s_mul_hi_u32 s5, s60, s10
	s_mul_i32 s4, s60, s10
	s_mul_hi_u32 s23, s61, s10
	s_wait_alu 0xfffe
	s_add_nc_u64 s[4:5], s[56:57], s[4:5]
	s_mul_i32 s10, s61, s10
	s_wait_alu 0xfffe
	s_add_co_u32 s4, s4, s11
	s_add_co_ci_u32 s56, s5, s13
	s_add_co_ci_u32 s11, s23, 0
	s_wait_alu 0xfffe
	s_add_nc_u64 s[4:5], s[56:57], s[10:11]
	s_wait_alu 0xfffe
	s_mul_u64 s[4:5], s[52:53], s[4:5]
	s_wait_alu 0xfffe
	s_sub_co_u32 s4, s60, s4
	s_cselect_b32 s10, -1, 0
	s_wait_alu 0xfffe
	s_cmp_lg_u32 s10, 0
	s_sub_co_ci_u32 s5, s61, s5
	s_sub_co_u32 s10, s4, s52
	s_cselect_b32 s11, -1, 0
	s_wait_alu 0xfffe
	s_cmp_lg_u32 s11, 0
	s_sub_co_ci_u32 s11, s5, 0
	;; [unrolled: 5-line block ×3, first 2 shown]
	s_cmp_ge_u32 s10, s52
	s_cselect_b32 s56, -1, 0
	s_cmp_eq_u32 s11, 0
	s_wait_alu 0xfffe
	s_cselect_b32 s56, s56, -1
	s_wait_alu 0xfffe
	s_cmp_lg_u32 s56, 0
	s_cselect_b32 s11, s23, s11
	s_cselect_b32 s10, s13, s10
	s_cmp_ge_u32 s4, s52
	s_cselect_b32 s13, -1, 0
	s_cmp_eq_u32 s5, 0
	s_wait_alu 0xfffe
	s_cselect_b32 s13, s13, -1
	s_wait_alu 0xfffe
	s_cmp_lg_u32 s13, 0
	s_cselect_b32 s5, s11, s5
	s_cselect_b32 s4, s10, s4
	s_cbranch_execnz .LBB93_195
.LBB93_194:                             ;   in Loop: Header=BB93_15 Depth=1
	v_cvt_f32_u32_e32 v4, s52
	s_sub_co_i32 s5, 0, s52
	s_delay_alu instid0(VALU_DEP_1) | instskip(NEXT) | instid1(TRANS32_DEP_1)
	v_rcp_iflag_f32_e32 v4, v4
	v_mul_f32_e32 v4, 0x4f7ffffe, v4
	s_delay_alu instid0(VALU_DEP_1) | instskip(NEXT) | instid1(VALU_DEP_1)
	v_cvt_u32_f32_e32 v4, v4
	v_readfirstlane_b32 s4, v4
	s_wait_alu 0xfffe
	s_mul_i32 s5, s5, s4
	s_wait_alu 0xfffe
	s_mul_hi_u32 s5, s4, s5
	s_wait_alu 0xfffe
	s_add_co_i32 s4, s4, s5
	s_wait_alu 0xfffe
	s_mul_hi_u32 s4, s60, s4
	s_wait_alu 0xfffe
	s_mul_i32 s4, s4, s52
	s_wait_alu 0xfffe
	s_sub_co_i32 s4, s60, s4
	s_wait_alu 0xfffe
	s_sub_co_i32 s5, s4, s52
	s_cmp_ge_u32 s4, s52
	s_wait_alu 0xfffe
	s_cselect_b32 s4, s5, s4
	s_wait_alu 0xfffe
	s_sub_co_i32 s5, s4, s52
	s_cmp_ge_u32 s4, s52
	s_wait_alu 0xfffe
	s_cselect_b32 s56, s5, s4
	s_wait_alu 0xfffe
	s_mov_b64 s[4:5], s[56:57]
.LBB93_195:                             ;   in Loop: Header=BB93_15 Depth=1
	s_wait_alu 0xfffe
	s_sub_nc_u64 s[4:5], s[60:61], s[4:5]
	s_mov_b32 s10, exec_lo
                                        ; implicit-def: $vgpr17
	s_wait_alu 0xfffe
	v_cmpx_gt_u64_e64 s[4:5], v[0:1]
	s_cbranch_execz .LBB93_204
; %bb.196:                              ;   in Loop: Header=BB93_15 Depth=1
	v_dual_mov_b32 v5, v1 :: v_dual_mov_b32 v4, v0
	s_mov_b32 s11, 0
                                        ; implicit-def: $sgpr13
	s_branch .LBB93_199
.LBB93_197:                             ;   in Loop: Header=BB93_199 Depth=2
	s_wait_alu 0xfffe
	s_or_b32 exec_lo, exec_lo, s23
	s_wait_loadcnt_dscnt 0x0
	s_barrier_signal -1
	s_barrier_wait -1
	global_inv scope:SCOPE_SE
	ds_load_b64 v[16:17], v10 offset:3072
	s_mov_b32 s56, -1
	s_mov_b32 s23, -1
	s_wait_loadcnt_dscnt 0x0
	s_barrier_signal -1
	s_barrier_wait -1
	global_inv scope:SCOPE_SE
	v_cmp_eq_u32_e32 vcc_lo, 0, v16
	s_cbranch_vccnz .LBB93_202
.LBB93_198:                             ;   in Loop: Header=BB93_199 Depth=2
	s_wait_alu 0xfffe
	s_and_b32 s56, exec_lo, s56
	s_wait_alu 0xfffe
	s_or_b32 s11, s56, s11
	s_and_not1_b32 s13, s13, exec_lo
	s_and_b32 s23, s23, exec_lo
	s_wait_alu 0xfffe
	s_or_b32 s13, s13, s23
	s_and_not1_b32 exec_lo, exec_lo, s11
	s_cbranch_execz .LBB93_203
.LBB93_199:                             ;   Parent Loop BB93_15 Depth=1
                                        ; =>  This Inner Loop Header: Depth=2
	s_mov_b32 s23, exec_lo
	s_delay_alu instid0(VALU_DEP_1)
	v_cmpx_gt_u64_e64 s[24:25], v[4:5]
	s_cbranch_execz .LBB93_197
; %bb.200:                              ;   in Loop: Header=BB93_199 Depth=2
	v_mul_lo_u32 v9, v5, s42
	v_mul_lo_u32 v16, v4, s43
	v_mad_co_u64_u32 v[6:7], null, v4, s42, 0
	s_delay_alu instid0(VALU_DEP_1) | instskip(NEXT) | instid1(VALU_DEP_1)
	v_add3_u32 v7, v7, v16, v9
	v_lshlrev_b64_e32 v[6:7], 2, v[6:7]
	s_delay_alu instid0(VALU_DEP_1) | instskip(SKIP_1) | instid1(VALU_DEP_2)
	v_add_co_u32 v6, vcc_lo, s50, v6
	s_wait_alu 0xfffd
	v_add_co_ci_u32_e64 v7, null, s51, v7, vcc_lo
	global_load_b32 v16, v[6:7], off
	s_wait_loadcnt 0x0
	v_xor_b32_e32 v6, 0x80000000, v16
	s_delay_alu instid0(VALU_DEP_1) | instskip(NEXT) | instid1(VALU_DEP_1)
	v_and_b32_e32 v6, v6, v31
	v_cmp_eq_u32_e32 vcc_lo, v6, v27
	s_and_b32 exec_lo, exec_lo, vcc_lo
	s_cbranch_execz .LBB93_197
; %bb.201:                              ;   in Loop: Header=BB93_199 Depth=2
	ds_store_b64 v10, v[15:16] offset:3072
	s_branch .LBB93_197
.LBB93_202:                             ;   in Loop: Header=BB93_199 Depth=2
	v_add_co_u32 v4, vcc_lo, v4, s52
	s_wait_alu 0xfffd
	v_add_co_ci_u32_e64 v5, null, 0, v5, vcc_lo
	s_mov_b32 s23, 0
	v_cmp_le_u64_e32 vcc_lo, s[4:5], v[4:5]
	s_or_not1_b32 s56, vcc_lo, exec_lo
	s_branch .LBB93_198
.LBB93_203:                             ;   in Loop: Header=BB93_15 Depth=1
	s_or_b32 exec_lo, exec_lo, s11
	s_delay_alu instid0(SALU_CYCLE_1)
	s_and_not1_b32 s4, s12, exec_lo
	s_wait_alu 0xfffe
	s_and_b32 s5, s13, exec_lo
	s_wait_alu 0xfffe
	s_or_b32 s12, s4, s5
.LBB93_204:                             ;   in Loop: Header=BB93_15 Depth=1
	s_or_b32 exec_lo, exec_lo, s10
	s_mov_b32 s23, 0
	s_mov_b32 s64, -1
.LBB93_205:                             ;   in Loop: Header=BB93_15 Depth=1
	s_wait_alu 0xfffe
	s_or_not1_b32 s4, s12, exec_lo
.LBB93_206:                             ;   in Loop: Header=BB93_15 Depth=1
	s_wait_alu 0xfffe
	s_or_b32 exec_lo, exec_lo, s66
	s_mov_b32 s5, 0
	s_and_saveexec_b32 s12, s4
	s_cbranch_execz .LBB93_264
; %bb.207:                              ;   in Loop: Header=BB93_15 Depth=1
	v_mov_b32_e32 v4, 1
	v_dual_mov_b32 v5, 0 :: v_dual_mov_b32 v8, 1
	s_xor_b32 s10, s65, -1
	s_wait_alu 0xfffe
	s_and_saveexec_b32 s4, s10
	s_cbranch_execz .LBB93_216
; %bb.208:                              ;   in Loop: Header=BB93_15 Depth=1
	s_mov_b32 s5, exec_lo
	v_cmpx_ge_u64_e64 s[8:9], v[2:3]
	s_wait_alu 0xfffe
	s_xor_b32 s5, exec_lo, s5
	s_cbranch_execz .LBB93_213
; %bb.209:                              ;   in Loop: Header=BB93_15 Depth=1
	ds_load_b64 v[4:5], v10 offset:5120
	s_lshl_b32 s10, 2, s81
	v_or_b32_e32 v31, s14, v31
	s_wait_alu 0xfffe
	v_and_or_b32 v27, v27, s18, s10
	s_wait_dscnt 0x0
	v_cmp_ne_u64_e32 vcc_lo, 0, v[4:5]
	s_cbranch_vccnz .LBB93_213
; %bb.210:                              ;   in Loop: Header=BB93_15 Depth=1
	s_and_saveexec_b32 s10, s2
; %bb.211:                              ;   in Loop: Header=BB93_15 Depth=1
	v_dual_mov_b32 v4, s8 :: v_dual_mov_b32 v5, s9
	ds_store_b64 v10, v[4:5] offset:5128
; %bb.212:                              ;   in Loop: Header=BB93_15 Depth=1
	s_wait_alu 0xfffe
	s_or_b32 exec_lo, exec_lo, s10
	s_wait_loadcnt_dscnt 0x0
	s_barrier_signal -1
	s_barrier_wait -1
	global_inv scope:SCOPE_SE
.LBB93_213:                             ;   in Loop: Header=BB93_15 Depth=1
	s_wait_alu 0xfffe
	s_or_saveexec_b32 s5, s5
	v_mov_b32_e32 v8, 8
	s_mov_b32 s10, 0
	s_wait_alu 0xfffe
	s_xor_b32 exec_lo, exec_lo, s5
; %bb.214:                              ;   in Loop: Header=BB93_15 Depth=1
	v_sub_co_u32 v2, vcc_lo, v2, s8
	s_wait_alu 0xfffd
	v_subrev_co_ci_u32_e64 v3, null, s9, v3, vcc_lo
	v_mov_b32_e32 v8, 0
	s_mov_b32 s10, exec_lo
; %bb.215:                              ;   in Loop: Header=BB93_15 Depth=1
	s_or_b32 exec_lo, exec_lo, s5
	s_delay_alu instid0(VALU_DEP_2)
	v_dual_mov_b32 v5, v3 :: v_dual_mov_b32 v4, v2
	s_wait_alu 0xfffe
	s_and_b32 s5, s10, exec_lo
.LBB93_216:                             ;   in Loop: Header=BB93_15 Depth=1
	s_wait_alu 0xfffe
	s_or_b32 exec_lo, exec_lo, s4
	s_mov_b32 s4, -1
                                        ; implicit-def: $sgpr67
                                        ; implicit-def: $sgpr66
	s_and_saveexec_b32 s13, s5
	s_cbranch_execz .LBB93_263
; %bb.217:                              ;   in Loop: Header=BB93_15 Depth=1
	v_cmp_eq_u64_e32 vcc_lo, 1, v[4:5]
	s_cmp_eq_u64 s[6:7], 1
	s_mov_b32 s5, -1
	s_cselect_b32 s4, -1, 0
                                        ; implicit-def: $sgpr67
                                        ; implicit-def: $sgpr66
	s_wait_alu 0xfffe
	s_and_b32 s18, s4, vcc_lo
	s_wait_alu 0xfffe
	s_and_saveexec_b32 s65, s18
	s_cbranch_execz .LBB93_251
; %bb.218:                              ;   in Loop: Header=BB93_15 Depth=1
	ds_load_b64 v[2:3], v10 offset:5120
	s_wait_loadcnt_dscnt 0x0
	s_barrier_signal -1
	s_barrier_wait -1
	global_inv scope:SCOPE_SE
	v_readfirstlane_b32 s4, v2
	v_readfirstlane_b32 s5, v3
	s_and_saveexec_b32 s8, s3
; %bb.219:                              ;   in Loop: Header=BB93_15 Depth=1
	ds_store_b32 v25, v10
; %bb.220:                              ;   in Loop: Header=BB93_15 Depth=1
	s_wait_alu 0xfffe
	s_or_b32 exec_lo, exec_lo, s8
	v_or_b32_e32 v27, s14, v27
	v_or_b32_e32 v31, s14, v31
	s_mov_b32 s66, -1
	s_mov_b32 s67, 0
	s_cmp_eq_u64 s[4:5], 0
	s_mov_b32 s10, 0
	s_mov_b32 s11, -1
	s_wait_loadcnt_dscnt 0x0
	s_barrier_signal -1
	s_barrier_wait -1
	global_inv scope:SCOPE_SE
                                        ; implicit-def: $vgpr17
	s_cbranch_scc1 .LBB93_236
; %bb.221:                              ;   in Loop: Header=BB93_15 Depth=1
	s_add_nc_u64 s[8:9], s[4:5], s[58:59]
	s_mov_b32 s10, s57
	s_wait_alu 0xfffe
	s_mov_b32 s11, s9
	s_wait_alu 0xfffe
	s_cmp_lg_u64 s[10:11], 0
	s_cbranch_scc0 .LBB93_270
; %bb.222:                              ;   in Loop: Header=BB93_15 Depth=1
	s_cvt_f32_u32 s10, s52
	s_sub_nc_u64 s[68:69], 0, s[52:53]
	s_wait_alu 0xfffe
	s_delay_alu instid0(SALU_CYCLE_1) | instskip(SKIP_1) | instid1(SALU_CYCLE_2)
	s_fmamk_f32 s10, s83, 0x0, s10
	s_wait_alu 0xfffe
	v_s_rcp_f32 s10, s10
	s_delay_alu instid0(TRANS32_DEP_1) | instskip(SKIP_1) | instid1(SALU_CYCLE_2)
	s_mul_f32 s10, s10, 0x5f7ffffc
	s_wait_alu 0xfffe
	s_mul_f32 s11, s10, 0x2f800000
	s_wait_alu 0xfffe
	s_delay_alu instid0(SALU_CYCLE_2) | instskip(SKIP_1) | instid1(SALU_CYCLE_2)
	s_trunc_f32 s11, s11
	s_wait_alu 0xfffe
	s_fmamk_f32 s10, s11, 0xcf800000, s10
	s_cvt_u32_f32 s11, s11
	s_wait_alu 0xfffe
	s_delay_alu instid0(SALU_CYCLE_1) | instskip(SKIP_1) | instid1(SALU_CYCLE_2)
	s_cvt_u32_f32 s10, s10
	s_wait_alu 0xfffe
	s_mul_u64 s[70:71], s[68:69], s[10:11]
	s_wait_alu 0xfffe
	s_mul_hi_u32 s73, s10, s71
	s_mul_i32 s72, s10, s71
	s_mul_hi_u32 s56, s10, s70
	s_mul_i32 s92, s11, s70
	s_wait_alu 0xfffe
	s_add_nc_u64 s[72:73], s[56:57], s[72:73]
	s_mul_hi_u32 s91, s11, s70
	s_mul_hi_u32 s93, s11, s71
	s_wait_alu 0xfffe
	s_add_co_u32 s56, s72, s92
	s_add_co_ci_u32 s56, s73, s91
	s_mul_i32 s70, s11, s71
	s_add_co_ci_u32 s71, s93, 0
	s_wait_alu 0xfffe
	s_add_nc_u64 s[70:71], s[56:57], s[70:71]
	s_wait_alu 0xfffe
	s_add_co_u32 s10, s10, s70
	s_cselect_b32 s56, -1, 0
	s_wait_alu 0xfffe
	s_cmp_lg_u32 s56, 0
	s_add_co_ci_u32 s11, s11, s71
	s_wait_alu 0xfffe
	s_mul_u64 s[68:69], s[68:69], s[10:11]
	s_wait_alu 0xfffe
	s_mul_hi_u32 s71, s10, s69
	s_mul_i32 s70, s10, s69
	s_mul_hi_u32 s56, s10, s68
	s_mul_i32 s73, s11, s68
	s_wait_alu 0xfffe
	s_add_nc_u64 s[70:71], s[56:57], s[70:71]
	s_mul_hi_u32 s72, s11, s68
	s_mul_hi_u32 s91, s11, s69
	s_wait_alu 0xfffe
	s_add_co_u32 s56, s70, s73
	s_add_co_ci_u32 s56, s71, s72
	s_mul_i32 s68, s11, s69
	s_add_co_ci_u32 s69, s91, 0
	s_wait_alu 0xfffe
	s_add_nc_u64 s[68:69], s[56:57], s[68:69]
	s_wait_alu 0xfffe
	s_add_co_u32 s10, s10, s68
	s_cselect_b32 s68, -1, 0
	s_wait_alu 0xfffe
	s_mul_hi_u32 s56, s8, s10
	s_cmp_lg_u32 s68, 0
	s_mul_hi_u32 s70, s9, s10
	s_add_co_ci_u32 s68, s11, s69
	s_mul_i32 s69, s9, s10
	s_wait_alu 0xfffe
	s_mul_hi_u32 s11, s8, s68
	s_mul_i32 s10, s8, s68
	s_mul_hi_u32 s71, s9, s68
	s_wait_alu 0xfffe
	s_add_nc_u64 s[10:11], s[56:57], s[10:11]
	s_mul_i32 s68, s9, s68
	s_wait_alu 0xfffe
	s_add_co_u32 s10, s10, s69
	s_add_co_ci_u32 s56, s11, s70
	s_add_co_ci_u32 s69, s71, 0
	s_wait_alu 0xfffe
	s_add_nc_u64 s[10:11], s[56:57], s[68:69]
	s_wait_alu 0xfffe
	s_mul_u64 s[10:11], s[52:53], s[10:11]
	s_wait_alu 0xfffe
	s_sub_co_u32 s10, s8, s10
	s_cselect_b32 s56, -1, 0
	s_wait_alu 0xfffe
	s_cmp_lg_u32 s56, 0
	s_sub_co_ci_u32 s11, s9, s11
	s_sub_co_u32 s56, s10, s52
	s_cselect_b32 s68, -1, 0
	s_wait_alu 0xfffe
	s_cmp_lg_u32 s68, 0
	s_sub_co_ci_u32 s68, s11, 0
	;; [unrolled: 5-line block ×3, first 2 shown]
	s_cmp_ge_u32 s56, s52
	s_cselect_b32 s71, -1, 0
	s_cmp_eq_u32 s68, 0
	s_wait_alu 0xfffe
	s_cselect_b32 s71, s71, -1
	s_wait_alu 0xfffe
	s_cmp_lg_u32 s71, 0
	s_cselect_b32 s68, s70, s68
	s_cselect_b32 s56, s69, s56
	s_cmp_ge_u32 s10, s52
	s_cselect_b32 s69, -1, 0
	s_cmp_eq_u32 s11, 0
	s_wait_alu 0xfffe
	s_cselect_b32 s69, s69, -1
	s_wait_alu 0xfffe
	s_cmp_lg_u32 s69, 0
	s_cselect_b32 s11, s68, s11
	s_cselect_b32 s10, s56, s10
	s_cbranch_execnz .LBB93_224
.LBB93_223:                             ;   in Loop: Header=BB93_15 Depth=1
	v_cvt_f32_u32_e32 v2, s52
	s_sub_co_i32 s11, 0, s52
	s_delay_alu instid0(VALU_DEP_1) | instskip(NEXT) | instid1(TRANS32_DEP_1)
	v_rcp_iflag_f32_e32 v2, v2
	v_mul_f32_e32 v2, 0x4f7ffffe, v2
	s_delay_alu instid0(VALU_DEP_1) | instskip(NEXT) | instid1(VALU_DEP_1)
	v_cvt_u32_f32_e32 v2, v2
	v_readfirstlane_b32 s10, v2
	s_wait_alu 0xfffe
	s_mul_i32 s11, s11, s10
	s_wait_alu 0xfffe
	s_mul_hi_u32 s11, s10, s11
	s_wait_alu 0xfffe
	s_add_co_i32 s10, s10, s11
	s_wait_alu 0xfffe
	s_mul_hi_u32 s10, s8, s10
	s_wait_alu 0xfffe
	s_mul_i32 s10, s10, s52
	s_wait_alu 0xfffe
	s_sub_co_i32 s10, s8, s10
	s_wait_alu 0xfffe
	s_sub_co_i32 s11, s10, s52
	s_cmp_ge_u32 s10, s52
	s_wait_alu 0xfffe
	s_cselect_b32 s10, s11, s10
	s_wait_alu 0xfffe
	s_sub_co_i32 s11, s10, s52
	s_cmp_ge_u32 s10, s52
	s_wait_alu 0xfffe
	s_cselect_b32 s56, s11, s10
	s_wait_alu 0xfffe
	s_mov_b64 s[10:11], s[56:57]
.LBB93_224:                             ;   in Loop: Header=BB93_15 Depth=1
	s_wait_alu 0xfffe
	s_sub_nc_u64 s[8:9], s[8:9], s[10:11]
	s_mov_b32 s11, 0
	s_mov_b32 s10, 0
	s_mov_b32 s56, exec_lo
                                        ; implicit-def: $vgpr17
	s_wait_alu 0xfffe
	v_cmpx_gt_u64_e64 s[8:9], v[0:1]
	s_cbranch_execz .LBB93_235
; %bb.225:                              ;   in Loop: Header=BB93_15 Depth=1
	v_dual_mov_b32 v6, v11 :: v_dual_mov_b32 v3, v1
	v_mov_b32_e32 v2, v0
                                        ; implicit-def: $sgpr68
	s_branch .LBB93_228
.LBB93_226:                             ;   in Loop: Header=BB93_228 Depth=2
	s_wait_alu 0xfffe
	s_or_b32 exec_lo, exec_lo, s69
	s_wait_loadcnt_dscnt 0x0
	s_barrier_signal -1
	s_barrier_wait -1
	global_inv scope:SCOPE_SE
	ds_load_b64 v[16:17], v10 offset:3072
	s_mov_b32 s69, -1
	s_mov_b32 s70, -1
	s_wait_loadcnt_dscnt 0x0
	s_barrier_signal -1
	s_barrier_wait -1
	global_inv scope:SCOPE_SE
	v_cmp_ne_u32_e32 vcc_lo, 0, v16
	s_cbranch_vccz .LBB93_231
.LBB93_227:                             ;   in Loop: Header=BB93_228 Depth=2
	s_wait_alu 0xfffe
	s_and_b32 s69, exec_lo, s69
	s_wait_alu 0xfffe
	s_or_b32 s10, s69, s10
	s_and_not1_b32 s68, s68, exec_lo
	s_and_b32 s69, s70, exec_lo
	s_wait_alu 0xfffe
	s_or_b32 s68, s68, s69
	s_and_not1_b32 exec_lo, exec_lo, s10
	s_cbranch_execz .LBB93_234
.LBB93_228:                             ;   Parent Loop BB93_15 Depth=1
                                        ; =>  This Inner Loop Header: Depth=2
	s_mov_b32 s69, exec_lo
	s_delay_alu instid0(VALU_DEP_1)
	v_cmpx_gt_u64_e64 s[4:5], v[2:3]
	s_cbranch_execz .LBB93_226
; %bb.229:                              ;   in Loop: Header=BB93_228 Depth=2
	ds_load_b32 v16, v6
	s_wait_dscnt 0x0
	v_xor_b32_e32 v7, 0x80000000, v16
	s_delay_alu instid0(VALU_DEP_1) | instskip(NEXT) | instid1(VALU_DEP_1)
	v_and_b32_e32 v7, v7, v31
	v_cmp_eq_u32_e32 vcc_lo, v7, v27
	s_and_b32 exec_lo, exec_lo, vcc_lo
	s_cbranch_execz .LBB93_226
; %bb.230:                              ;   in Loop: Header=BB93_228 Depth=2
	ds_store_b64 v10, v[15:16] offset:3072
	s_branch .LBB93_226
.LBB93_231:                             ;   in Loop: Header=BB93_228 Depth=2
	v_add_co_u32 v2, vcc_lo, v2, s52
	s_wait_alu 0xfffd
	v_add_co_ci_u32_e64 v3, null, 0, v3, vcc_lo
	v_add_nc_u32_e32 v6, s80, v6
	s_mov_b32 s70, 0
	s_delay_alu instid0(VALU_DEP_2)
	v_cmp_le_u64_e32 vcc_lo, s[8:9], v[2:3]
	s_or_not1_b32 s69, vcc_lo, exec_lo
	s_branch .LBB93_227
.LBB93_232:                             ;   in Loop: Header=BB93_15 Depth=1
                                        ; implicit-def: $sgpr12_sgpr13
	s_branch .LBB93_178
.LBB93_233:                             ;   in Loop: Header=BB93_15 Depth=1
                                        ; implicit-def: $sgpr4_sgpr5
	s_branch .LBB93_194
.LBB93_234:                             ;   in Loop: Header=BB93_15 Depth=1
	s_or_b32 exec_lo, exec_lo, s10
	s_wait_alu 0xfffe
	s_and_b32 s10, s68, exec_lo
.LBB93_235:                             ;   in Loop: Header=BB93_15 Depth=1
	s_or_b32 exec_lo, exec_lo, s56
.LBB93_236:                             ;   in Loop: Header=BB93_15 Depth=1
	s_wait_alu 0xfffe
	s_and_b32 vcc_lo, exec_lo, s11
	s_wait_alu 0xfffe
	s_cbranch_vccz .LBB93_250
; %bb.237:                              ;   in Loop: Header=BB93_15 Depth=1
	s_mov_b32 s4, s57
	s_mov_b32 s5, s61
	s_wait_alu 0xfffe
	s_cmp_lg_u64 s[4:5], 0
	s_cbranch_scc0 .LBB93_271
; %bb.238:                              ;   in Loop: Header=BB93_15 Depth=1
	s_cvt_f32_u32 s4, s52
	s_sub_nc_u64 s[8:9], 0, s[52:53]
	s_wait_alu 0xfffe
	s_delay_alu instid0(SALU_CYCLE_1) | instskip(SKIP_1) | instid1(SALU_CYCLE_2)
	s_fmamk_f32 s4, s83, 0x0, s4
	s_wait_alu 0xfffe
	v_s_rcp_f32 s4, s4
	s_delay_alu instid0(TRANS32_DEP_1) | instskip(SKIP_1) | instid1(SALU_CYCLE_2)
	s_mul_f32 s4, s4, 0x5f7ffffc
	s_wait_alu 0xfffe
	s_mul_f32 s5, s4, 0x2f800000
	s_wait_alu 0xfffe
	s_delay_alu instid0(SALU_CYCLE_2) | instskip(SKIP_1) | instid1(SALU_CYCLE_2)
	s_trunc_f32 s5, s5
	s_wait_alu 0xfffe
	s_fmamk_f32 s4, s5, 0xcf800000, s4
	s_cvt_u32_f32 s5, s5
	s_wait_alu 0xfffe
	s_delay_alu instid0(SALU_CYCLE_1) | instskip(SKIP_1) | instid1(SALU_CYCLE_2)
	s_cvt_u32_f32 s4, s4
	s_wait_alu 0xfffe
	s_mul_u64 s[66:67], s[8:9], s[4:5]
	s_wait_alu 0xfffe
	s_mul_hi_u32 s69, s4, s67
	s_mul_i32 s68, s4, s67
	s_mul_hi_u32 s56, s4, s66
	s_mul_i32 s70, s5, s66
	s_wait_alu 0xfffe
	s_add_nc_u64 s[68:69], s[56:57], s[68:69]
	s_mul_hi_u32 s11, s5, s66
	s_mul_hi_u32 s71, s5, s67
	s_wait_alu 0xfffe
	s_add_co_u32 s56, s68, s70
	s_add_co_ci_u32 s56, s69, s11
	s_mul_i32 s66, s5, s67
	s_add_co_ci_u32 s67, s71, 0
	s_wait_alu 0xfffe
	s_add_nc_u64 s[66:67], s[56:57], s[66:67]
	s_wait_alu 0xfffe
	s_add_co_u32 s4, s4, s66
	s_cselect_b32 s11, -1, 0
	s_wait_alu 0xfffe
	s_cmp_lg_u32 s11, 0
	s_add_co_ci_u32 s5, s5, s67
	s_wait_alu 0xfffe
	s_mul_u64 s[8:9], s[8:9], s[4:5]
	s_wait_alu 0xfffe
	s_mul_hi_u32 s67, s4, s9
	s_mul_i32 s66, s4, s9
	s_mul_hi_u32 s56, s4, s8
	s_mul_i32 s68, s5, s8
	s_wait_alu 0xfffe
	s_add_nc_u64 s[66:67], s[56:57], s[66:67]
	s_mul_hi_u32 s11, s5, s8
	s_mul_hi_u32 s69, s5, s9
	s_mul_i32 s8, s5, s9
	s_wait_alu 0xfffe
	s_add_co_u32 s9, s66, s68
	s_add_co_ci_u32 s56, s67, s11
	s_add_co_ci_u32 s9, s69, 0
	s_wait_alu 0xfffe
	s_add_nc_u64 s[8:9], s[56:57], s[8:9]
	s_wait_alu 0xfffe
	s_add_co_u32 s4, s4, s8
	s_cselect_b32 s8, -1, 0
	s_wait_alu 0xfffe
	s_mul_hi_u32 s56, s60, s4
	s_cmp_lg_u32 s8, 0
	s_mul_hi_u32 s11, s61, s4
	s_add_co_ci_u32 s8, s5, s9
	s_mul_i32 s9, s61, s4
	s_wait_alu 0xfffe
	s_mul_hi_u32 s5, s60, s8
	s_mul_i32 s4, s60, s8
	s_mul_hi_u32 s66, s61, s8
	s_wait_alu 0xfffe
	s_add_nc_u64 s[4:5], s[56:57], s[4:5]
	s_mul_i32 s8, s61, s8
	s_wait_alu 0xfffe
	s_add_co_u32 s4, s4, s9
	s_add_co_ci_u32 s56, s5, s11
	s_add_co_ci_u32 s9, s66, 0
	s_wait_alu 0xfffe
	s_add_nc_u64 s[4:5], s[56:57], s[8:9]
	s_wait_alu 0xfffe
	s_mul_u64 s[4:5], s[52:53], s[4:5]
	s_wait_alu 0xfffe
	s_sub_co_u32 s4, s60, s4
	s_cselect_b32 s8, -1, 0
	s_wait_alu 0xfffe
	s_cmp_lg_u32 s8, 0
	s_sub_co_ci_u32 s5, s61, s5
	s_sub_co_u32 s8, s4, s52
	s_cselect_b32 s9, -1, 0
	s_wait_alu 0xfffe
	s_cmp_lg_u32 s9, 0
	s_sub_co_ci_u32 s9, s5, 0
	;; [unrolled: 5-line block ×3, first 2 shown]
	s_cmp_ge_u32 s8, s52
	s_cselect_b32 s66, -1, 0
	s_cmp_eq_u32 s9, 0
	s_wait_alu 0xfffe
	s_cselect_b32 s66, s66, -1
	s_wait_alu 0xfffe
	s_cmp_lg_u32 s66, 0
	s_cselect_b32 s9, s56, s9
	s_cselect_b32 s8, s11, s8
	s_cmp_ge_u32 s4, s52
	s_cselect_b32 s11, -1, 0
	s_cmp_eq_u32 s5, 0
	s_wait_alu 0xfffe
	s_cselect_b32 s11, s11, -1
	s_wait_alu 0xfffe
	s_cmp_lg_u32 s11, 0
	s_cselect_b32 s5, s9, s5
	s_cselect_b32 s4, s8, s4
	s_cbranch_execnz .LBB93_240
.LBB93_239:                             ;   in Loop: Header=BB93_15 Depth=1
	v_cvt_f32_u32_e32 v2, s52
	s_sub_co_i32 s5, 0, s52
	s_delay_alu instid0(VALU_DEP_1) | instskip(NEXT) | instid1(TRANS32_DEP_1)
	v_rcp_iflag_f32_e32 v2, v2
	v_mul_f32_e32 v2, 0x4f7ffffe, v2
	s_delay_alu instid0(VALU_DEP_1) | instskip(NEXT) | instid1(VALU_DEP_1)
	v_cvt_u32_f32_e32 v2, v2
	v_readfirstlane_b32 s4, v2
	s_wait_alu 0xfffe
	s_mul_i32 s5, s5, s4
	s_wait_alu 0xfffe
	s_mul_hi_u32 s5, s4, s5
	s_wait_alu 0xfffe
	s_add_co_i32 s4, s4, s5
	s_wait_alu 0xfffe
	s_mul_hi_u32 s4, s60, s4
	s_wait_alu 0xfffe
	s_mul_i32 s4, s4, s52
	s_wait_alu 0xfffe
	s_sub_co_i32 s4, s60, s4
	s_wait_alu 0xfffe
	s_sub_co_i32 s5, s4, s52
	s_cmp_ge_u32 s4, s52
	s_wait_alu 0xfffe
	s_cselect_b32 s4, s5, s4
	s_wait_alu 0xfffe
	s_sub_co_i32 s5, s4, s52
	s_cmp_ge_u32 s4, s52
	s_wait_alu 0xfffe
	s_cselect_b32 s56, s5, s4
	s_wait_alu 0xfffe
	s_mov_b64 s[4:5], s[56:57]
.LBB93_240:                             ;   in Loop: Header=BB93_15 Depth=1
	s_wait_alu 0xfffe
	s_sub_nc_u64 s[4:5], s[60:61], s[4:5]
	s_mov_b32 s8, exec_lo
                                        ; implicit-def: $vgpr17
	s_wait_alu 0xfffe
	v_cmpx_gt_u64_e64 s[4:5], v[0:1]
	s_cbranch_execz .LBB93_249
; %bb.241:                              ;   in Loop: Header=BB93_15 Depth=1
	v_dual_mov_b32 v3, v1 :: v_dual_mov_b32 v2, v0
	s_mov_b32 s9, 0
                                        ; implicit-def: $sgpr11
	s_branch .LBB93_244
.LBB93_242:                             ;   in Loop: Header=BB93_244 Depth=2
	s_wait_alu 0xfffe
	s_or_b32 exec_lo, exec_lo, s56
	s_wait_loadcnt_dscnt 0x0
	s_barrier_signal -1
	s_barrier_wait -1
	global_inv scope:SCOPE_SE
	ds_load_b64 v[16:17], v10 offset:3072
	s_mov_b32 s66, -1
	s_mov_b32 s56, -1
	s_wait_loadcnt_dscnt 0x0
	s_barrier_signal -1
	s_barrier_wait -1
	global_inv scope:SCOPE_SE
	v_cmp_eq_u32_e32 vcc_lo, 0, v16
	s_cbranch_vccnz .LBB93_247
.LBB93_243:                             ;   in Loop: Header=BB93_244 Depth=2
	s_wait_alu 0xfffe
	s_and_b32 s66, exec_lo, s66
	s_wait_alu 0xfffe
	s_or_b32 s9, s66, s9
	s_and_not1_b32 s11, s11, exec_lo
	s_and_b32 s56, s56, exec_lo
	s_wait_alu 0xfffe
	s_or_b32 s11, s11, s56
	s_and_not1_b32 exec_lo, exec_lo, s9
	s_cbranch_execz .LBB93_248
.LBB93_244:                             ;   Parent Loop BB93_15 Depth=1
                                        ; =>  This Inner Loop Header: Depth=2
	s_mov_b32 s56, exec_lo
	s_delay_alu instid0(VALU_DEP_1)
	v_cmpx_gt_u64_e64 s[24:25], v[2:3]
	s_cbranch_execz .LBB93_242
; %bb.245:                              ;   in Loop: Header=BB93_244 Depth=2
	v_mul_lo_u32 v9, v3, s42
	v_mul_lo_u32 v16, v2, s43
	v_mad_co_u64_u32 v[6:7], null, v2, s42, 0
	s_delay_alu instid0(VALU_DEP_1) | instskip(NEXT) | instid1(VALU_DEP_1)
	v_add3_u32 v7, v7, v16, v9
	v_lshlrev_b64_e32 v[6:7], 2, v[6:7]
	s_delay_alu instid0(VALU_DEP_1) | instskip(SKIP_1) | instid1(VALU_DEP_2)
	v_add_co_u32 v6, vcc_lo, s50, v6
	s_wait_alu 0xfffd
	v_add_co_ci_u32_e64 v7, null, s51, v7, vcc_lo
	global_load_b32 v16, v[6:7], off
	s_wait_loadcnt 0x0
	v_xor_b32_e32 v6, 0x80000000, v16
	s_delay_alu instid0(VALU_DEP_1) | instskip(NEXT) | instid1(VALU_DEP_1)
	v_and_b32_e32 v6, v6, v31
	v_cmp_eq_u32_e32 vcc_lo, v6, v27
	s_and_b32 exec_lo, exec_lo, vcc_lo
	s_cbranch_execz .LBB93_242
; %bb.246:                              ;   in Loop: Header=BB93_244 Depth=2
	ds_store_b64 v10, v[15:16] offset:3072
	s_branch .LBB93_242
.LBB93_247:                             ;   in Loop: Header=BB93_244 Depth=2
	v_add_co_u32 v2, vcc_lo, v2, s52
	s_wait_alu 0xfffd
	v_add_co_ci_u32_e64 v3, null, 0, v3, vcc_lo
	s_mov_b32 s56, 0
	v_cmp_le_u64_e32 vcc_lo, s[4:5], v[2:3]
	s_or_not1_b32 s66, vcc_lo, exec_lo
	s_branch .LBB93_243
.LBB93_248:                             ;   in Loop: Header=BB93_15 Depth=1
	s_or_b32 exec_lo, exec_lo, s9
	s_delay_alu instid0(SALU_CYCLE_1)
	s_and_not1_b32 s4, s10, exec_lo
	s_wait_alu 0xfffe
	s_and_b32 s5, s11, exec_lo
	s_wait_alu 0xfffe
	s_or_b32 s10, s4, s5
.LBB93_249:                             ;   in Loop: Header=BB93_15 Depth=1
	s_or_b32 exec_lo, exec_lo, s8
	s_mov_b32 s66, 0
	s_mov_b32 s67, -1
.LBB93_250:                             ;   in Loop: Header=BB93_15 Depth=1
	s_wait_alu 0xfffe
	s_or_not1_b32 s5, s10, exec_lo
.LBB93_251:                             ;   in Loop: Header=BB93_15 Depth=1
	s_wait_alu 0xfffe
	s_or_b32 exec_lo, exec_lo, s65
	s_mov_b32 s8, 0
	s_and_saveexec_b32 s4, s5
	s_cbranch_execz .LBB93_262
; %bb.252:                              ;   in Loop: Header=BB93_15 Depth=1
	v_mov_b32_e32 v2, 1
	v_dual_mov_b32 v3, 0 :: v_dual_mov_b32 v8, 1
	s_xor_b32 s8, s18, -1
	s_wait_alu 0xfffe
	s_and_saveexec_b32 s5, s8
	s_cbranch_execz .LBB93_261
; %bb.253:                              ;   in Loop: Header=BB93_15 Depth=1
	s_mov_b32 s8, exec_lo
	v_cmpx_ge_u64_e64 s[6:7], v[4:5]
	s_wait_alu 0xfffe
	s_xor_b32 s8, exec_lo, s8
	s_cbranch_execz .LBB93_258
; %bb.254:                              ;   in Loop: Header=BB93_15 Depth=1
	ds_load_b64 v[2:3], v10 offset:5120
	v_or_b32_e32 v27, s14, v27
	v_or_b32_e32 v31, s14, v31
	s_wait_dscnt 0x0
	v_cmp_ne_u64_e32 vcc_lo, 0, v[2:3]
	s_cbranch_vccnz .LBB93_258
; %bb.255:                              ;   in Loop: Header=BB93_15 Depth=1
	s_and_saveexec_b32 s9, s2
; %bb.256:                              ;   in Loop: Header=BB93_15 Depth=1
	v_dual_mov_b32 v2, s6 :: v_dual_mov_b32 v3, s7
	ds_store_b64 v10, v[2:3] offset:5128
; %bb.257:                              ;   in Loop: Header=BB93_15 Depth=1
	s_wait_alu 0xfffe
	s_or_b32 exec_lo, exec_lo, s9
	s_wait_loadcnt_dscnt 0x0
	s_barrier_signal -1
	s_barrier_wait -1
	global_inv scope:SCOPE_SE
.LBB93_258:                             ;   in Loop: Header=BB93_15 Depth=1
	s_wait_alu 0xfffe
	s_and_not1_saveexec_b32 s8, s8
; %bb.259:                              ;   in Loop: Header=BB93_15 Depth=1
	v_sub_co_u32 v4, vcc_lo, v4, s6
	s_wait_alu 0xfffd
	v_subrev_co_ci_u32_e64 v5, null, s7, v5, vcc_lo
; %bb.260:                              ;   in Loop: Header=BB93_15 Depth=1
	s_wait_alu 0xfffe
	s_or_b32 exec_lo, exec_lo, s8
	v_mov_b32_e32 v2, v4
	s_delay_alu instid0(VALU_DEP_2)
	v_dual_mov_b32 v8, 8 :: v_dual_mov_b32 v3, v5
.LBB93_261:                             ;   in Loop: Header=BB93_15 Depth=1
	s_wait_alu 0xfffe
	s_or_b32 exec_lo, exec_lo, s5
	s_delay_alu instid0(VALU_DEP_1)
	v_dual_mov_b32 v5, v3 :: v_dual_mov_b32 v4, v2
	s_mov_b32 s8, exec_lo
.LBB93_262:                             ;   in Loop: Header=BB93_15 Depth=1
	s_wait_alu 0xfffe
	s_or_b32 exec_lo, exec_lo, s4
	s_delay_alu instid0(SALU_CYCLE_1)
	s_or_not1_b32 s4, s8, exec_lo
.LBB93_263:                             ;   in Loop: Header=BB93_15 Depth=1
	s_wait_alu 0xfffe
	s_or_b32 exec_lo, exec_lo, s13
	v_dual_mov_b32 v2, v4 :: v_dual_mov_b32 v3, v5
	s_and_not1_b32 s5, s64, exec_lo
	s_and_b32 s6, s67, exec_lo
	s_and_not1_b32 s7, s23, exec_lo
	s_and_b32 s8, s66, exec_lo
	s_wait_alu 0xfffe
	s_or_b32 s64, s5, s6
	s_or_b32 s23, s7, s8
	s_and_b32 s5, s4, exec_lo
.LBB93_264:                             ;   in Loop: Header=BB93_15 Depth=1
	s_wait_alu 0xfffe
	s_or_b32 exec_lo, exec_lo, s12
	s_delay_alu instid0(SALU_CYCLE_1)
	s_or_not1_b32 s4, s5, exec_lo
.LBB93_265:                             ;   in Loop: Header=BB93_15 Depth=1
	s_wait_alu 0xfffe
	s_or_b32 exec_lo, exec_lo, s22
	v_dual_mov_b32 v7, v3 :: v_dual_mov_b32 v6, v2
	s_and_not1_b32 s5, s20, exec_lo
	s_and_b32 s6, s64, exec_lo
	s_and_not1_b32 s7, s19, exec_lo
	s_and_b32 s8, s23, exec_lo
	s_wait_alu 0xfffe
	s_or_b32 s20, s5, s6
	s_or_b32 s19, s7, s8
	s_and_b32 s5, s4, exec_lo
.LBB93_266:                             ;   in Loop: Header=BB93_15 Depth=1
	s_wait_alu 0xfffe
	s_or_b32 exec_lo, exec_lo, s21
	s_delay_alu instid0(SALU_CYCLE_1)
	s_or_not1_b32 s4, s5, exec_lo
.LBB93_267:                             ;   in Loop: Header=BB93_15 Depth=1
	s_wait_alu 0xfffe
	s_or_b32 exec_lo, exec_lo, s17
	s_mov_b32 s5, 0
	s_and_saveexec_b32 s6, s4
	s_wait_alu 0xfffe
	s_xor_b32 s4, exec_lo, s6
	s_cbranch_execz .LBB93_13
; %bb.268:                              ;   in Loop: Header=BB93_15 Depth=1
	v_and_b32_e32 v2, 7, v8
	s_mov_b32 s6, -1
	s_mov_b32 s5, -1
	s_mov_b32 s7, exec_lo
	s_delay_alu instid0(VALU_DEP_1)
	v_cmpx_eq_u32_e32 0, v2
	s_cbranch_execz .LBB93_12
; %bb.269:                              ;   in Loop: Header=BB93_15 Depth=1
	s_xor_b32 s84, s84, 1
	s_add_co_i32 s8, s81, -2
	s_cmp_eq_u32 s81, 0
	s_wait_alu 0xfffe
	s_mov_b32 s81, s8
	s_cselect_b32 s6, -1, 0
	s_xor_b32 s5, exec_lo, -1
	s_wait_alu 0xfffe
	s_or_not1_b32 s6, s6, exec_lo
	s_branch .LBB93_12
.LBB93_270:                             ;   in Loop: Header=BB93_15 Depth=1
                                        ; implicit-def: $sgpr10_sgpr11
	s_branch .LBB93_223
.LBB93_271:                             ;   in Loop: Header=BB93_15 Depth=1
                                        ; implicit-def: $sgpr4_sgpr5
	s_branch .LBB93_239
.LBB93_272:
	s_or_b32 exec_lo, exec_lo, s82
	s_xor_b32 s4, s90, -1
	s_xor_b32 s1, s88, -1
	;; [unrolled: 1-line block ×3, first 2 shown]
	s_mov_b32 s2, 0
	s_and_saveexec_b32 s5, s1
	s_wait_alu 0xfffe
	s_xor_b32 s1, exec_lo, s5
	s_cbranch_execnz .LBB93_279
; %bb.273:
	s_and_not1_saveexec_b32 s0, s1
	s_cbranch_execnz .LBB93_292
.LBB93_274:
	s_or_b32 exec_lo, exec_lo, s0
	s_and_saveexec_b32 s0, s2
.LBB93_275:
	; divergent unreachable
.LBB93_276:
	s_endpgm
.LBB93_277:
	v_cvt_f32_u32_e32 v1, s26
	s_sub_co_i32 s3, 0, s26
	s_mov_b32 s41, 0
	s_delay_alu instid0(VALU_DEP_1) | instskip(NEXT) | instid1(TRANS32_DEP_1)
	v_rcp_iflag_f32_e32 v1, v1
	v_mul_f32_e32 v1, 0x4f7ffffe, v1
	s_delay_alu instid0(VALU_DEP_1) | instskip(NEXT) | instid1(VALU_DEP_1)
	v_cvt_u32_f32_e32 v1, v1
	v_readfirstlane_b32 s2, v1
	s_mul_i32 s3, s3, s2
	s_delay_alu instid0(SALU_CYCLE_1) | instskip(NEXT) | instid1(SALU_CYCLE_1)
	s_mul_hi_u32 s3, s2, s3
	s_add_co_i32 s2, s2, s3
	s_delay_alu instid0(SALU_CYCLE_1) | instskip(NEXT) | instid1(SALU_CYCLE_1)
	s_mul_hi_u32 s2, s34, s2
	s_mul_i32 s3, s2, s26
	s_add_co_i32 s4, s2, 1
	s_sub_co_i32 s3, s34, s3
	s_delay_alu instid0(SALU_CYCLE_1)
	s_sub_co_i32 s5, s3, s26
	s_cmp_ge_u32 s3, s26
	s_cselect_b32 s2, s4, s2
	s_cselect_b32 s3, s5, s3
	s_add_co_i32 s4, s2, 1
	s_cmp_ge_u32 s3, s26
	s_cselect_b32 s40, s4, s2
	s_wait_kmcnt 0x0
	v_cmp_lt_u64_e64 s2, s[34:35], s[10:11]
	s_mov_b64 s[14:15], 0
	s_and_b32 vcc_lo, exec_lo, s2
	s_cbranch_vccnz .LBB93_5
.LBB93_278:
	v_cvt_f32_u32_e32 v1, s10
	s_sub_co_i32 s3, 0, s10
	s_mov_b32 s15, 0
	s_delay_alu instid0(VALU_DEP_1) | instskip(NEXT) | instid1(TRANS32_DEP_1)
	v_rcp_iflag_f32_e32 v1, v1
	v_mul_f32_e32 v1, 0x4f7ffffe, v1
	s_delay_alu instid0(VALU_DEP_1) | instskip(NEXT) | instid1(VALU_DEP_1)
	v_cvt_u32_f32_e32 v1, v1
	v_readfirstlane_b32 s2, v1
	s_mul_i32 s3, s3, s2
	s_delay_alu instid0(SALU_CYCLE_1) | instskip(NEXT) | instid1(SALU_CYCLE_1)
	s_mul_hi_u32 s3, s2, s3
	s_add_co_i32 s2, s2, s3
	s_delay_alu instid0(SALU_CYCLE_1) | instskip(NEXT) | instid1(SALU_CYCLE_1)
	s_mul_hi_u32 s2, s34, s2
	s_mul_i32 s3, s2, s10
	s_add_co_i32 s4, s2, 1
	s_sub_co_i32 s3, s34, s3
	s_delay_alu instid0(SALU_CYCLE_1)
	s_sub_co_i32 s5, s3, s10
	s_cmp_ge_u32 s3, s10
	s_cselect_b32 s2, s4, s2
	s_cselect_b32 s3, s5, s3
	s_add_co_i32 s4, s2, 1
	s_cmp_ge_u32 s3, s10
	s_cselect_b32 s14, s4, s2
	v_cmp_eq_u32_e64 s2, 0, v0
	s_and_saveexec_b32 s3, s2
	s_cbranch_execnz .LBB93_6
	s_branch .LBB93_7
.LBB93_279:
	s_and_saveexec_b32 s2, s4
	s_delay_alu instid0(SALU_CYCLE_1)
	s_xor_b32 s2, exec_lo, s2
	s_cbranch_execz .LBB93_290
; %bb.280:
	s_and_saveexec_b32 s4, s3
	s_wait_alu 0xfffe
	s_xor_b32 s3, exec_lo, s4
; %bb.281:
	v_xor_b32_e32 v17, 0x80000000, v27
; %bb.282:
	s_or_b32 exec_lo, exec_lo, s3
	s_mul_u64 s[4:5], s[46:47], s[44:45]
	s_mul_u64 s[6:7], s[46:47], s[36:37]
	s_wait_alu 0xfffe
	s_sub_nc_u64 s[4:5], s[34:35], s[4:5]
	s_lshl_b64 s[6:7], s[6:7], 2
	s_wait_alu 0xfffe
	s_mul_u64 s[4:5], s[4:5], s[38:39]
	v_mov_b32_e32 v2, 0
	s_add_nc_u64 s[6:7], s[54:55], s[6:7]
	s_wait_alu 0xfffe
	s_lshl_b64 s[4:5], s[4:5], 2
	s_wait_alu 0xfffe
	s_add_nc_u64 s[4:5], s[6:7], s[4:5]
	global_store_b32 v2, v17, s[4:5]
	s_and_saveexec_b32 s3, s0
	s_cbranch_execz .LBB93_289
; %bb.283:
	s_mov_b32 s0, 0
                                        ; implicit-def: $sgpr4
                                        ; implicit-def: $sgpr6
                                        ; implicit-def: $sgpr5
	s_branch .LBB93_285
.LBB93_284:                             ;   in Loop: Header=BB93_285 Depth=1
	s_wait_alu 0xfffe
	s_or_b32 exec_lo, exec_lo, s7
	s_delay_alu instid0(SALU_CYCLE_1)
	s_and_b32 s7, exec_lo, s6
	s_wait_alu 0xfffe
	s_or_b32 s0, s7, s0
	s_and_not1_b32 s4, s4, exec_lo
	s_and_b32 s7, s5, exec_lo
	s_wait_alu 0xfffe
	s_or_b32 s4, s4, s7
	s_and_not1_b32 exec_lo, exec_lo, s0
	s_cbranch_execz .LBB93_287
.LBB93_285:                             ; =>This Inner Loop Header: Depth=1
	v_dual_mov_b32 v3, v1 :: v_dual_mov_b32 v2, v0
	s_wait_alu 0xfffe
	s_or_b32 s5, s5, exec_lo
	s_or_b32 s6, s6, exec_lo
	s_delay_alu instid0(VALU_DEP_1) | instskip(SKIP_2) | instid1(VALU_DEP_1)
	v_mul_lo_u32 v4, v3, s42
	v_mul_lo_u32 v5, v2, s43
	v_mad_co_u64_u32 v[0:1], null, v2, s42, 0
	v_add3_u32 v1, v1, v5, v4
	s_delay_alu instid0(VALU_DEP_1) | instskip(NEXT) | instid1(VALU_DEP_1)
	v_lshlrev_b64_e32 v[0:1], 2, v[0:1]
	v_add_co_u32 v0, vcc_lo, s50, v0
	s_wait_alu 0xfffd
	s_delay_alu instid0(VALU_DEP_2)
	v_add_co_ci_u32_e64 v1, null, s51, v1, vcc_lo
	global_load_b32 v0, v[0:1], off
	s_wait_loadcnt 0x0
	v_cmp_ne_u32_e32 vcc_lo, v0, v17
                                        ; implicit-def: $vgpr0_vgpr1
	s_and_saveexec_b32 s7, vcc_lo
	s_cbranch_execz .LBB93_284
; %bb.286:                              ;   in Loop: Header=BB93_285 Depth=1
	v_add_co_u32 v0, vcc_lo, v2, s52
	s_wait_alu 0xfffd
	v_add_co_ci_u32_e64 v1, null, 0, v3, vcc_lo
	s_wait_alu 0xfffe
	s_and_not1_b32 s6, s6, exec_lo
	s_and_not1_b32 s5, s5, exec_lo
	s_delay_alu instid0(VALU_DEP_1)
	v_cmp_le_u64_e32 vcc_lo, s[24:25], v[0:1]
	s_and_b32 s8, vcc_lo, exec_lo
	s_wait_alu 0xfffe
	s_or_b32 s6, s6, s8
	s_branch .LBB93_284
.LBB93_287:
	s_or_b32 exec_lo, exec_lo, s0
	s_wait_alu 0xfffe
	s_and_saveexec_b32 s0, s4
	s_delay_alu instid0(SALU_CYCLE_1)
	s_xor_b32 s0, exec_lo, s0
	s_cbranch_execz .LBB93_289
; %bb.288:
	s_mul_u64 s[4:5], s[40:41], s[26:27]
	s_mul_u64 s[6:7], s[40:41], s[28:29]
	s_wait_alu 0xfffe
	s_sub_nc_u64 s[4:5], s[34:35], s[4:5]
	s_lshl_b64 s[6:7], s[6:7], 3
	s_wait_alu 0xfffe
	s_mul_u64 s[4:5], s[4:5], s[30:31]
	v_mov_b32_e32 v0, 0
	s_add_nc_u64 s[6:7], s[48:49], s[6:7]
	s_wait_alu 0xfffe
	s_lshl_b64 s[4:5], s[4:5], 3
	s_wait_alu 0xfffe
	s_add_nc_u64 s[4:5], s[6:7], s[4:5]
	global_store_b64 v0, v[2:3], s[4:5]
.LBB93_289:
	s_or_b32 exec_lo, exec_lo, s3
.LBB93_290:
	s_or_saveexec_b32 s0, s2
	s_mov_b32 s2, 0
	s_xor_b32 exec_lo, exec_lo, s0
	s_cbranch_execnz .LBB93_293
.LBB93_291:
	s_or_b32 exec_lo, exec_lo, s0
	s_delay_alu instid0(SALU_CYCLE_1)
	s_and_b32 s2, s2, exec_lo
	s_and_not1_saveexec_b32 s0, s1
	s_cbranch_execz .LBB93_274
.LBB93_292:
	s_or_b32 s2, s2, exec_lo
	s_trap 2
	s_or_b32 exec_lo, exec_lo, s0
	s_and_saveexec_b32 s0, s2
	s_cbranch_execnz .LBB93_275
	s_branch .LBB93_276
.LBB93_293:
	s_mov_b32 s2, exec_lo
	s_trap 2
	s_branch .LBB93_291
	.section	.rodata,"a",@progbits
	.p2align	6, 0x0
	.amdhsa_kernel _ZN2at6native12_GLOBAL__N_112gatherMedianIimLi2EEEvNS_4cuda6detail10TensorInfoIT_T0_EENS5_IlS7_EENS5_IKS6_S7_EES7_S7_S7_b
		.amdhsa_group_segment_fixed_size 5152
		.amdhsa_private_segment_fixed_size 0
		.amdhsa_kernarg_size 1536
		.amdhsa_user_sgpr_count 2
		.amdhsa_user_sgpr_dispatch_ptr 0
		.amdhsa_user_sgpr_queue_ptr 0
		.amdhsa_user_sgpr_kernarg_segment_ptr 1
		.amdhsa_user_sgpr_dispatch_id 0
		.amdhsa_user_sgpr_private_segment_size 0
		.amdhsa_wavefront_size32 1
		.amdhsa_uses_dynamic_stack 0
		.amdhsa_enable_private_segment 0
		.amdhsa_system_sgpr_workgroup_id_x 1
		.amdhsa_system_sgpr_workgroup_id_y 1
		.amdhsa_system_sgpr_workgroup_id_z 1
		.amdhsa_system_sgpr_workgroup_info 0
		.amdhsa_system_vgpr_workitem_id 0
		.amdhsa_next_free_vgpr 41
		.amdhsa_next_free_sgpr 96
		.amdhsa_reserve_vcc 1
		.amdhsa_float_round_mode_32 0
		.amdhsa_float_round_mode_16_64 0
		.amdhsa_float_denorm_mode_32 3
		.amdhsa_float_denorm_mode_16_64 3
		.amdhsa_fp16_overflow 0
		.amdhsa_workgroup_processor_mode 1
		.amdhsa_memory_ordered 1
		.amdhsa_forward_progress 1
		.amdhsa_inst_pref_size 139
		.amdhsa_round_robin_scheduling 0
		.amdhsa_exception_fp_ieee_invalid_op 0
		.amdhsa_exception_fp_denorm_src 0
		.amdhsa_exception_fp_ieee_div_zero 0
		.amdhsa_exception_fp_ieee_overflow 0
		.amdhsa_exception_fp_ieee_underflow 0
		.amdhsa_exception_fp_ieee_inexact 0
		.amdhsa_exception_int_div_zero 0
	.end_amdhsa_kernel
	.section	.text._ZN2at6native12_GLOBAL__N_112gatherMedianIimLi2EEEvNS_4cuda6detail10TensorInfoIT_T0_EENS5_IlS7_EENS5_IKS6_S7_EES7_S7_S7_b,"axG",@progbits,_ZN2at6native12_GLOBAL__N_112gatherMedianIimLi2EEEvNS_4cuda6detail10TensorInfoIT_T0_EENS5_IlS7_EENS5_IKS6_S7_EES7_S7_S7_b,comdat
.Lfunc_end93:
	.size	_ZN2at6native12_GLOBAL__N_112gatherMedianIimLi2EEEvNS_4cuda6detail10TensorInfoIT_T0_EENS5_IlS7_EENS5_IKS6_S7_EES7_S7_S7_b, .Lfunc_end93-_ZN2at6native12_GLOBAL__N_112gatherMedianIimLi2EEEvNS_4cuda6detail10TensorInfoIT_T0_EENS5_IlS7_EENS5_IKS6_S7_EES7_S7_S7_b
                                        ; -- End function
	.set _ZN2at6native12_GLOBAL__N_112gatherMedianIimLi2EEEvNS_4cuda6detail10TensorInfoIT_T0_EENS5_IlS7_EENS5_IKS6_S7_EES7_S7_S7_b.num_vgpr, 41
	.set _ZN2at6native12_GLOBAL__N_112gatherMedianIimLi2EEEvNS_4cuda6detail10TensorInfoIT_T0_EENS5_IlS7_EENS5_IKS6_S7_EES7_S7_S7_b.num_agpr, 0
	.set _ZN2at6native12_GLOBAL__N_112gatherMedianIimLi2EEEvNS_4cuda6detail10TensorInfoIT_T0_EENS5_IlS7_EENS5_IKS6_S7_EES7_S7_S7_b.numbered_sgpr, 96
	.set _ZN2at6native12_GLOBAL__N_112gatherMedianIimLi2EEEvNS_4cuda6detail10TensorInfoIT_T0_EENS5_IlS7_EENS5_IKS6_S7_EES7_S7_S7_b.num_named_barrier, 0
	.set _ZN2at6native12_GLOBAL__N_112gatherMedianIimLi2EEEvNS_4cuda6detail10TensorInfoIT_T0_EENS5_IlS7_EENS5_IKS6_S7_EES7_S7_S7_b.private_seg_size, 0
	.set _ZN2at6native12_GLOBAL__N_112gatherMedianIimLi2EEEvNS_4cuda6detail10TensorInfoIT_T0_EENS5_IlS7_EENS5_IKS6_S7_EES7_S7_S7_b.uses_vcc, 1
	.set _ZN2at6native12_GLOBAL__N_112gatherMedianIimLi2EEEvNS_4cuda6detail10TensorInfoIT_T0_EENS5_IlS7_EENS5_IKS6_S7_EES7_S7_S7_b.uses_flat_scratch, 0
	.set _ZN2at6native12_GLOBAL__N_112gatherMedianIimLi2EEEvNS_4cuda6detail10TensorInfoIT_T0_EENS5_IlS7_EENS5_IKS6_S7_EES7_S7_S7_b.has_dyn_sized_stack, 0
	.set _ZN2at6native12_GLOBAL__N_112gatherMedianIimLi2EEEvNS_4cuda6detail10TensorInfoIT_T0_EENS5_IlS7_EENS5_IKS6_S7_EES7_S7_S7_b.has_recursion, 0
	.set _ZN2at6native12_GLOBAL__N_112gatherMedianIimLi2EEEvNS_4cuda6detail10TensorInfoIT_T0_EENS5_IlS7_EENS5_IKS6_S7_EES7_S7_S7_b.has_indirect_call, 0
	.section	.AMDGPU.csdata,"",@progbits
; Kernel info:
; codeLenInByte = 17752
; TotalNumSgprs: 98
; NumVgprs: 41
; ScratchSize: 0
; MemoryBound: 0
; FloatMode: 240
; IeeeMode: 1
; LDSByteSize: 5152 bytes/workgroup (compile time only)
; SGPRBlocks: 0
; VGPRBlocks: 5
; NumSGPRsForWavesPerEU: 98
; NumVGPRsForWavesPerEU: 41
; Occupancy: 16
; WaveLimiterHint : 1
; COMPUTE_PGM_RSRC2:SCRATCH_EN: 0
; COMPUTE_PGM_RSRC2:USER_SGPR: 2
; COMPUTE_PGM_RSRC2:TRAP_HANDLER: 0
; COMPUTE_PGM_RSRC2:TGID_X_EN: 1
; COMPUTE_PGM_RSRC2:TGID_Y_EN: 1
; COMPUTE_PGM_RSRC2:TGID_Z_EN: 1
; COMPUTE_PGM_RSRC2:TIDIG_COMP_CNT: 0
	.section	.text._ZN2at6native12_GLOBAL__N_112gatherMedianIimLi3EEEvNS_4cuda6detail10TensorInfoIT_T0_EENS5_IlS7_EENS5_IKS6_S7_EES7_S7_S7_b,"axG",@progbits,_ZN2at6native12_GLOBAL__N_112gatherMedianIimLi3EEEvNS_4cuda6detail10TensorInfoIT_T0_EENS5_IlS7_EENS5_IKS6_S7_EES7_S7_S7_b,comdat
	.globl	_ZN2at6native12_GLOBAL__N_112gatherMedianIimLi3EEEvNS_4cuda6detail10TensorInfoIT_T0_EENS5_IlS7_EENS5_IKS6_S7_EES7_S7_S7_b ; -- Begin function _ZN2at6native12_GLOBAL__N_112gatherMedianIimLi3EEEvNS_4cuda6detail10TensorInfoIT_T0_EENS5_IlS7_EENS5_IKS6_S7_EES7_S7_S7_b
	.p2align	8
	.type	_ZN2at6native12_GLOBAL__N_112gatherMedianIimLi3EEEvNS_4cuda6detail10TensorInfoIT_T0_EENS5_IlS7_EENS5_IKS6_S7_EES7_S7_S7_b,@function
_ZN2at6native12_GLOBAL__N_112gatherMedianIimLi3EEEvNS_4cuda6detail10TensorInfoIT_T0_EENS5_IlS7_EENS5_IKS6_S7_EES7_S7_S7_b: ; @_ZN2at6native12_GLOBAL__N_112gatherMedianIimLi3EEEvNS_4cuda6detail10TensorInfoIT_T0_EENS5_IlS7_EENS5_IKS6_S7_EES7_S7_S7_b
; %bb.0:
	s_clause 0x1
	s_load_b64 s[12:13], s[0:1], 0x500
	s_load_b128 s[24:27], s[0:1], 0x4e0
	s_lshr_b32 s2, ttmp7, 16
	s_and_b32 s3, ttmp7, 0xffff
	s_mov_b32 s35, 0
	s_wait_kmcnt 0x0
	s_mul_i32 s2, s13, s2
	s_delay_alu instid0(SALU_CYCLE_1) | instskip(NEXT) | instid1(SALU_CYCLE_1)
	s_add_co_i32 s2, s2, s3
	s_mul_i32 s2, s2, s12
	s_delay_alu instid0(SALU_CYCLE_1) | instskip(NEXT) | instid1(SALU_CYCLE_1)
	s_add_co_i32 s34, s2, ttmp9
	v_cmp_le_u64_e64 s2, s[26:27], s[34:35]
	s_and_b32 vcc_lo, exec_lo, s2
	s_cbranch_vccnz .LBB94_284
; %bb.1:
	s_load_b128 s[36:39], s[0:1], 0x10
	s_mov_b64 s[52:53], 0
	s_mov_b64 s[50:51], 0
	s_wait_kmcnt 0x0
	v_cmp_lt_u64_e64 s2, s[34:35], s[38:39]
	s_and_b32 vcc_lo, exec_lo, s2
	s_cbranch_vccnz .LBB94_3
; %bb.2:
	v_cvt_f32_u32_e32 v1, s38
	s_sub_co_i32 s3, 0, s38
	s_mov_b32 s51, 0
	s_delay_alu instid0(VALU_DEP_1) | instskip(NEXT) | instid1(TRANS32_DEP_1)
	v_rcp_iflag_f32_e32 v1, v1
	v_mul_f32_e32 v1, 0x4f7ffffe, v1
	s_delay_alu instid0(VALU_DEP_1) | instskip(NEXT) | instid1(VALU_DEP_1)
	v_cvt_u32_f32_e32 v1, v1
	v_readfirstlane_b32 s2, v1
	s_mul_i32 s3, s3, s2
	s_delay_alu instid0(SALU_CYCLE_1) | instskip(NEXT) | instid1(SALU_CYCLE_1)
	s_mul_hi_u32 s3, s2, s3
	s_add_co_i32 s2, s2, s3
	s_delay_alu instid0(SALU_CYCLE_1) | instskip(NEXT) | instid1(SALU_CYCLE_1)
	s_mul_hi_u32 s2, s34, s2
	s_mul_i32 s3, s2, s38
	s_add_co_i32 s4, s2, 1
	s_sub_co_i32 s3, s34, s3
	s_delay_alu instid0(SALU_CYCLE_1)
	s_sub_co_i32 s5, s3, s38
	s_cmp_ge_u32 s3, s38
	s_cselect_b32 s2, s4, s2
	s_cselect_b32 s3, s5, s3
	s_add_co_i32 s4, s2, 1
	s_cmp_ge_u32 s3, s38
	s_cselect_b32 s50, s4, s2
.LBB94_3:
	s_load_b128 s[28:31], s[0:1], 0x1b0
	v_cmp_lt_u64_e64 s2, s[50:51], s[36:37]
	s_and_b32 vcc_lo, exec_lo, s2
	s_cbranch_vccnz .LBB94_5
; %bb.4:
	v_cvt_f32_u32_e32 v1, s36
	s_sub_co_i32 s3, 0, s36
	s_mov_b32 s53, 0
	s_delay_alu instid0(VALU_DEP_1) | instskip(NEXT) | instid1(TRANS32_DEP_1)
	v_rcp_iflag_f32_e32 v1, v1
	v_mul_f32_e32 v1, 0x4f7ffffe, v1
	s_delay_alu instid0(VALU_DEP_1) | instskip(NEXT) | instid1(VALU_DEP_1)
	v_cvt_u32_f32_e32 v1, v1
	v_readfirstlane_b32 s2, v1
	s_mul_i32 s3, s3, s2
	s_delay_alu instid0(SALU_CYCLE_1) | instskip(NEXT) | instid1(SALU_CYCLE_1)
	s_mul_hi_u32 s3, s2, s3
	s_add_co_i32 s2, s2, s3
	s_delay_alu instid0(SALU_CYCLE_1) | instskip(NEXT) | instid1(SALU_CYCLE_1)
	s_mul_hi_u32 s2, s50, s2
	s_mul_i32 s3, s2, s36
	s_add_co_i32 s4, s2, 1
	s_sub_co_i32 s3, s50, s3
	s_delay_alu instid0(SALU_CYCLE_1)
	s_sub_co_i32 s5, s3, s36
	s_cmp_ge_u32 s3, s36
	s_cselect_b32 s2, s4, s2
	s_cselect_b32 s3, s5, s3
	s_add_co_i32 s4, s2, 1
	s_cmp_ge_u32 s3, s36
	s_cselect_b32 s52, s4, s2
.LBB94_5:
	s_wait_kmcnt 0x0
	v_cmp_lt_u64_e64 s2, s[34:35], s[30:31]
	s_mov_b64 s[48:49], 0
	s_mov_b64 s[26:27], 0
	s_and_b32 vcc_lo, exec_lo, s2
	s_cbranch_vccnz .LBB94_7
; %bb.6:
	v_cvt_f32_u32_e32 v1, s30
	s_sub_co_i32 s3, 0, s30
	s_mov_b32 s27, 0
	s_delay_alu instid0(VALU_DEP_1) | instskip(NEXT) | instid1(TRANS32_DEP_1)
	v_rcp_iflag_f32_e32 v1, v1
	v_mul_f32_e32 v1, 0x4f7ffffe, v1
	s_delay_alu instid0(VALU_DEP_1) | instskip(NEXT) | instid1(VALU_DEP_1)
	v_cvt_u32_f32_e32 v1, v1
	v_readfirstlane_b32 s2, v1
	s_mul_i32 s3, s3, s2
	s_delay_alu instid0(SALU_CYCLE_1) | instskip(NEXT) | instid1(SALU_CYCLE_1)
	s_mul_hi_u32 s3, s2, s3
	s_add_co_i32 s2, s2, s3
	s_delay_alu instid0(SALU_CYCLE_1) | instskip(NEXT) | instid1(SALU_CYCLE_1)
	s_mul_hi_u32 s2, s34, s2
	s_mul_i32 s3, s2, s30
	s_add_co_i32 s4, s2, 1
	s_sub_co_i32 s3, s34, s3
	s_delay_alu instid0(SALU_CYCLE_1)
	s_sub_co_i32 s5, s3, s30
	s_cmp_ge_u32 s3, s30
	s_cselect_b32 s2, s4, s2
	s_cselect_b32 s3, s5, s3
	s_add_co_i32 s4, s2, 1
	s_cmp_ge_u32 s3, s30
	s_cselect_b32 s26, s4, s2
.LBB94_7:
	s_load_b128 s[4:7], s[0:1], 0x350
	v_cmp_lt_u64_e64 s2, s[26:27], s[28:29]
	s_and_b32 vcc_lo, exec_lo, s2
	s_cbranch_vccnz .LBB94_9
; %bb.8:
	v_cvt_f32_u32_e32 v1, s28
	s_sub_co_i32 s3, 0, s28
	s_mov_b32 s49, 0
	s_delay_alu instid0(VALU_DEP_1) | instskip(NEXT) | instid1(TRANS32_DEP_1)
	v_rcp_iflag_f32_e32 v1, v1
	v_mul_f32_e32 v1, 0x4f7ffffe, v1
	s_delay_alu instid0(VALU_DEP_1) | instskip(NEXT) | instid1(VALU_DEP_1)
	v_cvt_u32_f32_e32 v1, v1
	v_readfirstlane_b32 s2, v1
	s_mul_i32 s3, s3, s2
	s_delay_alu instid0(SALU_CYCLE_1) | instskip(NEXT) | instid1(SALU_CYCLE_1)
	s_mul_hi_u32 s3, s2, s3
	s_add_co_i32 s2, s2, s3
	s_delay_alu instid0(SALU_CYCLE_1) | instskip(NEXT) | instid1(SALU_CYCLE_1)
	s_mul_hi_u32 s2, s26, s2
	s_mul_i32 s3, s2, s28
	s_add_co_i32 s8, s2, 1
	s_sub_co_i32 s3, s26, s3
	s_delay_alu instid0(SALU_CYCLE_1)
	s_sub_co_i32 s9, s3, s28
	s_cmp_ge_u32 s3, s28
	s_cselect_b32 s2, s8, s2
	s_cselect_b32 s3, s9, s3
	s_add_co_i32 s8, s2, 1
	s_cmp_ge_u32 s3, s28
	s_cselect_b32 s48, s8, s2
.LBB94_9:
	s_load_b64 s[54:55], s[0:1], 0x4f0
	s_wait_kmcnt 0x0
	v_cmp_lt_u64_e64 s2, s[34:35], s[6:7]
	s_mov_b64 s[14:15], 0
	s_mov_b64 s[16:17], 0
	s_and_b32 vcc_lo, exec_lo, s2
	s_cbranch_vccnz .LBB94_11
; %bb.10:
	v_cvt_f32_u32_e32 v1, s6
	s_sub_co_i32 s3, 0, s6
	s_mov_b32 s17, 0
	s_delay_alu instid0(VALU_DEP_1) | instskip(NEXT) | instid1(TRANS32_DEP_1)
	v_rcp_iflag_f32_e32 v1, v1
	v_mul_f32_e32 v1, 0x4f7ffffe, v1
	s_delay_alu instid0(VALU_DEP_1) | instskip(NEXT) | instid1(VALU_DEP_1)
	v_cvt_u32_f32_e32 v1, v1
	v_readfirstlane_b32 s2, v1
	s_mul_i32 s3, s3, s2
	s_delay_alu instid0(SALU_CYCLE_1) | instskip(NEXT) | instid1(SALU_CYCLE_1)
	s_mul_hi_u32 s3, s2, s3
	s_add_co_i32 s2, s2, s3
	s_delay_alu instid0(SALU_CYCLE_1) | instskip(NEXT) | instid1(SALU_CYCLE_1)
	s_mul_hi_u32 s2, s34, s2
	s_mul_i32 s3, s2, s6
	s_add_co_i32 s8, s2, 1
	s_sub_co_i32 s3, s34, s3
	s_delay_alu instid0(SALU_CYCLE_1)
	s_sub_co_i32 s9, s3, s6
	s_cmp_ge_u32 s3, s6
	s_cselect_b32 s2, s8, s2
	s_cselect_b32 s3, s9, s3
	s_add_co_i32 s8, s2, 1
	s_cmp_ge_u32 s3, s6
	s_cselect_b32 s16, s8, s2
.LBB94_11:
	s_delay_alu instid0(SALU_CYCLE_1)
	v_cmp_lt_u64_e64 s2, s[16:17], s[4:5]
	s_and_b32 vcc_lo, exec_lo, s2
	s_cbranch_vccnz .LBB94_13
; %bb.12:
	v_cvt_f32_u32_e32 v1, s4
	s_sub_co_i32 s3, 0, s4
	s_mov_b32 s15, 0
	s_delay_alu instid0(VALU_DEP_1) | instskip(NEXT) | instid1(TRANS32_DEP_1)
	v_rcp_iflag_f32_e32 v1, v1
	v_mul_f32_e32 v1, 0x4f7ffffe, v1
	s_delay_alu instid0(VALU_DEP_1) | instskip(NEXT) | instid1(VALU_DEP_1)
	v_cvt_u32_f32_e32 v1, v1
	v_readfirstlane_b32 s2, v1
	s_mul_i32 s3, s3, s2
	s_delay_alu instid0(SALU_CYCLE_1) | instskip(NEXT) | instid1(SALU_CYCLE_1)
	s_mul_hi_u32 s3, s2, s3
	s_add_co_i32 s2, s2, s3
	s_delay_alu instid0(SALU_CYCLE_1) | instskip(NEXT) | instid1(SALU_CYCLE_1)
	s_mul_hi_u32 s2, s16, s2
	s_mul_i32 s3, s2, s4
	s_add_co_i32 s8, s2, 1
	s_sub_co_i32 s3, s16, s3
	s_delay_alu instid0(SALU_CYCLE_1)
	s_sub_co_i32 s9, s3, s4
	s_cmp_ge_u32 s3, s4
	s_cselect_b32 s2, s8, s2
	s_cselect_b32 s3, s9, s3
	s_add_co_i32 s8, s2, 1
	s_cmp_ge_u32 s3, s4
	s_cselect_b32 s14, s8, s2
.LBB94_13:
	s_clause 0x1
	s_load_b64 s[20:21], s[0:1], 0x420
	s_load_b128 s[8:11], s[0:1], 0x410
	v_cmp_eq_u32_e64 s2, 0, v0
	s_and_saveexec_b32 s3, s2
; %bb.14:
	v_mov_b32_e32 v1, 0
	s_delay_alu instid0(VALU_DEP_1)
	v_mov_b32_e32 v2, v1
	ds_store_b64 v1, v[1:2] offset:5136
; %bb.15:
	s_or_b32 exec_lo, exec_lo, s3
	v_dual_mov_b32 v1, 0 :: v_dual_mov_b32 v18, s24
	s_wait_dscnt 0x0
	s_barrier_signal -1
	s_barrier_wait -1
	global_inv scope:SCOPE_SE
	s_wait_loadcnt 0x0
	s_barrier_signal -1
	s_barrier_wait -1
	global_inv scope:SCOPE_SE
	ds_load_b64 v[1:2], v1 offset:5136
	s_clause 0x4
	s_load_b32 s3, s[0:1], 0x4f8
	s_load_b64 s[18:19], s[0:1], 0x280
	s_load_b128 s[40:43], s[0:1], 0x270
	s_load_b64 s[60:61], s[0:1], 0xe0
	s_load_b128 s[44:47], s[0:1], 0xd0
                                        ; implicit-def: $vgpr36 : SGPR spill to VGPR lane
	v_mov_b32_e32 v19, s25
	s_wait_kmcnt 0x0
	s_bitcmp1_b32 s3, 0
	s_wait_dscnt 0x0
	v_cmp_gt_i64_e32 vcc_lo, 1, v[1:2]
	s_cselect_b32 s3, -1, 0
	v_writelane_b32 v36, s18, 0
	s_or_b32 s3, s3, vcc_lo
	v_writelane_b32 v36, s19, 1
	s_and_not1_b32 vcc_lo, exec_lo, s3
	s_cbranch_vccnz .LBB94_17
; %bb.16:
	v_not_b32_e32 v1, v1
	v_not_b32_e32 v2, v2
	s_delay_alu instid0(VALU_DEP_2) | instskip(NEXT) | instid1(VALU_DEP_1)
	v_add_co_u32 v1, vcc_lo, s24, v1
	v_add_co_ci_u32_e64 v2, null, s25, v2, vcc_lo
	s_delay_alu instid0(VALU_DEP_1) | instskip(NEXT) | instid1(VALU_DEP_1)
	v_lshrrev_b64 v[1:2], 1, v[1:2]
	v_add_co_u32 v18, vcc_lo, v1, 1
	s_wait_alu 0xfffd
	s_delay_alu instid0(VALU_DEP_2)
	v_add_co_ci_u32_e64 v19, null, 0, v2, vcc_lo
.LBB94_17:
	s_load_b64 s[22:23], s[0:1], 0x340
	s_add_nc_u64 s[18:19], s[0:1], 0x500
	s_and_saveexec_b32 s3, s2
	s_cbranch_execz .LBB94_19
; %bb.18:
	v_dual_mov_b32 v1, 0 :: v_dual_mov_b32 v4, s25
	s_delay_alu instid0(VALU_DEP_1)
	v_dual_mov_b32 v3, s24 :: v_dual_mov_b32 v2, v1
	ds_store_b32 v1, v1 offset:5144
	ds_store_b128 v1, v[1:4] offset:5120
.LBB94_19:
	s_or_b32 exec_lo, exec_lo, s3
	s_mul_u64 s[4:5], s[14:15], s[4:5]
	s_mul_u64 s[6:7], s[16:17], s[6:7]
	;; [unrolled: 1-line block ×3, first 2 shown]
	s_wait_alu 0xfffe
	s_sub_nc_u64 s[4:5], s[16:17], s[4:5]
	s_sub_nc_u64 s[6:7], s[34:35], s[6:7]
	s_lshl_b64 s[8:9], s[8:9], 2
	s_wait_alu 0xfffe
	s_mul_u64 s[4:5], s[4:5], s[10:11]
	s_wait_kmcnt 0x0
	s_add_nc_u64 s[8:9], s[22:23], s[8:9]
	s_wait_alu 0xfffe
	s_lshl_b64 s[4:5], s[4:5], 2
	s_mul_u64 s[6:7], s[6:7], s[20:21]
	s_wait_alu 0xfffe
	s_add_nc_u64 s[4:5], s[8:9], s[4:5]
	s_lshl_b64 s[6:7], s[6:7], 2
	s_clause 0x1
	s_load_b64 s[58:59], s[0:1], 0x1a0
	s_load_b64 s[66:67], s[0:1], 0x0
	s_add_nc_u64 s[62:63], s[4:5], s[6:7]
	s_wait_loadcnt_dscnt 0x0
	s_barrier_signal -1
	s_barrier_wait -1
	global_inv scope:SCOPE_SE
	s_load_b32 s4, s[18:19], 0xc
	v_mad_co_u64_u32 v[2:3], null, s54, v0, 0
	v_mov_b32_e32 v10, 0
	v_mbcnt_lo_u32_b32 v24, -1, 0
	v_cmp_gt_u32_e32 vcc_lo, 32, v0
	v_lshlrev_b32_e32 v11, 2, v0
	s_mov_b32 s69, 0
	v_cmp_lt_u64_e64 s86, 0x300, s[24:25]
	v_mov_b32_e32 v1, v3
	v_cmp_gt_i32_e64 s3, 4, v24
	v_mov_b32_e32 v12, v10
	s_mov_b32 s65, s69
	v_cmp_eq_u32_e64 s1, 0, v24
	v_mad_co_u64_u32 v[3:4], null, s55, v0, v[1:2]
	s_and_b32 s33, vcc_lo, s3
	v_mov_b32_e32 v1, v10
	v_lshlrev_b64_e64 v[4:5], v24, -1
	v_cmp_gt_u32_e64 s3, 2, v0
	s_wait_kmcnt 0x0
	s_and_b32 s64, s4, 0xffff
	s_bfe_u32 s4, s4, 0xb0005
	s_cmp_gt_u32 s64, 31
	v_lshlrev_b64_e32 v[2:3], 2, v[2:3]
	s_cselect_b32 s87, -1, 0
	s_cmp_lt_u32 ttmp9, s12
	v_cmp_gt_u64_e64 s0, s[24:25], v[0:1]
	s_cselect_b32 s68, 12, 18
	s_wait_alu 0xfffe
	s_add_co_i32 s5, s4, -1
	s_bfe_u32 s88, s64, 0x30005
	s_wait_alu 0xfffe
	s_and_b32 s5, s5, 0xffff
	v_add_co_u32 v13, vcc_lo, s62, v2
	s_wait_alu 0xfffe
	s_cmp_gt_u32 s5, 6
	s_movk_i32 s5, 0x3e0
	v_add_nc_u32_e32 v25, 0xc00, v11
	s_wait_alu 0xfffd
	v_add_co_ci_u32_e64 v14, null, s63, v3, vcc_lo
	v_not_b32_e32 v26, v4
	s_cselect_b32 s89, -1, 0
	s_and_b32 s90, s4, 0x7f8
	s_wait_alu 0xfffe
	v_and_or_b32 v28, v0, s5, 0xc00
	v_lshlrev_b32_e32 v29, 4, v0
	v_lshl_or_b32 v30, v24, 3, 0xc00
	v_mov_b32_e32 v15, 1
	v_mov_b32_e32 v17, 0
	;; [unrolled: 1-line block ×4, first 2 shown]
	s_add_nc_u64 s[70:71], s[64:65], -1
	s_cmp_lg_u32 s88, 0
	s_add_nc_u64 s[72:73], s[70:71], s[24:25]
	s_cselect_b32 s91, -1, 0
	s_lshl_b32 s92, s64, 2
	s_mov_b32 s93, 30
	s_add_nc_u64 s[74:75], s[18:19], s[68:69]
	s_mov_b32 s95, 0x4f800000
	s_mov_b32 s94, 0
	;; [unrolled: 1-line block ×3, first 2 shown]
                                        ; implicit-def: $sgpr100
                                        ; implicit-def: $sgpr102
                                        ; implicit-def: $sgpr97
                                        ; implicit-def: $sgpr99
                                        ; implicit-def: $sgpr101
                                        ; implicit-def: $sgpr98
	s_branch .LBB94_23
.LBB94_20:                              ;   in Loop: Header=BB94_23 Depth=1
	s_wait_alu 0xfffe
	s_or_b32 exec_lo, exec_lo, s7
	s_delay_alu instid0(SALU_CYCLE_1)
	s_and_b32 s5, s5, exec_lo
	s_and_not1_b32 s20, s20, exec_lo
	s_and_not1_b32 s19, s19, exec_lo
	s_or_not1_b32 s16, s6, exec_lo
.LBB94_21:                              ;   in Loop: Header=BB94_23 Depth=1
	s_wait_alu 0xfffe
	s_or_b32 exec_lo, exec_lo, s4
	s_delay_alu instid0(SALU_CYCLE_1)
	s_and_not1_b32 s4, s98, exec_lo
	s_and_b32 s5, s5, exec_lo
	s_and_not1_b32 s6, s99, exec_lo
	s_wait_alu 0xfffe
	s_or_b32 s98, s4, s5
	s_and_not1_b32 s4, s101, exec_lo
	s_and_b32 s5, s20, exec_lo
	s_and_b32 s7, s19, exec_lo
	s_wait_alu 0xfffe
	s_or_b32 s101, s4, s5
	s_or_b32 s99, s6, s7
	s_or_not1_b32 s16, s16, exec_lo
.LBB94_22:                              ;   in Loop: Header=BB94_23 Depth=1
	s_wait_alu 0xfffe
	s_or_b32 exec_lo, exec_lo, s15
	s_delay_alu instid0(SALU_CYCLE_1)
	s_and_b32 s4, exec_lo, s16
	v_dual_mov_b32 v19, v7 :: v_dual_mov_b32 v18, v6
	s_wait_alu 0xfffe
	s_or_b32 s94, s4, s94
	s_and_not1_b32 s4, s97, exec_lo
	s_and_b32 s5, s98, exec_lo
	s_and_not1_b32 s6, s102, exec_lo
	s_wait_alu 0xfffe
	s_or_b32 s97, s4, s5
	s_and_b32 s4, s101, exec_lo
	s_and_not1_b32 s5, s100, exec_lo
	s_and_b32 s7, s99, exec_lo
	s_wait_alu 0xfffe
	s_or_b32 s102, s6, s4
	s_or_b32 s100, s5, s7
	s_and_not1_b32 exec_lo, exec_lo, s94
	s_cbranch_execz .LBB94_280
.LBB94_23:                              ; =>This Loop Header: Depth=1
                                        ;     Child Loop BB94_29 Depth 2
                                        ;     Child Loop BB94_42 Depth 2
	;; [unrolled: 1-line block ×16, first 2 shown]
	ds_load_b128 v[2:5], v10 offset:5120
	s_wait_dscnt 0x0
	v_readfirstlane_b32 s77, v3
	v_readfirstlane_b32 s76, v2
	s_cmp_lg_u64 s[76:77], 0
	s_cbranch_scc1 .LBB94_50
; %bb.24:                               ;   in Loop: Header=BB94_23 Depth=1
	s_and_b32 vcc_lo, exec_lo, s86
	s_wait_alu 0xfffe
	s_cbranch_vccz .LBB94_37
; %bb.25:                               ;   in Loop: Header=BB94_23 Depth=1
	v_cmp_gt_u64_e32 vcc_lo, 0x301, v[4:5]
	s_mov_b32 s6, 0
	s_mov_b32 s4, 0
	s_cbranch_vccz .LBB94_38
; %bb.26:                               ;   in Loop: Header=BB94_23 Depth=1
	s_and_saveexec_b32 s7, s0
	s_cbranch_execz .LBB94_147
; %bb.27:                               ;   in Loop: Header=BB94_23 Depth=1
	global_load_u16 v2, v10, s[74:75]
	global_load_b32 v5, v[13:14], off
	s_mov_b32 s8, 0
	s_wait_loadcnt 0x1
	v_dual_mov_b32 v3, v1 :: v_dual_and_b32 v4, 0xffff, v2
	v_mov_b32_e32 v2, v0
	s_branch .LBB94_29
.LBB94_28:                              ;   in Loop: Header=BB94_29 Depth=2
	s_wait_alu 0xfffe
	s_or_b32 exec_lo, exec_lo, s5
	v_mov_b32_e32 v5, v6
	s_and_not1_b32 exec_lo, exec_lo, s8
	s_cbranch_execz .LBB94_147
.LBB94_29:                              ;   Parent Loop BB94_23 Depth=1
                                        ; =>  This Inner Loop Header: Depth=2
	s_delay_alu instid0(VALU_DEP_1)
	v_add_co_u32 v2, vcc_lo, v2, v4
	s_wait_alu 0xfffd
	v_add_co_ci_u32_e64 v3, null, 0, v3, vcc_lo
	s_wait_dscnt 0x0
	v_dual_mov_b32 v7, 0 :: v_dual_mov_b32 v6, 0
	s_mov_b32 s5, exec_lo
	s_delay_alu instid0(VALU_DEP_2)
	v_cmp_le_u64_e32 vcc_lo, s[24:25], v[2:3]
	v_cmpx_gt_u64_e64 s[24:25], v[2:3]
	s_cbranch_execz .LBB94_31
; %bb.30:                               ;   in Loop: Header=BB94_29 Depth=2
	v_mul_lo_u32 v6, v3, s54
	v_mul_lo_u32 v16, v2, s55
	v_mad_co_u64_u32 v[8:9], null, v2, s54, 0
	s_delay_alu instid0(VALU_DEP_1) | instskip(NEXT) | instid1(VALU_DEP_1)
	v_add3_u32 v9, v9, v16, v6
	v_lshlrev_b64_e32 v[8:9], 2, v[8:9]
	s_delay_alu instid0(VALU_DEP_1) | instskip(SKIP_1) | instid1(VALU_DEP_2)
	v_add_co_u32 v8, s4, s62, v8
	s_wait_alu 0xf1fe
	v_add_co_ci_u32_e64 v9, null, s63, v9, s4
	global_load_b32 v6, v[8:9], off
.LBB94_31:                              ;   in Loop: Header=BB94_29 Depth=2
	s_wait_alu 0xfffe
	s_or_b32 exec_lo, exec_lo, s5
	s_wait_loadcnt 0x0
	v_xor_b32_e32 v8, 0x80000000, v5
	s_delay_alu instid0(VALU_DEP_1) | instskip(NEXT) | instid1(VALU_DEP_1)
	v_and_b32_e32 v8, v8, v31
	v_cmp_eq_u32_e64 s4, v8, v27
	s_cmp_lg_u32 s4, 0
	s_cselect_b32 s5, -1, 0
	s_wait_alu 0xfffe
	s_and_b32 s5, s1, s5
	s_wait_alu 0xfffe
	s_and_saveexec_b32 s9, s5
	s_cbranch_execz .LBB94_35
; %bb.32:                               ;   in Loop: Header=BB94_29 Depth=2
	s_mov_b32 s12, exec_lo
	s_bcnt1_i32_b32 s10, s4
	s_wait_alu 0xfffe
	v_mbcnt_lo_u32_b32 v7, s12, 0
	s_mov_b32 s11, exec_lo
                                        ; implicit-def: $vgpr8
	s_delay_alu instid0(VALU_DEP_1)
	v_cmpx_eq_u32_e32 0, v7
; %bb.33:                               ;   in Loop: Header=BB94_29 Depth=2
	s_bcnt1_i32_b32 s5, s12
	s_wait_alu 0xfffe
	s_mul_i32 s5, s10, s5
	s_wait_alu 0xfffe
	v_mov_b32_e32 v8, s5
	ds_add_rtn_u32 v8, v10, v8 offset:5144
; %bb.34:                               ;   in Loop: Header=BB94_29 Depth=2
	s_or_b32 exec_lo, exec_lo, s11
	s_wait_dscnt 0x0
	v_readfirstlane_b32 s5, v8
	s_wait_alu 0xf1ff
	s_delay_alu instid0(VALU_DEP_1)
	v_mad_u32_u24 v7, s10, v7, s5
.LBB94_35:                              ;   in Loop: Header=BB94_29 Depth=2
	s_wait_alu 0xfffe
	s_or_b32 exec_lo, exec_lo, s9
	ds_bpermute_b32 v7, v10, v7
	s_and_b32 s5, exec_lo, vcc_lo
	s_wait_alu 0xfffe
	s_or_b32 s8, s5, s8
	s_and_saveexec_b32 s5, s4
	s_cbranch_execz .LBB94_28
; %bb.36:                               ;   in Loop: Header=BB94_29 Depth=2
	v_and_b32_e32 v8, s4, v26
	s_delay_alu instid0(VALU_DEP_1) | instskip(NEXT) | instid1(VALU_DEP_1)
	v_bcnt_u32_b32 v8, v8, 0
	v_lshlrev_b32_e32 v8, 2, v8
	s_wait_dscnt 0x0
	s_delay_alu instid0(VALU_DEP_1)
	v_lshl_add_u32 v7, v7, 2, v8
	ds_store_b32 v7, v5
	s_branch .LBB94_28
.LBB94_37:                              ;   in Loop: Header=BB94_23 Depth=1
	s_mov_b32 s6, -1
	s_mov_b32 s4, 0
.LBB94_38:                              ;   in Loop: Header=BB94_23 Depth=1
	s_wait_alu 0xfffe
	s_and_b32 vcc_lo, exec_lo, s6
	s_wait_alu 0xfffe
	s_cbranch_vccz .LBB94_48
.LBB94_39:                              ;   in Loop: Header=BB94_23 Depth=1
	s_and_saveexec_b32 s4, s0
	s_cbranch_execz .LBB94_45
; %bb.40:                               ;   in Loop: Header=BB94_23 Depth=1
	global_load_u16 v2, v10, s[74:75]
	global_load_b32 v6, v[13:14], off
	s_mov_b32 s5, exec_lo
	s_wait_loadcnt 0x1
	v_dual_mov_b32 v2, v0 :: v_dual_and_b32 v7, 0xffff, v2
	s_delay_alu instid0(VALU_DEP_1) | instskip(NEXT) | instid1(VALU_DEP_1)
	v_add_nc_u32_e32 v9, v7, v0
	v_cmpx_gt_u64_e64 s[24:25], v[9:10]
	s_cbranch_execz .LBB94_44
; %bb.41:                               ;   in Loop: Header=BB94_23 Depth=1
	v_dual_mov_b32 v4, v9 :: v_dual_mov_b32 v5, v10
	v_dual_mov_b32 v3, v1 :: v_dual_mov_b32 v2, v0
	s_mov_b32 s6, 0
.LBB94_42:                              ;   Parent Loop BB94_23 Depth=1
                                        ; =>  This Inner Loop Header: Depth=2
	s_delay_alu instid0(VALU_DEP_2) | instskip(NEXT) | instid1(VALU_DEP_2)
	v_dual_mov_b32 v21, v5 :: v_dual_mov_b32 v20, v4
	v_lshlrev_b32_e32 v2, 2, v2
	s_delay_alu instid0(VALU_DEP_2) | instskip(NEXT) | instid1(VALU_DEP_3)
	v_mul_lo_u32 v5, v21, s54
	v_mul_lo_u32 v8, v20, s55
	v_mad_co_u64_u32 v[3:4], null, v20, s54, 0
	s_wait_loadcnt 0x0
	ds_store_b32 v2, v6
	v_add3_u32 v4, v4, v8, v5
	s_delay_alu instid0(VALU_DEP_1) | instskip(NEXT) | instid1(VALU_DEP_1)
	v_lshlrev_b64_e32 v[3:4], 2, v[3:4]
	v_add_co_u32 v3, vcc_lo, s62, v3
	s_wait_alu 0xfffd
	s_delay_alu instid0(VALU_DEP_2)
	v_add_co_ci_u32_e64 v4, null, s63, v4, vcc_lo
	global_load_b32 v8, v[3:4], off
	v_add_co_u32 v4, vcc_lo, v20, v7
	s_wait_alu 0xfffd
	v_add_co_ci_u32_e64 v5, null, 0, v21, vcc_lo
	v_dual_mov_b32 v2, v20 :: v_dual_mov_b32 v3, v21
	s_delay_alu instid0(VALU_DEP_2)
	v_cmp_le_u64_e32 vcc_lo, s[24:25], v[4:5]
	s_wait_alu 0xfffe
	s_or_b32 s6, vcc_lo, s6
	s_wait_loadcnt 0x0
	v_mov_b32_e32 v6, v8
	s_wait_alu 0xfffe
	s_and_not1_b32 exec_lo, exec_lo, s6
	s_cbranch_execnz .LBB94_42
; %bb.43:                               ;   in Loop: Header=BB94_23 Depth=1
	s_or_b32 exec_lo, exec_lo, s6
	v_sub_nc_u32_e32 v2, v4, v7
	v_mov_b32_e32 v6, v8
.LBB94_44:                              ;   in Loop: Header=BB94_23 Depth=1
	s_wait_alu 0xfffe
	s_or_b32 exec_lo, exec_lo, s5
	s_delay_alu instid0(VALU_DEP_2)
	v_lshlrev_b32_e32 v2, 2, v2
	s_wait_loadcnt 0x0
	ds_store_b32 v2, v6
.LBB94_45:                              ;   in Loop: Header=BB94_23 Depth=1
	s_wait_alu 0xfffe
	s_or_b32 exec_lo, exec_lo, s4
	s_wait_loadcnt_dscnt 0x0
	s_barrier_signal -1
	s_barrier_wait -1
	global_inv scope:SCOPE_SE
	s_and_saveexec_b32 s4, s2
; %bb.46:                               ;   in Loop: Header=BB94_23 Depth=1
	v_dual_mov_b32 v2, s24 :: v_dual_mov_b32 v3, s25
	ds_store_b64 v10, v[2:3] offset:5120
; %bb.47:                               ;   in Loop: Header=BB94_23 Depth=1
	s_wait_alu 0xfffe
	s_or_b32 exec_lo, exec_lo, s4
	s_mov_b32 s4, -1
	s_wait_loadcnt_dscnt 0x0
	s_barrier_signal -1
	s_barrier_wait -1
.LBB94_48:                              ;   in Loop: Header=BB94_23 Depth=1
	s_wait_alu 0xfffe
	s_and_b32 vcc_lo, exec_lo, s4
	s_mov_b64 s[76:77], 0
	s_wait_alu 0xfffe
	s_cbranch_vccz .LBB94_50
; %bb.49:                               ;   in Loop: Header=BB94_23 Depth=1
	s_wait_loadcnt 0x0
	global_inv scope:SCOPE_SE
	ds_load_b64 v[2:3], v10 offset:5120
	s_wait_dscnt 0x0
	v_readfirstlane_b32 s76, v2
.LBB94_50:                              ;   in Loop: Header=BB94_23 Depth=1
	s_delay_alu instid0(VALU_DEP_1)
	s_cmp_lt_i32 s76, 1
	s_mov_b32 s4, -1
                                        ; implicit-def: $vgpr2_vgpr3
                                        ; implicit-def: $vgpr6_vgpr7
	s_cbranch_scc1 .LBB94_60
; %bb.51:                               ;   in Loop: Header=BB94_23 Depth=1
	s_wait_alu 0xfffe
	s_and_b32 vcc_lo, exec_lo, s4
	s_wait_alu 0xfffe
	s_cbranch_vccnz .LBB94_74
.LBB94_52:                              ;   in Loop: Header=BB94_23 Depth=1
	s_lshl_b32 s4, s96, 7
	s_and_saveexec_b32 s5, s1
	s_cbranch_execz .LBB94_54
.LBB94_53:                              ;   in Loop: Header=BB94_23 Depth=1
	s_wait_alu 0xfffe
	v_lshl_add_u32 v16, s4, 3, v28
	ds_store_b128 v16, v[2:5]
	ds_store_b128 v16, v[6:9] offset:16
.LBB94_54:                              ;   in Loop: Header=BB94_23 Depth=1
	s_wait_alu 0xfffe
	s_or_b32 exec_lo, exec_lo, s5
	s_wait_loadcnt_dscnt 0x0
	s_barrier_signal -1
	s_barrier_wait -1
	global_inv scope:SCOPE_SE
	s_and_saveexec_b32 s5, s33
	s_cbranch_execz .LBB94_88
; %bb.55:                               ;   in Loop: Header=BB94_23 Depth=1
	v_mov_b32_e32 v2, 0
	v_mov_b32_e32 v3, 0
	s_and_not1_b32 vcc_lo, exec_lo, s87
	s_wait_alu 0xfffe
	s_cbranch_vccnz .LBB94_87
; %bb.56:                               ;   in Loop: Header=BB94_23 Depth=1
	v_mov_b32_e32 v2, 0
	v_mov_b32_e32 v3, 0
	s_and_not1_b32 vcc_lo, exec_lo, s89
	s_wait_alu 0xfffe
	s_cbranch_vccnz .LBB94_84
; %bb.57:                               ;   in Loop: Header=BB94_23 Depth=1
	v_lshl_add_u32 v4, s96, 10, v30
	s_mov_b32 s6, 0
.LBB94_58:                              ;   Parent Loop BB94_23 Depth=1
                                        ; =>  This Inner Loop Header: Depth=2
	ds_load_2addr_b64 v[5:8], v4 offset1:4
	ds_load_2addr_b64 v[20:23], v4 offset0:8 offset1:12
	ds_load_2addr_b64 v[32:35], v4 offset0:16 offset1:20
	s_wait_alu 0xfffe
	s_add_co_i32 s6, s6, 8
	s_wait_alu 0xfffe
	s_cmp_eq_u32 s90, s6
	s_wait_dscnt 0x2
	v_add_co_u32 v2, vcc_lo, v5, v2
	s_wait_alu 0xfffd
	v_add_co_ci_u32_e64 v3, null, v6, v3, vcc_lo
	s_delay_alu instid0(VALU_DEP_2) | instskip(SKIP_1) | instid1(VALU_DEP_2)
	v_add_co_u32 v2, vcc_lo, v7, v2
	s_wait_alu 0xfffd
	v_add_co_ci_u32_e64 v3, null, v8, v3, vcc_lo
	ds_load_2addr_b64 v[5:8], v4 offset0:24 offset1:28
	s_wait_dscnt 0x2
	v_add_co_u32 v2, vcc_lo, v20, v2
	s_wait_alu 0xfffd
	v_add_co_ci_u32_e64 v3, null, v21, v3, vcc_lo
	v_add_nc_u32_e32 v4, 0x100, v4
	s_delay_alu instid0(VALU_DEP_3) | instskip(SKIP_1) | instid1(VALU_DEP_3)
	v_add_co_u32 v2, vcc_lo, v22, v2
	s_wait_alu 0xfffd
	v_add_co_ci_u32_e64 v3, null, v23, v3, vcc_lo
	s_wait_dscnt 0x1
	s_delay_alu instid0(VALU_DEP_2) | instskip(SKIP_1) | instid1(VALU_DEP_2)
	v_add_co_u32 v2, vcc_lo, v32, v2
	s_wait_alu 0xfffd
	v_add_co_ci_u32_e64 v3, null, v33, v3, vcc_lo
	s_delay_alu instid0(VALU_DEP_2) | instskip(SKIP_1) | instid1(VALU_DEP_2)
	v_add_co_u32 v2, vcc_lo, v34, v2
	s_wait_alu 0xfffd
	v_add_co_ci_u32_e64 v3, null, v35, v3, vcc_lo
	s_wait_dscnt 0x0
	s_delay_alu instid0(VALU_DEP_2) | instskip(SKIP_1) | instid1(VALU_DEP_2)
	v_add_co_u32 v2, vcc_lo, v5, v2
	s_wait_alu 0xfffd
	v_add_co_ci_u32_e64 v3, null, v6, v3, vcc_lo
	s_delay_alu instid0(VALU_DEP_2) | instskip(SKIP_1) | instid1(VALU_DEP_2)
	v_add_co_u32 v2, vcc_lo, v7, v2
	s_wait_alu 0xfffd
	v_add_co_ci_u32_e64 v3, null, v8, v3, vcc_lo
	s_cbranch_scc0 .LBB94_58
; %bb.59:                               ;   in Loop: Header=BB94_23 Depth=1
	s_mov_b32 s6, s90
	s_and_not1_b32 vcc_lo, exec_lo, s91
	s_wait_alu 0xfffe
	s_cbranch_vccz .LBB94_85
	s_branch .LBB94_87
.LBB94_60:                              ;   in Loop: Header=BB94_23 Depth=1
	global_load_u16 v16, v10, s[74:75]
	s_mov_b32 s5, s25
	s_wait_loadcnt 0x0
	v_readfirstlane_b32 s4, v16
	s_wait_alu 0xfffe
	s_and_b32 s6, 0xffff, s4
	s_mov_b32 s4, s69
	s_wait_alu 0xfffe
	s_lshl_b32 s16, s6, 2
	s_cmp_lg_u64 s[4:5], 0
	s_cbranch_scc0 .LBB94_83
; %bb.61:                               ;   in Loop: Header=BB94_23 Depth=1
	s_wait_alu 0xfffe
	s_cvt_f32_u32 s4, s16
	s_mov_b32 s17, s69
	s_wait_alu 0xfffe
	s_sub_nc_u64 s[6:7], 0, s[16:17]
	s_fmamk_f32 s4, s95, 0x0, s4
	s_wait_alu 0xfffe
	s_delay_alu instid0(SALU_CYCLE_2) | instskip(NEXT) | instid1(TRANS32_DEP_1)
	v_s_rcp_f32 s4, s4
	s_mul_f32 s4, s4, 0x5f7ffffc
	s_wait_alu 0xfffe
	s_delay_alu instid0(SALU_CYCLE_2) | instskip(SKIP_1) | instid1(SALU_CYCLE_2)
	s_mul_f32 s5, s4, 0x2f800000
	s_wait_alu 0xfffe
	s_trunc_f32 s5, s5
	s_wait_alu 0xfffe
	s_delay_alu instid0(SALU_CYCLE_2) | instskip(SKIP_2) | instid1(SALU_CYCLE_1)
	s_fmamk_f32 s4, s5, 0xcf800000, s4
	s_cvt_u32_f32 s5, s5
	s_wait_alu 0xfffe
	s_cvt_u32_f32 s4, s4
	s_wait_alu 0xfffe
	s_delay_alu instid0(SALU_CYCLE_2)
	s_mul_u64 s[8:9], s[6:7], s[4:5]
	s_wait_alu 0xfffe
	s_mul_hi_u32 s11, s4, s9
	s_mul_i32 s10, s4, s9
	s_mul_hi_u32 s68, s4, s8
	s_mul_i32 s13, s5, s8
	s_wait_alu 0xfffe
	s_add_nc_u64 s[10:11], s[68:69], s[10:11]
	s_mul_hi_u32 s12, s5, s8
	s_mul_hi_u32 s14, s5, s9
	s_mul_i32 s8, s5, s9
	s_wait_alu 0xfffe
	s_add_co_u32 s9, s10, s13
	s_add_co_ci_u32 s68, s11, s12
	s_add_co_ci_u32 s9, s14, 0
	s_wait_alu 0xfffe
	s_add_nc_u64 s[8:9], s[68:69], s[8:9]
	s_wait_alu 0xfffe
	s_add_co_u32 s4, s4, s8
	s_cselect_b32 s8, -1, 0
	s_wait_alu 0xfffe
	s_cmp_lg_u32 s8, 0
	s_add_co_ci_u32 s5, s5, s9
	s_wait_alu 0xfffe
	s_mul_u64 s[6:7], s[6:7], s[4:5]
	s_wait_alu 0xfffe
	s_mul_hi_u32 s9, s4, s7
	s_mul_i32 s8, s4, s7
	s_mul_hi_u32 s68, s4, s6
	s_mul_i32 s11, s5, s6
	s_wait_alu 0xfffe
	s_add_nc_u64 s[8:9], s[68:69], s[8:9]
	s_mul_hi_u32 s10, s5, s6
	s_mul_hi_u32 s12, s5, s7
	s_mul_i32 s6, s5, s7
	s_wait_alu 0xfffe
	s_add_co_u32 s7, s8, s11
	s_add_co_ci_u32 s68, s9, s10
	s_add_co_ci_u32 s7, s12, 0
	s_wait_alu 0xfffe
	s_add_nc_u64 s[6:7], s[68:69], s[6:7]
	s_wait_alu 0xfffe
	s_add_co_u32 s4, s4, s6
	s_cselect_b32 s6, -1, 0
	s_wait_alu 0xfffe
	s_mul_hi_u32 s68, s24, s4
	s_cmp_lg_u32 s6, 0
	s_mul_hi_u32 s8, s25, s4
	s_add_co_ci_u32 s6, s5, s7
	s_mul_i32 s7, s25, s4
	s_wait_alu 0xfffe
	s_mul_hi_u32 s5, s24, s6
	s_mul_i32 s4, s24, s6
	s_mul_hi_u32 s9, s25, s6
	s_wait_alu 0xfffe
	s_add_nc_u64 s[4:5], s[68:69], s[4:5]
	s_mul_i32 s6, s25, s6
	s_wait_alu 0xfffe
	s_add_co_u32 s4, s4, s7
	s_add_co_ci_u32 s68, s5, s8
	s_add_co_ci_u32 s7, s9, 0
	s_wait_alu 0xfffe
	s_add_nc_u64 s[4:5], s[68:69], s[6:7]
	s_wait_alu 0xfffe
	s_mul_u64 s[4:5], s[16:17], s[4:5]
	s_wait_alu 0xfffe
	s_sub_co_u32 s4, s24, s4
	s_cselect_b32 s6, -1, 0
	s_wait_alu 0xfffe
	s_cmp_lg_u32 s6, 0
	s_sub_co_ci_u32 s5, s25, s5
	s_sub_co_u32 s6, s4, s16
	s_cselect_b32 s7, -1, 0
	s_wait_alu 0xfffe
	s_cmp_lg_u32 s7, 0
	s_sub_co_ci_u32 s7, s5, 0
	;; [unrolled: 5-line block ×3, first 2 shown]
	s_cmp_ge_u32 s6, s16
	s_cselect_b32 s10, -1, 0
	s_cmp_eq_u32 s7, 0
	s_wait_alu 0xfffe
	s_cselect_b32 s10, s10, -1
	s_wait_alu 0xfffe
	s_cmp_lg_u32 s10, 0
	s_cselect_b32 s7, s9, s7
	s_cselect_b32 s6, s8, s6
	s_cmp_ge_u32 s4, s16
	s_cselect_b32 s8, -1, 0
	s_cmp_eq_u32 s5, 0
	s_wait_alu 0xfffe
	s_cselect_b32 s8, s8, -1
	s_wait_alu 0xfffe
	s_cmp_lg_u32 s8, 0
	s_cselect_b32 s5, s7, s5
	s_cselect_b32 s4, s6, s4
	s_cbranch_execnz .LBB94_63
.LBB94_62:                              ;   in Loop: Header=BB94_23 Depth=1
	s_wait_alu 0xfffe
	v_cvt_f32_u32_e32 v2, s16
	s_sub_co_i32 s5, 0, s16
	s_delay_alu instid0(VALU_DEP_1) | instskip(NEXT) | instid1(TRANS32_DEP_1)
	v_rcp_iflag_f32_e32 v2, v2
	v_mul_f32_e32 v2, 0x4f7ffffe, v2
	s_delay_alu instid0(VALU_DEP_1) | instskip(NEXT) | instid1(VALU_DEP_1)
	v_cvt_u32_f32_e32 v2, v2
	v_readfirstlane_b32 s4, v2
	s_wait_alu 0xfffe
	s_mul_i32 s5, s5, s4
	s_wait_alu 0xfffe
	s_mul_hi_u32 s5, s4, s5
	s_wait_alu 0xfffe
	s_add_co_i32 s4, s4, s5
	s_wait_alu 0xfffe
	s_mul_hi_u32 s4, s24, s4
	s_wait_alu 0xfffe
	s_mul_i32 s4, s4, s16
	s_wait_alu 0xfffe
	s_sub_co_i32 s4, s24, s4
	s_wait_alu 0xfffe
	s_sub_co_i32 s5, s4, s16
	s_cmp_ge_u32 s4, s16
	s_wait_alu 0xfffe
	s_cselect_b32 s4, s5, s4
	s_wait_alu 0xfffe
	s_sub_co_i32 s5, s4, s16
	s_cmp_ge_u32 s4, s16
	s_wait_alu 0xfffe
	s_cselect_b32 s68, s5, s4
	s_wait_alu 0xfffe
	s_mov_b64 s[4:5], s[68:69]
.LBB94_63:                              ;   in Loop: Header=BB94_23 Depth=1
	v_mov_b32_e32 v2, 0
	v_dual_mov_b32 v6, 0 :: v_dual_mov_b32 v3, 0
	v_dual_mov_b32 v4, 0 :: v_dual_mov_b32 v7, 0
	;; [unrolled: 1-line block ×3, first 2 shown]
	v_mov_b32_e32 v9, 0
	s_wait_alu 0xfffe
	s_sub_nc_u64 s[18:19], s[24:25], s[4:5]
	s_mov_b32 s15, exec_lo
	s_wait_alu 0xfffe
	v_cmpx_gt_u64_e64 s[18:19], v[11:12]
	s_cbranch_execz .LBB94_67
; %bb.64:                               ;   in Loop: Header=BB94_23 Depth=1
	v_dual_mov_b32 v21, v12 :: v_dual_mov_b32 v20, v11
	s_mov_b64 s[20:21], 0
	s_mov_b32 s17, 0
	s_mov_b64 s[22:23], 0
	s_mov_b64 s[78:79], 0
	;; [unrolled: 1-line block ×3, first 2 shown]
.LBB94_65:                              ;   Parent Loop BB94_23 Depth=1
                                        ; =>  This Inner Loop Header: Depth=2
	v_mul_lo_u32 v4, v21, s54
	v_mul_lo_u32 v5, v20, s55
	v_mad_co_u64_u32 v[2:3], null, v20, s54, 0
	s_lshl_b64 s[4:5], s[54:55], 2
	v_add3_u32 v3, v3, v5, v4
	s_delay_alu instid0(VALU_DEP_1) | instskip(NEXT) | instid1(VALU_DEP_1)
	v_lshlrev_b64_e32 v[2:3], 2, v[2:3]
	v_add_co_u32 v2, vcc_lo, s62, v2
	s_wait_alu 0xfffd
	s_delay_alu instid0(VALU_DEP_2) | instskip(SKIP_1) | instid1(VALU_DEP_2)
	v_add_co_ci_u32_e64 v3, null, s63, v3, vcc_lo
	s_wait_alu 0xfffe
	v_add_co_u32 v4, vcc_lo, v2, s4
	s_wait_alu 0xfffd
	s_delay_alu instid0(VALU_DEP_2)
	v_add_co_ci_u32_e64 v5, null, s5, v3, vcc_lo
	global_load_b32 v6, v[2:3], off
	v_add_co_u32 v2, vcc_lo, v4, s4
	s_wait_alu 0xfffd
	v_add_co_ci_u32_e64 v3, null, s5, v5, vcc_lo
	s_clause 0x1
	global_load_b32 v4, v[4:5], off
	global_load_b32 v5, v[2:3], off
	v_add_co_u32 v2, vcc_lo, v2, s4
	s_wait_alu 0xfffd
	v_add_co_ci_u32_e64 v3, null, s5, v3, vcc_lo
	v_add_co_u32 v20, vcc_lo, v20, s16
	s_wait_alu 0xfffd
	v_add_co_ci_u32_e64 v21, null, 0, v21, vcc_lo
	global_load_b32 v2, v[2:3], off
	v_cmp_le_u64_e32 vcc_lo, s[18:19], v[20:21]
	s_wait_loadcnt 0x3
	v_xor_b32_e32 v3, 0x80000000, v6
	s_delay_alu instid0(VALU_DEP_1)
	v_and_b32_e32 v6, v3, v31
	s_wait_loadcnt 0x2
	v_xor_b32_e32 v4, 0x80000000, v4
	v_bfe_u32 v3, v3, s93, 2
	s_wait_loadcnt 0x1
	v_xor_b32_e32 v5, 0x80000000, v5
	v_cmp_eq_u32_e64 s4, v6, v27
	v_and_b32_e32 v6, v4, v31
	v_bfe_u32 v4, v4, s93, 2
	v_cmp_eq_u32_e64 s5, 0, v3
	v_cmp_eq_u32_e64 s6, 1, v3
	;; [unrolled: 1-line block ×4, first 2 shown]
	s_wait_loadcnt 0x0
	v_xor_b32_e32 v2, 0x80000000, v2
	v_cmp_eq_u32_e64 s9, v6, v27
	v_and_b32_e32 v3, v5, v31
	v_bfe_u32 v5, v5, s93, 2
	v_cmp_eq_u32_e64 s10, 0, v4
	s_and_b32 s5, s4, s5
	s_and_b32 s6, s4, s6
	;; [unrolled: 1-line block ×3, first 2 shown]
	s_wait_alu 0xfffe
	v_cndmask_b32_e64 v6, 0, 1, s5
	v_cmp_eq_u32_e64 s5, 1, v4
	v_cndmask_b32_e64 v7, 0, 1, s6
	v_cmp_eq_u32_e64 s6, 2, v4
	;; [unrolled: 2-line block ×3, first 2 shown]
	s_and_b32 s4, s4, s8
	v_cmp_eq_u32_e64 s8, 0, v5
	s_wait_alu 0xfffe
	v_cndmask_b32_e64 v4, 0, 1, s4
	v_cmp_eq_u32_e64 s4, v3, v27
	v_and_b32_e32 v3, v2, v31
	v_bfe_u32 v2, v2, s93, 2
	s_and_b32 s10, s9, s10
	v_cmp_ne_u32_e64 s11, 0, v6
	s_wait_alu 0xfffe
	v_cndmask_b32_e64 v6, 0, 1, s10
	v_cmp_eq_u32_e64 s10, 1, v5
	s_and_b32 s5, s9, s5
	s_and_b32 s6, s9, s6
	;; [unrolled: 1-line block ×3, first 2 shown]
	v_cmp_ne_u32_e64 s12, 0, v7
	s_wait_alu 0xfffe
	v_cndmask_b32_e64 v7, 0, 1, s5
	v_cmp_eq_u32_e64 s5, 2, v5
	v_cmp_ne_u32_e64 s13, 0, v8
	v_cndmask_b32_e64 v8, 0, 1, s6
	v_cmp_eq_u32_e64 s6, 3, v5
	v_cmp_ne_u32_e64 s14, 0, v4
	v_cndmask_b32_e64 v4, 0, 1, s7
	v_cmp_eq_u32_e64 s7, v3, v27
	v_cmp_eq_u32_e64 s9, 0, v2
	s_and_b32 s8, s4, s8
	s_and_b32 s10, s4, s10
	s_wait_alu 0xfffe
	v_cndmask_b32_e64 v3, 0, 1, s8
	v_cmp_eq_u32_e64 s8, 1, v2
	v_cndmask_b32_e64 v5, 0, 1, s10
	v_cmp_eq_u32_e64 s10, 2, v2
	s_and_b32 s5, s4, s5
	s_and_b32 s4, s4, s6
	s_and_b32 s6, s7, s9
	s_bcnt1_i32_b32 s56, s11
	v_cmp_ne_u32_e64 s11, 0, v6
	s_wait_alu 0xfffe
	v_cndmask_b32_e64 v6, 0, 1, s5
	v_cmp_eq_u32_e64 s5, 3, v2
	s_bcnt1_i32_b32 s77, s14
	v_cmp_ne_u32_e64 s14, 0, v4
	v_cndmask_b32_e64 v2, 0, 1, s4
	v_cmp_ne_u32_e64 s4, 0, v3
	v_cndmask_b32_e64 v3, 0, 1, s6
	s_and_b32 s8, s7, s8
	s_and_b32 s9, s7, s10
	s_wait_alu 0xfffe
	v_cndmask_b32_e64 v4, 0, 1, s8
	s_bcnt1_i32_b32 s57, s12
	v_cmp_ne_u32_e64 s12, 0, v7
	v_cmp_ne_u32_e64 s6, 0, v5
	v_cndmask_b32_e64 v5, 0, 1, s9
	s_and_b32 s5, s7, s5
	s_bcnt1_i32_b32 s68, s13
	v_cmp_ne_u32_e64 s13, 0, v8
	s_bcnt1_i32_b32 s10, s14
	s_bcnt1_i32_b32 s14, s4
	v_cmp_ne_u32_e64 s4, 0, v3
	s_bcnt1_i32_b32 s11, s11
	v_cmp_ne_u32_e64 s9, 0, v2
	s_wait_alu 0xfffe
	v_cndmask_b32_e64 v2, 0, 1, s5
	v_cmp_ne_u32_e64 s8, 0, v6
	v_cmp_ne_u32_e64 s5, 0, v4
	s_bcnt1_i32_b32 s12, s12
	s_add_co_i32 s11, s11, s56
	s_bcnt1_i32_b32 s56, s6
	v_cmp_ne_u32_e64 s6, 0, v5
	s_bcnt1_i32_b32 s13, s13
	s_wait_alu 0xfffe
	s_add_co_i32 s12, s12, s57
	s_add_co_i32 s11, s11, s14
	s_bcnt1_i32_b32 s4, s4
	v_cmp_ne_u32_e64 s7, 0, v2
	s_add_co_i32 s13, s13, s68
	s_bcnt1_i32_b32 s8, s8
	s_wait_alu 0xfffe
	s_add_co_i32 s12, s12, s56
	s_bcnt1_i32_b32 s5, s5
	s_add_co_i32 s68, s11, s4
	s_add_co_i32 s10, s10, s77
	s_bcnt1_i32_b32 s9, s9
	s_add_co_i32 s8, s13, s8
	s_bcnt1_i32_b32 s6, s6
	s_wait_alu 0xfffe
	s_add_nc_u64 s[80:81], s[80:81], s[68:69]
	s_add_co_i32 s68, s12, s5
	s_add_co_i32 s9, s10, s9
	s_bcnt1_i32_b32 s7, s7
	s_wait_alu 0xfffe
	s_add_nc_u64 s[78:79], s[78:79], s[68:69]
	s_add_co_i32 s68, s8, s6
	s_wait_alu 0xfffe
	v_mov_b32_e32 v4, s78
	s_add_nc_u64 s[22:23], s[22:23], s[68:69]
	s_add_co_i32 s68, s9, s7
	v_mov_b32_e32 v2, s80
	s_wait_alu 0xfffe
	s_add_nc_u64 s[20:21], s[20:21], s[68:69]
	v_dual_mov_b32 v6, s22 :: v_dual_mov_b32 v3, s81
	v_mov_b32_e32 v5, s79
	s_wait_alu 0xfffe
	v_dual_mov_b32 v7, s23 :: v_dual_mov_b32 v8, s20
	v_mov_b32_e32 v9, s21
	s_or_b32 s17, vcc_lo, s17
	s_wait_alu 0xfffe
	s_and_not1_b32 exec_lo, exec_lo, s17
	s_cbranch_execnz .LBB94_65
; %bb.66:                               ;   in Loop: Header=BB94_23 Depth=1
	s_or_b32 exec_lo, exec_lo, s17
.LBB94_67:                              ;   in Loop: Header=BB94_23 Depth=1
	s_delay_alu instid0(SALU_CYCLE_1)
	s_or_b32 exec_lo, exec_lo, s15
	v_add_co_u32 v20, s4, s18, v0
	v_and_b32_e32 v16, 0xffff, v16
	s_wait_alu 0xf1ff
	v_add_co_ci_u32_e64 v21, null, s19, 0, s4
	s_mov_b32 s7, exec_lo
	v_cmpx_gt_u64_e64 s[24:25], v[20:21]
	s_cbranch_execz .LBB94_73
; %bb.68:                               ;   in Loop: Header=BB94_23 Depth=1
	v_mul_lo_u32 v32, v21, s54
	v_mul_lo_u32 v33, v20, s55
	v_mad_co_u64_u32 v[22:23], null, v20, s54, 0
	s_mov_b32 s8, 0
	v_add3_u32 v23, v23, v33, v32
	s_delay_alu instid0(VALU_DEP_1) | instskip(NEXT) | instid1(VALU_DEP_1)
	v_lshlrev_b64_e32 v[22:23], 2, v[22:23]
	v_add_co_u32 v22, vcc_lo, s62, v22
	s_wait_alu 0xfffd
	s_delay_alu instid0(VALU_DEP_2)
	v_add_co_ci_u32_e64 v23, null, s63, v23, vcc_lo
	global_load_b32 v23, v[22:23], off
	s_branch .LBB94_70
.LBB94_69:                              ;   in Loop: Header=BB94_70 Depth=2
	s_wait_alu 0xfffe
	s_or_b32 exec_lo, exec_lo, s5
	s_wait_loadcnt 0x0
	v_xor_b32_e32 v23, 0x80000000, v23
	s_and_b32 s6, exec_lo, vcc_lo
	s_wait_alu 0xfffe
	s_or_b32 s8, s6, s8
	s_delay_alu instid0(VALU_DEP_1) | instskip(SKIP_1) | instid1(VALU_DEP_2)
	v_and_b32_e32 v32, v23, v31
	v_bfe_u32 v23, v23, s93, 2
	v_cmp_eq_u32_e64 s4, v32, v27
	s_delay_alu instid0(VALU_DEP_2)
	v_cmp_eq_u32_e64 s5, 0, v23
	v_cmp_eq_u32_e32 vcc_lo, 1, v23
	v_cmp_eq_u32_e64 s6, 2, v23
	s_and_b32 s5, s4, s5
	s_wait_alu 0xfffe
	v_cndmask_b32_e64 v32, 0, 1, s5
	s_and_b32 s5, s4, vcc_lo
	v_cmp_eq_u32_e32 vcc_lo, 3, v23
	s_wait_alu 0xfffe
	v_cndmask_b32_e64 v33, 0, 1, s5
	s_and_b32 s5, s4, s6
	s_wait_alu 0xfffe
	v_cndmask_b32_e64 v23, 0, 1, s5
	v_cmp_ne_u32_e64 s5, 0, v32
	v_cmp_ne_u32_e64 s6, 0, v33
	s_and_b32 s4, s4, vcc_lo
	s_wait_alu 0xfffe
	v_cndmask_b32_e64 v32, 0, 1, s4
	s_bcnt1_i32_b32 s4, s5
	v_cmp_ne_u32_e32 vcc_lo, 0, v23
	s_bcnt1_i32_b32 s5, s6
	s_wait_alu 0xfffe
	v_add_co_u32 v2, s4, v2, s4
	s_wait_alu 0xf1ff
	v_add_co_ci_u32_e64 v3, null, 0, v3, s4
	v_add_co_u32 v4, s4, v4, s5
	s_wait_alu 0xf1ff
	v_add_co_ci_u32_e64 v5, null, 0, v5, s4
	s_bcnt1_i32_b32 s4, vcc_lo
	v_cmp_ne_u32_e32 vcc_lo, 0, v32
	s_wait_alu 0xfffe
	v_add_co_u32 v6, s4, v6, s4
	s_wait_alu 0xf1ff
	v_add_co_ci_u32_e64 v7, null, 0, v7, s4
	s_bcnt1_i32_b32 s4, vcc_lo
	v_mov_b32_e32 v23, v22
	s_wait_alu 0xfffe
	v_add_co_u32 v8, vcc_lo, v8, s4
	s_wait_alu 0xfffd
	v_add_co_ci_u32_e64 v9, null, 0, v9, vcc_lo
	s_and_not1_b32 exec_lo, exec_lo, s8
	s_cbranch_execz .LBB94_72
.LBB94_70:                              ;   Parent Loop BB94_23 Depth=1
                                        ; =>  This Inner Loop Header: Depth=2
	v_add_co_u32 v20, vcc_lo, v20, v16
	s_wait_alu 0xfffd
	v_add_co_ci_u32_e64 v21, null, 0, v21, vcc_lo
	v_mov_b32_e32 v22, 0
	s_mov_b32 s5, exec_lo
	s_delay_alu instid0(VALU_DEP_2)
	v_cmp_le_u64_e32 vcc_lo, s[24:25], v[20:21]
	v_cmpx_gt_u64_e64 s[24:25], v[20:21]
	s_cbranch_execz .LBB94_69
; %bb.71:                               ;   in Loop: Header=BB94_70 Depth=2
	v_mul_lo_u32 v22, v21, s54
	v_mul_lo_u32 v34, v20, s55
	v_mad_co_u64_u32 v[32:33], null, v20, s54, 0
	s_delay_alu instid0(VALU_DEP_1) | instskip(NEXT) | instid1(VALU_DEP_1)
	v_add3_u32 v33, v33, v34, v22
	v_lshlrev_b64_e32 v[32:33], 2, v[32:33]
	s_delay_alu instid0(VALU_DEP_1) | instskip(SKIP_1) | instid1(VALU_DEP_2)
	v_add_co_u32 v32, s4, s62, v32
	s_wait_alu 0xf1ff
	v_add_co_ci_u32_e64 v33, null, s63, v33, s4
	global_load_b32 v22, v[32:33], off
	s_branch .LBB94_69
.LBB94_72:                              ;   in Loop: Header=BB94_23 Depth=1
	s_or_b32 exec_lo, exec_lo, s8
.LBB94_73:                              ;   in Loop: Header=BB94_23 Depth=1
	s_wait_alu 0xfffe
	s_or_b32 exec_lo, exec_lo, s7
	s_branch .LBB94_52
.LBB94_74:                              ;   in Loop: Header=BB94_23 Depth=1
	global_load_u16 v2, v10, s[74:75]
	v_mov_b32_e32 v4, 0
	v_mov_b32_e32 v6, 0
	v_dual_mov_b32 v8, 0 :: v_dual_mov_b32 v7, 0
	v_mov_b32_e32 v9, 0
	s_mov_b32 vcc_hi, exec_lo
	v_mov_b32_e32 v5, 0
	s_wait_loadcnt 0x0
	v_readfirstlane_b32 s4, v2
	v_and_b32_e32 v16, 0xffff, v2
	s_and_b32 s103, 0xffff, s4
	s_delay_alu instid0(SALU_CYCLE_1) | instskip(SKIP_4) | instid1(SALU_CYCLE_1)
	s_lshl_b32 s77, s103, 2
	s_wait_alu 0xfffe
	s_cvt_f32_u32 s4, s77
	s_sub_co_i32 s5, 0, s77
	s_wait_alu 0xfffe
	v_rcp_iflag_f32_e32 v3, s4
	s_delay_alu instid0(TRANS32_DEP_1) | instskip(SKIP_2) | instid1(SALU_CYCLE_2)
	v_readfirstlane_b32 s4, v3
	s_mul_f32 s4, s4, 0x4f7ffffe
	s_wait_alu 0xfffe
	s_cvt_u32_f32 s4, s4
	s_wait_alu 0xfffe
	s_delay_alu instid0(SALU_CYCLE_2)
	s_mul_i32 s5, s5, s4
	s_wait_alu 0xfffe
	s_mul_hi_u32 s5, s4, s5
	s_wait_alu 0xfffe
	s_add_co_i32 s4, s4, s5
	s_wait_alu 0xfffe
	s_mul_hi_u32 s4, s76, s4
	s_wait_alu 0xfffe
	s_mul_i32 s5, s4, s77
	s_add_co_i32 s6, s4, 1
	s_wait_alu 0xfffe
	s_sub_co_i32 s5, s76, s5
	s_wait_alu 0xfffe
	s_sub_co_i32 s7, s5, s77
	s_cmp_ge_u32 s5, s77
	s_cselect_b32 s4, s6, s4
	s_wait_alu 0xfffe
	s_cselect_b32 s5, s7, s5
	s_add_co_i32 s6, s4, 1
	s_wait_alu 0xfffe
	s_cmp_ge_u32 s5, s77
	s_cselect_b32 s104, s6, s4
	s_wait_alu 0xfffe
	v_mul_hi_u32 v3, s104, v16
	v_mul_lo_u32 v2, s104, v16
	s_delay_alu instid0(VALU_DEP_1) | instskip(SKIP_2) | instid1(VALU_DEP_3)
	v_lshlrev_b64_e32 v[20:21], 2, v[2:3]
	v_mov_b32_e32 v2, 0
	v_mov_b32_e32 v3, 0
	v_cmpx_gt_u64_e64 v[20:21], v[11:12]
	s_cbranch_execz .LBB94_78
; %bb.75:                               ;   in Loop: Header=BB94_23 Depth=1
	v_dual_mov_b32 v32, v29 :: v_dual_mov_b32 v23, v12
	v_mov_b32_e32 v22, v11
	s_lshl_b32 s56, s103, 4
	s_mov_b64 s[78:79], 0
	s_mov_b32 s57, 0
	s_mov_b64 s[80:81], 0
	s_mov_b64 s[82:83], 0
	;; [unrolled: 1-line block ×3, first 2 shown]
.LBB94_76:                              ;   Parent Loop BB94_23 Depth=1
                                        ; =>  This Inner Loop Header: Depth=2
	ds_load_b128 v[2:5], v32
	v_add_co_u32 v22, vcc_lo, v22, s77
	s_wait_alu 0xfffd
	v_add_co_ci_u32_e64 v23, null, 0, v23, vcc_lo
	s_delay_alu instid0(VALU_DEP_1)
	v_cmp_ge_u64_e32 vcc_lo, v[22:23], v[20:21]
	s_wait_dscnt 0x0
	v_xor_b32_e32 v2, 0x80000000, v2
	v_xor_b32_e32 v3, 0x80000000, v3
	;; [unrolled: 1-line block ×4, first 2 shown]
	s_delay_alu instid0(VALU_DEP_4) | instskip(NEXT) | instid1(VALU_DEP_4)
	v_and_b32_e32 v6, v2, v31
	v_and_b32_e32 v7, v3, v31
	v_bfe_u32 v2, v2, s93, 2
	v_bfe_u32 v3, v3, s93, 2
	s_delay_alu instid0(VALU_DEP_4)
	v_cmp_eq_u32_e64 s4, v6, v27
	v_and_b32_e32 v6, v4, v31
	v_bfe_u32 v4, v4, s93, 2
	v_cmp_eq_u32_e64 s5, v7, v27
	v_and_b32_e32 v7, v5, v31
	v_bfe_u32 v5, v5, s93, 2
	v_cmp_eq_u32_e64 s8, 0, v2
	v_cmp_eq_u32_e64 s9, 0, v3
	;; [unrolled: 1-line block ×9, first 2 shown]
	s_and_b32 s8, s4, s8
	s_and_b32 s9, s5, s9
	v_cmp_eq_u32_e64 s13, 1, v3
	v_cmp_eq_u32_e64 s16, 2, v2
	;; [unrolled: 1-line block ×5, first 2 shown]
	s_and_b32 s10, s6, s10
	s_wait_alu 0xfffe
	v_cndmask_b32_e64 v2, 0, 1, s8
	v_cndmask_b32_e64 v3, 0, 1, s9
	s_and_b32 s11, s7, s11
	v_cmp_eq_u32_e64 s18, 2, v4
	v_cmp_eq_u32_e64 s22, 3, v4
	v_cndmask_b32_e64 v4, 0, 1, s10
	v_cmp_eq_u32_e64 s19, 2, v5
	v_cmp_eq_u32_e64 s23, 3, v5
	s_and_b32 s12, s4, s12
	s_and_b32 s14, s6, s14
	;; [unrolled: 1-line block ×3, first 2 shown]
	s_wait_alu 0xfffe
	v_cndmask_b32_e64 v5, 0, 1, s11
	s_and_b32 s13, s5, s13
	s_and_b32 s16, s4, s16
	;; [unrolled: 1-line block ×5, first 2 shown]
	v_cndmask_b32_e64 v6, 0, 1, s12
	v_cmp_ne_u32_e64 s4, 0, v2
	v_cndmask_b32_e64 v2, 0, 1, s14
	v_cmp_ne_u32_e64 s5, 0, v3
	v_cndmask_b32_e64 v3, 0, 1, s15
	s_wait_alu 0xfffe
	v_cndmask_b32_e64 v7, 0, 1, s13
	s_and_b32 s18, s6, s18
	s_and_b32 s22, s6, s22
	v_cmp_ne_u32_e64 s6, 0, v4
	v_cndmask_b32_e64 v4, 0, 1, s16
	s_and_b32 s19, s7, s19
	s_and_b32 s23, s7, s23
	v_cmp_ne_u32_e64 s7, 0, v5
	v_cndmask_b32_e64 v5, 0, 1, s17
	v_cmp_ne_u32_e64 s8, 0, v6
	s_wait_alu 0xfffe
	v_cndmask_b32_e64 v6, 0, 1, s18
	v_cmp_ne_u32_e64 s10, 0, v2
	v_cndmask_b32_e64 v2, 0, 1, s20
	v_cmp_ne_u32_e64 s11, 0, v3
	;; [unrolled: 2-line block ×5, first 2 shown]
	v_cndmask_b32_e64 v5, 0, 1, s23
	s_bcnt1_i32_b32 s4, s4
	s_bcnt1_i32_b32 s5, s5
	v_cmp_ne_u32_e64 s14, 0, v6
	v_cmp_ne_u32_e64 s16, 0, v2
	;; [unrolled: 1-line block ×3, first 2 shown]
	s_bcnt1_i32_b32 s6, s6
	s_bcnt1_i32_b32 s8, s8
	;; [unrolled: 1-line block ×3, first 2 shown]
	s_wait_alu 0xfffe
	s_add_co_i32 s4, s5, s4
	v_cmp_ne_u32_e64 s15, 0, v7
	v_cmp_ne_u32_e64 s18, 0, v4
	s_bcnt1_i32_b32 s7, s7
	s_bcnt1_i32_b32 s10, s10
	;; [unrolled: 1-line block ×4, first 2 shown]
	s_add_co_i32 s5, s9, s8
	s_wait_alu 0xfffe
	s_add_co_i32 s4, s4, s6
	v_cmp_ne_u32_e64 s19, 0, v5
	s_bcnt1_i32_b32 s11, s11
	s_bcnt1_i32_b32 s14, s14
	;; [unrolled: 1-line block ×4, first 2 shown]
	s_add_co_i32 s8, s13, s12
	s_add_co_i32 s5, s5, s10
	s_wait_alu 0xfffe
	s_add_co_i32 s68, s4, s7
	s_bcnt1_i32_b32 s15, s15
	s_bcnt1_i32_b32 s18, s18
	s_add_co_i32 s9, s17, s16
	s_add_co_i32 s6, s8, s14
	s_wait_alu 0xfffe
	s_add_nc_u64 s[84:85], s[84:85], s[68:69]
	s_add_co_i32 s68, s5, s11
	s_bcnt1_i32_b32 s19, s19
	s_add_co_i32 s8, s9, s18
	s_wait_alu 0xfffe
	s_add_nc_u64 s[82:83], s[82:83], s[68:69]
	s_add_co_i32 s68, s6, s15
	v_mov_b32_e32 v2, s84
	s_wait_alu 0xfffe
	s_add_nc_u64 s[80:81], s[80:81], s[68:69]
	s_add_co_i32 s68, s8, s19
	v_mov_b32_e32 v4, s82
	s_wait_alu 0xfffe
	s_add_nc_u64 s[78:79], s[78:79], s[68:69]
	v_mov_b32_e32 v6, s80
	s_wait_alu 0xfffe
	v_mov_b32_e32 v8, s78
	v_dual_mov_b32 v3, s85 :: v_dual_add_nc_u32 v32, s56, v32
	v_mov_b32_e32 v5, s83
	v_mov_b32_e32 v7, s81
	;; [unrolled: 1-line block ×3, first 2 shown]
	s_or_b32 s57, vcc_lo, s57
	s_wait_alu 0xfffe
	s_and_not1_b32 exec_lo, exec_lo, s57
	s_cbranch_execnz .LBB94_76
; %bb.77:                               ;   in Loop: Header=BB94_23 Depth=1
	s_or_b32 exec_lo, exec_lo, s57
.LBB94_78:                              ;   in Loop: Header=BB94_23 Depth=1
	s_delay_alu instid0(SALU_CYCLE_1)
	s_or_b32 exec_lo, exec_lo, vcc_hi
	v_add_co_u32 v20, vcc_lo, v20, v0
	s_wait_alu 0xfffd
	v_add_co_ci_u32_e64 v21, null, 0, v21, vcc_lo
	s_and_b32 s68, s76, 0x7fffffff
	s_mov_b32 s9, exec_lo
	s_wait_alu 0xfffe
	v_cmpx_gt_u64_e64 s[68:69], v[20:21]
	s_cbranch_execz .LBB94_82
; %bb.79:                               ;   in Loop: Header=BB94_23 Depth=1
	s_mul_i32 s104, s104, s103
	s_mov_b32 s10, 0
	s_wait_alu 0xfffe
	v_lshl_add_u32 v22, s104, 4, v11
.LBB94_80:                              ;   Parent Loop BB94_23 Depth=1
                                        ; =>  This Inner Loop Header: Depth=2
	ds_load_b32 v23, v22
	v_add_co_u32 v20, vcc_lo, v20, v16
	s_wait_alu 0xfffd
	v_add_co_ci_u32_e64 v21, null, 0, v21, vcc_lo
	v_add_nc_u32_e32 v22, s77, v22
	s_delay_alu instid0(VALU_DEP_2) | instskip(SKIP_2) | instid1(VALU_DEP_1)
	v_cmp_le_u64_e32 vcc_lo, s[68:69], v[20:21]
	s_wait_dscnt 0x0
	v_xor_b32_e32 v23, 0x80000000, v23
	v_and_b32_e32 v32, v23, v31
	v_bfe_u32 v23, v23, s93, 2
	s_delay_alu instid0(VALU_DEP_2) | instskip(NEXT) | instid1(VALU_DEP_2)
	v_cmp_eq_u32_e64 s4, v32, v27
	v_cmp_eq_u32_e64 s5, 0, v23
	;; [unrolled: 1-line block ×5, first 2 shown]
	s_and_b32 s5, s4, s5
	s_wait_alu 0xfffe
	v_cndmask_b32_e64 v23, 0, 1, s5
	s_and_b32 s5, s4, s6
	s_wait_alu 0xfffe
	v_cndmask_b32_e64 v32, 0, 1, s5
	s_and_b32 s5, s4, s7
	s_and_b32 s4, s4, s8
	s_wait_alu 0xfffe
	v_cndmask_b32_e64 v33, 0, 1, s5
	v_cndmask_b32_e64 v34, 0, 1, s4
	v_cmp_ne_u32_e64 s4, 0, v23
	v_cmp_ne_u32_e64 s5, 0, v32
	s_delay_alu instid0(VALU_DEP_4) | instskip(NEXT) | instid1(VALU_DEP_4)
	v_cmp_ne_u32_e64 s6, 0, v33
	v_cmp_ne_u32_e64 s7, 0, v34
	s_bcnt1_i32_b32 s4, s4
	s_bcnt1_i32_b32 s5, s5
	s_wait_alu 0xfffe
	v_add_co_u32 v2, s4, v2, s4
	s_bcnt1_i32_b32 s6, s6
	v_add_co_ci_u32_e64 v3, null, 0, v3, s4
	v_add_co_u32 v4, s4, v4, s5
	s_bcnt1_i32_b32 s7, s7
	v_add_co_ci_u32_e64 v5, null, 0, v5, s4
	s_wait_alu 0xfffe
	v_add_co_u32 v6, s4, v6, s6
	s_wait_alu 0xf1ff
	v_add_co_ci_u32_e64 v7, null, 0, v7, s4
	v_add_co_u32 v8, s4, v8, s7
	s_wait_alu 0xf1ff
	v_add_co_ci_u32_e64 v9, null, 0, v9, s4
	s_or_b32 s10, vcc_lo, s10
	s_wait_alu 0xfffe
	s_and_not1_b32 exec_lo, exec_lo, s10
	s_cbranch_execnz .LBB94_80
; %bb.81:                               ;   in Loop: Header=BB94_23 Depth=1
	s_or_b32 exec_lo, exec_lo, s10
.LBB94_82:                              ;   in Loop: Header=BB94_23 Depth=1
	s_wait_alu 0xfffe
	s_or_b32 exec_lo, exec_lo, s9
	s_lshl_b32 s4, s96, 7
	s_and_saveexec_b32 s5, s1
	s_cbranch_execnz .LBB94_53
	s_branch .LBB94_54
.LBB94_83:                              ;   in Loop: Header=BB94_23 Depth=1
                                        ; implicit-def: $sgpr4_sgpr5
	s_branch .LBB94_62
.LBB94_84:                              ;   in Loop: Header=BB94_23 Depth=1
	s_mov_b32 s6, 0
	s_and_not1_b32 vcc_lo, exec_lo, s91
	s_wait_alu 0xfffe
	s_cbranch_vccnz .LBB94_87
.LBB94_85:                              ;   in Loop: Header=BB94_23 Depth=1
	s_lshl_b32 s7, s96, 10
	s_lshl_b32 s6, s6, 5
	s_wait_alu 0xfffe
	v_add3_u32 v4, s7, s6, v30
	s_mov_b32 s6, s88
.LBB94_86:                              ;   Parent Loop BB94_23 Depth=1
                                        ; =>  This Inner Loop Header: Depth=2
	ds_load_b64 v[5:6], v4
	v_add_nc_u32_e32 v4, 32, v4
	s_wait_alu 0xfffe
	s_add_co_i32 s6, s6, -1
	s_wait_alu 0xfffe
	s_cmp_lg_u32 s6, 0
	s_wait_dscnt 0x0
	v_add_co_u32 v2, vcc_lo, v5, v2
	s_wait_alu 0xfffd
	v_add_co_ci_u32_e64 v3, null, v6, v3, vcc_lo
	s_cbranch_scc1 .LBB94_86
.LBB94_87:                              ;   in Loop: Header=BB94_23 Depth=1
	v_add_lshl_u32 v4, s4, v24, 3
	ds_store_b64 v4, v[2:3] offset:3072
.LBB94_88:                              ;   in Loop: Header=BB94_23 Depth=1
	s_wait_alu 0xfffe
	s_or_b32 exec_lo, exec_lo, s5
	s_lshl_b32 s4, s4, 3
	s_wait_loadcnt_dscnt 0x0
	s_wait_alu 0xfffe
	v_mov_b32_e32 v6, s4
	s_barrier_signal -1
	s_barrier_wait -1
	global_inv scope:SCOPE_SE
	v_cmp_eq_u64_e32 vcc_lo, 1, v[18:19]
	ds_load_b128 v[2:5], v6 offset:3072
	ds_load_b128 v[6:9], v6 offset:3088
	s_lshl_b32 s14, 3, s93
	s_mov_b32 s16, -1
	s_wait_alu 0xfffe
	s_not_b32 s18, s14
                                        ; implicit-def: $sgpr20
                                        ; implicit-def: $sgpr19
	s_wait_dscnt 0x1
	v_cmp_eq_u64_e64 s4, 1, v[2:3]
	s_wait_dscnt 0x0
	v_readfirstlane_b32 s8, v6
	v_readfirstlane_b32 s9, v7
	;; [unrolled: 1-line block ×4, first 2 shown]
	s_and_b32 s17, s4, vcc_lo
	s_mov_b32 s4, -1
	s_wait_alu 0xfffe
	s_and_saveexec_b32 s15, s17
	s_cbranch_execz .LBB94_120
; %bb.89:                               ;   in Loop: Header=BB94_23 Depth=1
	ds_load_b64 v[6:7], v10 offset:5120
	s_wait_loadcnt_dscnt 0x0
	s_barrier_signal -1
	s_barrier_wait -1
	global_inv scope:SCOPE_SE
	v_readfirstlane_b32 s4, v6
	v_readfirstlane_b32 s5, v7
	s_and_saveexec_b32 s10, s3
; %bb.90:                               ;   in Loop: Header=BB94_23 Depth=1
	ds_store_b32 v25, v10
; %bb.91:                               ;   in Loop: Header=BB94_23 Depth=1
	s_wait_alu 0xfffe
	s_or_b32 exec_lo, exec_lo, s10
	v_and_b32_e32 v27, s18, v27
	v_or_b32_e32 v31, s14, v31
	s_mov_b32 s19, -1
	s_mov_b32 s20, 0
	s_cmp_eq_u64 s[4:5], 0
	s_mov_b32 s12, 0
	s_mov_b32 s13, -1
	s_wait_loadcnt_dscnt 0x0
	s_barrier_signal -1
	s_barrier_wait -1
	global_inv scope:SCOPE_SE
                                        ; implicit-def: $vgpr17
	s_cbranch_scc1 .LBB94_105
; %bb.92:                               ;   in Loop: Header=BB94_23 Depth=1
	s_add_nc_u64 s[10:11], s[4:5], s[70:71]
	s_mov_b32 s12, s69
	s_wait_alu 0xfffe
	s_mov_b32 s13, s11
	s_wait_alu 0xfffe
	s_cmp_lg_u64 s[12:13], 0
	s_cbranch_scc0 .LBB94_146
; %bb.93:                               ;   in Loop: Header=BB94_23 Depth=1
	s_cvt_f32_u32 s12, s64
	s_sub_nc_u64 s[22:23], 0, s[64:65]
	s_wait_alu 0xfffe
	s_delay_alu instid0(SALU_CYCLE_1) | instskip(SKIP_1) | instid1(SALU_CYCLE_2)
	s_fmamk_f32 s12, s95, 0x0, s12
	s_wait_alu 0xfffe
	v_s_rcp_f32 s12, s12
	s_delay_alu instid0(TRANS32_DEP_1) | instskip(SKIP_1) | instid1(SALU_CYCLE_2)
	s_mul_f32 s12, s12, 0x5f7ffffc
	s_wait_alu 0xfffe
	s_mul_f32 s13, s12, 0x2f800000
	s_wait_alu 0xfffe
	s_delay_alu instid0(SALU_CYCLE_2) | instskip(SKIP_1) | instid1(SALU_CYCLE_2)
	s_trunc_f32 s13, s13
	s_wait_alu 0xfffe
	s_fmamk_f32 s12, s13, 0xcf800000, s12
	s_cvt_u32_f32 s13, s13
	s_wait_alu 0xfffe
	s_delay_alu instid0(SALU_CYCLE_1) | instskip(SKIP_1) | instid1(SALU_CYCLE_2)
	s_cvt_u32_f32 s12, s12
	s_wait_alu 0xfffe
	s_mul_u64 s[56:57], s[22:23], s[12:13]
	s_wait_alu 0xfffe
	s_mul_hi_u32 s77, s12, s57
	s_mul_i32 s76, s12, s57
	s_mul_hi_u32 s68, s12, s56
	s_mul_i32 s78, s13, s56
	s_wait_alu 0xfffe
	s_add_nc_u64 s[76:77], s[68:69], s[76:77]
	s_mul_hi_u32 s21, s13, s56
	s_mul_hi_u32 s79, s13, s57
	s_mul_i32 s56, s13, s57
	s_wait_alu 0xfffe
	s_add_co_u32 s57, s76, s78
	s_add_co_ci_u32 s68, s77, s21
	s_add_co_ci_u32 s57, s79, 0
	s_wait_alu 0xfffe
	s_add_nc_u64 s[56:57], s[68:69], s[56:57]
	s_wait_alu 0xfffe
	s_add_co_u32 s12, s12, s56
	s_cselect_b32 s21, -1, 0
	s_wait_alu 0xfffe
	s_cmp_lg_u32 s21, 0
	s_add_co_ci_u32 s13, s13, s57
	s_wait_alu 0xfffe
	s_mul_u64 s[22:23], s[22:23], s[12:13]
	s_wait_alu 0xfffe
	s_mul_hi_u32 s57, s12, s23
	s_mul_i32 s56, s12, s23
	s_mul_hi_u32 s68, s12, s22
	s_mul_i32 s76, s13, s22
	s_wait_alu 0xfffe
	s_add_nc_u64 s[56:57], s[68:69], s[56:57]
	s_mul_hi_u32 s21, s13, s22
	s_mul_hi_u32 s77, s13, s23
	s_mul_i32 s22, s13, s23
	s_wait_alu 0xfffe
	s_add_co_u32 s23, s56, s76
	s_add_co_ci_u32 s68, s57, s21
	s_add_co_ci_u32 s23, s77, 0
	s_wait_alu 0xfffe
	s_add_nc_u64 s[22:23], s[68:69], s[22:23]
	s_wait_alu 0xfffe
	s_add_co_u32 s12, s12, s22
	s_cselect_b32 s21, -1, 0
	s_wait_alu 0xfffe
	s_mul_hi_u32 s68, s10, s12
	s_cmp_lg_u32 s21, 0
	s_mul_hi_u32 s21, s11, s12
	s_add_co_ci_u32 s22, s13, s23
	s_mul_i32 s23, s11, s12
	s_wait_alu 0xfffe
	s_mul_hi_u32 s13, s10, s22
	s_mul_i32 s12, s10, s22
	s_mul_hi_u32 s56, s11, s22
	s_wait_alu 0xfffe
	s_add_nc_u64 s[12:13], s[68:69], s[12:13]
	s_mul_i32 s22, s11, s22
	s_wait_alu 0xfffe
	s_add_co_u32 s12, s12, s23
	s_add_co_ci_u32 s68, s13, s21
	s_add_co_ci_u32 s23, s56, 0
	s_wait_alu 0xfffe
	s_add_nc_u64 s[12:13], s[68:69], s[22:23]
	s_wait_alu 0xfffe
	s_mul_u64 s[12:13], s[64:65], s[12:13]
	s_wait_alu 0xfffe
	s_sub_co_u32 s12, s10, s12
	s_cselect_b32 s21, -1, 0
	s_wait_alu 0xfffe
	s_cmp_lg_u32 s21, 0
	s_sub_co_ci_u32 s13, s11, s13
	s_sub_co_u32 s21, s12, s64
	s_cselect_b32 s22, -1, 0
	s_wait_alu 0xfffe
	s_cmp_lg_u32 s22, 0
	s_sub_co_ci_u32 s22, s13, 0
	;; [unrolled: 5-line block ×3, first 2 shown]
	s_cmp_ge_u32 s21, s64
	s_cselect_b32 s57, -1, 0
	s_cmp_eq_u32 s22, 0
	s_wait_alu 0xfffe
	s_cselect_b32 s57, s57, -1
	s_wait_alu 0xfffe
	s_cmp_lg_u32 s57, 0
	s_cselect_b32 s22, s56, s22
	s_cselect_b32 s21, s23, s21
	s_cmp_ge_u32 s12, s64
	s_cselect_b32 s23, -1, 0
	s_cmp_eq_u32 s13, 0
	s_wait_alu 0xfffe
	s_cselect_b32 s23, s23, -1
	s_wait_alu 0xfffe
	s_cmp_lg_u32 s23, 0
	s_cselect_b32 s13, s22, s13
	s_cselect_b32 s12, s21, s12
	s_cbranch_execnz .LBB94_95
.LBB94_94:                              ;   in Loop: Header=BB94_23 Depth=1
	v_cvt_f32_u32_e32 v6, s64
	s_sub_co_i32 s13, 0, s64
	s_delay_alu instid0(VALU_DEP_1) | instskip(NEXT) | instid1(TRANS32_DEP_1)
	v_rcp_iflag_f32_e32 v6, v6
	v_mul_f32_e32 v6, 0x4f7ffffe, v6
	s_delay_alu instid0(VALU_DEP_1) | instskip(NEXT) | instid1(VALU_DEP_1)
	v_cvt_u32_f32_e32 v6, v6
	v_readfirstlane_b32 s12, v6
	s_wait_alu 0xfffe
	s_mul_i32 s13, s13, s12
	s_wait_alu 0xfffe
	s_mul_hi_u32 s13, s12, s13
	s_wait_alu 0xfffe
	s_add_co_i32 s12, s12, s13
	s_wait_alu 0xfffe
	s_mul_hi_u32 s12, s10, s12
	s_wait_alu 0xfffe
	s_mul_i32 s12, s12, s64
	s_wait_alu 0xfffe
	s_sub_co_i32 s12, s10, s12
	s_wait_alu 0xfffe
	s_sub_co_i32 s13, s12, s64
	s_cmp_ge_u32 s12, s64
	s_wait_alu 0xfffe
	s_cselect_b32 s12, s13, s12
	s_wait_alu 0xfffe
	s_sub_co_i32 s13, s12, s64
	s_cmp_ge_u32 s12, s64
	s_wait_alu 0xfffe
	s_cselect_b32 s68, s13, s12
	s_wait_alu 0xfffe
	s_mov_b64 s[12:13], s[68:69]
.LBB94_95:                              ;   in Loop: Header=BB94_23 Depth=1
	s_wait_alu 0xfffe
	s_sub_nc_u64 s[10:11], s[10:11], s[12:13]
	s_mov_b32 s13, 0
	s_mov_b32 s12, 0
	s_mov_b32 s21, exec_lo
                                        ; implicit-def: $vgpr17
	s_wait_alu 0xfffe
	v_cmpx_gt_u64_e64 s[10:11], v[0:1]
	s_cbranch_execz .LBB94_104
; %bb.96:                               ;   in Loop: Header=BB94_23 Depth=1
	v_dual_mov_b32 v8, v11 :: v_dual_mov_b32 v7, v1
	v_mov_b32_e32 v6, v0
                                        ; implicit-def: $sgpr22
	s_branch .LBB94_99
.LBB94_97:                              ;   in Loop: Header=BB94_99 Depth=2
	s_wait_alu 0xfffe
	s_or_b32 exec_lo, exec_lo, s23
	s_wait_loadcnt_dscnt 0x0
	s_barrier_signal -1
	s_barrier_wait -1
	global_inv scope:SCOPE_SE
	ds_load_b64 v[16:17], v10 offset:3072
	s_mov_b32 s23, -1
	s_mov_b32 s56, -1
	s_wait_loadcnt_dscnt 0x0
	s_barrier_signal -1
	s_barrier_wait -1
	global_inv scope:SCOPE_SE
	v_cmp_ne_u32_e32 vcc_lo, 0, v16
	s_cbranch_vccz .LBB94_102
.LBB94_98:                              ;   in Loop: Header=BB94_99 Depth=2
	s_wait_alu 0xfffe
	s_and_b32 s23, exec_lo, s23
	s_wait_alu 0xfffe
	s_or_b32 s12, s23, s12
	s_and_not1_b32 s22, s22, exec_lo
	s_and_b32 s23, s56, exec_lo
	s_wait_alu 0xfffe
	s_or_b32 s22, s22, s23
	s_and_not1_b32 exec_lo, exec_lo, s12
	s_cbranch_execz .LBB94_103
.LBB94_99:                              ;   Parent Loop BB94_23 Depth=1
                                        ; =>  This Inner Loop Header: Depth=2
	s_mov_b32 s23, exec_lo
	s_delay_alu instid0(VALU_DEP_1)
	v_cmpx_gt_u64_e64 s[4:5], v[6:7]
	s_cbranch_execz .LBB94_97
; %bb.100:                              ;   in Loop: Header=BB94_99 Depth=2
	ds_load_b32 v16, v8
	s_wait_dscnt 0x0
	v_xor_b32_e32 v9, 0x80000000, v16
	s_delay_alu instid0(VALU_DEP_1) | instskip(NEXT) | instid1(VALU_DEP_1)
	v_and_b32_e32 v9, v9, v31
	v_cmp_eq_u32_e32 vcc_lo, v9, v27
	s_and_b32 exec_lo, exec_lo, vcc_lo
	s_cbranch_execz .LBB94_97
; %bb.101:                              ;   in Loop: Header=BB94_99 Depth=2
	ds_store_b64 v10, v[15:16] offset:3072
	s_branch .LBB94_97
.LBB94_102:                             ;   in Loop: Header=BB94_99 Depth=2
	v_add_co_u32 v6, vcc_lo, v6, s64
	s_wait_alu 0xfffd
	v_add_co_ci_u32_e64 v7, null, 0, v7, vcc_lo
	v_add_nc_u32_e32 v8, s92, v8
	s_mov_b32 s56, 0
	s_delay_alu instid0(VALU_DEP_2)
	v_cmp_le_u64_e32 vcc_lo, s[10:11], v[6:7]
	s_or_not1_b32 s23, vcc_lo, exec_lo
	s_branch .LBB94_98
.LBB94_103:                             ;   in Loop: Header=BB94_23 Depth=1
	s_or_b32 exec_lo, exec_lo, s12
	s_wait_alu 0xfffe
	s_and_b32 s12, s22, exec_lo
.LBB94_104:                             ;   in Loop: Header=BB94_23 Depth=1
	s_or_b32 exec_lo, exec_lo, s21
.LBB94_105:                             ;   in Loop: Header=BB94_23 Depth=1
	s_wait_alu 0xfffe
	s_and_b32 vcc_lo, exec_lo, s13
	s_wait_alu 0xfffe
	s_cbranch_vccz .LBB94_119
; %bb.106:                              ;   in Loop: Header=BB94_23 Depth=1
	s_mov_b32 s4, s69
	s_mov_b32 s5, s73
	s_wait_alu 0xfffe
	s_cmp_lg_u64 s[4:5], 0
	s_cbranch_scc0 .LBB94_150
; %bb.107:                              ;   in Loop: Header=BB94_23 Depth=1
	s_cvt_f32_u32 s4, s64
	s_sub_nc_u64 s[10:11], 0, s[64:65]
	s_wait_alu 0xfffe
	s_delay_alu instid0(SALU_CYCLE_1) | instskip(SKIP_1) | instid1(SALU_CYCLE_2)
	s_fmamk_f32 s4, s95, 0x0, s4
	s_wait_alu 0xfffe
	v_s_rcp_f32 s4, s4
	s_delay_alu instid0(TRANS32_DEP_1) | instskip(SKIP_1) | instid1(SALU_CYCLE_2)
	s_mul_f32 s4, s4, 0x5f7ffffc
	s_wait_alu 0xfffe
	s_mul_f32 s5, s4, 0x2f800000
	s_wait_alu 0xfffe
	s_delay_alu instid0(SALU_CYCLE_2) | instskip(SKIP_1) | instid1(SALU_CYCLE_2)
	s_trunc_f32 s5, s5
	s_wait_alu 0xfffe
	s_fmamk_f32 s4, s5, 0xcf800000, s4
	s_cvt_u32_f32 s5, s5
	s_wait_alu 0xfffe
	s_delay_alu instid0(SALU_CYCLE_1) | instskip(SKIP_1) | instid1(SALU_CYCLE_2)
	s_cvt_u32_f32 s4, s4
	s_wait_alu 0xfffe
	s_mul_u64 s[20:21], s[10:11], s[4:5]
	s_wait_alu 0xfffe
	s_mul_hi_u32 s23, s4, s21
	s_mul_i32 s22, s4, s21
	s_mul_hi_u32 s68, s4, s20
	s_mul_i32 s19, s5, s20
	s_wait_alu 0xfffe
	s_add_nc_u64 s[22:23], s[68:69], s[22:23]
	s_mul_hi_u32 s13, s5, s20
	s_mul_hi_u32 s56, s5, s21
	s_wait_alu 0xfffe
	s_add_co_u32 s19, s22, s19
	s_add_co_ci_u32 s68, s23, s13
	s_mul_i32 s20, s5, s21
	s_add_co_ci_u32 s21, s56, 0
	s_wait_alu 0xfffe
	s_add_nc_u64 s[20:21], s[68:69], s[20:21]
	s_wait_alu 0xfffe
	s_add_co_u32 s4, s4, s20
	s_cselect_b32 s13, -1, 0
	s_wait_alu 0xfffe
	s_cmp_lg_u32 s13, 0
	s_add_co_ci_u32 s5, s5, s21
	s_wait_alu 0xfffe
	s_mul_u64 s[10:11], s[10:11], s[4:5]
	s_wait_alu 0xfffe
	s_mul_hi_u32 s21, s4, s11
	s_mul_i32 s20, s4, s11
	s_mul_hi_u32 s68, s4, s10
	s_mul_i32 s19, s5, s10
	s_wait_alu 0xfffe
	s_add_nc_u64 s[20:21], s[68:69], s[20:21]
	s_mul_hi_u32 s13, s5, s10
	s_mul_hi_u32 s22, s5, s11
	s_mul_i32 s10, s5, s11
	s_wait_alu 0xfffe
	s_add_co_u32 s11, s20, s19
	s_add_co_ci_u32 s68, s21, s13
	s_add_co_ci_u32 s11, s22, 0
	s_wait_alu 0xfffe
	s_add_nc_u64 s[10:11], s[68:69], s[10:11]
	s_wait_alu 0xfffe
	s_add_co_u32 s4, s4, s10
	s_cselect_b32 s10, -1, 0
	s_wait_alu 0xfffe
	s_mul_hi_u32 s68, s72, s4
	s_cmp_lg_u32 s10, 0
	s_mul_hi_u32 s13, s73, s4
	s_add_co_ci_u32 s10, s5, s11
	s_mul_i32 s11, s73, s4
	s_wait_alu 0xfffe
	s_mul_hi_u32 s5, s72, s10
	s_mul_i32 s4, s72, s10
	s_mul_hi_u32 s19, s73, s10
	s_wait_alu 0xfffe
	s_add_nc_u64 s[4:5], s[68:69], s[4:5]
	s_mul_i32 s10, s73, s10
	s_wait_alu 0xfffe
	s_add_co_u32 s4, s4, s11
	s_add_co_ci_u32 s68, s5, s13
	s_add_co_ci_u32 s11, s19, 0
	s_wait_alu 0xfffe
	s_add_nc_u64 s[4:5], s[68:69], s[10:11]
	s_wait_alu 0xfffe
	s_mul_u64 s[4:5], s[64:65], s[4:5]
	s_wait_alu 0xfffe
	s_sub_co_u32 s4, s72, s4
	s_cselect_b32 s10, -1, 0
	s_wait_alu 0xfffe
	s_cmp_lg_u32 s10, 0
	s_sub_co_ci_u32 s5, s73, s5
	s_sub_co_u32 s10, s4, s64
	s_cselect_b32 s11, -1, 0
	s_wait_alu 0xfffe
	s_cmp_lg_u32 s11, 0
	s_sub_co_ci_u32 s11, s5, 0
	;; [unrolled: 5-line block ×3, first 2 shown]
	s_cmp_ge_u32 s10, s64
	s_cselect_b32 s20, -1, 0
	s_cmp_eq_u32 s11, 0
	s_wait_alu 0xfffe
	s_cselect_b32 s20, s20, -1
	s_wait_alu 0xfffe
	s_cmp_lg_u32 s20, 0
	s_cselect_b32 s11, s19, s11
	s_cselect_b32 s10, s13, s10
	s_cmp_ge_u32 s4, s64
	s_cselect_b32 s13, -1, 0
	s_cmp_eq_u32 s5, 0
	s_wait_alu 0xfffe
	s_cselect_b32 s13, s13, -1
	s_wait_alu 0xfffe
	s_cmp_lg_u32 s13, 0
	s_cselect_b32 s5, s11, s5
	s_cselect_b32 s4, s10, s4
	s_cbranch_execnz .LBB94_109
.LBB94_108:                             ;   in Loop: Header=BB94_23 Depth=1
	v_cvt_f32_u32_e32 v6, s64
	s_sub_co_i32 s5, 0, s64
	s_delay_alu instid0(VALU_DEP_1) | instskip(NEXT) | instid1(TRANS32_DEP_1)
	v_rcp_iflag_f32_e32 v6, v6
	v_mul_f32_e32 v6, 0x4f7ffffe, v6
	s_delay_alu instid0(VALU_DEP_1) | instskip(NEXT) | instid1(VALU_DEP_1)
	v_cvt_u32_f32_e32 v6, v6
	v_readfirstlane_b32 s4, v6
	s_wait_alu 0xfffe
	s_mul_i32 s5, s5, s4
	s_wait_alu 0xfffe
	s_mul_hi_u32 s5, s4, s5
	s_wait_alu 0xfffe
	s_add_co_i32 s4, s4, s5
	s_wait_alu 0xfffe
	s_mul_hi_u32 s4, s72, s4
	s_wait_alu 0xfffe
	s_mul_i32 s4, s4, s64
	s_wait_alu 0xfffe
	s_sub_co_i32 s4, s72, s4
	s_wait_alu 0xfffe
	s_sub_co_i32 s5, s4, s64
	s_cmp_ge_u32 s4, s64
	s_wait_alu 0xfffe
	s_cselect_b32 s4, s5, s4
	s_wait_alu 0xfffe
	s_sub_co_i32 s5, s4, s64
	s_cmp_ge_u32 s4, s64
	s_wait_alu 0xfffe
	s_cselect_b32 s68, s5, s4
	s_wait_alu 0xfffe
	s_mov_b64 s[4:5], s[68:69]
.LBB94_109:                             ;   in Loop: Header=BB94_23 Depth=1
	s_wait_alu 0xfffe
	s_sub_nc_u64 s[4:5], s[72:73], s[4:5]
	s_mov_b32 s10, exec_lo
                                        ; implicit-def: $vgpr17
	s_wait_alu 0xfffe
	v_cmpx_gt_u64_e64 s[4:5], v[0:1]
	s_cbranch_execz .LBB94_118
; %bb.110:                              ;   in Loop: Header=BB94_23 Depth=1
	v_dual_mov_b32 v7, v1 :: v_dual_mov_b32 v6, v0
	s_mov_b32 s11, 0
                                        ; implicit-def: $sgpr13
	s_branch .LBB94_113
.LBB94_111:                             ;   in Loop: Header=BB94_113 Depth=2
	s_wait_alu 0xfffe
	s_or_b32 exec_lo, exec_lo, s19
	s_wait_loadcnt_dscnt 0x0
	s_barrier_signal -1
	s_barrier_wait -1
	global_inv scope:SCOPE_SE
	ds_load_b64 v[16:17], v10 offset:3072
	s_mov_b32 s20, -1
	s_mov_b32 s19, -1
	s_wait_loadcnt_dscnt 0x0
	s_barrier_signal -1
	s_barrier_wait -1
	global_inv scope:SCOPE_SE
	v_cmp_ne_u32_e32 vcc_lo, 0, v16
	s_cbranch_vccz .LBB94_116
.LBB94_112:                             ;   in Loop: Header=BB94_113 Depth=2
	s_wait_alu 0xfffe
	s_and_b32 s20, exec_lo, s20
	s_wait_alu 0xfffe
	s_or_b32 s11, s20, s11
	s_and_not1_b32 s13, s13, exec_lo
	s_and_b32 s19, s19, exec_lo
	s_wait_alu 0xfffe
	s_or_b32 s13, s13, s19
	s_and_not1_b32 exec_lo, exec_lo, s11
	s_cbranch_execz .LBB94_117
.LBB94_113:                             ;   Parent Loop BB94_23 Depth=1
                                        ; =>  This Inner Loop Header: Depth=2
	s_mov_b32 s19, exec_lo
	s_delay_alu instid0(VALU_DEP_1)
	v_cmpx_gt_u64_e64 s[24:25], v[6:7]
	s_cbranch_execz .LBB94_111
; %bb.114:                              ;   in Loop: Header=BB94_113 Depth=2
	v_mul_lo_u32 v16, v7, s54
	v_mul_lo_u32 v17, v6, s55
	v_mad_co_u64_u32 v[8:9], null, v6, s54, 0
	s_delay_alu instid0(VALU_DEP_1) | instskip(NEXT) | instid1(VALU_DEP_1)
	v_add3_u32 v9, v9, v17, v16
	v_lshlrev_b64_e32 v[8:9], 2, v[8:9]
	s_delay_alu instid0(VALU_DEP_1) | instskip(SKIP_1) | instid1(VALU_DEP_2)
	v_add_co_u32 v8, vcc_lo, s62, v8
	s_wait_alu 0xfffd
	v_add_co_ci_u32_e64 v9, null, s63, v9, vcc_lo
	global_load_b32 v16, v[8:9], off
	s_wait_loadcnt 0x0
	v_xor_b32_e32 v8, 0x80000000, v16
	s_delay_alu instid0(VALU_DEP_1) | instskip(NEXT) | instid1(VALU_DEP_1)
	v_and_b32_e32 v8, v8, v31
	v_cmp_eq_u32_e32 vcc_lo, v8, v27
	s_and_b32 exec_lo, exec_lo, vcc_lo
	s_cbranch_execz .LBB94_111
; %bb.115:                              ;   in Loop: Header=BB94_113 Depth=2
	ds_store_b64 v10, v[15:16] offset:3072
	s_branch .LBB94_111
.LBB94_116:                             ;   in Loop: Header=BB94_113 Depth=2
	v_add_co_u32 v6, vcc_lo, v6, s64
	s_wait_alu 0xfffd
	v_add_co_ci_u32_e64 v7, null, 0, v7, vcc_lo
	s_mov_b32 s19, 0
	v_cmp_le_u64_e32 vcc_lo, s[4:5], v[6:7]
	s_or_not1_b32 s20, vcc_lo, exec_lo
	s_branch .LBB94_112
.LBB94_117:                             ;   in Loop: Header=BB94_23 Depth=1
	s_or_b32 exec_lo, exec_lo, s11
	s_delay_alu instid0(SALU_CYCLE_1)
	s_and_not1_b32 s4, s12, exec_lo
	s_wait_alu 0xfffe
	s_and_b32 s5, s13, exec_lo
	s_wait_alu 0xfffe
	s_or_b32 s12, s4, s5
.LBB94_118:                             ;   in Loop: Header=BB94_23 Depth=1
	s_or_b32 exec_lo, exec_lo, s10
	s_mov_b32 s19, 0
	s_mov_b32 s20, -1
.LBB94_119:                             ;   in Loop: Header=BB94_23 Depth=1
	s_wait_alu 0xfffe
	s_or_not1_b32 s4, s12, exec_lo
.LBB94_120:                             ;   in Loop: Header=BB94_23 Depth=1
	s_wait_alu 0xfffe
	s_or_b32 exec_lo, exec_lo, s15
	s_delay_alu instid0(SALU_CYCLE_1)
	s_and_not1_b32 s5, s101, exec_lo
	s_and_b32 s10, s20, exec_lo
	s_and_not1_b32 s11, s99, exec_lo
	s_and_b32 s12, s19, exec_lo
	s_and_not1_b32 s98, s98, exec_lo
	s_wait_alu 0xfffe
	s_or_b32 s101, s5, s10
	s_or_b32 s99, s11, s12
                                        ; implicit-def: $vgpr6_vgpr7
	s_and_saveexec_b32 s15, s4
	s_cbranch_execz .LBB94_22
; %bb.121:                              ;   in Loop: Header=BB94_23 Depth=1
	v_mov_b32_e32 v6, 1
	v_dual_mov_b32 v7, 0 :: v_dual_mov_b32 v8, 1
	s_xor_b32 s10, s17, -1
	s_mov_b32 s5, 0
	s_wait_alu 0xfffe
	s_and_saveexec_b32 s4, s10
	s_cbranch_execz .LBB94_130
; %bb.122:                              ;   in Loop: Header=BB94_23 Depth=1
	s_mov_b32 s5, exec_lo
	v_cmpx_le_u64_e64 v[18:19], v[2:3]
	s_wait_alu 0xfffe
	s_xor_b32 s5, exec_lo, s5
	s_cbranch_execz .LBB94_127
; %bb.123:                              ;   in Loop: Header=BB94_23 Depth=1
	ds_load_b64 v[6:7], v10 offset:5120
	v_and_b32_e32 v27, s18, v27
	v_or_b32_e32 v31, s14, v31
	s_wait_dscnt 0x0
	v_cmp_ne_u64_e32 vcc_lo, 0, v[6:7]
	s_cbranch_vccnz .LBB94_127
; %bb.124:                              ;   in Loop: Header=BB94_23 Depth=1
	s_and_saveexec_b32 s10, s2
; %bb.125:                              ;   in Loop: Header=BB94_23 Depth=1
	ds_store_b64 v10, v[2:3] offset:5128
; %bb.126:                              ;   in Loop: Header=BB94_23 Depth=1
	s_wait_alu 0xfffe
	s_or_b32 exec_lo, exec_lo, s10
	s_wait_loadcnt_dscnt 0x0
	s_barrier_signal -1
	s_barrier_wait -1
	global_inv scope:SCOPE_SE
.LBB94_127:                             ;   in Loop: Header=BB94_23 Depth=1
	s_wait_alu 0xfffe
	s_or_saveexec_b32 s5, s5
	v_mov_b32_e32 v8, 8
	s_mov_b32 s10, 0
	s_wait_alu 0xfffe
	s_xor_b32 exec_lo, exec_lo, s5
; %bb.128:                              ;   in Loop: Header=BB94_23 Depth=1
	v_sub_co_u32 v18, vcc_lo, v18, v2
	s_wait_alu 0xfffd
	v_sub_co_ci_u32_e64 v19, null, v19, v3, vcc_lo
	v_mov_b32_e32 v8, 0
	s_mov_b32 s10, exec_lo
; %bb.129:                              ;   in Loop: Header=BB94_23 Depth=1
	s_or_b32 exec_lo, exec_lo, s5
	s_delay_alu instid0(VALU_DEP_2)
	v_dual_mov_b32 v6, v18 :: v_dual_mov_b32 v7, v19
	s_wait_alu 0xfffe
	s_and_b32 s5, s10, exec_lo
.LBB94_130:                             ;   in Loop: Header=BB94_23 Depth=1
	s_wait_alu 0xfffe
	s_or_b32 exec_lo, exec_lo, s4
	s_mov_b32 s16, -1
	s_mov_b32 s4, -1
                                        ; implicit-def: $sgpr19
                                        ; implicit-def: $sgpr20
	s_and_saveexec_b32 s10, s5
	s_wait_alu 0xfffe
	s_xor_b32 s17, exec_lo, s10
	s_cbranch_execz .LBB94_275
; %bb.131:                              ;   in Loop: Header=BB94_23 Depth=1
	v_cmp_eq_u64_e32 vcc_lo, 1, v[4:5]
	v_cmp_eq_u64_e64 s4, 1, v[6:7]
                                        ; implicit-def: $sgpr20
                                        ; implicit-def: $sgpr19
	s_and_b32 s22, vcc_lo, s4
	s_mov_b32 s4, -1
	s_wait_alu 0xfffe
	s_and_saveexec_b32 s21, s22
	s_cbranch_execz .LBB94_168
; %bb.132:                              ;   in Loop: Header=BB94_23 Depth=1
	ds_load_b64 v[2:3], v10 offset:5120
	s_wait_loadcnt_dscnt 0x0
	s_barrier_signal -1
	s_barrier_wait -1
	global_inv scope:SCOPE_SE
	v_readfirstlane_b32 s4, v2
	v_readfirstlane_b32 s5, v3
	s_and_saveexec_b32 s10, s3
; %bb.133:                              ;   in Loop: Header=BB94_23 Depth=1
	ds_store_b32 v25, v10
; %bb.134:                              ;   in Loop: Header=BB94_23 Depth=1
	s_wait_alu 0xfffe
	s_or_b32 exec_lo, exec_lo, s10
	s_lshl_b32 s10, 1, s93
	v_or_b32_e32 v31, s14, v31
	s_wait_alu 0xfffe
	v_and_or_b32 v27, v27, s18, s10
	s_mov_b32 s19, -1
	s_mov_b32 s20, 0
	s_cmp_eq_u64 s[4:5], 0
	s_mov_b32 s12, 0
	s_mov_b32 s13, -1
	s_wait_loadcnt_dscnt 0x0
	s_barrier_signal -1
	s_barrier_wait -1
	global_inv scope:SCOPE_SE
                                        ; implicit-def: $vgpr17
	s_cbranch_scc1 .LBB94_153
; %bb.135:                              ;   in Loop: Header=BB94_23 Depth=1
	s_add_nc_u64 s[10:11], s[4:5], s[70:71]
	s_mov_b32 s12, s69
	s_wait_alu 0xfffe
	s_mov_b32 s13, s11
	s_wait_alu 0xfffe
	s_cmp_lg_u64 s[12:13], 0
	s_cbranch_scc0 .LBB94_195
; %bb.136:                              ;   in Loop: Header=BB94_23 Depth=1
	s_cvt_f32_u32 s12, s64
	s_sub_nc_u64 s[56:57], 0, s[64:65]
	s_wait_alu 0xfffe
	s_delay_alu instid0(SALU_CYCLE_1) | instskip(SKIP_1) | instid1(SALU_CYCLE_2)
	s_fmamk_f32 s12, s95, 0x0, s12
	s_wait_alu 0xfffe
	v_s_rcp_f32 s12, s12
	s_delay_alu instid0(TRANS32_DEP_1) | instskip(SKIP_1) | instid1(SALU_CYCLE_2)
	s_mul_f32 s12, s12, 0x5f7ffffc
	s_wait_alu 0xfffe
	s_mul_f32 s13, s12, 0x2f800000
	s_wait_alu 0xfffe
	s_delay_alu instid0(SALU_CYCLE_2) | instskip(SKIP_1) | instid1(SALU_CYCLE_2)
	s_trunc_f32 s13, s13
	s_wait_alu 0xfffe
	s_fmamk_f32 s12, s13, 0xcf800000, s12
	s_cvt_u32_f32 s13, s13
	s_wait_alu 0xfffe
	s_delay_alu instid0(SALU_CYCLE_1) | instskip(SKIP_1) | instid1(SALU_CYCLE_2)
	s_cvt_u32_f32 s12, s12
	s_wait_alu 0xfffe
	s_mul_u64 s[76:77], s[56:57], s[12:13]
	s_wait_alu 0xfffe
	s_mul_hi_u32 s79, s12, s77
	s_mul_i32 s78, s12, s77
	s_mul_hi_u32 s68, s12, s76
	s_mul_i32 s80, s13, s76
	s_wait_alu 0xfffe
	s_add_nc_u64 s[78:79], s[68:69], s[78:79]
	s_mul_hi_u32 s23, s13, s76
	s_mul_hi_u32 s81, s13, s77
	s_wait_alu 0xfffe
	s_add_co_u32 s68, s78, s80
	s_add_co_ci_u32 s68, s79, s23
	s_mul_i32 s76, s13, s77
	s_add_co_ci_u32 s77, s81, 0
	s_wait_alu 0xfffe
	s_add_nc_u64 s[76:77], s[68:69], s[76:77]
	s_wait_alu 0xfffe
	s_add_co_u32 s12, s12, s76
	s_cselect_b32 s23, -1, 0
	s_wait_alu 0xfffe
	s_cmp_lg_u32 s23, 0
	s_add_co_ci_u32 s13, s13, s77
	s_wait_alu 0xfffe
	s_mul_u64 s[56:57], s[56:57], s[12:13]
	s_wait_alu 0xfffe
	s_mul_hi_u32 s77, s12, s57
	s_mul_i32 s76, s12, s57
	s_mul_hi_u32 s68, s12, s56
	s_mul_i32 s78, s13, s56
	s_wait_alu 0xfffe
	s_add_nc_u64 s[76:77], s[68:69], s[76:77]
	s_mul_hi_u32 s23, s13, s56
	s_mul_hi_u32 s79, s13, s57
	s_mul_i32 s56, s13, s57
	s_wait_alu 0xfffe
	s_add_co_u32 s57, s76, s78
	s_add_co_ci_u32 s68, s77, s23
	s_add_co_ci_u32 s57, s79, 0
	s_wait_alu 0xfffe
	s_add_nc_u64 s[56:57], s[68:69], s[56:57]
	s_wait_alu 0xfffe
	s_add_co_u32 s12, s12, s56
	s_cselect_b32 s23, -1, 0
	s_wait_alu 0xfffe
	s_mul_hi_u32 s68, s10, s12
	s_cmp_lg_u32 s23, 0
	s_mul_hi_u32 s23, s11, s12
	s_add_co_ci_u32 s56, s13, s57
	s_mul_i32 s57, s11, s12
	s_wait_alu 0xfffe
	s_mul_hi_u32 s13, s10, s56
	s_mul_i32 s12, s10, s56
	s_mul_hi_u32 s76, s11, s56
	s_wait_alu 0xfffe
	s_add_nc_u64 s[12:13], s[68:69], s[12:13]
	s_mul_i32 s56, s11, s56
	s_wait_alu 0xfffe
	s_add_co_u32 s12, s12, s57
	s_add_co_ci_u32 s68, s13, s23
	s_add_co_ci_u32 s57, s76, 0
	s_wait_alu 0xfffe
	s_add_nc_u64 s[12:13], s[68:69], s[56:57]
	s_wait_alu 0xfffe
	s_mul_u64 s[12:13], s[64:65], s[12:13]
	s_wait_alu 0xfffe
	s_sub_co_u32 s12, s10, s12
	s_cselect_b32 s23, -1, 0
	s_wait_alu 0xfffe
	s_cmp_lg_u32 s23, 0
	s_sub_co_ci_u32 s13, s11, s13
	s_sub_co_u32 s23, s12, s64
	s_cselect_b32 s56, -1, 0
	s_wait_alu 0xfffe
	s_cmp_lg_u32 s56, 0
	s_sub_co_ci_u32 s56, s13, 0
	;; [unrolled: 5-line block ×3, first 2 shown]
	s_cmp_ge_u32 s23, s64
	s_cselect_b32 s76, -1, 0
	s_cmp_eq_u32 s56, 0
	s_wait_alu 0xfffe
	s_cselect_b32 s76, s76, -1
	s_wait_alu 0xfffe
	s_cmp_lg_u32 s76, 0
	s_cselect_b32 s56, s68, s56
	s_cselect_b32 s23, s57, s23
	s_cmp_ge_u32 s12, s64
	s_cselect_b32 s57, -1, 0
	s_cmp_eq_u32 s13, 0
	s_wait_alu 0xfffe
	s_cselect_b32 s57, s57, -1
	s_wait_alu 0xfffe
	s_cmp_lg_u32 s57, 0
	s_cselect_b32 s13, s56, s13
	s_cselect_b32 s12, s23, s12
	s_cbranch_execnz .LBB94_138
.LBB94_137:                             ;   in Loop: Header=BB94_23 Depth=1
	v_cvt_f32_u32_e32 v2, s64
	s_sub_co_i32 s13, 0, s64
	s_delay_alu instid0(VALU_DEP_1) | instskip(NEXT) | instid1(TRANS32_DEP_1)
	v_rcp_iflag_f32_e32 v2, v2
	v_mul_f32_e32 v2, 0x4f7ffffe, v2
	s_delay_alu instid0(VALU_DEP_1) | instskip(NEXT) | instid1(VALU_DEP_1)
	v_cvt_u32_f32_e32 v2, v2
	v_readfirstlane_b32 s12, v2
	s_wait_alu 0xfffe
	s_mul_i32 s13, s13, s12
	s_wait_alu 0xfffe
	s_mul_hi_u32 s13, s12, s13
	s_wait_alu 0xfffe
	s_add_co_i32 s12, s12, s13
	s_wait_alu 0xfffe
	s_mul_hi_u32 s12, s10, s12
	s_wait_alu 0xfffe
	s_mul_i32 s12, s12, s64
	s_wait_alu 0xfffe
	s_sub_co_i32 s12, s10, s12
	s_wait_alu 0xfffe
	s_sub_co_i32 s13, s12, s64
	s_cmp_ge_u32 s12, s64
	s_wait_alu 0xfffe
	s_cselect_b32 s12, s13, s12
	s_wait_alu 0xfffe
	s_sub_co_i32 s13, s12, s64
	s_cmp_ge_u32 s12, s64
	s_wait_alu 0xfffe
	s_cselect_b32 s68, s13, s12
	s_wait_alu 0xfffe
	s_mov_b64 s[12:13], s[68:69]
.LBB94_138:                             ;   in Loop: Header=BB94_23 Depth=1
	s_wait_alu 0xfffe
	s_sub_nc_u64 s[10:11], s[10:11], s[12:13]
	s_mov_b32 s13, 0
	s_mov_b32 s12, 0
	s_mov_b32 s23, exec_lo
                                        ; implicit-def: $vgpr17
	s_wait_alu 0xfffe
	v_cmpx_gt_u64_e64 s[10:11], v[0:1]
	s_cbranch_execz .LBB94_152
; %bb.139:                              ;   in Loop: Header=BB94_23 Depth=1
	v_mov_b32_e32 v3, v1
	v_dual_mov_b32 v9, v11 :: v_dual_mov_b32 v2, v0
                                        ; implicit-def: $sgpr56
	s_branch .LBB94_142
.LBB94_140:                             ;   in Loop: Header=BB94_142 Depth=2
	s_wait_alu 0xfffe
	s_or_b32 exec_lo, exec_lo, s57
	s_wait_loadcnt_dscnt 0x0
	s_barrier_signal -1
	s_barrier_wait -1
	global_inv scope:SCOPE_SE
	ds_load_b64 v[16:17], v10 offset:3072
	s_mov_b32 s57, -1
	s_mov_b32 s68, -1
	s_wait_loadcnt_dscnt 0x0
	s_barrier_signal -1
	s_barrier_wait -1
	global_inv scope:SCOPE_SE
	v_cmp_ne_u32_e32 vcc_lo, 0, v16
	s_cbranch_vccz .LBB94_145
.LBB94_141:                             ;   in Loop: Header=BB94_142 Depth=2
	s_wait_alu 0xfffe
	s_and_b32 s57, exec_lo, s57
	s_wait_alu 0xfffe
	s_or_b32 s12, s57, s12
	s_and_not1_b32 s56, s56, exec_lo
	s_and_b32 s57, s68, exec_lo
	s_wait_alu 0xfffe
	s_or_b32 s56, s56, s57
	s_and_not1_b32 exec_lo, exec_lo, s12
	s_cbranch_execz .LBB94_151
.LBB94_142:                             ;   Parent Loop BB94_23 Depth=1
                                        ; =>  This Inner Loop Header: Depth=2
	s_mov_b32 s57, exec_lo
	s_delay_alu instid0(VALU_DEP_1)
	v_cmpx_gt_u64_e64 s[4:5], v[2:3]
	s_cbranch_execz .LBB94_140
; %bb.143:                              ;   in Loop: Header=BB94_142 Depth=2
	ds_load_b32 v16, v9
	s_wait_dscnt 0x0
	v_xor_b32_e32 v17, 0x80000000, v16
	s_delay_alu instid0(VALU_DEP_1) | instskip(NEXT) | instid1(VALU_DEP_1)
	v_and_b32_e32 v17, v17, v31
	v_cmp_eq_u32_e32 vcc_lo, v17, v27
	s_and_b32 exec_lo, exec_lo, vcc_lo
	s_cbranch_execz .LBB94_140
; %bb.144:                              ;   in Loop: Header=BB94_142 Depth=2
	ds_store_b64 v10, v[15:16] offset:3072
	s_branch .LBB94_140
.LBB94_145:                             ;   in Loop: Header=BB94_142 Depth=2
	v_add_co_u32 v2, vcc_lo, v2, s64
	s_wait_alu 0xfffd
	v_add_co_ci_u32_e64 v3, null, 0, v3, vcc_lo
	v_add_nc_u32_e32 v9, s92, v9
	s_mov_b32 s68, 0
	s_delay_alu instid0(VALU_DEP_2)
	v_cmp_le_u64_e32 vcc_lo, s[10:11], v[2:3]
	s_or_not1_b32 s57, vcc_lo, exec_lo
	s_branch .LBB94_141
.LBB94_146:                             ;   in Loop: Header=BB94_23 Depth=1
                                        ; implicit-def: $sgpr12_sgpr13
	s_branch .LBB94_94
.LBB94_147:                             ;   in Loop: Header=BB94_23 Depth=1
	s_wait_alu 0xfffe
	s_or_b32 exec_lo, exec_lo, s7
	s_wait_loadcnt_dscnt 0x0
	s_barrier_signal -1
	s_barrier_wait -1
	global_inv scope:SCOPE_SE
	s_and_saveexec_b32 s4, s2
	s_cbranch_execz .LBB94_149
; %bb.148:                              ;   in Loop: Header=BB94_23 Depth=1
	ds_load_b32 v2, v10 offset:5144
	s_wait_dscnt 0x0
	v_ashrrev_i32_e32 v3, 31, v2
	ds_store_b64 v10, v[2:3] offset:5120
.LBB94_149:                             ;   in Loop: Header=BB94_23 Depth=1
	s_wait_alu 0xfffe
	s_or_b32 exec_lo, exec_lo, s4
	s_wait_loadcnt_dscnt 0x0
	s_barrier_signal -1
	s_mov_b32 s4, -1
	s_barrier_wait -1
	s_and_b32 vcc_lo, exec_lo, s6
	s_wait_alu 0xfffe
	s_cbranch_vccnz .LBB94_39
	s_branch .LBB94_48
.LBB94_150:                             ;   in Loop: Header=BB94_23 Depth=1
                                        ; implicit-def: $sgpr4_sgpr5
	s_branch .LBB94_108
.LBB94_151:                             ;   in Loop: Header=BB94_23 Depth=1
	s_or_b32 exec_lo, exec_lo, s12
	s_wait_alu 0xfffe
	s_and_b32 s12, s56, exec_lo
.LBB94_152:                             ;   in Loop: Header=BB94_23 Depth=1
	s_or_b32 exec_lo, exec_lo, s23
.LBB94_153:                             ;   in Loop: Header=BB94_23 Depth=1
	s_wait_alu 0xfffe
	s_and_b32 vcc_lo, exec_lo, s13
	s_wait_alu 0xfffe
	s_cbranch_vccz .LBB94_167
; %bb.154:                              ;   in Loop: Header=BB94_23 Depth=1
	s_mov_b32 s4, s69
	s_mov_b32 s5, s73
	s_wait_alu 0xfffe
	s_cmp_lg_u64 s[4:5], 0
	s_cbranch_scc0 .LBB94_196
; %bb.155:                              ;   in Loop: Header=BB94_23 Depth=1
	s_cvt_f32_u32 s4, s64
	s_sub_nc_u64 s[10:11], 0, s[64:65]
	s_wait_alu 0xfffe
	s_delay_alu instid0(SALU_CYCLE_1) | instskip(SKIP_1) | instid1(SALU_CYCLE_2)
	s_fmamk_f32 s4, s95, 0x0, s4
	s_wait_alu 0xfffe
	v_s_rcp_f32 s4, s4
	s_delay_alu instid0(TRANS32_DEP_1) | instskip(SKIP_1) | instid1(SALU_CYCLE_2)
	s_mul_f32 s4, s4, 0x5f7ffffc
	s_wait_alu 0xfffe
	s_mul_f32 s5, s4, 0x2f800000
	s_wait_alu 0xfffe
	s_delay_alu instid0(SALU_CYCLE_2) | instskip(SKIP_1) | instid1(SALU_CYCLE_2)
	s_trunc_f32 s5, s5
	s_wait_alu 0xfffe
	s_fmamk_f32 s4, s5, 0xcf800000, s4
	s_cvt_u32_f32 s5, s5
	s_wait_alu 0xfffe
	s_delay_alu instid0(SALU_CYCLE_1) | instskip(SKIP_1) | instid1(SALU_CYCLE_2)
	s_cvt_u32_f32 s4, s4
	s_wait_alu 0xfffe
	s_mul_u64 s[56:57], s[10:11], s[4:5]
	s_wait_alu 0xfffe
	s_mul_hi_u32 s77, s4, s57
	s_mul_i32 s76, s4, s57
	s_mul_hi_u32 s68, s4, s56
	s_mul_i32 s19, s5, s56
	s_wait_alu 0xfffe
	s_add_nc_u64 s[76:77], s[68:69], s[76:77]
	s_mul_hi_u32 s13, s5, s56
	s_mul_hi_u32 s20, s5, s57
	s_wait_alu 0xfffe
	s_add_co_u32 s19, s76, s19
	s_add_co_ci_u32 s68, s77, s13
	s_mul_i32 s56, s5, s57
	s_add_co_ci_u32 s57, s20, 0
	s_wait_alu 0xfffe
	s_add_nc_u64 s[56:57], s[68:69], s[56:57]
	s_wait_alu 0xfffe
	s_add_co_u32 s4, s4, s56
	s_cselect_b32 s13, -1, 0
	s_wait_alu 0xfffe
	s_cmp_lg_u32 s13, 0
	s_add_co_ci_u32 s5, s5, s57
	s_wait_alu 0xfffe
	s_mul_u64 s[10:11], s[10:11], s[4:5]
	s_wait_alu 0xfffe
	s_mul_hi_u32 s57, s4, s11
	s_mul_i32 s56, s4, s11
	s_mul_hi_u32 s68, s4, s10
	s_mul_i32 s19, s5, s10
	s_wait_alu 0xfffe
	s_add_nc_u64 s[56:57], s[68:69], s[56:57]
	s_mul_hi_u32 s13, s5, s10
	s_mul_hi_u32 s20, s5, s11
	s_mul_i32 s10, s5, s11
	s_wait_alu 0xfffe
	s_add_co_u32 s11, s56, s19
	s_add_co_ci_u32 s68, s57, s13
	s_add_co_ci_u32 s11, s20, 0
	s_wait_alu 0xfffe
	s_add_nc_u64 s[10:11], s[68:69], s[10:11]
	s_wait_alu 0xfffe
	s_add_co_u32 s4, s4, s10
	s_cselect_b32 s10, -1, 0
	s_wait_alu 0xfffe
	s_mul_hi_u32 s68, s72, s4
	s_cmp_lg_u32 s10, 0
	s_mul_hi_u32 s13, s73, s4
	s_add_co_ci_u32 s10, s5, s11
	s_mul_i32 s11, s73, s4
	s_wait_alu 0xfffe
	s_mul_hi_u32 s5, s72, s10
	s_mul_i32 s4, s72, s10
	s_mul_hi_u32 s19, s73, s10
	s_wait_alu 0xfffe
	s_add_nc_u64 s[4:5], s[68:69], s[4:5]
	s_mul_i32 s10, s73, s10
	s_wait_alu 0xfffe
	s_add_co_u32 s4, s4, s11
	s_add_co_ci_u32 s68, s5, s13
	s_add_co_ci_u32 s11, s19, 0
	s_wait_alu 0xfffe
	s_add_nc_u64 s[4:5], s[68:69], s[10:11]
	s_wait_alu 0xfffe
	s_mul_u64 s[4:5], s[64:65], s[4:5]
	s_wait_alu 0xfffe
	s_sub_co_u32 s4, s72, s4
	s_cselect_b32 s10, -1, 0
	s_wait_alu 0xfffe
	s_cmp_lg_u32 s10, 0
	s_sub_co_ci_u32 s5, s73, s5
	s_sub_co_u32 s10, s4, s64
	s_cselect_b32 s11, -1, 0
	s_wait_alu 0xfffe
	s_cmp_lg_u32 s11, 0
	s_sub_co_ci_u32 s11, s5, 0
	;; [unrolled: 5-line block ×3, first 2 shown]
	s_cmp_ge_u32 s10, s64
	s_cselect_b32 s20, -1, 0
	s_cmp_eq_u32 s11, 0
	s_wait_alu 0xfffe
	s_cselect_b32 s20, s20, -1
	s_wait_alu 0xfffe
	s_cmp_lg_u32 s20, 0
	s_cselect_b32 s11, s19, s11
	s_cselect_b32 s10, s13, s10
	s_cmp_ge_u32 s4, s64
	s_cselect_b32 s13, -1, 0
	s_cmp_eq_u32 s5, 0
	s_wait_alu 0xfffe
	s_cselect_b32 s13, s13, -1
	s_wait_alu 0xfffe
	s_cmp_lg_u32 s13, 0
	s_cselect_b32 s5, s11, s5
	s_cselect_b32 s4, s10, s4
	s_cbranch_execnz .LBB94_157
.LBB94_156:                             ;   in Loop: Header=BB94_23 Depth=1
	v_cvt_f32_u32_e32 v2, s64
	s_sub_co_i32 s5, 0, s64
	s_delay_alu instid0(VALU_DEP_1) | instskip(NEXT) | instid1(TRANS32_DEP_1)
	v_rcp_iflag_f32_e32 v2, v2
	v_mul_f32_e32 v2, 0x4f7ffffe, v2
	s_delay_alu instid0(VALU_DEP_1) | instskip(NEXT) | instid1(VALU_DEP_1)
	v_cvt_u32_f32_e32 v2, v2
	v_readfirstlane_b32 s4, v2
	s_wait_alu 0xfffe
	s_mul_i32 s5, s5, s4
	s_wait_alu 0xfffe
	s_mul_hi_u32 s5, s4, s5
	s_wait_alu 0xfffe
	s_add_co_i32 s4, s4, s5
	s_wait_alu 0xfffe
	s_mul_hi_u32 s4, s72, s4
	s_wait_alu 0xfffe
	s_mul_i32 s4, s4, s64
	s_wait_alu 0xfffe
	s_sub_co_i32 s4, s72, s4
	s_wait_alu 0xfffe
	s_sub_co_i32 s5, s4, s64
	s_cmp_ge_u32 s4, s64
	s_wait_alu 0xfffe
	s_cselect_b32 s4, s5, s4
	s_wait_alu 0xfffe
	s_sub_co_i32 s5, s4, s64
	s_cmp_ge_u32 s4, s64
	s_wait_alu 0xfffe
	s_cselect_b32 s68, s5, s4
	s_wait_alu 0xfffe
	s_mov_b64 s[4:5], s[68:69]
.LBB94_157:                             ;   in Loop: Header=BB94_23 Depth=1
	s_wait_alu 0xfffe
	s_sub_nc_u64 s[4:5], s[72:73], s[4:5]
	s_mov_b32 s10, exec_lo
                                        ; implicit-def: $vgpr17
	s_wait_alu 0xfffe
	v_cmpx_gt_u64_e64 s[4:5], v[0:1]
	s_cbranch_execz .LBB94_166
; %bb.158:                              ;   in Loop: Header=BB94_23 Depth=1
	v_dual_mov_b32 v3, v1 :: v_dual_mov_b32 v2, v0
	s_mov_b32 s11, 0
                                        ; implicit-def: $sgpr13
	s_branch .LBB94_161
.LBB94_159:                             ;   in Loop: Header=BB94_161 Depth=2
	s_wait_alu 0xfffe
	s_or_b32 exec_lo, exec_lo, s19
	s_wait_loadcnt_dscnt 0x0
	s_barrier_signal -1
	s_barrier_wait -1
	global_inv scope:SCOPE_SE
	ds_load_b64 v[16:17], v10 offset:3072
	s_mov_b32 s20, -1
	s_mov_b32 s19, -1
	s_wait_loadcnt_dscnt 0x0
	s_barrier_signal -1
	s_barrier_wait -1
	global_inv scope:SCOPE_SE
	v_cmp_eq_u32_e32 vcc_lo, 0, v16
	s_cbranch_vccnz .LBB94_164
.LBB94_160:                             ;   in Loop: Header=BB94_161 Depth=2
	s_wait_alu 0xfffe
	s_and_b32 s20, exec_lo, s20
	s_wait_alu 0xfffe
	s_or_b32 s11, s20, s11
	s_and_not1_b32 s13, s13, exec_lo
	s_and_b32 s19, s19, exec_lo
	s_wait_alu 0xfffe
	s_or_b32 s13, s13, s19
	s_and_not1_b32 exec_lo, exec_lo, s11
	s_cbranch_execz .LBB94_165
.LBB94_161:                             ;   Parent Loop BB94_23 Depth=1
                                        ; =>  This Inner Loop Header: Depth=2
	s_mov_b32 s19, exec_lo
	s_delay_alu instid0(VALU_DEP_1)
	v_cmpx_gt_u64_e64 s[24:25], v[2:3]
	s_cbranch_execz .LBB94_159
; %bb.162:                              ;   in Loop: Header=BB94_161 Depth=2
	v_mul_lo_u32 v9, v3, s54
	v_mul_lo_u32 v18, v2, s55
	v_mad_co_u64_u32 v[16:17], null, v2, s54, 0
	s_delay_alu instid0(VALU_DEP_1) | instskip(NEXT) | instid1(VALU_DEP_1)
	v_add3_u32 v17, v17, v18, v9
	v_lshlrev_b64_e32 v[16:17], 2, v[16:17]
	s_delay_alu instid0(VALU_DEP_1) | instskip(SKIP_1) | instid1(VALU_DEP_2)
	v_add_co_u32 v16, vcc_lo, s62, v16
	s_wait_alu 0xfffd
	v_add_co_ci_u32_e64 v17, null, s63, v17, vcc_lo
	global_load_b32 v16, v[16:17], off
	s_wait_loadcnt 0x0
	v_xor_b32_e32 v9, 0x80000000, v16
	s_delay_alu instid0(VALU_DEP_1) | instskip(NEXT) | instid1(VALU_DEP_1)
	v_and_b32_e32 v9, v9, v31
	v_cmp_eq_u32_e32 vcc_lo, v9, v27
	s_and_b32 exec_lo, exec_lo, vcc_lo
	s_cbranch_execz .LBB94_159
; %bb.163:                              ;   in Loop: Header=BB94_161 Depth=2
	ds_store_b64 v10, v[15:16] offset:3072
	s_branch .LBB94_159
.LBB94_164:                             ;   in Loop: Header=BB94_161 Depth=2
	v_add_co_u32 v2, vcc_lo, v2, s64
	s_wait_alu 0xfffd
	v_add_co_ci_u32_e64 v3, null, 0, v3, vcc_lo
	s_mov_b32 s19, 0
	v_cmp_le_u64_e32 vcc_lo, s[4:5], v[2:3]
	s_or_not1_b32 s20, vcc_lo, exec_lo
	s_branch .LBB94_160
.LBB94_165:                             ;   in Loop: Header=BB94_23 Depth=1
	s_or_b32 exec_lo, exec_lo, s11
	s_delay_alu instid0(SALU_CYCLE_1)
	s_and_not1_b32 s4, s12, exec_lo
	s_wait_alu 0xfffe
	s_and_b32 s5, s13, exec_lo
	s_wait_alu 0xfffe
	s_or_b32 s12, s4, s5
.LBB94_166:                             ;   in Loop: Header=BB94_23 Depth=1
	s_or_b32 exec_lo, exec_lo, s10
	s_mov_b32 s19, 0
	s_mov_b32 s20, -1
.LBB94_167:                             ;   in Loop: Header=BB94_23 Depth=1
	s_wait_alu 0xfffe
	s_or_not1_b32 s4, s12, exec_lo
.LBB94_168:                             ;   in Loop: Header=BB94_23 Depth=1
	s_wait_alu 0xfffe
	s_or_b32 exec_lo, exec_lo, s21
	s_mov_b32 s5, 0
	s_and_saveexec_b32 s21, s4
	s_cbranch_execz .LBB94_274
; %bb.169:                              ;   in Loop: Header=BB94_23 Depth=1
	v_mov_b32_e32 v2, 1
	v_dual_mov_b32 v3, 0 :: v_dual_mov_b32 v8, 1
	s_xor_b32 s10, s22, -1
	s_wait_alu 0xfffe
	s_and_saveexec_b32 s4, s10
	s_cbranch_execz .LBB94_179
; %bb.170:                              ;   in Loop: Header=BB94_23 Depth=1
	s_mov_b32 s5, exec_lo
	v_cmpx_le_u64_e64 v[6:7], v[4:5]
	s_wait_alu 0xfffe
	s_xor_b32 s5, exec_lo, s5
	s_cbranch_execz .LBB94_176
; %bb.171:                              ;   in Loop: Header=BB94_23 Depth=1
	ds_load_b64 v[2:3], v10 offset:5120
	s_lshl_b32 s10, 1, s93
	v_or_b32_e32 v31, s14, v31
	s_wait_alu 0xfffe
	v_and_or_b32 v27, v27, s18, s10
	s_wait_dscnt 0x0
	v_cmp_ne_u64_e32 vcc_lo, 0, v[2:3]
	s_cbranch_vccnz .LBB94_175
; %bb.172:                              ;   in Loop: Header=BB94_23 Depth=1
	s_and_saveexec_b32 s10, s2
; %bb.173:                              ;   in Loop: Header=BB94_23 Depth=1
	ds_store_b64 v10, v[4:5] offset:5128
; %bb.174:                              ;   in Loop: Header=BB94_23 Depth=1
	s_wait_alu 0xfffe
	s_or_b32 exec_lo, exec_lo, s10
	s_wait_loadcnt_dscnt 0x0
	s_barrier_signal -1
	s_barrier_wait -1
	global_inv scope:SCOPE_SE
.LBB94_175:                             ;   in Loop: Header=BB94_23 Depth=1
                                        ; implicit-def: $vgpr2_vgpr3_vgpr4_vgpr5
.LBB94_176:                             ;   in Loop: Header=BB94_23 Depth=1
	s_wait_alu 0xfffe
	s_or_saveexec_b32 s5, s5
	v_mov_b32_e32 v8, 8
	s_mov_b32 s10, 0
	s_wait_alu 0xfffe
	s_xor_b32 exec_lo, exec_lo, s5
; %bb.177:                              ;   in Loop: Header=BB94_23 Depth=1
	v_sub_co_u32 v6, vcc_lo, v6, v4
	s_wait_alu 0xfffd
	v_sub_co_ci_u32_e64 v7, null, v7, v5, vcc_lo
	v_mov_b32_e32 v8, 0
	s_mov_b32 s10, exec_lo
; %bb.178:                              ;   in Loop: Header=BB94_23 Depth=1
	s_or_b32 exec_lo, exec_lo, s5
	s_delay_alu instid0(VALU_DEP_2)
	v_dual_mov_b32 v2, v6 :: v_dual_mov_b32 v3, v7
	s_wait_alu 0xfffe
	s_and_b32 s5, s10, exec_lo
.LBB94_179:                             ;   in Loop: Header=BB94_23 Depth=1
	s_wait_alu 0xfffe
	s_or_b32 exec_lo, exec_lo, s4
	s_mov_b32 s4, -1
                                        ; implicit-def: $sgpr23
                                        ; implicit-def: $sgpr76
	s_and_saveexec_b32 s22, s5
	s_cbranch_execz .LBB94_273
; %bb.180:                              ;   in Loop: Header=BB94_23 Depth=1
	v_cmp_eq_u64_e32 vcc_lo, 1, v[2:3]
	s_cmp_eq_u64 s[8:9], 1
                                        ; implicit-def: $sgpr76
                                        ; implicit-def: $sgpr23
	s_cselect_b32 s4, -1, 0
	s_wait_alu 0xfffe
	s_and_b32 s77, s4, vcc_lo
	s_mov_b32 s4, -1
	s_wait_alu 0xfffe
	s_and_saveexec_b32 s78, s77
	s_cbranch_execz .LBB94_214
; %bb.181:                              ;   in Loop: Header=BB94_23 Depth=1
	ds_load_b64 v[4:5], v10 offset:5120
	s_wait_loadcnt_dscnt 0x0
	s_barrier_signal -1
	s_barrier_wait -1
	global_inv scope:SCOPE_SE
	v_readfirstlane_b32 s4, v4
	v_readfirstlane_b32 s5, v5
	s_and_saveexec_b32 s10, s3
; %bb.182:                              ;   in Loop: Header=BB94_23 Depth=1
	ds_store_b32 v25, v10
; %bb.183:                              ;   in Loop: Header=BB94_23 Depth=1
	s_wait_alu 0xfffe
	s_or_b32 exec_lo, exec_lo, s10
	s_lshl_b32 s10, 2, s93
	v_or_b32_e32 v31, s14, v31
	s_wait_alu 0xfffe
	v_and_or_b32 v27, v27, s18, s10
	s_mov_b32 s23, -1
	s_mov_b32 s76, 0
	s_cmp_eq_u64 s[4:5], 0
	s_mov_b32 s12, 0
	s_mov_b32 s13, -1
	s_wait_loadcnt_dscnt 0x0
	s_barrier_signal -1
	s_barrier_wait -1
	global_inv scope:SCOPE_SE
                                        ; implicit-def: $vgpr17
	s_cbranch_scc1 .LBB94_199
; %bb.184:                              ;   in Loop: Header=BB94_23 Depth=1
	s_add_nc_u64 s[10:11], s[4:5], s[70:71]
	s_mov_b32 s12, s69
	s_wait_alu 0xfffe
	s_mov_b32 s13, s11
	s_wait_alu 0xfffe
	s_cmp_lg_u64 s[12:13], 0
	s_cbranch_scc0 .LBB94_240
; %bb.185:                              ;   in Loop: Header=BB94_23 Depth=1
	s_cvt_f32_u32 s12, s64
	s_sub_nc_u64 s[56:57], 0, s[64:65]
	s_wait_alu 0xfffe
	s_delay_alu instid0(SALU_CYCLE_1) | instskip(SKIP_1) | instid1(SALU_CYCLE_2)
	s_fmamk_f32 s12, s95, 0x0, s12
	s_wait_alu 0xfffe
	v_s_rcp_f32 s12, s12
	s_delay_alu instid0(TRANS32_DEP_1) | instskip(SKIP_1) | instid1(SALU_CYCLE_2)
	s_mul_f32 s12, s12, 0x5f7ffffc
	s_wait_alu 0xfffe
	s_mul_f32 s13, s12, 0x2f800000
	s_wait_alu 0xfffe
	s_delay_alu instid0(SALU_CYCLE_2) | instskip(SKIP_1) | instid1(SALU_CYCLE_2)
	s_trunc_f32 s13, s13
	s_wait_alu 0xfffe
	s_fmamk_f32 s12, s13, 0xcf800000, s12
	s_cvt_u32_f32 s13, s13
	s_wait_alu 0xfffe
	s_delay_alu instid0(SALU_CYCLE_1) | instskip(SKIP_1) | instid1(SALU_CYCLE_2)
	s_cvt_u32_f32 s12, s12
	s_wait_alu 0xfffe
	s_mul_u64 s[80:81], s[56:57], s[12:13]
	s_wait_alu 0xfffe
	s_mul_hi_u32 s83, s12, s81
	s_mul_i32 s82, s12, s81
	s_mul_hi_u32 s68, s12, s80
	s_mul_i32 s84, s13, s80
	s_wait_alu 0xfffe
	s_add_nc_u64 s[82:83], s[68:69], s[82:83]
	s_mul_hi_u32 s79, s13, s80
	s_mul_hi_u32 s85, s13, s81
	s_wait_alu 0xfffe
	s_add_co_u32 s68, s82, s84
	s_add_co_ci_u32 s68, s83, s79
	s_mul_i32 s80, s13, s81
	s_add_co_ci_u32 s81, s85, 0
	s_wait_alu 0xfffe
	s_add_nc_u64 s[80:81], s[68:69], s[80:81]
	s_wait_alu 0xfffe
	s_add_co_u32 s12, s12, s80
	s_cselect_b32 s68, -1, 0
	s_wait_alu 0xfffe
	s_cmp_lg_u32 s68, 0
	s_add_co_ci_u32 s13, s13, s81
	s_wait_alu 0xfffe
	s_mul_u64 s[56:57], s[56:57], s[12:13]
	s_wait_alu 0xfffe
	s_mul_hi_u32 s81, s12, s57
	s_mul_i32 s80, s12, s57
	s_mul_hi_u32 s68, s12, s56
	s_mul_i32 s82, s13, s56
	s_wait_alu 0xfffe
	s_add_nc_u64 s[80:81], s[68:69], s[80:81]
	s_mul_hi_u32 s79, s13, s56
	s_mul_hi_u32 s83, s13, s57
	s_mul_i32 s56, s13, s57
	s_wait_alu 0xfffe
	s_add_co_u32 s57, s80, s82
	s_add_co_ci_u32 s68, s81, s79
	s_add_co_ci_u32 s57, s83, 0
	s_wait_alu 0xfffe
	s_add_nc_u64 s[56:57], s[68:69], s[56:57]
	s_wait_alu 0xfffe
	s_add_co_u32 s12, s12, s56
	s_cselect_b32 s56, -1, 0
	s_wait_alu 0xfffe
	s_mul_hi_u32 s68, s10, s12
	s_cmp_lg_u32 s56, 0
	s_mul_hi_u32 s79, s11, s12
	s_add_co_ci_u32 s56, s13, s57
	s_mul_i32 s57, s11, s12
	s_wait_alu 0xfffe
	s_mul_hi_u32 s13, s10, s56
	s_mul_i32 s12, s10, s56
	s_mul_hi_u32 s80, s11, s56
	s_wait_alu 0xfffe
	s_add_nc_u64 s[12:13], s[68:69], s[12:13]
	s_mul_i32 s56, s11, s56
	s_wait_alu 0xfffe
	s_add_co_u32 s12, s12, s57
	s_add_co_ci_u32 s68, s13, s79
	s_add_co_ci_u32 s57, s80, 0
	s_wait_alu 0xfffe
	s_add_nc_u64 s[12:13], s[68:69], s[56:57]
	s_wait_alu 0xfffe
	s_mul_u64 s[12:13], s[64:65], s[12:13]
	s_wait_alu 0xfffe
	s_sub_co_u32 s12, s10, s12
	s_cselect_b32 s56, -1, 0
	s_wait_alu 0xfffe
	s_cmp_lg_u32 s56, 0
	s_sub_co_ci_u32 s13, s11, s13
	s_sub_co_u32 s56, s12, s64
	s_cselect_b32 s57, -1, 0
	s_wait_alu 0xfffe
	s_cmp_lg_u32 s57, 0
	s_sub_co_ci_u32 s57, s13, 0
	;; [unrolled: 5-line block ×3, first 2 shown]
	s_cmp_ge_u32 s56, s64
	s_cselect_b32 s80, -1, 0
	s_cmp_eq_u32 s57, 0
	s_wait_alu 0xfffe
	s_cselect_b32 s80, s80, -1
	s_wait_alu 0xfffe
	s_cmp_lg_u32 s80, 0
	s_cselect_b32 s57, s79, s57
	s_cselect_b32 s56, s68, s56
	s_cmp_ge_u32 s12, s64
	s_cselect_b32 s68, -1, 0
	s_cmp_eq_u32 s13, 0
	s_wait_alu 0xfffe
	s_cselect_b32 s68, s68, -1
	s_wait_alu 0xfffe
	s_cmp_lg_u32 s68, 0
	s_cselect_b32 s13, s57, s13
	s_cselect_b32 s12, s56, s12
	s_cbranch_execnz .LBB94_187
.LBB94_186:                             ;   in Loop: Header=BB94_23 Depth=1
	v_cvt_f32_u32_e32 v4, s64
	s_sub_co_i32 s13, 0, s64
	s_delay_alu instid0(VALU_DEP_1) | instskip(NEXT) | instid1(TRANS32_DEP_1)
	v_rcp_iflag_f32_e32 v4, v4
	v_mul_f32_e32 v4, 0x4f7ffffe, v4
	s_delay_alu instid0(VALU_DEP_1) | instskip(NEXT) | instid1(VALU_DEP_1)
	v_cvt_u32_f32_e32 v4, v4
	v_readfirstlane_b32 s12, v4
	s_wait_alu 0xfffe
	s_mul_i32 s13, s13, s12
	s_wait_alu 0xfffe
	s_mul_hi_u32 s13, s12, s13
	s_wait_alu 0xfffe
	s_add_co_i32 s12, s12, s13
	s_wait_alu 0xfffe
	s_mul_hi_u32 s12, s10, s12
	s_wait_alu 0xfffe
	s_mul_i32 s12, s12, s64
	s_wait_alu 0xfffe
	s_sub_co_i32 s12, s10, s12
	s_wait_alu 0xfffe
	s_sub_co_i32 s13, s12, s64
	s_cmp_ge_u32 s12, s64
	s_wait_alu 0xfffe
	s_cselect_b32 s12, s13, s12
	s_wait_alu 0xfffe
	s_sub_co_i32 s13, s12, s64
	s_cmp_ge_u32 s12, s64
	s_wait_alu 0xfffe
	s_cselect_b32 s68, s13, s12
	s_wait_alu 0xfffe
	s_mov_b64 s[12:13], s[68:69]
.LBB94_187:                             ;   in Loop: Header=BB94_23 Depth=1
	s_wait_alu 0xfffe
	s_sub_nc_u64 s[10:11], s[10:11], s[12:13]
	s_mov_b32 s13, 0
	s_mov_b32 s12, 0
	s_mov_b32 s56, exec_lo
                                        ; implicit-def: $vgpr17
	s_wait_alu 0xfffe
	v_cmpx_gt_u64_e64 s[10:11], v[0:1]
	s_cbranch_execz .LBB94_198
; %bb.188:                              ;   in Loop: Header=BB94_23 Depth=1
	v_dual_mov_b32 v6, v11 :: v_dual_mov_b32 v5, v1
	v_mov_b32_e32 v4, v0
                                        ; implicit-def: $sgpr57
	s_branch .LBB94_191
.LBB94_189:                             ;   in Loop: Header=BB94_191 Depth=2
	s_wait_alu 0xfffe
	s_or_b32 exec_lo, exec_lo, s68
	s_wait_loadcnt_dscnt 0x0
	s_barrier_signal -1
	s_barrier_wait -1
	global_inv scope:SCOPE_SE
	ds_load_b64 v[16:17], v10 offset:3072
	s_mov_b32 s68, -1
	s_mov_b32 s79, -1
	s_wait_loadcnt_dscnt 0x0
	s_barrier_signal -1
	s_barrier_wait -1
	global_inv scope:SCOPE_SE
	v_cmp_ne_u32_e32 vcc_lo, 0, v16
	s_cbranch_vccz .LBB94_194
.LBB94_190:                             ;   in Loop: Header=BB94_191 Depth=2
	s_wait_alu 0xfffe
	s_and_b32 s68, exec_lo, s68
	s_wait_alu 0xfffe
	s_or_b32 s12, s68, s12
	s_and_not1_b32 s57, s57, exec_lo
	s_and_b32 s68, s79, exec_lo
	s_wait_alu 0xfffe
	s_or_b32 s57, s57, s68
	s_and_not1_b32 exec_lo, exec_lo, s12
	s_cbranch_execz .LBB94_197
.LBB94_191:                             ;   Parent Loop BB94_23 Depth=1
                                        ; =>  This Inner Loop Header: Depth=2
	s_mov_b32 s68, exec_lo
	s_delay_alu instid0(VALU_DEP_1)
	v_cmpx_gt_u64_e64 s[4:5], v[4:5]
	s_cbranch_execz .LBB94_189
; %bb.192:                              ;   in Loop: Header=BB94_191 Depth=2
	ds_load_b32 v16, v6
	s_wait_dscnt 0x0
	v_xor_b32_e32 v7, 0x80000000, v16
	s_delay_alu instid0(VALU_DEP_1) | instskip(NEXT) | instid1(VALU_DEP_1)
	v_and_b32_e32 v7, v7, v31
	v_cmp_eq_u32_e32 vcc_lo, v7, v27
	s_and_b32 exec_lo, exec_lo, vcc_lo
	s_cbranch_execz .LBB94_189
; %bb.193:                              ;   in Loop: Header=BB94_191 Depth=2
	ds_store_b64 v10, v[15:16] offset:3072
	s_branch .LBB94_189
.LBB94_194:                             ;   in Loop: Header=BB94_191 Depth=2
	v_add_co_u32 v4, vcc_lo, v4, s64
	s_wait_alu 0xfffd
	v_add_co_ci_u32_e64 v5, null, 0, v5, vcc_lo
	v_add_nc_u32_e32 v6, s92, v6
	s_mov_b32 s79, 0
	s_delay_alu instid0(VALU_DEP_2)
	v_cmp_le_u64_e32 vcc_lo, s[10:11], v[4:5]
	s_or_not1_b32 s68, vcc_lo, exec_lo
	s_branch .LBB94_190
.LBB94_195:                             ;   in Loop: Header=BB94_23 Depth=1
                                        ; implicit-def: $sgpr12_sgpr13
	s_branch .LBB94_137
.LBB94_196:                             ;   in Loop: Header=BB94_23 Depth=1
                                        ; implicit-def: $sgpr4_sgpr5
	s_branch .LBB94_156
.LBB94_197:                             ;   in Loop: Header=BB94_23 Depth=1
	s_or_b32 exec_lo, exec_lo, s12
	s_wait_alu 0xfffe
	s_and_b32 s12, s57, exec_lo
.LBB94_198:                             ;   in Loop: Header=BB94_23 Depth=1
	s_or_b32 exec_lo, exec_lo, s56
.LBB94_199:                             ;   in Loop: Header=BB94_23 Depth=1
	s_wait_alu 0xfffe
	s_and_b32 vcc_lo, exec_lo, s13
	s_wait_alu 0xfffe
	s_cbranch_vccz .LBB94_213
; %bb.200:                              ;   in Loop: Header=BB94_23 Depth=1
	s_mov_b32 s4, s69
	s_mov_b32 s5, s73
	s_wait_alu 0xfffe
	s_cmp_lg_u64 s[4:5], 0
	s_cbranch_scc0 .LBB94_241
; %bb.201:                              ;   in Loop: Header=BB94_23 Depth=1
	s_cvt_f32_u32 s4, s64
	s_sub_nc_u64 s[10:11], 0, s[64:65]
	s_wait_alu 0xfffe
	s_delay_alu instid0(SALU_CYCLE_1) | instskip(SKIP_1) | instid1(SALU_CYCLE_2)
	s_fmamk_f32 s4, s95, 0x0, s4
	s_wait_alu 0xfffe
	v_s_rcp_f32 s4, s4
	s_delay_alu instid0(TRANS32_DEP_1) | instskip(SKIP_1) | instid1(SALU_CYCLE_2)
	s_mul_f32 s4, s4, 0x5f7ffffc
	s_wait_alu 0xfffe
	s_mul_f32 s5, s4, 0x2f800000
	s_wait_alu 0xfffe
	s_delay_alu instid0(SALU_CYCLE_2) | instskip(SKIP_1) | instid1(SALU_CYCLE_2)
	s_trunc_f32 s5, s5
	s_wait_alu 0xfffe
	s_fmamk_f32 s4, s5, 0xcf800000, s4
	s_cvt_u32_f32 s5, s5
	s_wait_alu 0xfffe
	s_delay_alu instid0(SALU_CYCLE_1) | instskip(SKIP_1) | instid1(SALU_CYCLE_2)
	s_cvt_u32_f32 s4, s4
	s_wait_alu 0xfffe
	s_mul_u64 s[56:57], s[10:11], s[4:5]
	s_wait_alu 0xfffe
	s_mul_hi_u32 s81, s4, s57
	s_mul_i32 s80, s4, s57
	s_mul_hi_u32 s68, s4, s56
	s_mul_i32 s23, s5, s56
	s_wait_alu 0xfffe
	s_add_nc_u64 s[80:81], s[68:69], s[80:81]
	s_mul_hi_u32 s13, s5, s56
	s_mul_hi_u32 s76, s5, s57
	s_wait_alu 0xfffe
	s_add_co_u32 s23, s80, s23
	s_add_co_ci_u32 s68, s81, s13
	s_mul_i32 s56, s5, s57
	s_add_co_ci_u32 s57, s76, 0
	s_wait_alu 0xfffe
	s_add_nc_u64 s[56:57], s[68:69], s[56:57]
	s_wait_alu 0xfffe
	s_add_co_u32 s4, s4, s56
	s_cselect_b32 s13, -1, 0
	s_wait_alu 0xfffe
	s_cmp_lg_u32 s13, 0
	s_add_co_ci_u32 s5, s5, s57
	s_wait_alu 0xfffe
	s_mul_u64 s[10:11], s[10:11], s[4:5]
	s_wait_alu 0xfffe
	s_mul_hi_u32 s57, s4, s11
	s_mul_i32 s56, s4, s11
	s_mul_hi_u32 s68, s4, s10
	s_mul_i32 s23, s5, s10
	s_wait_alu 0xfffe
	s_add_nc_u64 s[56:57], s[68:69], s[56:57]
	s_mul_hi_u32 s13, s5, s10
	s_mul_hi_u32 s76, s5, s11
	s_mul_i32 s10, s5, s11
	s_wait_alu 0xfffe
	s_add_co_u32 s11, s56, s23
	s_add_co_ci_u32 s68, s57, s13
	s_add_co_ci_u32 s11, s76, 0
	s_wait_alu 0xfffe
	s_add_nc_u64 s[10:11], s[68:69], s[10:11]
	s_wait_alu 0xfffe
	s_add_co_u32 s4, s4, s10
	s_cselect_b32 s10, -1, 0
	s_wait_alu 0xfffe
	s_mul_hi_u32 s68, s72, s4
	s_cmp_lg_u32 s10, 0
	s_mul_hi_u32 s13, s73, s4
	s_add_co_ci_u32 s10, s5, s11
	s_mul_i32 s11, s73, s4
	s_wait_alu 0xfffe
	s_mul_hi_u32 s5, s72, s10
	s_mul_i32 s4, s72, s10
	s_mul_hi_u32 s23, s73, s10
	s_wait_alu 0xfffe
	s_add_nc_u64 s[4:5], s[68:69], s[4:5]
	s_mul_i32 s10, s73, s10
	s_wait_alu 0xfffe
	s_add_co_u32 s4, s4, s11
	s_add_co_ci_u32 s68, s5, s13
	s_add_co_ci_u32 s11, s23, 0
	s_wait_alu 0xfffe
	s_add_nc_u64 s[4:5], s[68:69], s[10:11]
	s_wait_alu 0xfffe
	s_mul_u64 s[4:5], s[64:65], s[4:5]
	s_wait_alu 0xfffe
	s_sub_co_u32 s4, s72, s4
	s_cselect_b32 s10, -1, 0
	s_wait_alu 0xfffe
	s_cmp_lg_u32 s10, 0
	s_sub_co_ci_u32 s5, s73, s5
	s_sub_co_u32 s10, s4, s64
	s_cselect_b32 s11, -1, 0
	s_wait_alu 0xfffe
	s_cmp_lg_u32 s11, 0
	s_sub_co_ci_u32 s11, s5, 0
	;; [unrolled: 5-line block ×3, first 2 shown]
	s_cmp_ge_u32 s10, s64
	s_cselect_b32 s56, -1, 0
	s_cmp_eq_u32 s11, 0
	s_wait_alu 0xfffe
	s_cselect_b32 s56, s56, -1
	s_wait_alu 0xfffe
	s_cmp_lg_u32 s56, 0
	s_cselect_b32 s11, s23, s11
	s_cselect_b32 s10, s13, s10
	s_cmp_ge_u32 s4, s64
	s_cselect_b32 s13, -1, 0
	s_cmp_eq_u32 s5, 0
	s_wait_alu 0xfffe
	s_cselect_b32 s13, s13, -1
	s_wait_alu 0xfffe
	s_cmp_lg_u32 s13, 0
	s_cselect_b32 s5, s11, s5
	s_cselect_b32 s4, s10, s4
	s_cbranch_execnz .LBB94_203
.LBB94_202:                             ;   in Loop: Header=BB94_23 Depth=1
	v_cvt_f32_u32_e32 v4, s64
	s_sub_co_i32 s5, 0, s64
	s_delay_alu instid0(VALU_DEP_1) | instskip(NEXT) | instid1(TRANS32_DEP_1)
	v_rcp_iflag_f32_e32 v4, v4
	v_mul_f32_e32 v4, 0x4f7ffffe, v4
	s_delay_alu instid0(VALU_DEP_1) | instskip(NEXT) | instid1(VALU_DEP_1)
	v_cvt_u32_f32_e32 v4, v4
	v_readfirstlane_b32 s4, v4
	s_wait_alu 0xfffe
	s_mul_i32 s5, s5, s4
	s_wait_alu 0xfffe
	s_mul_hi_u32 s5, s4, s5
	s_wait_alu 0xfffe
	s_add_co_i32 s4, s4, s5
	s_wait_alu 0xfffe
	s_mul_hi_u32 s4, s72, s4
	s_wait_alu 0xfffe
	s_mul_i32 s4, s4, s64
	s_wait_alu 0xfffe
	s_sub_co_i32 s4, s72, s4
	s_wait_alu 0xfffe
	s_sub_co_i32 s5, s4, s64
	s_cmp_ge_u32 s4, s64
	s_wait_alu 0xfffe
	s_cselect_b32 s4, s5, s4
	s_wait_alu 0xfffe
	s_sub_co_i32 s5, s4, s64
	s_cmp_ge_u32 s4, s64
	s_wait_alu 0xfffe
	s_cselect_b32 s68, s5, s4
	s_wait_alu 0xfffe
	s_mov_b64 s[4:5], s[68:69]
.LBB94_203:                             ;   in Loop: Header=BB94_23 Depth=1
	s_wait_alu 0xfffe
	s_sub_nc_u64 s[4:5], s[72:73], s[4:5]
	s_mov_b32 s10, exec_lo
                                        ; implicit-def: $vgpr17
	s_wait_alu 0xfffe
	v_cmpx_gt_u64_e64 s[4:5], v[0:1]
	s_cbranch_execz .LBB94_212
; %bb.204:                              ;   in Loop: Header=BB94_23 Depth=1
	v_dual_mov_b32 v5, v1 :: v_dual_mov_b32 v4, v0
	s_mov_b32 s11, 0
                                        ; implicit-def: $sgpr13
	s_branch .LBB94_207
.LBB94_205:                             ;   in Loop: Header=BB94_207 Depth=2
	s_wait_alu 0xfffe
	s_or_b32 exec_lo, exec_lo, s23
	s_wait_loadcnt_dscnt 0x0
	s_barrier_signal -1
	s_barrier_wait -1
	global_inv scope:SCOPE_SE
	ds_load_b64 v[16:17], v10 offset:3072
	s_mov_b32 s56, -1
	s_mov_b32 s23, -1
	s_wait_loadcnt_dscnt 0x0
	s_barrier_signal -1
	s_barrier_wait -1
	global_inv scope:SCOPE_SE
	v_cmp_eq_u32_e32 vcc_lo, 0, v16
	s_cbranch_vccnz .LBB94_210
.LBB94_206:                             ;   in Loop: Header=BB94_207 Depth=2
	s_wait_alu 0xfffe
	s_and_b32 s56, exec_lo, s56
	s_wait_alu 0xfffe
	s_or_b32 s11, s56, s11
	s_and_not1_b32 s13, s13, exec_lo
	s_and_b32 s23, s23, exec_lo
	s_wait_alu 0xfffe
	s_or_b32 s13, s13, s23
	s_and_not1_b32 exec_lo, exec_lo, s11
	s_cbranch_execz .LBB94_211
.LBB94_207:                             ;   Parent Loop BB94_23 Depth=1
                                        ; =>  This Inner Loop Header: Depth=2
	s_mov_b32 s23, exec_lo
	s_delay_alu instid0(VALU_DEP_1)
	v_cmpx_gt_u64_e64 s[24:25], v[4:5]
	s_cbranch_execz .LBB94_205
; %bb.208:                              ;   in Loop: Header=BB94_207 Depth=2
	v_mul_lo_u32 v9, v5, s54
	v_mul_lo_u32 v16, v4, s55
	v_mad_co_u64_u32 v[6:7], null, v4, s54, 0
	s_delay_alu instid0(VALU_DEP_1) | instskip(NEXT) | instid1(VALU_DEP_1)
	v_add3_u32 v7, v7, v16, v9
	v_lshlrev_b64_e32 v[6:7], 2, v[6:7]
	s_delay_alu instid0(VALU_DEP_1) | instskip(SKIP_1) | instid1(VALU_DEP_2)
	v_add_co_u32 v6, vcc_lo, s62, v6
	s_wait_alu 0xfffd
	v_add_co_ci_u32_e64 v7, null, s63, v7, vcc_lo
	global_load_b32 v16, v[6:7], off
	s_wait_loadcnt 0x0
	v_xor_b32_e32 v6, 0x80000000, v16
	s_delay_alu instid0(VALU_DEP_1) | instskip(NEXT) | instid1(VALU_DEP_1)
	v_and_b32_e32 v6, v6, v31
	v_cmp_eq_u32_e32 vcc_lo, v6, v27
	s_and_b32 exec_lo, exec_lo, vcc_lo
	s_cbranch_execz .LBB94_205
; %bb.209:                              ;   in Loop: Header=BB94_207 Depth=2
	ds_store_b64 v10, v[15:16] offset:3072
	s_branch .LBB94_205
.LBB94_210:                             ;   in Loop: Header=BB94_207 Depth=2
	v_add_co_u32 v4, vcc_lo, v4, s64
	s_wait_alu 0xfffd
	v_add_co_ci_u32_e64 v5, null, 0, v5, vcc_lo
	s_mov_b32 s23, 0
	v_cmp_le_u64_e32 vcc_lo, s[4:5], v[4:5]
	s_or_not1_b32 s56, vcc_lo, exec_lo
	s_branch .LBB94_206
.LBB94_211:                             ;   in Loop: Header=BB94_23 Depth=1
	s_or_b32 exec_lo, exec_lo, s11
	s_delay_alu instid0(SALU_CYCLE_1)
	s_and_not1_b32 s4, s12, exec_lo
	s_wait_alu 0xfffe
	s_and_b32 s5, s13, exec_lo
	s_wait_alu 0xfffe
	s_or_b32 s12, s4, s5
.LBB94_212:                             ;   in Loop: Header=BB94_23 Depth=1
	s_or_b32 exec_lo, exec_lo, s10
	s_mov_b32 s23, 0
	s_mov_b32 s76, -1
.LBB94_213:                             ;   in Loop: Header=BB94_23 Depth=1
	s_wait_alu 0xfffe
	s_or_not1_b32 s4, s12, exec_lo
.LBB94_214:                             ;   in Loop: Header=BB94_23 Depth=1
	s_wait_alu 0xfffe
	s_or_b32 exec_lo, exec_lo, s78
	s_mov_b32 s5, 0
	s_and_saveexec_b32 s12, s4
	s_cbranch_execz .LBB94_272
; %bb.215:                              ;   in Loop: Header=BB94_23 Depth=1
	v_mov_b32_e32 v4, 1
	v_dual_mov_b32 v5, 0 :: v_dual_mov_b32 v8, 1
	s_xor_b32 s10, s77, -1
	s_wait_alu 0xfffe
	s_and_saveexec_b32 s4, s10
	s_cbranch_execz .LBB94_224
; %bb.216:                              ;   in Loop: Header=BB94_23 Depth=1
	s_mov_b32 s5, exec_lo
	v_cmpx_ge_u64_e64 s[8:9], v[2:3]
	s_wait_alu 0xfffe
	s_xor_b32 s5, exec_lo, s5
	s_cbranch_execz .LBB94_221
; %bb.217:                              ;   in Loop: Header=BB94_23 Depth=1
	ds_load_b64 v[4:5], v10 offset:5120
	s_lshl_b32 s10, 2, s93
	v_or_b32_e32 v31, s14, v31
	s_wait_alu 0xfffe
	v_and_or_b32 v27, v27, s18, s10
	s_wait_dscnt 0x0
	v_cmp_ne_u64_e32 vcc_lo, 0, v[4:5]
	s_cbranch_vccnz .LBB94_221
; %bb.218:                              ;   in Loop: Header=BB94_23 Depth=1
	s_and_saveexec_b32 s10, s2
; %bb.219:                              ;   in Loop: Header=BB94_23 Depth=1
	v_dual_mov_b32 v4, s8 :: v_dual_mov_b32 v5, s9
	ds_store_b64 v10, v[4:5] offset:5128
; %bb.220:                              ;   in Loop: Header=BB94_23 Depth=1
	s_wait_alu 0xfffe
	s_or_b32 exec_lo, exec_lo, s10
	s_wait_loadcnt_dscnt 0x0
	s_barrier_signal -1
	s_barrier_wait -1
	global_inv scope:SCOPE_SE
.LBB94_221:                             ;   in Loop: Header=BB94_23 Depth=1
	s_wait_alu 0xfffe
	s_or_saveexec_b32 s5, s5
	v_mov_b32_e32 v8, 8
	s_mov_b32 s10, 0
	s_wait_alu 0xfffe
	s_xor_b32 exec_lo, exec_lo, s5
; %bb.222:                              ;   in Loop: Header=BB94_23 Depth=1
	v_sub_co_u32 v2, vcc_lo, v2, s8
	s_wait_alu 0xfffd
	v_subrev_co_ci_u32_e64 v3, null, s9, v3, vcc_lo
	v_mov_b32_e32 v8, 0
	s_mov_b32 s10, exec_lo
; %bb.223:                              ;   in Loop: Header=BB94_23 Depth=1
	s_or_b32 exec_lo, exec_lo, s5
	s_delay_alu instid0(VALU_DEP_2)
	v_dual_mov_b32 v5, v3 :: v_dual_mov_b32 v4, v2
	s_wait_alu 0xfffe
	s_and_b32 s5, s10, exec_lo
.LBB94_224:                             ;   in Loop: Header=BB94_23 Depth=1
	s_wait_alu 0xfffe
	s_or_b32 exec_lo, exec_lo, s4
	s_mov_b32 s4, -1
                                        ; implicit-def: $sgpr79
                                        ; implicit-def: $sgpr78
	s_and_saveexec_b32 s13, s5
	s_cbranch_execz .LBB94_271
; %bb.225:                              ;   in Loop: Header=BB94_23 Depth=1
	v_cmp_eq_u64_e32 vcc_lo, 1, v[4:5]
	s_cmp_eq_u64 s[6:7], 1
	s_mov_b32 s5, -1
	s_cselect_b32 s4, -1, 0
                                        ; implicit-def: $sgpr79
                                        ; implicit-def: $sgpr78
	s_wait_alu 0xfffe
	s_and_b32 s18, s4, vcc_lo
	s_wait_alu 0xfffe
	s_and_saveexec_b32 s77, s18
	s_cbranch_execz .LBB94_259
; %bb.226:                              ;   in Loop: Header=BB94_23 Depth=1
	ds_load_b64 v[2:3], v10 offset:5120
	s_wait_loadcnt_dscnt 0x0
	s_barrier_signal -1
	s_barrier_wait -1
	global_inv scope:SCOPE_SE
	v_readfirstlane_b32 s4, v2
	v_readfirstlane_b32 s5, v3
	s_and_saveexec_b32 s8, s3
; %bb.227:                              ;   in Loop: Header=BB94_23 Depth=1
	ds_store_b32 v25, v10
; %bb.228:                              ;   in Loop: Header=BB94_23 Depth=1
	s_wait_alu 0xfffe
	s_or_b32 exec_lo, exec_lo, s8
	v_or_b32_e32 v27, s14, v27
	v_or_b32_e32 v31, s14, v31
	s_mov_b32 s78, -1
	s_mov_b32 s79, 0
	s_cmp_eq_u64 s[4:5], 0
	s_mov_b32 s10, 0
	s_mov_b32 s11, -1
	s_wait_loadcnt_dscnt 0x0
	s_barrier_signal -1
	s_barrier_wait -1
	global_inv scope:SCOPE_SE
                                        ; implicit-def: $vgpr17
	s_cbranch_scc1 .LBB94_244
; %bb.229:                              ;   in Loop: Header=BB94_23 Depth=1
	s_add_nc_u64 s[8:9], s[4:5], s[70:71]
	s_mov_b32 s10, s69
	s_wait_alu 0xfffe
	s_mov_b32 s11, s9
	s_wait_alu 0xfffe
	s_cmp_lg_u64 s[10:11], 0
	s_cbranch_scc0 .LBB94_278
; %bb.230:                              ;   in Loop: Header=BB94_23 Depth=1
	s_cvt_f32_u32 s10, s64
	s_sub_nc_u64 s[56:57], 0, s[64:65]
	s_wait_alu 0xfffe
	s_delay_alu instid0(SALU_CYCLE_1) | instskip(SKIP_1) | instid1(SALU_CYCLE_2)
	s_fmamk_f32 s10, s95, 0x0, s10
	s_wait_alu 0xfffe
	v_s_rcp_f32 s10, s10
	s_delay_alu instid0(TRANS32_DEP_1) | instskip(SKIP_1) | instid1(SALU_CYCLE_2)
	s_mul_f32 s10, s10, 0x5f7ffffc
	s_wait_alu 0xfffe
	s_mul_f32 s11, s10, 0x2f800000
	s_wait_alu 0xfffe
	s_delay_alu instid0(SALU_CYCLE_2) | instskip(SKIP_1) | instid1(SALU_CYCLE_2)
	s_trunc_f32 s11, s11
	s_wait_alu 0xfffe
	s_fmamk_f32 s10, s11, 0xcf800000, s10
	s_cvt_u32_f32 s11, s11
	s_wait_alu 0xfffe
	s_delay_alu instid0(SALU_CYCLE_1) | instskip(SKIP_1) | instid1(SALU_CYCLE_2)
	s_cvt_u32_f32 s10, s10
	s_wait_alu 0xfffe
	s_mul_u64 s[80:81], s[56:57], s[10:11]
	s_wait_alu 0xfffe
	s_mul_hi_u32 s83, s10, s81
	s_mul_i32 s82, s10, s81
	s_mul_hi_u32 s68, s10, s80
	s_mul_i32 s85, s11, s80
	s_wait_alu 0xfffe
	s_add_nc_u64 s[82:83], s[68:69], s[82:83]
	s_mul_hi_u32 s84, s11, s80
	s_mul_hi_u32 s103, s11, s81
	s_wait_alu 0xfffe
	s_add_co_u32 s68, s82, s85
	s_add_co_ci_u32 s68, s83, s84
	s_mul_i32 s80, s11, s81
	s_add_co_ci_u32 s81, s103, 0
	s_wait_alu 0xfffe
	s_add_nc_u64 s[80:81], s[68:69], s[80:81]
	s_wait_alu 0xfffe
	s_add_co_u32 s10, s10, s80
	s_cselect_b32 s68, -1, 0
	s_wait_alu 0xfffe
	s_cmp_lg_u32 s68, 0
	s_add_co_ci_u32 s11, s11, s81
	s_wait_alu 0xfffe
	s_mul_u64 s[56:57], s[56:57], s[10:11]
	s_wait_alu 0xfffe
	s_mul_hi_u32 s81, s10, s57
	s_mul_i32 s80, s10, s57
	s_mul_hi_u32 s68, s10, s56
	s_mul_i32 s83, s11, s56
	s_wait_alu 0xfffe
	s_add_nc_u64 s[80:81], s[68:69], s[80:81]
	s_mul_hi_u32 s82, s11, s56
	s_mul_hi_u32 s84, s11, s57
	s_mul_i32 s56, s11, s57
	s_wait_alu 0xfffe
	s_add_co_u32 s57, s80, s83
	s_add_co_ci_u32 s68, s81, s82
	s_add_co_ci_u32 s57, s84, 0
	s_wait_alu 0xfffe
	s_add_nc_u64 s[56:57], s[68:69], s[56:57]
	s_wait_alu 0xfffe
	s_add_co_u32 s10, s10, s56
	s_cselect_b32 s56, -1, 0
	s_wait_alu 0xfffe
	s_mul_hi_u32 s68, s8, s10
	s_cmp_lg_u32 s56, 0
	s_mul_hi_u32 s80, s9, s10
	s_add_co_ci_u32 s56, s11, s57
	s_mul_i32 s57, s9, s10
	s_wait_alu 0xfffe
	s_mul_hi_u32 s11, s8, s56
	s_mul_i32 s10, s8, s56
	s_mul_hi_u32 s81, s9, s56
	s_wait_alu 0xfffe
	s_add_nc_u64 s[10:11], s[68:69], s[10:11]
	s_mul_i32 s56, s9, s56
	s_wait_alu 0xfffe
	s_add_co_u32 s10, s10, s57
	s_add_co_ci_u32 s68, s11, s80
	s_add_co_ci_u32 s57, s81, 0
	s_wait_alu 0xfffe
	s_add_nc_u64 s[10:11], s[68:69], s[56:57]
	s_wait_alu 0xfffe
	s_mul_u64 s[10:11], s[64:65], s[10:11]
	s_wait_alu 0xfffe
	s_sub_co_u32 s10, s8, s10
	s_cselect_b32 s56, -1, 0
	s_wait_alu 0xfffe
	s_cmp_lg_u32 s56, 0
	s_sub_co_ci_u32 s11, s9, s11
	s_sub_co_u32 s56, s10, s64
	s_cselect_b32 s57, -1, 0
	s_wait_alu 0xfffe
	s_cmp_lg_u32 s57, 0
	s_sub_co_ci_u32 s57, s11, 0
	;; [unrolled: 5-line block ×3, first 2 shown]
	s_cmp_ge_u32 s56, s64
	s_cselect_b32 s81, -1, 0
	s_cmp_eq_u32 s57, 0
	s_wait_alu 0xfffe
	s_cselect_b32 s81, s81, -1
	s_wait_alu 0xfffe
	s_cmp_lg_u32 s81, 0
	s_cselect_b32 s57, s80, s57
	s_cselect_b32 s56, s68, s56
	s_cmp_ge_u32 s10, s64
	s_cselect_b32 s68, -1, 0
	s_cmp_eq_u32 s11, 0
	s_wait_alu 0xfffe
	s_cselect_b32 s68, s68, -1
	s_wait_alu 0xfffe
	s_cmp_lg_u32 s68, 0
	s_cselect_b32 s11, s57, s11
	s_cselect_b32 s10, s56, s10
	s_cbranch_execnz .LBB94_232
.LBB94_231:                             ;   in Loop: Header=BB94_23 Depth=1
	v_cvt_f32_u32_e32 v2, s64
	s_sub_co_i32 s11, 0, s64
	s_delay_alu instid0(VALU_DEP_1) | instskip(NEXT) | instid1(TRANS32_DEP_1)
	v_rcp_iflag_f32_e32 v2, v2
	v_mul_f32_e32 v2, 0x4f7ffffe, v2
	s_delay_alu instid0(VALU_DEP_1) | instskip(NEXT) | instid1(VALU_DEP_1)
	v_cvt_u32_f32_e32 v2, v2
	v_readfirstlane_b32 s10, v2
	s_wait_alu 0xfffe
	s_mul_i32 s11, s11, s10
	s_wait_alu 0xfffe
	s_mul_hi_u32 s11, s10, s11
	s_wait_alu 0xfffe
	s_add_co_i32 s10, s10, s11
	s_wait_alu 0xfffe
	s_mul_hi_u32 s10, s8, s10
	s_wait_alu 0xfffe
	s_mul_i32 s10, s10, s64
	s_wait_alu 0xfffe
	s_sub_co_i32 s10, s8, s10
	s_wait_alu 0xfffe
	s_sub_co_i32 s11, s10, s64
	s_cmp_ge_u32 s10, s64
	s_wait_alu 0xfffe
	s_cselect_b32 s10, s11, s10
	s_wait_alu 0xfffe
	s_sub_co_i32 s11, s10, s64
	s_cmp_ge_u32 s10, s64
	s_wait_alu 0xfffe
	s_cselect_b32 s68, s11, s10
	s_wait_alu 0xfffe
	s_mov_b64 s[10:11], s[68:69]
.LBB94_232:                             ;   in Loop: Header=BB94_23 Depth=1
	s_wait_alu 0xfffe
	s_sub_nc_u64 s[8:9], s[8:9], s[10:11]
	s_mov_b32 s11, 0
	s_mov_b32 s10, 0
	s_mov_b32 s56, exec_lo
                                        ; implicit-def: $vgpr17
	s_wait_alu 0xfffe
	v_cmpx_gt_u64_e64 s[8:9], v[0:1]
	s_cbranch_execz .LBB94_243
; %bb.233:                              ;   in Loop: Header=BB94_23 Depth=1
	v_dual_mov_b32 v6, v11 :: v_dual_mov_b32 v3, v1
	v_mov_b32_e32 v2, v0
                                        ; implicit-def: $sgpr57
	s_branch .LBB94_236
.LBB94_234:                             ;   in Loop: Header=BB94_236 Depth=2
	s_wait_alu 0xfffe
	s_or_b32 exec_lo, exec_lo, s68
	s_wait_loadcnt_dscnt 0x0
	s_barrier_signal -1
	s_barrier_wait -1
	global_inv scope:SCOPE_SE
	ds_load_b64 v[16:17], v10 offset:3072
	s_mov_b32 s68, -1
	s_mov_b32 s80, -1
	s_wait_loadcnt_dscnt 0x0
	s_barrier_signal -1
	s_barrier_wait -1
	global_inv scope:SCOPE_SE
	v_cmp_ne_u32_e32 vcc_lo, 0, v16
	s_cbranch_vccz .LBB94_239
.LBB94_235:                             ;   in Loop: Header=BB94_236 Depth=2
	s_wait_alu 0xfffe
	s_and_b32 s68, exec_lo, s68
	s_wait_alu 0xfffe
	s_or_b32 s10, s68, s10
	s_and_not1_b32 s57, s57, exec_lo
	s_and_b32 s68, s80, exec_lo
	s_wait_alu 0xfffe
	s_or_b32 s57, s57, s68
	s_and_not1_b32 exec_lo, exec_lo, s10
	s_cbranch_execz .LBB94_242
.LBB94_236:                             ;   Parent Loop BB94_23 Depth=1
                                        ; =>  This Inner Loop Header: Depth=2
	s_mov_b32 s68, exec_lo
	s_delay_alu instid0(VALU_DEP_1)
	v_cmpx_gt_u64_e64 s[4:5], v[2:3]
	s_cbranch_execz .LBB94_234
; %bb.237:                              ;   in Loop: Header=BB94_236 Depth=2
	ds_load_b32 v16, v6
	s_wait_dscnt 0x0
	v_xor_b32_e32 v7, 0x80000000, v16
	s_delay_alu instid0(VALU_DEP_1) | instskip(NEXT) | instid1(VALU_DEP_1)
	v_and_b32_e32 v7, v7, v31
	v_cmp_eq_u32_e32 vcc_lo, v7, v27
	s_and_b32 exec_lo, exec_lo, vcc_lo
	s_cbranch_execz .LBB94_234
; %bb.238:                              ;   in Loop: Header=BB94_236 Depth=2
	ds_store_b64 v10, v[15:16] offset:3072
	s_branch .LBB94_234
.LBB94_239:                             ;   in Loop: Header=BB94_236 Depth=2
	v_add_co_u32 v2, vcc_lo, v2, s64
	s_wait_alu 0xfffd
	v_add_co_ci_u32_e64 v3, null, 0, v3, vcc_lo
	v_add_nc_u32_e32 v6, s92, v6
	s_mov_b32 s80, 0
	s_delay_alu instid0(VALU_DEP_2)
	v_cmp_le_u64_e32 vcc_lo, s[8:9], v[2:3]
	s_or_not1_b32 s68, vcc_lo, exec_lo
	s_branch .LBB94_235
.LBB94_240:                             ;   in Loop: Header=BB94_23 Depth=1
                                        ; implicit-def: $sgpr12_sgpr13
	s_branch .LBB94_186
.LBB94_241:                             ;   in Loop: Header=BB94_23 Depth=1
                                        ; implicit-def: $sgpr4_sgpr5
	s_branch .LBB94_202
.LBB94_242:                             ;   in Loop: Header=BB94_23 Depth=1
	s_or_b32 exec_lo, exec_lo, s10
	s_wait_alu 0xfffe
	s_and_b32 s10, s57, exec_lo
.LBB94_243:                             ;   in Loop: Header=BB94_23 Depth=1
	s_or_b32 exec_lo, exec_lo, s56
.LBB94_244:                             ;   in Loop: Header=BB94_23 Depth=1
	s_wait_alu 0xfffe
	s_and_b32 vcc_lo, exec_lo, s11
	s_wait_alu 0xfffe
	s_cbranch_vccz .LBB94_258
; %bb.245:                              ;   in Loop: Header=BB94_23 Depth=1
	s_mov_b32 s4, s69
	s_mov_b32 s5, s73
	s_wait_alu 0xfffe
	s_cmp_lg_u64 s[4:5], 0
	s_cbranch_scc0 .LBB94_279
; %bb.246:                              ;   in Loop: Header=BB94_23 Depth=1
	s_cvt_f32_u32 s4, s64
	s_sub_nc_u64 s[8:9], 0, s[64:65]
	s_wait_alu 0xfffe
	s_delay_alu instid0(SALU_CYCLE_1) | instskip(SKIP_1) | instid1(SALU_CYCLE_2)
	s_fmamk_f32 s4, s95, 0x0, s4
	s_wait_alu 0xfffe
	v_s_rcp_f32 s4, s4
	s_delay_alu instid0(TRANS32_DEP_1) | instskip(SKIP_1) | instid1(SALU_CYCLE_2)
	s_mul_f32 s4, s4, 0x5f7ffffc
	s_wait_alu 0xfffe
	s_mul_f32 s5, s4, 0x2f800000
	s_wait_alu 0xfffe
	s_delay_alu instid0(SALU_CYCLE_2) | instskip(SKIP_1) | instid1(SALU_CYCLE_2)
	s_trunc_f32 s5, s5
	s_wait_alu 0xfffe
	s_fmamk_f32 s4, s5, 0xcf800000, s4
	s_cvt_u32_f32 s5, s5
	s_wait_alu 0xfffe
	s_delay_alu instid0(SALU_CYCLE_1) | instskip(SKIP_1) | instid1(SALU_CYCLE_2)
	s_cvt_u32_f32 s4, s4
	s_wait_alu 0xfffe
	s_mul_u64 s[56:57], s[8:9], s[4:5]
	s_wait_alu 0xfffe
	s_mul_hi_u32 s79, s4, s57
	s_mul_i32 s78, s4, s57
	s_mul_hi_u32 s68, s4, s56
	s_mul_i32 s80, s5, s56
	s_wait_alu 0xfffe
	s_add_nc_u64 s[78:79], s[68:69], s[78:79]
	s_mul_hi_u32 s11, s5, s56
	s_mul_hi_u32 s81, s5, s57
	s_mul_i32 s56, s5, s57
	s_wait_alu 0xfffe
	s_add_co_u32 s57, s78, s80
	s_add_co_ci_u32 s68, s79, s11
	s_add_co_ci_u32 s57, s81, 0
	s_wait_alu 0xfffe
	s_add_nc_u64 s[56:57], s[68:69], s[56:57]
	s_wait_alu 0xfffe
	s_add_co_u32 s4, s4, s56
	s_cselect_b32 s11, -1, 0
	s_wait_alu 0xfffe
	s_cmp_lg_u32 s11, 0
	s_add_co_ci_u32 s5, s5, s57
	s_wait_alu 0xfffe
	s_mul_u64 s[8:9], s[8:9], s[4:5]
	s_wait_alu 0xfffe
	s_mul_hi_u32 s57, s4, s9
	s_mul_i32 s56, s4, s9
	s_mul_hi_u32 s68, s4, s8
	s_mul_i32 s78, s5, s8
	s_wait_alu 0xfffe
	s_add_nc_u64 s[56:57], s[68:69], s[56:57]
	s_mul_hi_u32 s11, s5, s8
	s_mul_hi_u32 s79, s5, s9
	s_mul_i32 s8, s5, s9
	s_wait_alu 0xfffe
	s_add_co_u32 s9, s56, s78
	s_add_co_ci_u32 s68, s57, s11
	s_add_co_ci_u32 s9, s79, 0
	s_wait_alu 0xfffe
	s_add_nc_u64 s[8:9], s[68:69], s[8:9]
	s_wait_alu 0xfffe
	s_add_co_u32 s4, s4, s8
	s_cselect_b32 s8, -1, 0
	s_wait_alu 0xfffe
	s_mul_hi_u32 s68, s72, s4
	s_cmp_lg_u32 s8, 0
	s_mul_hi_u32 s11, s73, s4
	s_add_co_ci_u32 s8, s5, s9
	s_mul_i32 s9, s73, s4
	s_wait_alu 0xfffe
	s_mul_hi_u32 s5, s72, s8
	s_mul_i32 s4, s72, s8
	s_mul_hi_u32 s56, s73, s8
	s_wait_alu 0xfffe
	s_add_nc_u64 s[4:5], s[68:69], s[4:5]
	s_mul_i32 s8, s73, s8
	s_wait_alu 0xfffe
	s_add_co_u32 s4, s4, s9
	s_add_co_ci_u32 s68, s5, s11
	s_add_co_ci_u32 s9, s56, 0
	s_wait_alu 0xfffe
	s_add_nc_u64 s[4:5], s[68:69], s[8:9]
	s_wait_alu 0xfffe
	s_mul_u64 s[4:5], s[64:65], s[4:5]
	s_wait_alu 0xfffe
	s_sub_co_u32 s4, s72, s4
	s_cselect_b32 s8, -1, 0
	s_wait_alu 0xfffe
	s_cmp_lg_u32 s8, 0
	s_sub_co_ci_u32 s5, s73, s5
	s_sub_co_u32 s8, s4, s64
	s_cselect_b32 s9, -1, 0
	s_wait_alu 0xfffe
	s_cmp_lg_u32 s9, 0
	s_sub_co_ci_u32 s9, s5, 0
	s_sub_co_u32 s11, s8, s64
	s_cselect_b32 s56, -1, 0
	s_wait_alu 0xfffe
	s_cmp_lg_u32 s56, 0
	s_sub_co_ci_u32 s56, s9, 0
	s_cmp_ge_u32 s8, s64
	s_cselect_b32 s57, -1, 0
	s_cmp_eq_u32 s9, 0
	s_wait_alu 0xfffe
	s_cselect_b32 s57, s57, -1
	s_wait_alu 0xfffe
	s_cmp_lg_u32 s57, 0
	s_cselect_b32 s9, s56, s9
	s_cselect_b32 s8, s11, s8
	s_cmp_ge_u32 s4, s64
	s_cselect_b32 s11, -1, 0
	s_cmp_eq_u32 s5, 0
	s_wait_alu 0xfffe
	s_cselect_b32 s11, s11, -1
	s_wait_alu 0xfffe
	s_cmp_lg_u32 s11, 0
	s_cselect_b32 s5, s9, s5
	s_cselect_b32 s4, s8, s4
	s_cbranch_execnz .LBB94_248
.LBB94_247:                             ;   in Loop: Header=BB94_23 Depth=1
	v_cvt_f32_u32_e32 v2, s64
	s_sub_co_i32 s5, 0, s64
	s_delay_alu instid0(VALU_DEP_1) | instskip(NEXT) | instid1(TRANS32_DEP_1)
	v_rcp_iflag_f32_e32 v2, v2
	v_mul_f32_e32 v2, 0x4f7ffffe, v2
	s_delay_alu instid0(VALU_DEP_1) | instskip(NEXT) | instid1(VALU_DEP_1)
	v_cvt_u32_f32_e32 v2, v2
	v_readfirstlane_b32 s4, v2
	s_wait_alu 0xfffe
	s_mul_i32 s5, s5, s4
	s_wait_alu 0xfffe
	s_mul_hi_u32 s5, s4, s5
	s_wait_alu 0xfffe
	s_add_co_i32 s4, s4, s5
	s_wait_alu 0xfffe
	s_mul_hi_u32 s4, s72, s4
	s_wait_alu 0xfffe
	s_mul_i32 s4, s4, s64
	s_wait_alu 0xfffe
	s_sub_co_i32 s4, s72, s4
	s_wait_alu 0xfffe
	s_sub_co_i32 s5, s4, s64
	s_cmp_ge_u32 s4, s64
	s_wait_alu 0xfffe
	s_cselect_b32 s4, s5, s4
	s_wait_alu 0xfffe
	s_sub_co_i32 s5, s4, s64
	s_cmp_ge_u32 s4, s64
	s_wait_alu 0xfffe
	s_cselect_b32 s68, s5, s4
	s_wait_alu 0xfffe
	s_mov_b64 s[4:5], s[68:69]
.LBB94_248:                             ;   in Loop: Header=BB94_23 Depth=1
	s_wait_alu 0xfffe
	s_sub_nc_u64 s[4:5], s[72:73], s[4:5]
	s_mov_b32 s8, exec_lo
                                        ; implicit-def: $vgpr17
	s_wait_alu 0xfffe
	v_cmpx_gt_u64_e64 s[4:5], v[0:1]
	s_cbranch_execz .LBB94_257
; %bb.249:                              ;   in Loop: Header=BB94_23 Depth=1
	v_dual_mov_b32 v3, v1 :: v_dual_mov_b32 v2, v0
	s_mov_b32 s9, 0
                                        ; implicit-def: $sgpr11
	s_branch .LBB94_252
.LBB94_250:                             ;   in Loop: Header=BB94_252 Depth=2
	s_wait_alu 0xfffe
	s_or_b32 exec_lo, exec_lo, s56
	s_wait_loadcnt_dscnt 0x0
	s_barrier_signal -1
	s_barrier_wait -1
	global_inv scope:SCOPE_SE
	ds_load_b64 v[16:17], v10 offset:3072
	s_mov_b32 s57, -1
	s_mov_b32 s56, -1
	s_wait_loadcnt_dscnt 0x0
	s_barrier_signal -1
	s_barrier_wait -1
	global_inv scope:SCOPE_SE
	v_cmp_eq_u32_e32 vcc_lo, 0, v16
	s_cbranch_vccnz .LBB94_255
.LBB94_251:                             ;   in Loop: Header=BB94_252 Depth=2
	s_wait_alu 0xfffe
	s_and_b32 s57, exec_lo, s57
	s_wait_alu 0xfffe
	s_or_b32 s9, s57, s9
	s_and_not1_b32 s11, s11, exec_lo
	s_and_b32 s56, s56, exec_lo
	s_wait_alu 0xfffe
	s_or_b32 s11, s11, s56
	s_and_not1_b32 exec_lo, exec_lo, s9
	s_cbranch_execz .LBB94_256
.LBB94_252:                             ;   Parent Loop BB94_23 Depth=1
                                        ; =>  This Inner Loop Header: Depth=2
	s_mov_b32 s56, exec_lo
	s_delay_alu instid0(VALU_DEP_1)
	v_cmpx_gt_u64_e64 s[24:25], v[2:3]
	s_cbranch_execz .LBB94_250
; %bb.253:                              ;   in Loop: Header=BB94_252 Depth=2
	v_mul_lo_u32 v9, v3, s54
	v_mul_lo_u32 v16, v2, s55
	v_mad_co_u64_u32 v[6:7], null, v2, s54, 0
	s_delay_alu instid0(VALU_DEP_1) | instskip(NEXT) | instid1(VALU_DEP_1)
	v_add3_u32 v7, v7, v16, v9
	v_lshlrev_b64_e32 v[6:7], 2, v[6:7]
	s_delay_alu instid0(VALU_DEP_1) | instskip(SKIP_1) | instid1(VALU_DEP_2)
	v_add_co_u32 v6, vcc_lo, s62, v6
	s_wait_alu 0xfffd
	v_add_co_ci_u32_e64 v7, null, s63, v7, vcc_lo
	global_load_b32 v16, v[6:7], off
	s_wait_loadcnt 0x0
	v_xor_b32_e32 v6, 0x80000000, v16
	s_delay_alu instid0(VALU_DEP_1) | instskip(NEXT) | instid1(VALU_DEP_1)
	v_and_b32_e32 v6, v6, v31
	v_cmp_eq_u32_e32 vcc_lo, v6, v27
	s_and_b32 exec_lo, exec_lo, vcc_lo
	s_cbranch_execz .LBB94_250
; %bb.254:                              ;   in Loop: Header=BB94_252 Depth=2
	ds_store_b64 v10, v[15:16] offset:3072
	s_branch .LBB94_250
.LBB94_255:                             ;   in Loop: Header=BB94_252 Depth=2
	v_add_co_u32 v2, vcc_lo, v2, s64
	s_wait_alu 0xfffd
	v_add_co_ci_u32_e64 v3, null, 0, v3, vcc_lo
	s_mov_b32 s56, 0
	v_cmp_le_u64_e32 vcc_lo, s[4:5], v[2:3]
	s_or_not1_b32 s57, vcc_lo, exec_lo
	s_branch .LBB94_251
.LBB94_256:                             ;   in Loop: Header=BB94_23 Depth=1
	s_or_b32 exec_lo, exec_lo, s9
	s_delay_alu instid0(SALU_CYCLE_1)
	s_and_not1_b32 s4, s10, exec_lo
	s_wait_alu 0xfffe
	s_and_b32 s5, s11, exec_lo
	s_wait_alu 0xfffe
	s_or_b32 s10, s4, s5
.LBB94_257:                             ;   in Loop: Header=BB94_23 Depth=1
	s_or_b32 exec_lo, exec_lo, s8
	s_mov_b32 s78, 0
	s_mov_b32 s79, -1
.LBB94_258:                             ;   in Loop: Header=BB94_23 Depth=1
	s_wait_alu 0xfffe
	s_or_not1_b32 s5, s10, exec_lo
.LBB94_259:                             ;   in Loop: Header=BB94_23 Depth=1
	s_wait_alu 0xfffe
	s_or_b32 exec_lo, exec_lo, s77
	s_mov_b32 s8, 0
	s_and_saveexec_b32 s4, s5
	s_cbranch_execz .LBB94_270
; %bb.260:                              ;   in Loop: Header=BB94_23 Depth=1
	v_mov_b32_e32 v2, 1
	v_dual_mov_b32 v3, 0 :: v_dual_mov_b32 v8, 1
	s_xor_b32 s8, s18, -1
	s_wait_alu 0xfffe
	s_and_saveexec_b32 s5, s8
	s_cbranch_execz .LBB94_269
; %bb.261:                              ;   in Loop: Header=BB94_23 Depth=1
	s_mov_b32 s8, exec_lo
	v_cmpx_ge_u64_e64 s[6:7], v[4:5]
	s_wait_alu 0xfffe
	s_xor_b32 s8, exec_lo, s8
	s_cbranch_execz .LBB94_266
; %bb.262:                              ;   in Loop: Header=BB94_23 Depth=1
	ds_load_b64 v[2:3], v10 offset:5120
	v_or_b32_e32 v27, s14, v27
	v_or_b32_e32 v31, s14, v31
	s_wait_dscnt 0x0
	v_cmp_ne_u64_e32 vcc_lo, 0, v[2:3]
	s_cbranch_vccnz .LBB94_266
; %bb.263:                              ;   in Loop: Header=BB94_23 Depth=1
	s_and_saveexec_b32 s9, s2
; %bb.264:                              ;   in Loop: Header=BB94_23 Depth=1
	v_dual_mov_b32 v2, s6 :: v_dual_mov_b32 v3, s7
	ds_store_b64 v10, v[2:3] offset:5128
; %bb.265:                              ;   in Loop: Header=BB94_23 Depth=1
	s_wait_alu 0xfffe
	s_or_b32 exec_lo, exec_lo, s9
	s_wait_loadcnt_dscnt 0x0
	s_barrier_signal -1
	s_barrier_wait -1
	global_inv scope:SCOPE_SE
.LBB94_266:                             ;   in Loop: Header=BB94_23 Depth=1
	s_wait_alu 0xfffe
	s_and_not1_saveexec_b32 s8, s8
; %bb.267:                              ;   in Loop: Header=BB94_23 Depth=1
	v_sub_co_u32 v4, vcc_lo, v4, s6
	s_wait_alu 0xfffd
	v_subrev_co_ci_u32_e64 v5, null, s7, v5, vcc_lo
; %bb.268:                              ;   in Loop: Header=BB94_23 Depth=1
	s_wait_alu 0xfffe
	s_or_b32 exec_lo, exec_lo, s8
	v_mov_b32_e32 v2, v4
	s_delay_alu instid0(VALU_DEP_2)
	v_dual_mov_b32 v8, 8 :: v_dual_mov_b32 v3, v5
.LBB94_269:                             ;   in Loop: Header=BB94_23 Depth=1
	s_wait_alu 0xfffe
	s_or_b32 exec_lo, exec_lo, s5
	s_delay_alu instid0(VALU_DEP_1)
	v_dual_mov_b32 v5, v3 :: v_dual_mov_b32 v4, v2
	s_mov_b32 s8, exec_lo
.LBB94_270:                             ;   in Loop: Header=BB94_23 Depth=1
	s_wait_alu 0xfffe
	s_or_b32 exec_lo, exec_lo, s4
	s_delay_alu instid0(SALU_CYCLE_1)
	s_or_not1_b32 s4, s8, exec_lo
.LBB94_271:                             ;   in Loop: Header=BB94_23 Depth=1
	s_wait_alu 0xfffe
	s_or_b32 exec_lo, exec_lo, s13
	v_dual_mov_b32 v2, v4 :: v_dual_mov_b32 v3, v5
	s_and_not1_b32 s5, s76, exec_lo
	s_and_b32 s6, s79, exec_lo
	s_and_not1_b32 s7, s23, exec_lo
	s_and_b32 s8, s78, exec_lo
	s_wait_alu 0xfffe
	s_or_b32 s76, s5, s6
	s_or_b32 s23, s7, s8
	s_and_b32 s5, s4, exec_lo
.LBB94_272:                             ;   in Loop: Header=BB94_23 Depth=1
	s_wait_alu 0xfffe
	s_or_b32 exec_lo, exec_lo, s12
	s_delay_alu instid0(SALU_CYCLE_1)
	s_or_not1_b32 s4, s5, exec_lo
.LBB94_273:                             ;   in Loop: Header=BB94_23 Depth=1
	s_wait_alu 0xfffe
	s_or_b32 exec_lo, exec_lo, s22
	v_dual_mov_b32 v7, v3 :: v_dual_mov_b32 v6, v2
	s_and_not1_b32 s5, s20, exec_lo
	s_and_b32 s6, s76, exec_lo
	s_and_not1_b32 s7, s19, exec_lo
	s_and_b32 s8, s23, exec_lo
	s_wait_alu 0xfffe
	s_or_b32 s20, s5, s6
	s_or_b32 s19, s7, s8
	s_and_b32 s5, s4, exec_lo
.LBB94_274:                             ;   in Loop: Header=BB94_23 Depth=1
	s_wait_alu 0xfffe
	s_or_b32 exec_lo, exec_lo, s21
	s_delay_alu instid0(SALU_CYCLE_1)
	s_or_not1_b32 s4, s5, exec_lo
.LBB94_275:                             ;   in Loop: Header=BB94_23 Depth=1
	s_wait_alu 0xfffe
	s_or_b32 exec_lo, exec_lo, s17
	s_mov_b32 s5, 0
	s_and_saveexec_b32 s6, s4
	s_wait_alu 0xfffe
	s_xor_b32 s4, exec_lo, s6
	s_cbranch_execz .LBB94_21
; %bb.276:                              ;   in Loop: Header=BB94_23 Depth=1
	v_and_b32_e32 v2, 7, v8
	s_mov_b32 s6, -1
	s_mov_b32 s5, -1
	s_mov_b32 s7, exec_lo
	s_delay_alu instid0(VALU_DEP_1)
	v_cmpx_eq_u32_e32 0, v2
	s_cbranch_execz .LBB94_20
; %bb.277:                              ;   in Loop: Header=BB94_23 Depth=1
	s_xor_b32 s96, s96, 1
	s_add_co_i32 s8, s93, -2
	s_cmp_eq_u32 s93, 0
	s_wait_alu 0xfffe
	s_mov_b32 s93, s8
	s_cselect_b32 s6, -1, 0
	s_xor_b32 s5, exec_lo, -1
	s_wait_alu 0xfffe
	s_or_not1_b32 s6, s6, exec_lo
	s_branch .LBB94_20
.LBB94_278:                             ;   in Loop: Header=BB94_23 Depth=1
                                        ; implicit-def: $sgpr10_sgpr11
	s_branch .LBB94_231
.LBB94_279:                             ;   in Loop: Header=BB94_23 Depth=1
                                        ; implicit-def: $sgpr4_sgpr5
	s_branch .LBB94_247
.LBB94_280:
	s_or_b32 exec_lo, exec_lo, s94
	s_xor_b32 s4, s102, -1
	s_xor_b32 s1, s100, -1
	;; [unrolled: 1-line block ×3, first 2 shown]
	s_mov_b32 s2, 0
	s_and_saveexec_b32 s5, s1
	s_wait_alu 0xfffe
	s_xor_b32 s1, exec_lo, s5
	s_cbranch_execnz .LBB94_285
; %bb.281:
	s_and_not1_saveexec_b32 s0, s1
	s_cbranch_execnz .LBB94_298
.LBB94_282:
	s_or_b32 exec_lo, exec_lo, s0
	s_and_saveexec_b32 s0, s2
.LBB94_283:
	; divergent unreachable
.LBB94_284:
	s_endpgm
.LBB94_285:
	s_and_saveexec_b32 s2, s4
	s_delay_alu instid0(SALU_CYCLE_1)
	s_xor_b32 s2, exec_lo, s2
	s_cbranch_execz .LBB94_296
; %bb.286:
	s_and_saveexec_b32 s4, s3
	s_wait_alu 0xfffe
	s_xor_b32 s3, exec_lo, s4
; %bb.287:
	v_xor_b32_e32 v17, 0x80000000, v27
; %bb.288:
	s_or_b32 exec_lo, exec_lo, s3
	s_mul_u64 s[4:5], s[52:53], s[36:37]
	s_mul_u64 s[6:7], s[52:53], s[44:45]
	s_wait_alu 0xfffe
	s_sub_nc_u64 s[4:5], s[50:51], s[4:5]
	s_mul_u64 s[8:9], s[50:51], s[38:39]
	s_wait_alu 0xfffe
	s_mul_u64 s[4:5], s[4:5], s[46:47]
	s_lshl_b64 s[6:7], s[6:7], 2
	s_sub_nc_u64 s[8:9], s[34:35], s[8:9]
	s_wait_alu 0xfffe
	s_add_nc_u64 s[6:7], s[66:67], s[6:7]
	s_lshl_b64 s[4:5], s[4:5], 2
	s_mul_u64 s[8:9], s[8:9], s[60:61]
	v_mov_b32_e32 v2, 0
	s_wait_alu 0xfffe
	s_add_nc_u64 s[4:5], s[6:7], s[4:5]
	s_lshl_b64 s[6:7], s[8:9], 2
	s_wait_alu 0xfffe
	s_add_nc_u64 s[4:5], s[4:5], s[6:7]
	global_store_b32 v2, v17, s[4:5]
	s_and_saveexec_b32 s3, s0
	s_cbranch_execz .LBB94_295
; %bb.289:
	s_mov_b32 s0, 0
                                        ; implicit-def: $sgpr4
                                        ; implicit-def: $sgpr6
                                        ; implicit-def: $sgpr5
	s_branch .LBB94_291
.LBB94_290:                             ;   in Loop: Header=BB94_291 Depth=1
	s_wait_alu 0xfffe
	s_or_b32 exec_lo, exec_lo, s7
	s_delay_alu instid0(SALU_CYCLE_1)
	s_and_b32 s7, exec_lo, s6
	s_wait_alu 0xfffe
	s_or_b32 s0, s7, s0
	s_and_not1_b32 s4, s4, exec_lo
	s_and_b32 s7, s5, exec_lo
	s_wait_alu 0xfffe
	s_or_b32 s4, s4, s7
	s_and_not1_b32 exec_lo, exec_lo, s0
	s_cbranch_execz .LBB94_293
.LBB94_291:                             ; =>This Inner Loop Header: Depth=1
	v_dual_mov_b32 v3, v1 :: v_dual_mov_b32 v2, v0
	s_wait_alu 0xfffe
	s_or_b32 s5, s5, exec_lo
	s_or_b32 s6, s6, exec_lo
	s_delay_alu instid0(VALU_DEP_1) | instskip(SKIP_2) | instid1(VALU_DEP_1)
	v_mul_lo_u32 v4, v3, s54
	v_mul_lo_u32 v5, v2, s55
	v_mad_co_u64_u32 v[0:1], null, v2, s54, 0
	v_add3_u32 v1, v1, v5, v4
	s_delay_alu instid0(VALU_DEP_1) | instskip(NEXT) | instid1(VALU_DEP_1)
	v_lshlrev_b64_e32 v[0:1], 2, v[0:1]
	v_add_co_u32 v0, vcc_lo, s62, v0
	s_wait_alu 0xfffd
	s_delay_alu instid0(VALU_DEP_2)
	v_add_co_ci_u32_e64 v1, null, s63, v1, vcc_lo
	global_load_b32 v0, v[0:1], off
	s_wait_loadcnt 0x0
	v_cmp_ne_u32_e32 vcc_lo, v0, v17
                                        ; implicit-def: $vgpr0_vgpr1
	s_and_saveexec_b32 s7, vcc_lo
	s_cbranch_execz .LBB94_290
; %bb.292:                              ;   in Loop: Header=BB94_291 Depth=1
	v_add_co_u32 v0, vcc_lo, v2, s64
	s_wait_alu 0xfffd
	v_add_co_ci_u32_e64 v1, null, 0, v3, vcc_lo
	s_wait_alu 0xfffe
	s_and_not1_b32 s6, s6, exec_lo
	s_and_not1_b32 s5, s5, exec_lo
	s_delay_alu instid0(VALU_DEP_1)
	v_cmp_le_u64_e32 vcc_lo, s[24:25], v[0:1]
	s_and_b32 s8, vcc_lo, exec_lo
	s_wait_alu 0xfffe
	s_or_b32 s6, s6, s8
	s_branch .LBB94_290
.LBB94_293:
	s_or_b32 exec_lo, exec_lo, s0
	s_wait_alu 0xfffe
	s_and_saveexec_b32 s0, s4
	s_delay_alu instid0(SALU_CYCLE_1)
	s_xor_b32 s0, exec_lo, s0
	s_cbranch_execz .LBB94_295
; %bb.294:
	s_mul_u64 s[4:5], s[48:49], s[28:29]
	v_readlane_b32 s10, v36, 0
	v_readlane_b32 s11, v36, 1
	s_mul_u64 s[6:7], s[48:49], s[40:41]
	s_wait_alu 0xfffe
	s_sub_nc_u64 s[4:5], s[26:27], s[4:5]
	s_mul_u64 s[8:9], s[26:27], s[30:31]
	s_wait_alu 0xfffe
	s_mul_u64 s[4:5], s[4:5], s[42:43]
	s_lshl_b64 s[6:7], s[6:7], 3
	s_sub_nc_u64 s[8:9], s[34:35], s[8:9]
	s_wait_alu 0xfffe
	s_add_nc_u64 s[6:7], s[58:59], s[6:7]
	s_lshl_b64 s[4:5], s[4:5], 3
	s_mul_u64 s[8:9], s[8:9], s[10:11]
	v_mov_b32_e32 v0, 0
	s_wait_alu 0xfffe
	s_add_nc_u64 s[4:5], s[6:7], s[4:5]
	s_lshl_b64 s[6:7], s[8:9], 3
	s_wait_alu 0xfffe
	s_add_nc_u64 s[4:5], s[4:5], s[6:7]
	global_store_b64 v0, v[2:3], s[4:5]
.LBB94_295:
	s_or_b32 exec_lo, exec_lo, s3
.LBB94_296:
	s_or_saveexec_b32 s0, s2
	s_mov_b32 s2, 0
	s_xor_b32 exec_lo, exec_lo, s0
	s_cbranch_execnz .LBB94_299
.LBB94_297:
	s_or_b32 exec_lo, exec_lo, s0
	s_delay_alu instid0(SALU_CYCLE_1)
	s_and_b32 s2, s2, exec_lo
	s_and_not1_saveexec_b32 s0, s1
	s_cbranch_execz .LBB94_282
.LBB94_298:
	s_or_b32 s2, s2, exec_lo
	s_trap 2
	s_or_b32 exec_lo, exec_lo, s0
	s_and_saveexec_b32 s0, s2
	s_cbranch_execnz .LBB94_283
	s_branch .LBB94_284
.LBB94_299:
	s_mov_b32 s2, exec_lo
	s_trap 2
	s_branch .LBB94_297
	.section	.rodata,"a",@progbits
	.p2align	6, 0x0
	.amdhsa_kernel _ZN2at6native12_GLOBAL__N_112gatherMedianIimLi3EEEvNS_4cuda6detail10TensorInfoIT_T0_EENS5_IlS7_EENS5_IKS6_S7_EES7_S7_S7_b
		.amdhsa_group_segment_fixed_size 5152
		.amdhsa_private_segment_fixed_size 0
		.amdhsa_kernarg_size 1536
		.amdhsa_user_sgpr_count 2
		.amdhsa_user_sgpr_dispatch_ptr 0
		.amdhsa_user_sgpr_queue_ptr 0
		.amdhsa_user_sgpr_kernarg_segment_ptr 1
		.amdhsa_user_sgpr_dispatch_id 0
		.amdhsa_user_sgpr_private_segment_size 0
		.amdhsa_wavefront_size32 1
		.amdhsa_uses_dynamic_stack 0
		.amdhsa_enable_private_segment 0
		.amdhsa_system_sgpr_workgroup_id_x 1
		.amdhsa_system_sgpr_workgroup_id_y 1
		.amdhsa_system_sgpr_workgroup_id_z 1
		.amdhsa_system_sgpr_workgroup_info 0
		.amdhsa_system_vgpr_workitem_id 0
		.amdhsa_next_free_vgpr 37
		.amdhsa_next_free_sgpr 105
		.amdhsa_reserve_vcc 1
		.amdhsa_float_round_mode_32 0
		.amdhsa_float_round_mode_16_64 0
		.amdhsa_float_denorm_mode_32 3
		.amdhsa_float_denorm_mode_16_64 3
		.amdhsa_fp16_overflow 0
		.amdhsa_workgroup_processor_mode 1
		.amdhsa_memory_ordered 1
		.amdhsa_forward_progress 1
		.amdhsa_inst_pref_size 143
		.amdhsa_round_robin_scheduling 0
		.amdhsa_exception_fp_ieee_invalid_op 0
		.amdhsa_exception_fp_denorm_src 0
		.amdhsa_exception_fp_ieee_div_zero 0
		.amdhsa_exception_fp_ieee_overflow 0
		.amdhsa_exception_fp_ieee_underflow 0
		.amdhsa_exception_fp_ieee_inexact 0
		.amdhsa_exception_int_div_zero 0
	.end_amdhsa_kernel
	.section	.text._ZN2at6native12_GLOBAL__N_112gatherMedianIimLi3EEEvNS_4cuda6detail10TensorInfoIT_T0_EENS5_IlS7_EENS5_IKS6_S7_EES7_S7_S7_b,"axG",@progbits,_ZN2at6native12_GLOBAL__N_112gatherMedianIimLi3EEEvNS_4cuda6detail10TensorInfoIT_T0_EENS5_IlS7_EENS5_IKS6_S7_EES7_S7_S7_b,comdat
.Lfunc_end94:
	.size	_ZN2at6native12_GLOBAL__N_112gatherMedianIimLi3EEEvNS_4cuda6detail10TensorInfoIT_T0_EENS5_IlS7_EENS5_IKS6_S7_EES7_S7_S7_b, .Lfunc_end94-_ZN2at6native12_GLOBAL__N_112gatherMedianIimLi3EEEvNS_4cuda6detail10TensorInfoIT_T0_EENS5_IlS7_EENS5_IKS6_S7_EES7_S7_S7_b
                                        ; -- End function
	.set _ZN2at6native12_GLOBAL__N_112gatherMedianIimLi3EEEvNS_4cuda6detail10TensorInfoIT_T0_EENS5_IlS7_EENS5_IKS6_S7_EES7_S7_S7_b.num_vgpr, 37
	.set _ZN2at6native12_GLOBAL__N_112gatherMedianIimLi3EEEvNS_4cuda6detail10TensorInfoIT_T0_EENS5_IlS7_EENS5_IKS6_S7_EES7_S7_S7_b.num_agpr, 0
	.set _ZN2at6native12_GLOBAL__N_112gatherMedianIimLi3EEEvNS_4cuda6detail10TensorInfoIT_T0_EENS5_IlS7_EENS5_IKS6_S7_EES7_S7_S7_b.numbered_sgpr, 105
	.set _ZN2at6native12_GLOBAL__N_112gatherMedianIimLi3EEEvNS_4cuda6detail10TensorInfoIT_T0_EENS5_IlS7_EENS5_IKS6_S7_EES7_S7_S7_b.num_named_barrier, 0
	.set _ZN2at6native12_GLOBAL__N_112gatherMedianIimLi3EEEvNS_4cuda6detail10TensorInfoIT_T0_EENS5_IlS7_EENS5_IKS6_S7_EES7_S7_S7_b.private_seg_size, 0
	.set _ZN2at6native12_GLOBAL__N_112gatherMedianIimLi3EEEvNS_4cuda6detail10TensorInfoIT_T0_EENS5_IlS7_EENS5_IKS6_S7_EES7_S7_S7_b.uses_vcc, 1
	.set _ZN2at6native12_GLOBAL__N_112gatherMedianIimLi3EEEvNS_4cuda6detail10TensorInfoIT_T0_EENS5_IlS7_EENS5_IKS6_S7_EES7_S7_S7_b.uses_flat_scratch, 0
	.set _ZN2at6native12_GLOBAL__N_112gatherMedianIimLi3EEEvNS_4cuda6detail10TensorInfoIT_T0_EENS5_IlS7_EENS5_IKS6_S7_EES7_S7_S7_b.has_dyn_sized_stack, 0
	.set _ZN2at6native12_GLOBAL__N_112gatherMedianIimLi3EEEvNS_4cuda6detail10TensorInfoIT_T0_EENS5_IlS7_EENS5_IKS6_S7_EES7_S7_S7_b.has_recursion, 0
	.set _ZN2at6native12_GLOBAL__N_112gatherMedianIimLi3EEEvNS_4cuda6detail10TensorInfoIT_T0_EENS5_IlS7_EENS5_IKS6_S7_EES7_S7_S7_b.has_indirect_call, 0
	.section	.AMDGPU.csdata,"",@progbits
; Kernel info:
; codeLenInByte = 18212
; TotalNumSgprs: 107
; NumVgprs: 37
; ScratchSize: 0
; MemoryBound: 0
; FloatMode: 240
; IeeeMode: 1
; LDSByteSize: 5152 bytes/workgroup (compile time only)
; SGPRBlocks: 0
; VGPRBlocks: 4
; NumSGPRsForWavesPerEU: 107
; NumVGPRsForWavesPerEU: 37
; Occupancy: 16
; WaveLimiterHint : 1
; COMPUTE_PGM_RSRC2:SCRATCH_EN: 0
; COMPUTE_PGM_RSRC2:USER_SGPR: 2
; COMPUTE_PGM_RSRC2:TRAP_HANDLER: 0
; COMPUTE_PGM_RSRC2:TGID_X_EN: 1
; COMPUTE_PGM_RSRC2:TGID_Y_EN: 1
; COMPUTE_PGM_RSRC2:TGID_Z_EN: 1
; COMPUTE_PGM_RSRC2:TIDIG_COMP_CNT: 0
	.section	.text._ZN2at6native12_GLOBAL__N_112gatherMedianIimLin1EEEvNS_4cuda6detail10TensorInfoIT_T0_EENS5_IlS7_EENS5_IKS6_S7_EES7_S7_S7_b,"axG",@progbits,_ZN2at6native12_GLOBAL__N_112gatherMedianIimLin1EEEvNS_4cuda6detail10TensorInfoIT_T0_EENS5_IlS7_EENS5_IKS6_S7_EES7_S7_S7_b,comdat
	.globl	_ZN2at6native12_GLOBAL__N_112gatherMedianIimLin1EEEvNS_4cuda6detail10TensorInfoIT_T0_EENS5_IlS7_EENS5_IKS6_S7_EES7_S7_S7_b ; -- Begin function _ZN2at6native12_GLOBAL__N_112gatherMedianIimLin1EEEvNS_4cuda6detail10TensorInfoIT_T0_EENS5_IlS7_EENS5_IKS6_S7_EES7_S7_S7_b
	.p2align	8
	.type	_ZN2at6native12_GLOBAL__N_112gatherMedianIimLin1EEEvNS_4cuda6detail10TensorInfoIT_T0_EENS5_IlS7_EENS5_IKS6_S7_EES7_S7_S7_b,@function
_ZN2at6native12_GLOBAL__N_112gatherMedianIimLin1EEEvNS_4cuda6detail10TensorInfoIT_T0_EENS5_IlS7_EENS5_IKS6_S7_EES7_S7_S7_b: ; @_ZN2at6native12_GLOBAL__N_112gatherMedianIimLin1EEEvNS_4cuda6detail10TensorInfoIT_T0_EENS5_IlS7_EENS5_IKS6_S7_EES7_S7_S7_b
; %bb.0:
	s_clause 0x1
	s_load_b64 s[4:5], s[0:1], 0x500
	s_load_b128 s[24:27], s[0:1], 0x4e0
	s_lshr_b32 s2, ttmp7, 16
	s_and_b32 s3, ttmp7, 0xffff
	s_wait_kmcnt 0x0
	s_mul_i32 s2, s5, s2
	s_delay_alu instid0(SALU_CYCLE_1) | instskip(SKIP_2) | instid1(SALU_CYCLE_1)
	s_add_co_i32 s2, s2, s3
	s_mov_b32 s3, 0
	s_mul_i32 s2, s2, s4
	s_add_co_i32 s2, s2, ttmp9
	s_delay_alu instid0(SALU_CYCLE_1)
	v_cmp_le_u64_e64 s5, s[26:27], s[2:3]
	s_and_b32 vcc_lo, exec_lo, s5
	s_cbranch_vccnz .LBB95_297
; %bb.1:
	s_clause 0x1
	s_load_b32 s5, s[0:1], 0x198
	s_load_b64 s[28:29], s[0:1], 0x4f0
	s_mov_b64 s[26:27], 0
	s_mov_b64 s[34:35], s[2:3]
	s_wait_kmcnt 0x0
	s_cmp_lt_i32 s5, 2
	s_cbranch_scc1 .LBB95_9
; %bb.2:
	s_mov_b32 s6, 0
	s_add_co_i32 s8, s5, -1
	s_mov_b32 s9, s6
	s_add_co_i32 s5, s5, 1
	s_lshl_b64 s[8:9], s[8:9], 3
	s_mov_b64 s[10:11], s[2:3]
	s_add_nc_u64 s[8:9], s[0:1], s[8:9]
	s_delay_alu instid0(SALU_CYCLE_1)
	s_add_nc_u64 s[8:9], s[8:9], 8
.LBB95_3:                               ; =>This Inner Loop Header: Depth=1
	s_load_b64 s[12:13], s[8:9], 0x0
                                        ; implicit-def: $sgpr34_sgpr35
	s_wait_kmcnt 0x0
	s_or_b64 s[14:15], s[10:11], s[12:13]
	s_delay_alu instid0(SALU_CYCLE_1)
	s_mov_b32 s7, s15
	s_wait_alu 0xfffe
	s_cmp_lg_u64 s[6:7], 0
	s_mov_b32 s7, -1
	s_cbranch_scc0 .LBB95_5
; %bb.4:                                ;   in Loop: Header=BB95_3 Depth=1
	s_cvt_f32_u32 s7, s12
	s_cvt_f32_u32 s14, s13
	s_sub_nc_u64 s[16:17], 0, s[12:13]
	s_mov_b32 s19, s6
	s_mov_b32 s23, s6
	s_wait_alu 0xfffe
	s_fmamk_f32 s7, s14, 0x4f800000, s7
	s_wait_alu 0xfffe
	s_delay_alu instid0(SALU_CYCLE_2) | instskip(NEXT) | instid1(TRANS32_DEP_1)
	v_s_rcp_f32 s7, s7
	s_mul_f32 s7, s7, 0x5f7ffffc
	s_wait_alu 0xfffe
	s_delay_alu instid0(SALU_CYCLE_2) | instskip(NEXT) | instid1(SALU_CYCLE_3)
	s_mul_f32 s14, s7, 0x2f800000
	s_trunc_f32 s14, s14
	s_delay_alu instid0(SALU_CYCLE_3) | instskip(SKIP_2) | instid1(SALU_CYCLE_1)
	s_fmamk_f32 s7, s14, 0xcf800000, s7
	s_cvt_u32_f32 s15, s14
	s_wait_alu 0xfffe
	s_cvt_u32_f32 s14, s7
	s_delay_alu instid0(SALU_CYCLE_3) | instskip(NEXT) | instid1(SALU_CYCLE_1)
	s_mul_u64 s[20:21], s[16:17], s[14:15]
	s_mul_hi_u32 s31, s14, s21
	s_mul_i32 s30, s14, s21
	s_mul_hi_u32 s18, s14, s20
	s_mul_i32 s22, s15, s20
	s_add_nc_u64 s[18:19], s[18:19], s[30:31]
	s_mul_hi_u32 s7, s15, s20
	s_mul_hi_u32 s33, s15, s21
	s_add_co_u32 s18, s18, s22
	s_wait_alu 0xfffe
	s_add_co_ci_u32 s22, s19, s7
	s_mul_i32 s20, s15, s21
	s_add_co_ci_u32 s21, s33, 0
	s_delay_alu instid0(SALU_CYCLE_1)
	s_add_nc_u64 s[18:19], s[22:23], s[20:21]
	s_mov_b32 s21, s6
	s_add_co_u32 s14, s14, s18
	s_cselect_b32 s7, -1, 0
	s_wait_alu 0xfffe
	s_cmp_lg_u32 s7, 0
	s_add_co_ci_u32 s15, s15, s19
	s_mov_b32 s19, s6
	s_mul_u64 s[16:17], s[16:17], s[14:15]
	s_delay_alu instid0(SALU_CYCLE_1)
	s_mul_hi_u32 s23, s14, s17
	s_mul_i32 s22, s14, s17
	s_mul_hi_u32 s18, s14, s16
	s_mul_i32 s20, s15, s16
	s_add_nc_u64 s[18:19], s[18:19], s[22:23]
	s_mul_hi_u32 s7, s15, s16
	s_mul_hi_u32 s30, s15, s17
	s_mul_i32 s16, s15, s17
	s_add_co_u32 s17, s18, s20
	s_wait_alu 0xfffe
	s_add_co_ci_u32 s20, s19, s7
	s_add_co_ci_u32 s17, s30, 0
	s_mov_b32 s19, s6
	s_add_nc_u64 s[16:17], s[20:21], s[16:17]
	s_delay_alu instid0(SALU_CYCLE_1)
	s_add_co_u32 s7, s14, s16
	s_cselect_b32 s14, -1, 0
	s_wait_alu 0xfffe
	s_mul_hi_u32 s18, s10, s7
	s_cmp_lg_u32 s14, 0
	s_mul_hi_u32 s20, s11, s7
	s_add_co_ci_u32 s16, s15, s17
	s_mul_i32 s7, s11, s7
	s_mul_hi_u32 s15, s10, s16
	s_mul_i32 s14, s10, s16
	s_mul_hi_u32 s17, s11, s16
	s_add_nc_u64 s[14:15], s[18:19], s[14:15]
	s_mul_i32 s16, s11, s16
	s_wait_alu 0xfffe
	s_add_co_u32 s7, s14, s7
	s_add_co_ci_u32 s20, s15, s20
	s_add_co_ci_u32 s17, s17, 0
	s_delay_alu instid0(SALU_CYCLE_1) | instskip(NEXT) | instid1(SALU_CYCLE_1)
	s_add_nc_u64 s[14:15], s[20:21], s[16:17]
	s_mul_u64 s[16:17], s[12:13], s[14:15]
	s_delay_alu instid0(SALU_CYCLE_1)
	s_sub_co_u32 s7, s10, s16
	s_cselect_b32 s16, -1, 0
	s_sub_co_i32 s18, s11, s17
	s_cmp_lg_u32 s16, 0
	s_sub_co_ci_u32 s18, s18, s13
	s_wait_alu 0xfffe
	s_sub_co_u32 s19, s7, s12
	s_cselect_b32 s20, -1, 0
	s_delay_alu instid0(SALU_CYCLE_1) | instskip(SKIP_1) | instid1(SALU_CYCLE_1)
	s_cmp_lg_u32 s20, 0
	s_sub_co_ci_u32 s18, s18, 0
	s_cmp_ge_u32 s18, s13
	s_cselect_b32 s20, -1, 0
	s_cmp_ge_u32 s19, s12
	s_cselect_b32 s21, -1, 0
	s_cmp_eq_u32 s18, s13
	s_add_nc_u64 s[18:19], s[14:15], 1
	s_cselect_b32 s22, s21, s20
	s_add_nc_u64 s[20:21], s[14:15], 2
	s_cmp_lg_u32 s22, 0
	s_cselect_b32 s18, s20, s18
	s_cselect_b32 s19, s21, s19
	s_cmp_lg_u32 s16, 0
	s_sub_co_ci_u32 s16, s11, s17
	s_delay_alu instid0(SALU_CYCLE_1)
	s_cmp_ge_u32 s16, s13
	s_cselect_b32 s17, -1, 0
	s_cmp_ge_u32 s7, s12
	s_cselect_b32 s7, -1, 0
	s_cmp_eq_u32 s16, s13
	s_wait_alu 0xfffe
	s_cselect_b32 s7, s7, s17
	s_wait_alu 0xfffe
	s_cmp_lg_u32 s7, 0
	s_mov_b32 s7, 0
	s_cselect_b32 s35, s19, s15
	s_cselect_b32 s34, s18, s14
.LBB95_5:                               ;   in Loop: Header=BB95_3 Depth=1
	s_wait_alu 0xfffe
	s_and_not1_b32 vcc_lo, exec_lo, s7
	s_cbranch_vccnz .LBB95_7
; %bb.6:                                ;   in Loop: Header=BB95_3 Depth=1
	v_cvt_f32_u32_e32 v1, s12
	s_sub_co_i32 s14, 0, s12
	s_mov_b32 s35, s6
	s_delay_alu instid0(VALU_DEP_1) | instskip(NEXT) | instid1(TRANS32_DEP_1)
	v_rcp_iflag_f32_e32 v1, v1
	v_mul_f32_e32 v1, 0x4f7ffffe, v1
	s_delay_alu instid0(VALU_DEP_1) | instskip(NEXT) | instid1(VALU_DEP_1)
	v_cvt_u32_f32_e32 v1, v1
	v_readfirstlane_b32 s7, v1
	s_mul_i32 s14, s14, s7
	s_delay_alu instid0(SALU_CYCLE_1) | instskip(NEXT) | instid1(SALU_CYCLE_1)
	s_mul_hi_u32 s14, s7, s14
	s_add_co_i32 s7, s7, s14
	s_wait_alu 0xfffe
	s_mul_hi_u32 s7, s10, s7
	s_wait_alu 0xfffe
	s_mul_i32 s14, s7, s12
	s_add_co_i32 s15, s7, 1
	s_sub_co_i32 s14, s10, s14
	s_delay_alu instid0(SALU_CYCLE_1)
	s_sub_co_i32 s16, s14, s12
	s_cmp_ge_u32 s14, s12
	s_cselect_b32 s7, s15, s7
	s_cselect_b32 s14, s16, s14
	s_wait_alu 0xfffe
	s_add_co_i32 s15, s7, 1
	s_cmp_ge_u32 s14, s12
	s_cselect_b32 s34, s15, s7
.LBB95_7:                               ;   in Loop: Header=BB95_3 Depth=1
	s_load_b64 s[14:15], s[8:9], 0xc8
	s_mul_u64 s[12:13], s[34:35], s[12:13]
	s_add_co_i32 s5, s5, -1
	s_wait_alu 0xfffe
	s_sub_nc_u64 s[10:11], s[10:11], s[12:13]
	s_cmp_gt_u32 s5, 2
	s_add_nc_u64 s[8:9], s[8:9], -8
	s_wait_kmcnt 0x0
	s_mul_u64 s[10:11], s[14:15], s[10:11]
	s_delay_alu instid0(SALU_CYCLE_1)
	s_add_nc_u64 s[26:27], s[10:11], s[26:27]
	s_cbranch_scc0 .LBB95_9
; %bb.8:                                ;   in Loop: Header=BB95_3 Depth=1
	s_mov_b64 s[10:11], s[34:35]
	s_branch .LBB95_3
.LBB95_9:
	s_load_b32 s5, s[0:1], 0x338
	s_add_nc_u64 s[6:7], s[0:1], 0x500
	s_add_nc_u64 s[8:9], s[0:1], 0x1a0
	s_mov_b64 s[30:31], 0
	s_mov_b64 s[36:37], s[2:3]
	s_wait_kmcnt 0x0
	s_cmp_lt_i32 s5, 2
	s_cbranch_scc1 .LBB95_17
; %bb.10:
	s_mov_b32 s10, 0
	s_add_co_i32 s12, s5, -1
	s_mov_b32 s13, s10
	s_add_co_i32 s5, s5, 1
	s_wait_alu 0xfffe
	s_lshl_b64 s[12:13], s[12:13], 3
	s_mov_b64 s[14:15], s[2:3]
	s_wait_alu 0xfffe
	s_add_nc_u64 s[12:13], s[8:9], s[12:13]
	s_wait_alu 0xfffe
	s_add_nc_u64 s[12:13], s[12:13], 8
.LBB95_11:                              ; =>This Inner Loop Header: Depth=1
	s_load_b64 s[16:17], s[12:13], 0x0
                                        ; implicit-def: $sgpr36_sgpr37
	s_wait_kmcnt 0x0
	s_or_b64 s[18:19], s[14:15], s[16:17]
	s_delay_alu instid0(SALU_CYCLE_1)
	s_mov_b32 s11, s19
	s_wait_alu 0xfffe
	s_cmp_lg_u64 s[10:11], 0
	s_mov_b32 s11, -1
	s_cbranch_scc0 .LBB95_13
; %bb.12:                               ;   in Loop: Header=BB95_11 Depth=1
	s_cvt_f32_u32 s11, s16
	s_cvt_f32_u32 s18, s17
	s_sub_nc_u64 s[20:21], 0, s[16:17]
	s_mov_b32 s23, s10
	s_mov_b32 s39, s10
	s_wait_alu 0xfffe
	s_fmamk_f32 s11, s18, 0x4f800000, s11
	s_wait_alu 0xfffe
	s_delay_alu instid0(SALU_CYCLE_2) | instskip(NEXT) | instid1(TRANS32_DEP_1)
	v_s_rcp_f32 s11, s11
	s_mul_f32 s11, s11, 0x5f7ffffc
	s_wait_alu 0xfffe
	s_delay_alu instid0(SALU_CYCLE_2) | instskip(NEXT) | instid1(SALU_CYCLE_3)
	s_mul_f32 s18, s11, 0x2f800000
	s_trunc_f32 s18, s18
	s_delay_alu instid0(SALU_CYCLE_3) | instskip(SKIP_2) | instid1(SALU_CYCLE_1)
	s_fmamk_f32 s11, s18, 0xcf800000, s11
	s_cvt_u32_f32 s19, s18
	s_wait_alu 0xfffe
	s_cvt_u32_f32 s18, s11
	s_delay_alu instid0(SALU_CYCLE_3) | instskip(NEXT) | instid1(SALU_CYCLE_1)
	s_mul_u64 s[36:37], s[20:21], s[18:19]
	s_mul_hi_u32 s41, s18, s37
	s_mul_i32 s40, s18, s37
	s_mul_hi_u32 s22, s18, s36
	s_mul_i32 s33, s19, s36
	s_add_nc_u64 s[22:23], s[22:23], s[40:41]
	s_mul_hi_u32 s11, s19, s36
	s_mul_hi_u32 s42, s19, s37
	s_add_co_u32 s22, s22, s33
	s_wait_alu 0xfffe
	s_add_co_ci_u32 s38, s23, s11
	s_mul_i32 s36, s19, s37
	s_add_co_ci_u32 s37, s42, 0
	s_delay_alu instid0(SALU_CYCLE_1)
	s_add_nc_u64 s[22:23], s[38:39], s[36:37]
	s_mov_b32 s37, s10
	s_add_co_u32 s18, s18, s22
	s_cselect_b32 s11, -1, 0
	s_wait_alu 0xfffe
	s_cmp_lg_u32 s11, 0
	s_add_co_ci_u32 s19, s19, s23
	s_mov_b32 s23, s10
	s_mul_u64 s[20:21], s[20:21], s[18:19]
	s_delay_alu instid0(SALU_CYCLE_1)
	s_mul_hi_u32 s39, s18, s21
	s_mul_i32 s38, s18, s21
	s_mul_hi_u32 s22, s18, s20
	s_mul_i32 s33, s19, s20
	s_add_nc_u64 s[22:23], s[22:23], s[38:39]
	s_mul_hi_u32 s11, s19, s20
	s_mul_hi_u32 s40, s19, s21
	s_mul_i32 s20, s19, s21
	s_add_co_u32 s21, s22, s33
	s_wait_alu 0xfffe
	s_add_co_ci_u32 s36, s23, s11
	s_add_co_ci_u32 s21, s40, 0
	s_mov_b32 s23, s10
	s_add_nc_u64 s[20:21], s[36:37], s[20:21]
	s_delay_alu instid0(SALU_CYCLE_1)
	s_add_co_u32 s11, s18, s20
	s_cselect_b32 s18, -1, 0
	s_wait_alu 0xfffe
	s_mul_hi_u32 s22, s14, s11
	s_cmp_lg_u32 s18, 0
	s_mul_hi_u32 s33, s15, s11
	s_add_co_ci_u32 s20, s19, s21
	s_mul_i32 s11, s15, s11
	s_mul_hi_u32 s19, s14, s20
	s_mul_i32 s18, s14, s20
	s_mul_hi_u32 s21, s15, s20
	s_add_nc_u64 s[18:19], s[22:23], s[18:19]
	s_mul_i32 s20, s15, s20
	s_wait_alu 0xfffe
	s_add_co_u32 s11, s18, s11
	s_add_co_ci_u32 s36, s19, s33
	s_add_co_ci_u32 s21, s21, 0
	s_delay_alu instid0(SALU_CYCLE_1) | instskip(NEXT) | instid1(SALU_CYCLE_1)
	s_add_nc_u64 s[18:19], s[36:37], s[20:21]
	s_mul_u64 s[20:21], s[16:17], s[18:19]
	s_delay_alu instid0(SALU_CYCLE_1)
	s_sub_co_u32 s11, s14, s20
	s_cselect_b32 s20, -1, 0
	s_sub_co_i32 s22, s15, s21
	s_cmp_lg_u32 s20, 0
	s_sub_co_ci_u32 s22, s22, s17
	s_wait_alu 0xfffe
	s_sub_co_u32 s23, s11, s16
	s_cselect_b32 s33, -1, 0
	s_delay_alu instid0(SALU_CYCLE_1) | instskip(SKIP_1) | instid1(SALU_CYCLE_1)
	s_cmp_lg_u32 s33, 0
	s_sub_co_ci_u32 s22, s22, 0
	s_cmp_ge_u32 s22, s17
	s_cselect_b32 s33, -1, 0
	s_cmp_ge_u32 s23, s16
	s_cselect_b32 s36, -1, 0
	s_cmp_eq_u32 s22, s17
	s_add_nc_u64 s[22:23], s[18:19], 1
	s_cselect_b32 s33, s36, s33
	s_add_nc_u64 s[36:37], s[18:19], 2
	s_cmp_lg_u32 s33, 0
	s_cselect_b32 s22, s36, s22
	s_cselect_b32 s23, s37, s23
	s_cmp_lg_u32 s20, 0
	s_sub_co_ci_u32 s20, s15, s21
	s_delay_alu instid0(SALU_CYCLE_1)
	s_cmp_ge_u32 s20, s17
	s_cselect_b32 s21, -1, 0
	s_cmp_ge_u32 s11, s16
	s_cselect_b32 s11, -1, 0
	s_cmp_eq_u32 s20, s17
	s_wait_alu 0xfffe
	s_cselect_b32 s11, s11, s21
	s_wait_alu 0xfffe
	s_cmp_lg_u32 s11, 0
	s_mov_b32 s11, 0
	s_cselect_b32 s37, s23, s19
	s_cselect_b32 s36, s22, s18
.LBB95_13:                              ;   in Loop: Header=BB95_11 Depth=1
	s_wait_alu 0xfffe
	s_and_not1_b32 vcc_lo, exec_lo, s11
	s_cbranch_vccnz .LBB95_15
; %bb.14:                               ;   in Loop: Header=BB95_11 Depth=1
	v_cvt_f32_u32_e32 v1, s16
	s_sub_co_i32 s18, 0, s16
	s_mov_b32 s37, s10
	s_delay_alu instid0(VALU_DEP_1) | instskip(NEXT) | instid1(TRANS32_DEP_1)
	v_rcp_iflag_f32_e32 v1, v1
	v_mul_f32_e32 v1, 0x4f7ffffe, v1
	s_delay_alu instid0(VALU_DEP_1) | instskip(NEXT) | instid1(VALU_DEP_1)
	v_cvt_u32_f32_e32 v1, v1
	v_readfirstlane_b32 s11, v1
	s_mul_i32 s18, s18, s11
	s_delay_alu instid0(SALU_CYCLE_1) | instskip(NEXT) | instid1(SALU_CYCLE_1)
	s_mul_hi_u32 s18, s11, s18
	s_add_co_i32 s11, s11, s18
	s_wait_alu 0xfffe
	s_mul_hi_u32 s11, s14, s11
	s_wait_alu 0xfffe
	s_mul_i32 s18, s11, s16
	s_add_co_i32 s19, s11, 1
	s_sub_co_i32 s18, s14, s18
	s_delay_alu instid0(SALU_CYCLE_1)
	s_sub_co_i32 s20, s18, s16
	s_cmp_ge_u32 s18, s16
	s_cselect_b32 s11, s19, s11
	s_cselect_b32 s18, s20, s18
	s_wait_alu 0xfffe
	s_add_co_i32 s19, s11, 1
	s_cmp_ge_u32 s18, s16
	s_cselect_b32 s36, s19, s11
.LBB95_15:                              ;   in Loop: Header=BB95_11 Depth=1
	s_load_b64 s[18:19], s[12:13], 0xc8
	s_mul_u64 s[16:17], s[36:37], s[16:17]
	s_add_co_i32 s5, s5, -1
	s_wait_alu 0xfffe
	s_sub_nc_u64 s[14:15], s[14:15], s[16:17]
	s_cmp_gt_u32 s5, 2
	s_add_nc_u64 s[12:13], s[12:13], -8
	s_wait_kmcnt 0x0
	s_mul_u64 s[14:15], s[18:19], s[14:15]
	s_delay_alu instid0(SALU_CYCLE_1)
	s_add_nc_u64 s[30:31], s[14:15], s[30:31]
	s_cbranch_scc0 .LBB95_17
; %bb.16:                               ;   in Loop: Header=BB95_11 Depth=1
	s_mov_b64 s[14:15], s[36:37]
	s_branch .LBB95_11
.LBB95_17:
	s_clause 0x1
	s_load_b64 s[38:39], s[0:1], 0xd0
	s_load_b32 s5, s[0:1], 0x4d8
	s_mov_b64 s[10:11], 0
	s_wait_kmcnt 0x0
	s_cmp_lt_i32 s5, 2
	s_cbranch_scc1 .LBB95_25
; %bb.18:
	s_mov_b32 s12, 0
	s_add_co_i32 s10, s5, -1
	s_wait_alu 0xfffe
	s_mov_b32 s11, s12
	s_add_nc_u64 s[14:15], s[0:1], 0x340
	s_wait_alu 0xfffe
	s_lshl_b64 s[10:11], s[10:11], 3
	s_add_co_i32 s5, s5, 1
	s_wait_alu 0xfffe
	s_add_nc_u64 s[10:11], s[14:15], s[10:11]
	s_wait_alu 0xfffe
	s_add_nc_u64 s[14:15], s[10:11], 8
	s_mov_b64 s[10:11], 0
.LBB95_19:                              ; =>This Inner Loop Header: Depth=1
	s_load_b64 s[16:17], s[14:15], 0x0
	s_wait_kmcnt 0x0
	s_or_b64 s[18:19], s[2:3], s[16:17]
	s_delay_alu instid0(SALU_CYCLE_1)
	s_mov_b32 s13, s19
                                        ; implicit-def: $sgpr18_sgpr19
	s_wait_alu 0xfffe
	s_cmp_lg_u64 s[12:13], 0
	s_mov_b32 s13, -1
	s_cbranch_scc0 .LBB95_21
; %bb.20:                               ;   in Loop: Header=BB95_19 Depth=1
	s_cvt_f32_u32 s13, s16
	s_cvt_f32_u32 s18, s17
	s_sub_nc_u64 s[20:21], 0, s[16:17]
	s_mov_b32 s23, s12
	s_mov_b32 s43, s12
	s_wait_alu 0xfffe
	s_fmamk_f32 s13, s18, 0x4f800000, s13
	s_wait_alu 0xfffe
	s_delay_alu instid0(SALU_CYCLE_2) | instskip(NEXT) | instid1(TRANS32_DEP_1)
	v_s_rcp_f32 s13, s13
	s_mul_f32 s13, s13, 0x5f7ffffc
	s_wait_alu 0xfffe
	s_delay_alu instid0(SALU_CYCLE_2) | instskip(NEXT) | instid1(SALU_CYCLE_3)
	s_mul_f32 s18, s13, 0x2f800000
	s_trunc_f32 s18, s18
	s_delay_alu instid0(SALU_CYCLE_3) | instskip(SKIP_2) | instid1(SALU_CYCLE_1)
	s_fmamk_f32 s13, s18, 0xcf800000, s13
	s_cvt_u32_f32 s19, s18
	s_wait_alu 0xfffe
	s_cvt_u32_f32 s18, s13
	s_delay_alu instid0(SALU_CYCLE_3) | instskip(NEXT) | instid1(SALU_CYCLE_1)
	s_mul_u64 s[40:41], s[20:21], s[18:19]
	s_mul_hi_u32 s45, s18, s41
	s_mul_i32 s44, s18, s41
	s_mul_hi_u32 s22, s18, s40
	s_mul_i32 s33, s19, s40
	s_add_nc_u64 s[22:23], s[22:23], s[44:45]
	s_mul_hi_u32 s13, s19, s40
	s_mul_hi_u32 s46, s19, s41
	s_add_co_u32 s22, s22, s33
	s_wait_alu 0xfffe
	s_add_co_ci_u32 s42, s23, s13
	s_mul_i32 s40, s19, s41
	s_add_co_ci_u32 s41, s46, 0
	s_delay_alu instid0(SALU_CYCLE_1)
	s_add_nc_u64 s[22:23], s[42:43], s[40:41]
	s_mov_b32 s41, s12
	s_add_co_u32 s18, s18, s22
	s_cselect_b32 s13, -1, 0
	s_wait_alu 0xfffe
	s_cmp_lg_u32 s13, 0
	s_add_co_ci_u32 s19, s19, s23
	s_mov_b32 s23, s12
	s_mul_u64 s[20:21], s[20:21], s[18:19]
	s_delay_alu instid0(SALU_CYCLE_1)
	s_mul_hi_u32 s43, s18, s21
	s_mul_i32 s42, s18, s21
	s_mul_hi_u32 s22, s18, s20
	s_mul_i32 s33, s19, s20
	s_add_nc_u64 s[22:23], s[22:23], s[42:43]
	s_mul_hi_u32 s13, s19, s20
	s_mul_hi_u32 s44, s19, s21
	s_mul_i32 s20, s19, s21
	s_add_co_u32 s21, s22, s33
	s_wait_alu 0xfffe
	s_add_co_ci_u32 s40, s23, s13
	s_add_co_ci_u32 s21, s44, 0
	s_mov_b32 s23, s12
	s_add_nc_u64 s[20:21], s[40:41], s[20:21]
	s_delay_alu instid0(SALU_CYCLE_1)
	s_add_co_u32 s13, s18, s20
	s_cselect_b32 s18, -1, 0
	s_wait_alu 0xfffe
	s_mul_hi_u32 s22, s2, s13
	s_cmp_lg_u32 s18, 0
	s_mul_hi_u32 s33, s3, s13
	s_add_co_ci_u32 s20, s19, s21
	s_mul_i32 s13, s3, s13
	s_mul_hi_u32 s19, s2, s20
	s_mul_i32 s18, s2, s20
	s_mul_hi_u32 s21, s3, s20
	s_add_nc_u64 s[18:19], s[22:23], s[18:19]
	s_mul_i32 s20, s3, s20
	s_wait_alu 0xfffe
	s_add_co_u32 s13, s18, s13
	s_add_co_ci_u32 s40, s19, s33
	s_add_co_ci_u32 s21, s21, 0
	s_delay_alu instid0(SALU_CYCLE_1) | instskip(NEXT) | instid1(SALU_CYCLE_1)
	s_add_nc_u64 s[18:19], s[40:41], s[20:21]
	s_mul_u64 s[20:21], s[16:17], s[18:19]
	s_delay_alu instid0(SALU_CYCLE_1)
	s_sub_co_u32 s13, s2, s20
	s_cselect_b32 s20, -1, 0
	s_sub_co_i32 s22, s3, s21
	s_cmp_lg_u32 s20, 0
	s_sub_co_ci_u32 s22, s22, s17
	s_wait_alu 0xfffe
	s_sub_co_u32 s23, s13, s16
	s_cselect_b32 s33, -1, 0
	s_delay_alu instid0(SALU_CYCLE_1) | instskip(SKIP_1) | instid1(SALU_CYCLE_1)
	s_cmp_lg_u32 s33, 0
	s_sub_co_ci_u32 s22, s22, 0
	s_cmp_ge_u32 s22, s17
	s_cselect_b32 s33, -1, 0
	s_cmp_ge_u32 s23, s16
	s_cselect_b32 s40, -1, 0
	s_cmp_eq_u32 s22, s17
	s_add_nc_u64 s[22:23], s[18:19], 1
	s_cselect_b32 s33, s40, s33
	s_add_nc_u64 s[40:41], s[18:19], 2
	s_cmp_lg_u32 s33, 0
	s_cselect_b32 s22, s40, s22
	s_cselect_b32 s23, s41, s23
	s_cmp_lg_u32 s20, 0
	s_sub_co_ci_u32 s20, s3, s21
	s_delay_alu instid0(SALU_CYCLE_1)
	s_cmp_ge_u32 s20, s17
	s_cselect_b32 s21, -1, 0
	s_cmp_ge_u32 s13, s16
	s_cselect_b32 s13, -1, 0
	s_cmp_eq_u32 s20, s17
	s_wait_alu 0xfffe
	s_cselect_b32 s13, s13, s21
	s_wait_alu 0xfffe
	s_cmp_lg_u32 s13, 0
	s_mov_b32 s13, 0
	s_cselect_b32 s19, s23, s19
	s_cselect_b32 s18, s22, s18
.LBB95_21:                              ;   in Loop: Header=BB95_19 Depth=1
	s_wait_alu 0xfffe
	s_and_not1_b32 vcc_lo, exec_lo, s13
	s_cbranch_vccnz .LBB95_23
; %bb.22:                               ;   in Loop: Header=BB95_19 Depth=1
	v_cvt_f32_u32_e32 v1, s16
	s_sub_co_i32 s18, 0, s16
	s_delay_alu instid0(VALU_DEP_1) | instskip(NEXT) | instid1(TRANS32_DEP_1)
	v_rcp_iflag_f32_e32 v1, v1
	v_mul_f32_e32 v1, 0x4f7ffffe, v1
	s_delay_alu instid0(VALU_DEP_1) | instskip(NEXT) | instid1(VALU_DEP_1)
	v_cvt_u32_f32_e32 v1, v1
	v_readfirstlane_b32 s13, v1
	s_mul_i32 s18, s18, s13
	s_delay_alu instid0(SALU_CYCLE_1) | instskip(NEXT) | instid1(SALU_CYCLE_1)
	s_mul_hi_u32 s18, s13, s18
	s_add_co_i32 s13, s13, s18
	s_wait_alu 0xfffe
	s_mul_hi_u32 s13, s2, s13
	s_wait_alu 0xfffe
	s_mul_i32 s18, s13, s16
	s_add_co_i32 s19, s13, 1
	s_sub_co_i32 s18, s2, s18
	s_delay_alu instid0(SALU_CYCLE_1)
	s_sub_co_i32 s20, s18, s16
	s_cmp_ge_u32 s18, s16
	s_cselect_b32 s13, s19, s13
	s_cselect_b32 s18, s20, s18
	s_wait_alu 0xfffe
	s_add_co_i32 s19, s13, 1
	s_cmp_ge_u32 s18, s16
	s_cselect_b32 s18, s19, s13
	s_mov_b32 s19, s12
.LBB95_23:                              ;   in Loop: Header=BB95_19 Depth=1
	s_load_b64 s[20:21], s[14:15], 0xc8
	s_mul_u64 s[16:17], s[18:19], s[16:17]
	s_add_co_i32 s5, s5, -1
	s_wait_alu 0xfffe
	s_sub_nc_u64 s[2:3], s[2:3], s[16:17]
	s_cmp_gt_u32 s5, 2
	s_add_nc_u64 s[14:15], s[14:15], -8
	s_wait_kmcnt 0x0
	s_wait_alu 0xfffe
	s_mul_u64 s[2:3], s[20:21], s[2:3]
	s_wait_alu 0xfffe
	s_add_nc_u64 s[10:11], s[2:3], s[10:11]
	s_cbranch_scc0 .LBB95_26
; %bb.24:                               ;   in Loop: Header=BB95_19 Depth=1
	s_mov_b64 s[2:3], s[18:19]
	s_branch .LBB95_19
.LBB95_25:
	s_mov_b64 s[18:19], s[2:3]
.LBB95_26:
	s_load_b64 s[40:41], s[8:9], 0xd0
	v_cmp_eq_u32_e64 s2, 0, v0
	s_and_saveexec_b32 s3, s2
; %bb.27:
	v_mov_b32_e32 v1, 0
	s_delay_alu instid0(VALU_DEP_1)
	v_mov_b32_e32 v2, v1
	ds_store_b64 v1, v[1:2] offset:5136
; %bb.28:
	s_wait_alu 0xfffe
	s_or_b32 exec_lo, exec_lo, s3
	v_mov_b32_e32 v1, 0
	v_mov_b32_e32 v29, s25
	s_wait_dscnt 0x0
	s_barrier_signal -1
	s_barrier_wait -1
	global_inv scope:SCOPE_SE
	s_wait_loadcnt 0x0
	s_barrier_signal -1
	s_barrier_wait -1
	global_inv scope:SCOPE_SE
	v_mov_b32_e32 v28, s24
	ds_load_b64 v[1:2], v1 offset:5136
	s_load_b32 s3, s[0:1], 0x4f8
	s_wait_dscnt 0x0
	v_cmp_gt_i64_e32 vcc_lo, 1, v[1:2]
	s_wait_kmcnt 0x0
	s_bitcmp1_b32 s3, 0
	s_cselect_b32 s3, -1, 0
	s_wait_alu 0xfffe
	s_or_b32 s3, s3, vcc_lo
	s_wait_alu 0xfffe
	s_and_not1_b32 vcc_lo, exec_lo, s3
	s_cbranch_vccnz .LBB95_30
; %bb.29:
	v_not_b32_e32 v1, v1
	v_not_b32_e32 v2, v2
	s_delay_alu instid0(VALU_DEP_2) | instskip(NEXT) | instid1(VALU_DEP_1)
	v_add_co_u32 v1, vcc_lo, s24, v1
	v_add_co_ci_u32_e64 v2, null, s25, v2, vcc_lo
	s_delay_alu instid0(VALU_DEP_1) | instskip(NEXT) | instid1(VALU_DEP_1)
	v_lshrrev_b64 v[1:2], 1, v[1:2]
	v_add_co_u32 v28, vcc_lo, v1, 1
	s_wait_alu 0xfffd
	s_delay_alu instid0(VALU_DEP_2)
	v_add_co_ci_u32_e64 v29, null, 0, v2, vcc_lo
.LBB95_30:
	s_clause 0x1
	s_load_b64 s[12:13], s[0:1], 0x410
	s_load_b64 s[8:9], s[0:1], 0x340
	s_and_saveexec_b32 s3, s2
	s_cbranch_execz .LBB95_32
; %bb.31:
	v_dual_mov_b32 v1, 0 :: v_dual_mov_b32 v4, s25
	s_delay_alu instid0(VALU_DEP_1)
	v_dual_mov_b32 v3, s24 :: v_dual_mov_b32 v2, v1
	ds_store_b32 v1, v1 offset:5144
	ds_store_b128 v1, v[1:4] offset:5120
.LBB95_32:
	s_wait_alu 0xfffe
	s_or_b32 exec_lo, exec_lo, s3
	v_lshlrev_b32_e32 v43, 4, v0
	s_wait_kmcnt 0x0
	s_mul_u64 s[12:13], s[12:13], s[18:19]
	s_clause 0x1
	s_load_b64 s[46:47], s[0:1], 0x0
	s_load_b64 s[42:43], s[0:1], 0x1a0
	s_lshl_b64 s[12:13], s[12:13], 2
	s_wait_loadcnt_dscnt 0x0
	v_or_b32_e32 v24, 4, v43
	s_wait_alu 0xfffe
	s_add_nc_u64 s[14:15], s[8:9], s[12:13]
	s_barrier_signal -1
	s_barrier_wait -1
	global_inv scope:SCOPE_SE
	v_mad_co_u64_u32 v[21:22], null, s28, v24, s[14:15]
	s_load_b32 s5, s[6:7], 0xc
	v_mbcnt_lo_u32_b32 v40, -1, 0
	v_mad_co_u64_u32 v[2:3], null, s28, v0, 0
	v_dual_mov_b32 v10, 0 :: v_dual_lshlrev_b32 v13, 2, v0
	v_mov_b32_e32 v8, v22
	v_or_b32_e32 v9, 12, v43
	v_or_b32_e32 v23, 8, v43
	v_lshlrev_b64_e64 v[6:7], v40, -1
	v_cmp_gt_u32_e32 vcc_lo, 32, v0
	v_cmp_gt_i32_e64 s3, 4, v40
	v_mad_co_u64_u32 v[17:18], null, s28, v9, s[14:15]
	v_mad_co_u64_u32 v[19:20], null, s28, v23, s[14:15]
	v_add_nc_u32_e32 v41, 0xc00, v13
	v_not_b32_e32 v42, v6
	v_mad_co_u64_u32 v[3:4], null, s29, v0, v[3:4]
	v_mov_b32_e32 v6, v18
	s_wait_kmcnt 0x0
	s_and_b32 s44, s5, 0xffff
	v_mov_b32_e32 v7, v20
	s_lshl_b64 s[48:49], s[10:11], 2
	s_and_b32 s33, vcc_lo, s3
	s_bfe_u32 s5, s5, 0xb0005
	s_cmp_gt_u32 s44, 31
	v_mad_co_u64_u32 v[11:12], null, s29, v9, v[6:7]
	s_cselect_b32 s83, -1, 0
	s_cmp_lt_u32 ttmp9, s4
	v_lshlrev_b64_e32 v[4:5], 2, v[2:3]
	s_cselect_b32 s54, 12, 18
	s_add_co_i32 s4, s5, -1
	s_bfe_u32 s84, s44, 0x30005
	s_and_b32 s4, s4, 0xffff
	v_lshlrev_b64_e32 v[2:3], 4, v[2:3]
	s_cmp_gt_u32 s4, 6
	v_mov_b32_e32 v18, v11
	v_mad_co_u64_u32 v[6:7], null, s29, v23, v[7:8]
	s_add_nc_u64 s[50:51], s[14:15], s[48:49]
	s_cselect_b32 s85, -1, 0
	s_and_b32 s86, s5, 0x7f8
	s_add_nc_u64 s[4:5], s[12:13], s[48:49]
	v_mad_co_u64_u32 v[7:8], null, s29, v24, v[8:9]
	s_cmp_lg_u32 s84, 0
	v_dual_mov_b32 v1, v10 :: v_dual_mov_b32 v14, v10
	v_add_co_u32 v15, vcc_lo, s50, v4
	s_add_nc_u64 s[60:61], s[8:9], s[4:5]
	s_add_nc_u64 s[4:5], s[8:9], s[48:49]
	s_cselect_b32 s87, -1, 0
	s_lshl_b64 s[62:63], s[28:29], 2
	s_lshl_b64 s[64:65], s[28:29], 4
	s_wait_alu 0xfffd
	v_add_co_ci_u32_e64 v16, null, s51, v5, vcc_lo
	v_add_co_u32 v23, vcc_lo, s14, v2
	s_add_nc_u64 s[4:5], s[4:5], s[12:13]
	s_mov_b32 s55, 0
	v_mul_lo_u32 v47, 0, s62
	v_mul_lo_u32 v48, 0, s64
	s_movk_i32 s10, 0x3e0
	s_wait_alu 0xfffd
	v_add_co_ci_u32_e64 v24, null, s15, v3, vcc_lo
	v_add_co_u32 v11, vcc_lo, s4, v4
	v_cmp_gt_u64_e64 s0, s[24:25], v[0:1]
	v_cmp_lt_u64_e64 s82, 0x300, s[24:25]
	s_mov_b32 s45, s55
	v_cmp_eq_u32_e64 s1, 0, v40
	v_cmp_gt_u32_e64 s3, 2, v0
	s_wait_alu 0xfffe
	v_and_or_b32 v44, v0, s10, 0xc00
	v_dual_mov_b32 v20, v6 :: v_dual_mov_b32 v25, 1
	v_dual_mov_b32 v22, v7 :: v_dual_mov_b32 v27, 0
	v_lshl_or_b32 v45, v40, 3, 0xc00
	s_wait_alu 0xfffd
	v_add_co_ci_u32_e64 v12, null, s5, v5, vcc_lo
	v_dual_mov_b32 v46, 0 :: v_dual_mov_b32 v49, 0
	s_add_nc_u64 s[56:57], s[44:45], -1
	s_mul_u64 s[8:9], s[28:29], s[44:45]
	s_add_nc_u64 s[58:59], s[56:57], s[24:25]
	s_lshl_b32 s88, s44, 2
	s_lshl_b64 s[52:53], s[8:9], 2
	s_mov_b32 s89, 30
	s_add_nc_u64 s[66:67], s[6:7], s[54:55]
	s_mov_b32 s91, 0x4f800000
	s_mov_b32 s90, 0
	;; [unrolled: 1-line block ×3, first 2 shown]
                                        ; implicit-def: $sgpr96
                                        ; implicit-def: $sgpr98
                                        ; implicit-def: $sgpr93
                                        ; implicit-def: $sgpr95
                                        ; implicit-def: $sgpr97
                                        ; implicit-def: $sgpr94
	s_branch .LBB95_36
.LBB95_33:                              ;   in Loop: Header=BB95_36 Depth=1
	s_wait_alu 0xfffe
	s_or_b32 exec_lo, exec_lo, s7
	s_delay_alu instid0(SALU_CYCLE_1)
	s_and_b32 s5, s5, exec_lo
	s_and_not1_b32 s20, s20, exec_lo
	s_and_not1_b32 s19, s19, exec_lo
	s_or_not1_b32 s16, s6, exec_lo
.LBB95_34:                              ;   in Loop: Header=BB95_36 Depth=1
	s_wait_alu 0xfffe
	s_or_b32 exec_lo, exec_lo, s4
	s_delay_alu instid0(SALU_CYCLE_1)
	s_and_not1_b32 s4, s94, exec_lo
	s_and_b32 s5, s5, exec_lo
	s_and_not1_b32 s6, s95, exec_lo
	s_wait_alu 0xfffe
	s_or_b32 s94, s4, s5
	s_and_not1_b32 s4, s97, exec_lo
	s_and_b32 s5, s20, exec_lo
	s_and_b32 s7, s19, exec_lo
	s_wait_alu 0xfffe
	s_or_b32 s97, s4, s5
	s_or_b32 s95, s6, s7
	s_or_not1_b32 s16, s16, exec_lo
.LBB95_35:                              ;   in Loop: Header=BB95_36 Depth=1
	s_wait_alu 0xfffe
	s_or_b32 exec_lo, exec_lo, s15
	s_delay_alu instid0(SALU_CYCLE_1)
	s_and_b32 s4, exec_lo, s16
	v_dual_mov_b32 v29, v7 :: v_dual_mov_b32 v28, v6
	s_wait_alu 0xfffe
	s_or_b32 s90, s4, s90
	s_and_not1_b32 s4, s93, exec_lo
	s_and_b32 s5, s94, exec_lo
	s_and_not1_b32 s6, s98, exec_lo
	s_wait_alu 0xfffe
	s_or_b32 s93, s4, s5
	s_and_b32 s4, s97, exec_lo
	s_and_not1_b32 s5, s96, exec_lo
	s_and_b32 s7, s95, exec_lo
	s_wait_alu 0xfffe
	s_or_b32 s98, s6, s4
	s_or_b32 s96, s5, s7
	s_and_not1_b32 exec_lo, exec_lo, s90
	s_cbranch_execz .LBB95_293
.LBB95_36:                              ; =>This Loop Header: Depth=1
                                        ;     Child Loop BB95_42 Depth 2
                                        ;     Child Loop BB95_55 Depth 2
	;; [unrolled: 1-line block ×16, first 2 shown]
	ds_load_b128 v[2:5], v10 offset:5120
	s_wait_dscnt 0x0
	v_readfirstlane_b32 s69, v3
	v_readfirstlane_b32 s68, v2
	s_cmp_lg_u64 s[68:69], 0
	s_cbranch_scc1 .LBB95_63
; %bb.37:                               ;   in Loop: Header=BB95_36 Depth=1
	s_and_b32 vcc_lo, exec_lo, s82
	s_wait_alu 0xfffe
	s_cbranch_vccz .LBB95_50
; %bb.38:                               ;   in Loop: Header=BB95_36 Depth=1
	v_cmp_gt_u64_e32 vcc_lo, 0x301, v[4:5]
	s_mov_b32 s6, 0
	s_mov_b32 s4, 0
	s_cbranch_vccz .LBB95_51
; %bb.39:                               ;   in Loop: Header=BB95_36 Depth=1
	s_and_saveexec_b32 s7, s0
	s_cbranch_execz .LBB95_160
; %bb.40:                               ;   in Loop: Header=BB95_36 Depth=1
	global_load_u16 v2, v10, s[66:67]
	global_load_b32 v7, v[15:16], off
	s_mov_b32 s8, 0
	s_wait_loadcnt 0x1
	v_and_b32_e32 v6, 0xffff, v2
	s_delay_alu instid0(VALU_DEP_1) | instskip(SKIP_2) | instid1(VALU_DEP_3)
	v_add_nc_u32_e32 v4, v0, v6
	v_mul_lo_u32 v5, v6, s63
	v_mul_hi_u32 v9, v6, s62
	v_mad_co_u64_u32 v[2:3], null, s62, v4, s[60:61]
	s_delay_alu instid0(VALU_DEP_1) | instskip(NEXT) | instid1(VALU_DEP_4)
	v_mad_co_u64_u32 v[3:4], null, s63, v4, v[3:4]
	v_add_nc_u32_e32 v4, v5, v47
	s_delay_alu instid0(VALU_DEP_1)
	v_add_nc_u32_e32 v9, v4, v9
	v_mov_b32_e32 v5, v1
	v_mul_lo_u32 v8, v6, s62
	v_mov_b32_e32 v4, v0
	s_branch .LBB95_42
.LBB95_41:                              ;   in Loop: Header=BB95_42 Depth=2
	s_wait_alu 0xfffe
	s_or_b32 exec_lo, exec_lo, s5
	v_add_co_u32 v2, vcc_lo, v2, v8
	s_wait_alu 0xfffd
	v_add_co_ci_u32_e64 v3, null, v3, v9, vcc_lo
	v_mov_b32_e32 v7, v26
	s_and_not1_b32 exec_lo, exec_lo, s8
	s_cbranch_execz .LBB95_160
.LBB95_42:                              ;   Parent Loop BB95_36 Depth=1
                                        ; =>  This Inner Loop Header: Depth=2
	s_delay_alu instid0(VALU_DEP_1)
	v_add_co_u32 v4, vcc_lo, v4, v6
	s_wait_alu 0xfffd
	v_add_co_ci_u32_e64 v5, null, 0, v5, vcc_lo
	s_wait_dscnt 0x0
	v_mov_b32_e32 v30, 0
	v_mov_b32_e32 v26, 0
	s_mov_b32 s5, exec_lo
	v_cmp_le_u64_e32 vcc_lo, s[24:25], v[4:5]
	v_cmpx_gt_u64_e64 s[24:25], v[4:5]
	s_cbranch_execz .LBB95_44
; %bb.43:                               ;   in Loop: Header=BB95_42 Depth=2
	global_load_b32 v26, v[2:3], off
.LBB95_44:                              ;   in Loop: Header=BB95_42 Depth=2
	s_wait_alu 0xfffe
	s_or_b32 exec_lo, exec_lo, s5
	s_wait_loadcnt 0x0
	v_xor_b32_e32 v31, 0x80000000, v7
	s_delay_alu instid0(VALU_DEP_1) | instskip(NEXT) | instid1(VALU_DEP_1)
	v_and_b32_e32 v31, v31, v49
	v_cmp_eq_u32_e64 s4, v31, v46
	s_cmp_lg_u32 s4, 0
	s_cselect_b32 s5, -1, 0
	s_wait_alu 0xfffe
	s_and_b32 s5, s1, s5
	s_wait_alu 0xfffe
	s_and_saveexec_b32 s9, s5
	s_cbranch_execz .LBB95_48
; %bb.45:                               ;   in Loop: Header=BB95_42 Depth=2
	s_mov_b32 s12, exec_lo
	s_bcnt1_i32_b32 s10, s4
	s_wait_alu 0xfffe
	v_mbcnt_lo_u32_b32 v30, s12, 0
	s_mov_b32 s11, exec_lo
                                        ; implicit-def: $vgpr31
	s_delay_alu instid0(VALU_DEP_1)
	v_cmpx_eq_u32_e32 0, v30
; %bb.46:                               ;   in Loop: Header=BB95_42 Depth=2
	s_bcnt1_i32_b32 s5, s12
	s_wait_alu 0xfffe
	s_mul_i32 s5, s10, s5
	s_wait_alu 0xfffe
	v_mov_b32_e32 v31, s5
	ds_add_rtn_u32 v31, v10, v31 offset:5144
; %bb.47:                               ;   in Loop: Header=BB95_42 Depth=2
	s_or_b32 exec_lo, exec_lo, s11
	s_wait_dscnt 0x0
	v_readfirstlane_b32 s5, v31
	s_wait_alu 0xf1ff
	s_delay_alu instid0(VALU_DEP_1)
	v_mad_u32_u24 v30, s10, v30, s5
.LBB95_48:                              ;   in Loop: Header=BB95_42 Depth=2
	s_wait_alu 0xfffe
	s_or_b32 exec_lo, exec_lo, s9
	ds_bpermute_b32 v30, v10, v30
	s_and_b32 s5, exec_lo, vcc_lo
	s_wait_alu 0xfffe
	s_or_b32 s8, s5, s8
	s_and_saveexec_b32 s5, s4
	s_cbranch_execz .LBB95_41
; %bb.49:                               ;   in Loop: Header=BB95_42 Depth=2
	v_and_b32_e32 v31, s4, v42
	s_delay_alu instid0(VALU_DEP_1) | instskip(NEXT) | instid1(VALU_DEP_1)
	v_bcnt_u32_b32 v31, v31, 0
	v_lshlrev_b32_e32 v31, 2, v31
	s_wait_dscnt 0x0
	s_delay_alu instid0(VALU_DEP_1)
	v_lshl_add_u32 v30, v30, 2, v31
	ds_store_b32 v30, v7
	s_branch .LBB95_41
.LBB95_50:                              ;   in Loop: Header=BB95_36 Depth=1
	s_mov_b32 s6, -1
	s_mov_b32 s4, 0
.LBB95_51:                              ;   in Loop: Header=BB95_36 Depth=1
	s_wait_alu 0xfffe
	s_and_b32 vcc_lo, exec_lo, s6
	s_wait_alu 0xfffe
	s_cbranch_vccz .LBB95_61
.LBB95_52:                              ;   in Loop: Header=BB95_36 Depth=1
	s_and_saveexec_b32 s5, s0
	s_cbranch_execz .LBB95_58
; %bb.53:                               ;   in Loop: Header=BB95_36 Depth=1
	global_load_u16 v2, v10, s[66:67]
	global_load_b32 v8, v[15:16], off
	s_mov_b32 s6, exec_lo
	s_wait_loadcnt 0x1
	v_and_b32_e32 v26, 0xffff, v2
	s_delay_alu instid0(VALU_DEP_1) | instskip(NEXT) | instid1(VALU_DEP_1)
	v_dual_mov_b32 v2, v0 :: v_dual_add_nc_u32 v9, v26, v0
	v_cmpx_gt_u64_e64 s[24:25], v[9:10]
	s_cbranch_execz .LBB95_57
; %bb.54:                               ;   in Loop: Header=BB95_36 Depth=1
	v_mul_lo_u32 v5, v26, s63
	v_mad_co_u64_u32 v[2:3], null, s62, v9, s[60:61]
	v_mul_hi_u32 v6, v26, s62
	v_mul_lo_u32 v30, v26, s62
	s_mov_b32 s7, 0
	s_delay_alu instid0(VALU_DEP_4) | instskip(NEXT) | instid1(VALU_DEP_4)
	v_add_nc_u32_e32 v7, v5, v47
	v_mad_co_u64_u32 v[3:4], null, s63, v9, v[3:4]
	v_dual_mov_b32 v4, v9 :: v_dual_mov_b32 v5, v10
	s_delay_alu instid0(VALU_DEP_3)
	v_add_nc_u32_e32 v9, v7, v6
	v_dual_mov_b32 v7, v1 :: v_dual_mov_b32 v6, v0
.LBB95_55:                              ;   Parent Loop BB95_36 Depth=1
                                        ; =>  This Inner Loop Header: Depth=2
	global_load_b32 v31, v[2:3], off
	v_dual_mov_b32 v33, v5 :: v_dual_mov_b32 v32, v4
	v_lshlrev_b32_e32 v6, 2, v6
	s_delay_alu instid0(VALU_DEP_2) | instskip(SKIP_1) | instid1(VALU_DEP_3)
	v_add_co_u32 v4, vcc_lo, v32, v26
	s_wait_alu 0xfffd
	v_add_co_ci_u32_e64 v5, null, 0, v33, vcc_lo
	v_add_co_u32 v2, vcc_lo, v2, v30
	s_wait_alu 0xfffd
	v_add_co_ci_u32_e64 v3, null, v3, v9, vcc_lo
	s_delay_alu instid0(VALU_DEP_3)
	v_cmp_le_u64_e64 s4, s[24:25], v[4:5]
	s_wait_loadcnt 0x1
	ds_store_b32 v6, v8
	v_dual_mov_b32 v6, v32 :: v_dual_mov_b32 v7, v33
	s_wait_alu 0xfffe
	s_or_b32 s7, s4, s7
	s_wait_loadcnt 0x0
	v_mov_b32_e32 v8, v31
	s_wait_alu 0xfffe
	s_and_not1_b32 exec_lo, exec_lo, s7
	s_cbranch_execnz .LBB95_55
; %bb.56:                               ;   in Loop: Header=BB95_36 Depth=1
	s_or_b32 exec_lo, exec_lo, s7
	v_sub_nc_u32_e32 v2, v4, v26
	v_mov_b32_e32 v8, v31
.LBB95_57:                              ;   in Loop: Header=BB95_36 Depth=1
	s_wait_alu 0xfffe
	s_or_b32 exec_lo, exec_lo, s6
	s_delay_alu instid0(VALU_DEP_2)
	v_lshlrev_b32_e32 v2, 2, v2
	s_wait_loadcnt 0x0
	ds_store_b32 v2, v8
.LBB95_58:                              ;   in Loop: Header=BB95_36 Depth=1
	s_wait_alu 0xfffe
	s_or_b32 exec_lo, exec_lo, s5
	s_wait_loadcnt_dscnt 0x0
	s_barrier_signal -1
	s_barrier_wait -1
	global_inv scope:SCOPE_SE
	s_and_saveexec_b32 s4, s2
; %bb.59:                               ;   in Loop: Header=BB95_36 Depth=1
	v_dual_mov_b32 v2, s24 :: v_dual_mov_b32 v3, s25
	ds_store_b64 v10, v[2:3] offset:5120
; %bb.60:                               ;   in Loop: Header=BB95_36 Depth=1
	s_wait_alu 0xfffe
	s_or_b32 exec_lo, exec_lo, s4
	s_wait_loadcnt_dscnt 0x0
	s_barrier_signal -1
	s_mov_b32 s4, -1
	s_barrier_wait -1
.LBB95_61:                              ;   in Loop: Header=BB95_36 Depth=1
	s_wait_alu 0xfffe
	s_and_b32 vcc_lo, exec_lo, s4
	s_mov_b64 s[68:69], 0
	s_wait_alu 0xfffe
	s_cbranch_vccz .LBB95_63
; %bb.62:                               ;   in Loop: Header=BB95_36 Depth=1
	s_wait_loadcnt 0x0
	global_inv scope:SCOPE_SE
	ds_load_b64 v[2:3], v10 offset:5120
	s_wait_dscnt 0x0
	v_readfirstlane_b32 s68, v2
.LBB95_63:                              ;   in Loop: Header=BB95_36 Depth=1
	s_delay_alu instid0(VALU_DEP_1)
	s_cmp_lt_i32 s68, 1
	s_mov_b32 s4, -1
                                        ; implicit-def: $vgpr2_vgpr3
                                        ; implicit-def: $vgpr6_vgpr7
	s_cbranch_scc1 .LBB95_73
; %bb.64:                               ;   in Loop: Header=BB95_36 Depth=1
	s_wait_alu 0xfffe
	s_and_b32 vcc_lo, exec_lo, s4
	s_wait_alu 0xfffe
	s_cbranch_vccnz .LBB95_87
.LBB95_65:                              ;   in Loop: Header=BB95_36 Depth=1
	s_lshl_b32 s4, s92, 7
	s_and_saveexec_b32 s5, s1
	s_cbranch_execz .LBB95_67
.LBB95_66:                              ;   in Loop: Header=BB95_36 Depth=1
	s_wait_alu 0xfffe
	v_lshl_add_u32 v26, s4, 3, v44
	ds_store_b128 v26, v[2:5]
	ds_store_b128 v26, v[6:9] offset:16
.LBB95_67:                              ;   in Loop: Header=BB95_36 Depth=1
	s_wait_alu 0xfffe
	s_or_b32 exec_lo, exec_lo, s5
	s_wait_loadcnt_dscnt 0x0
	s_barrier_signal -1
	s_barrier_wait -1
	global_inv scope:SCOPE_SE
	s_and_saveexec_b32 s5, s33
	s_cbranch_execz .LBB95_101
; %bb.68:                               ;   in Loop: Header=BB95_36 Depth=1
	v_mov_b32_e32 v2, 0
	v_mov_b32_e32 v3, 0
	s_and_not1_b32 vcc_lo, exec_lo, s83
	s_wait_alu 0xfffe
	s_cbranch_vccnz .LBB95_100
; %bb.69:                               ;   in Loop: Header=BB95_36 Depth=1
	v_mov_b32_e32 v2, 0
	v_mov_b32_e32 v3, 0
	s_and_not1_b32 vcc_lo, exec_lo, s85
	s_wait_alu 0xfffe
	s_cbranch_vccnz .LBB95_97
; %bb.70:                               ;   in Loop: Header=BB95_36 Depth=1
	v_lshl_add_u32 v4, s92, 10, v45
	s_mov_b32 s6, 0
.LBB95_71:                              ;   Parent Loop BB95_36 Depth=1
                                        ; =>  This Inner Loop Header: Depth=2
	ds_load_2addr_b64 v[5:8], v4 offset1:4
	ds_load_2addr_b64 v[30:33], v4 offset0:8 offset1:12
	ds_load_2addr_b64 v[34:37], v4 offset0:16 offset1:20
	s_wait_alu 0xfffe
	s_add_co_i32 s6, s6, 8
	s_wait_alu 0xfffe
	s_cmp_eq_u32 s86, s6
	s_wait_dscnt 0x2
	v_add_co_u32 v2, vcc_lo, v5, v2
	s_wait_alu 0xfffd
	v_add_co_ci_u32_e64 v3, null, v6, v3, vcc_lo
	s_delay_alu instid0(VALU_DEP_2) | instskip(SKIP_1) | instid1(VALU_DEP_2)
	v_add_co_u32 v2, vcc_lo, v7, v2
	s_wait_alu 0xfffd
	v_add_co_ci_u32_e64 v3, null, v8, v3, vcc_lo
	ds_load_2addr_b64 v[5:8], v4 offset0:24 offset1:28
	s_wait_dscnt 0x2
	v_add_co_u32 v2, vcc_lo, v30, v2
	s_wait_alu 0xfffd
	v_add_co_ci_u32_e64 v3, null, v31, v3, vcc_lo
	v_add_nc_u32_e32 v4, 0x100, v4
	s_delay_alu instid0(VALU_DEP_3) | instskip(SKIP_1) | instid1(VALU_DEP_3)
	v_add_co_u32 v2, vcc_lo, v32, v2
	s_wait_alu 0xfffd
	v_add_co_ci_u32_e64 v3, null, v33, v3, vcc_lo
	s_wait_dscnt 0x1
	s_delay_alu instid0(VALU_DEP_2) | instskip(SKIP_1) | instid1(VALU_DEP_2)
	v_add_co_u32 v2, vcc_lo, v34, v2
	s_wait_alu 0xfffd
	v_add_co_ci_u32_e64 v3, null, v35, v3, vcc_lo
	s_delay_alu instid0(VALU_DEP_2) | instskip(SKIP_1) | instid1(VALU_DEP_2)
	v_add_co_u32 v2, vcc_lo, v36, v2
	s_wait_alu 0xfffd
	v_add_co_ci_u32_e64 v3, null, v37, v3, vcc_lo
	s_wait_dscnt 0x0
	s_delay_alu instid0(VALU_DEP_2) | instskip(SKIP_1) | instid1(VALU_DEP_2)
	v_add_co_u32 v2, vcc_lo, v5, v2
	s_wait_alu 0xfffd
	v_add_co_ci_u32_e64 v3, null, v6, v3, vcc_lo
	s_delay_alu instid0(VALU_DEP_2) | instskip(SKIP_1) | instid1(VALU_DEP_2)
	v_add_co_u32 v2, vcc_lo, v7, v2
	s_wait_alu 0xfffd
	v_add_co_ci_u32_e64 v3, null, v8, v3, vcc_lo
	s_cbranch_scc0 .LBB95_71
; %bb.72:                               ;   in Loop: Header=BB95_36 Depth=1
	s_mov_b32 s6, s86
	s_and_not1_b32 vcc_lo, exec_lo, s87
	s_wait_alu 0xfffe
	s_cbranch_vccz .LBB95_98
	s_branch .LBB95_100
.LBB95_73:                              ;   in Loop: Header=BB95_36 Depth=1
	global_load_u16 v26, v10, s[66:67]
	s_mov_b32 s5, s25
	s_wait_loadcnt 0x0
	v_readfirstlane_b32 s4, v26
	s_wait_alu 0xfffe
	s_and_b32 s6, 0xffff, s4
	s_mov_b32 s4, s55
	s_wait_alu 0xfffe
	s_lshl_b32 s70, s6, 2
	s_cmp_lg_u64 s[4:5], 0
	s_cbranch_scc0 .LBB95_96
; %bb.74:                               ;   in Loop: Header=BB95_36 Depth=1
	s_wait_alu 0xfffe
	s_cvt_f32_u32 s4, s70
	s_mov_b32 s71, s55
	s_wait_alu 0xfffe
	s_sub_nc_u64 s[6:7], 0, s[70:71]
	s_fmamk_f32 s4, s91, 0x0, s4
	s_wait_alu 0xfffe
	s_delay_alu instid0(SALU_CYCLE_2) | instskip(NEXT) | instid1(TRANS32_DEP_1)
	v_s_rcp_f32 s4, s4
	s_mul_f32 s4, s4, 0x5f7ffffc
	s_wait_alu 0xfffe
	s_delay_alu instid0(SALU_CYCLE_2) | instskip(SKIP_1) | instid1(SALU_CYCLE_2)
	s_mul_f32 s5, s4, 0x2f800000
	s_wait_alu 0xfffe
	s_trunc_f32 s5, s5
	s_wait_alu 0xfffe
	s_delay_alu instid0(SALU_CYCLE_2) | instskip(SKIP_2) | instid1(SALU_CYCLE_1)
	s_fmamk_f32 s4, s5, 0xcf800000, s4
	s_cvt_u32_f32 s5, s5
	s_wait_alu 0xfffe
	s_cvt_u32_f32 s4, s4
	s_wait_alu 0xfffe
	s_delay_alu instid0(SALU_CYCLE_2)
	s_mul_u64 s[8:9], s[6:7], s[4:5]
	s_wait_alu 0xfffe
	s_mul_hi_u32 s11, s4, s9
	s_mul_i32 s10, s4, s9
	s_mul_hi_u32 s54, s4, s8
	s_mul_i32 s13, s5, s8
	s_wait_alu 0xfffe
	s_add_nc_u64 s[10:11], s[54:55], s[10:11]
	s_mul_hi_u32 s12, s5, s8
	s_mul_hi_u32 s14, s5, s9
	s_mul_i32 s8, s5, s9
	s_wait_alu 0xfffe
	s_add_co_u32 s9, s10, s13
	s_add_co_ci_u32 s54, s11, s12
	s_add_co_ci_u32 s9, s14, 0
	s_wait_alu 0xfffe
	s_add_nc_u64 s[8:9], s[54:55], s[8:9]
	s_wait_alu 0xfffe
	s_add_co_u32 s4, s4, s8
	s_cselect_b32 s8, -1, 0
	s_wait_alu 0xfffe
	s_cmp_lg_u32 s8, 0
	s_add_co_ci_u32 s5, s5, s9
	s_wait_alu 0xfffe
	s_mul_u64 s[6:7], s[6:7], s[4:5]
	s_wait_alu 0xfffe
	s_mul_hi_u32 s9, s4, s7
	s_mul_i32 s8, s4, s7
	s_mul_hi_u32 s54, s4, s6
	s_mul_i32 s11, s5, s6
	s_wait_alu 0xfffe
	s_add_nc_u64 s[8:9], s[54:55], s[8:9]
	s_mul_hi_u32 s10, s5, s6
	s_mul_hi_u32 s12, s5, s7
	s_mul_i32 s6, s5, s7
	s_wait_alu 0xfffe
	s_add_co_u32 s7, s8, s11
	s_add_co_ci_u32 s54, s9, s10
	s_add_co_ci_u32 s7, s12, 0
	s_wait_alu 0xfffe
	s_add_nc_u64 s[6:7], s[54:55], s[6:7]
	s_wait_alu 0xfffe
	s_add_co_u32 s4, s4, s6
	s_cselect_b32 s6, -1, 0
	s_wait_alu 0xfffe
	s_mul_hi_u32 s54, s24, s4
	s_cmp_lg_u32 s6, 0
	s_mul_hi_u32 s8, s25, s4
	s_add_co_ci_u32 s6, s5, s7
	s_mul_i32 s7, s25, s4
	s_wait_alu 0xfffe
	s_mul_hi_u32 s5, s24, s6
	s_mul_i32 s4, s24, s6
	s_mul_hi_u32 s9, s25, s6
	s_wait_alu 0xfffe
	s_add_nc_u64 s[4:5], s[54:55], s[4:5]
	s_mul_i32 s6, s25, s6
	s_wait_alu 0xfffe
	s_add_co_u32 s4, s4, s7
	s_add_co_ci_u32 s54, s5, s8
	s_add_co_ci_u32 s7, s9, 0
	s_wait_alu 0xfffe
	s_add_nc_u64 s[4:5], s[54:55], s[6:7]
	s_wait_alu 0xfffe
	s_mul_u64 s[4:5], s[70:71], s[4:5]
	s_wait_alu 0xfffe
	s_sub_co_u32 s4, s24, s4
	s_cselect_b32 s6, -1, 0
	s_wait_alu 0xfffe
	s_cmp_lg_u32 s6, 0
	s_sub_co_ci_u32 s5, s25, s5
	s_sub_co_u32 s6, s4, s70
	s_cselect_b32 s7, -1, 0
	s_wait_alu 0xfffe
	s_cmp_lg_u32 s7, 0
	s_sub_co_ci_u32 s7, s5, 0
	;; [unrolled: 5-line block ×3, first 2 shown]
	s_cmp_ge_u32 s6, s70
	s_cselect_b32 s10, -1, 0
	s_cmp_eq_u32 s7, 0
	s_wait_alu 0xfffe
	s_cselect_b32 s10, s10, -1
	s_wait_alu 0xfffe
	s_cmp_lg_u32 s10, 0
	s_cselect_b32 s7, s9, s7
	s_cselect_b32 s6, s8, s6
	s_cmp_ge_u32 s4, s70
	s_cselect_b32 s8, -1, 0
	s_cmp_eq_u32 s5, 0
	s_wait_alu 0xfffe
	s_cselect_b32 s8, s8, -1
	s_wait_alu 0xfffe
	s_cmp_lg_u32 s8, 0
	s_cselect_b32 s5, s7, s5
	s_cselect_b32 s4, s6, s4
	s_cbranch_execnz .LBB95_76
.LBB95_75:                              ;   in Loop: Header=BB95_36 Depth=1
	s_wait_alu 0xfffe
	v_cvt_f32_u32_e32 v2, s70
	s_sub_co_i32 s5, 0, s70
	s_delay_alu instid0(VALU_DEP_1) | instskip(NEXT) | instid1(TRANS32_DEP_1)
	v_rcp_iflag_f32_e32 v2, v2
	v_mul_f32_e32 v2, 0x4f7ffffe, v2
	s_delay_alu instid0(VALU_DEP_1) | instskip(NEXT) | instid1(VALU_DEP_1)
	v_cvt_u32_f32_e32 v2, v2
	v_readfirstlane_b32 s4, v2
	s_wait_alu 0xfffe
	s_mul_i32 s5, s5, s4
	s_wait_alu 0xfffe
	s_mul_hi_u32 s5, s4, s5
	s_wait_alu 0xfffe
	s_add_co_i32 s4, s4, s5
	s_wait_alu 0xfffe
	s_mul_hi_u32 s4, s24, s4
	s_wait_alu 0xfffe
	s_mul_i32 s4, s4, s70
	s_wait_alu 0xfffe
	s_sub_co_i32 s4, s24, s4
	s_wait_alu 0xfffe
	s_sub_co_i32 s5, s4, s70
	s_cmp_ge_u32 s4, s70
	s_wait_alu 0xfffe
	s_cselect_b32 s4, s5, s4
	s_wait_alu 0xfffe
	s_sub_co_i32 s5, s4, s70
	s_cmp_ge_u32 s4, s70
	s_wait_alu 0xfffe
	s_cselect_b32 s54, s5, s4
	s_wait_alu 0xfffe
	s_mov_b64 s[4:5], s[54:55]
.LBB95_76:                              ;   in Loop: Header=BB95_36 Depth=1
	v_mov_b32_e32 v2, 0
	v_dual_mov_b32 v6, 0 :: v_dual_mov_b32 v3, 0
	v_dual_mov_b32 v4, 0 :: v_dual_mov_b32 v7, 0
	;; [unrolled: 1-line block ×3, first 2 shown]
	v_dual_mov_b32 v9, 0 :: v_dual_and_b32 v26, 0xffff, v26
	s_wait_alu 0xfffe
	s_sub_nc_u64 s[72:73], s[24:25], s[4:5]
	s_mov_b32 s69, exec_lo
	s_wait_alu 0xfffe
	v_cmpx_gt_u64_e64 s[72:73], v[13:14]
	s_cbranch_execz .LBB95_80
; %bb.77:                               ;   in Loop: Header=BB95_36 Depth=1
	v_mul_lo_u32 v2, v26, s65
	v_mul_hi_u32 v3, v26, s64
	v_mul_lo_u32 v50, v26, s64
	v_dual_mov_b32 v39, v14 :: v_dual_mov_b32 v38, v13
	s_mov_b64 s[74:75], 0
	s_mov_b32 s71, 0
	s_mov_b64 s[76:77], 0
	s_delay_alu instid0(VALU_DEP_4) | instskip(SKIP_3) | instid1(VALU_DEP_4)
	v_dual_mov_b32 v31, v24 :: v_dual_add_nc_u32 v2, v2, v48
	v_dual_mov_b32 v30, v23 :: v_dual_mov_b32 v33, v22
	v_dual_mov_b32 v32, v21 :: v_dual_mov_b32 v35, v20
	;; [unrolled: 1-line block ×3, first 2 shown]
	v_dual_mov_b32 v36, v17 :: v_dual_add_nc_u32 v51, v2, v3
	s_mov_b64 s[78:79], 0
	s_mov_b64 s[80:81], 0
.LBB95_78:                              ;   Parent Loop BB95_36 Depth=1
                                        ; =>  This Inner Loop Header: Depth=2
	v_add_co_u32 v2, vcc_lo, v30, s48
	s_wait_alu 0xfffd
	v_add_co_ci_u32_e64 v3, null, s49, v31, vcc_lo
	v_add_co_u32 v4, vcc_lo, v32, s48
	s_wait_alu 0xfffd
	v_add_co_ci_u32_e64 v5, null, s49, v33, vcc_lo
	;; [unrolled: 3-line block ×4, first 2 shown]
	global_load_b32 v2, v[2:3], off
	global_load_b32 v3, v[4:5], off
	;; [unrolled: 1-line block ×4, first 2 shown]
	v_add_co_u32 v38, vcc_lo, v38, s70
	s_wait_alu 0xfffd
	v_add_co_ci_u32_e64 v39, null, 0, v39, vcc_lo
	v_add_co_u32 v36, vcc_lo, v36, v50
	s_wait_alu 0xfffd
	v_add_co_ci_u32_e64 v37, null, v37, v51, vcc_lo
	;; [unrolled: 3-line block ×5, first 2 shown]
	v_cmp_le_u64_e32 vcc_lo, s[72:73], v[38:39]
	s_wait_loadcnt 0x3
	v_xor_b32_e32 v2, 0x80000000, v2
	s_wait_loadcnt 0x2
	v_xor_b32_e32 v3, 0x80000000, v3
	;; [unrolled: 2-line block ×4, first 2 shown]
	v_and_b32_e32 v6, v2, v49
	v_bfe_u32 v2, v2, s89, 2
	v_and_b32_e32 v7, v3, v49
	v_bfe_u32 v3, v3, s89, 2
	;; [unrolled: 2-line block ×3, first 2 shown]
	v_cmp_eq_u32_e64 s4, v6, v46
	v_cmp_eq_u32_e64 s8, 0, v2
	v_and_b32_e32 v9, v5, v49
	v_bfe_u32 v5, v5, s89, 2
	v_cmp_eq_u32_e64 s5, v7, v46
	v_cmp_eq_u32_e64 s9, 0, v3
	;; [unrolled: 1-line block ×4, first 2 shown]
	s_and_b32 s8, s4, s8
	v_cmp_eq_u32_e64 s7, v9, v46
	v_cmp_eq_u32_e64 s11, 0, v5
	;; [unrolled: 1-line block ×5, first 2 shown]
	s_wait_alu 0xfffe
	v_cndmask_b32_e64 v2, 0, 1, s8
	s_and_b32 s8, s5, s9
	v_cmp_eq_u32_e64 s13, 1, v3
	v_cmp_eq_u32_e64 s17, 2, v3
	v_cmp_eq_u32_e64 s21, 3, v3
	s_wait_alu 0xfffe
	v_cndmask_b32_e64 v3, 0, 1, s8
	s_and_b32 s8, s6, s10
	v_cmp_eq_u32_e64 s14, 1, v4
	v_cmp_eq_u32_e64 s18, 2, v4
	v_cmp_eq_u32_e64 s22, 3, v4
	;; [unrolled: 6-line block ×3, first 2 shown]
	s_wait_alu 0xfffe
	v_cndmask_b32_e64 v5, 0, 1, s8
	s_and_b32 s8, s4, s12
	s_wait_alu 0xfffe
	v_cndmask_b32_e64 v6, 0, 1, s8
	s_and_b32 s8, s5, s13
	;; [unrolled: 3-line block ×4, first 2 shown]
	v_cmp_ne_u32_e64 s9, 0, v7
	s_wait_alu 0xfffe
	v_cndmask_b32_e64 v9, 0, 1, s8
	s_and_b32 s8, s4, s16
	s_and_b32 s4, s4, s20
	s_wait_alu 0xfffe
	v_cndmask_b32_e64 v52, 0, 1, s8
	v_cndmask_b32_e64 v56, 0, 1, s4
	s_and_b32 s4, s5, s21
	s_and_b32 s8, s5, s17
	s_wait_alu 0xfffe
	v_cndmask_b32_e64 v57, 0, 1, s4
	s_and_b32 s4, s6, s22
	v_cndmask_b32_e64 v53, 0, 1, s8
	s_and_b32 s8, s6, s18
	s_wait_alu 0xfffe
	v_cndmask_b32_e64 v58, 0, 1, s4
	s_and_b32 s4, s7, s23
	v_cndmask_b32_e64 v54, 0, 1, s8
	s_and_b32 s8, s7, s19
	s_wait_alu 0xfffe
	v_cndmask_b32_e64 v59, 0, 1, s4
	v_cmp_ne_u32_e64 s4, 0, v2
	v_cmp_ne_u32_e64 s5, 0, v3
	v_cndmask_b32_e64 v55, 0, 1, s8
	v_cmp_ne_u32_e64 s6, 0, v4
	v_cmp_ne_u32_e64 s8, 0, v6
	v_cmp_ne_u32_e64 s7, 0, v5
	v_cmp_ne_u32_e64 s10, 0, v8
	v_cmp_ne_u32_e64 s12, 0, v52
	v_cmp_ne_u32_e64 s13, 0, v53
	s_bcnt1_i32_b32 s4, s4
	s_bcnt1_i32_b32 s5, s5
	v_cmp_ne_u32_e64 s11, 0, v9
	v_cmp_ne_u32_e64 s14, 0, v54
	;; [unrolled: 1-line block ×4, first 2 shown]
	s_bcnt1_i32_b32 s6, s6
	s_bcnt1_i32_b32 s8, s8
	;; [unrolled: 1-line block ×3, first 2 shown]
	s_wait_alu 0xfffe
	s_add_co_i32 s4, s5, s4
	v_cmp_ne_u32_e64 s15, 0, v55
	v_cmp_ne_u32_e64 s18, 0, v58
	s_bcnt1_i32_b32 s7, s7
	s_bcnt1_i32_b32 s10, s10
	;; [unrolled: 1-line block ×4, first 2 shown]
	s_add_co_i32 s5, s9, s8
	s_wait_alu 0xfffe
	s_add_co_i32 s4, s4, s6
	v_cmp_ne_u32_e64 s19, 0, v59
	s_bcnt1_i32_b32 s11, s11
	s_bcnt1_i32_b32 s14, s14
	;; [unrolled: 1-line block ×4, first 2 shown]
	s_add_co_i32 s8, s13, s12
	s_add_co_i32 s5, s5, s10
	s_wait_alu 0xfffe
	s_add_co_i32 s54, s4, s7
	s_bcnt1_i32_b32 s15, s15
	s_bcnt1_i32_b32 s18, s18
	s_add_co_i32 s9, s17, s16
	s_add_co_i32 s6, s8, s14
	s_wait_alu 0xfffe
	s_add_nc_u64 s[80:81], s[80:81], s[54:55]
	s_add_co_i32 s54, s5, s11
	s_bcnt1_i32_b32 s19, s19
	s_add_co_i32 s8, s9, s18
	s_wait_alu 0xfffe
	s_add_nc_u64 s[78:79], s[78:79], s[54:55]
	s_add_co_i32 s54, s6, s15
	v_mov_b32_e32 v2, s80
	s_wait_alu 0xfffe
	s_add_nc_u64 s[76:77], s[76:77], s[54:55]
	s_add_co_i32 s54, s8, s19
	v_mov_b32_e32 v4, s78
	s_wait_alu 0xfffe
	s_add_nc_u64 s[74:75], s[74:75], s[54:55]
	v_mov_b32_e32 v3, s81
	v_dual_mov_b32 v5, s79 :: v_dual_mov_b32 v6, s76
	s_wait_alu 0xfffe
	v_dual_mov_b32 v7, s77 :: v_dual_mov_b32 v8, s74
	v_mov_b32_e32 v9, s75
	s_or_b32 s71, vcc_lo, s71
	s_wait_alu 0xfffe
	s_and_not1_b32 exec_lo, exec_lo, s71
	s_cbranch_execnz .LBB95_78
; %bb.79:                               ;   in Loop: Header=BB95_36 Depth=1
	s_or_b32 exec_lo, exec_lo, s71
.LBB95_80:                              ;   in Loop: Header=BB95_36 Depth=1
	s_delay_alu instid0(SALU_CYCLE_1)
	s_or_b32 exec_lo, exec_lo, s69
	v_add_co_u32 v30, s4, s72, v0
	s_wait_alu 0xf1ff
	v_add_co_ci_u32_e64 v31, null, s73, 0, s4
	s_mov_b32 s7, exec_lo
	v_cmpx_gt_u64_e64 s[24:25], v[30:31]
	s_cbranch_execz .LBB95_86
; %bb.81:                               ;   in Loop: Header=BB95_36 Depth=1
	v_mul_lo_u32 v34, v31, s28
	v_mul_lo_u32 v35, v30, s29
	v_mad_co_u64_u32 v[32:33], null, v30, s28, 0
	s_mov_b32 s8, 0
	v_add3_u32 v33, v33, v35, v34
	s_delay_alu instid0(VALU_DEP_1) | instskip(NEXT) | instid1(VALU_DEP_1)
	v_lshlrev_b64_e32 v[32:33], 2, v[32:33]
	v_add_co_u32 v32, vcc_lo, s50, v32
	s_wait_alu 0xfffd
	s_delay_alu instid0(VALU_DEP_2)
	v_add_co_ci_u32_e64 v33, null, s51, v33, vcc_lo
	global_load_b32 v33, v[32:33], off
	s_branch .LBB95_83
.LBB95_82:                              ;   in Loop: Header=BB95_83 Depth=2
	s_wait_alu 0xfffe
	s_or_b32 exec_lo, exec_lo, s5
	s_wait_loadcnt 0x0
	v_xor_b32_e32 v33, 0x80000000, v33
	s_and_b32 s6, exec_lo, vcc_lo
	s_wait_alu 0xfffe
	s_or_b32 s8, s6, s8
	s_delay_alu instid0(VALU_DEP_1) | instskip(SKIP_1) | instid1(VALU_DEP_2)
	v_and_b32_e32 v34, v33, v49
	v_bfe_u32 v33, v33, s89, 2
	v_cmp_eq_u32_e64 s4, v34, v46
	s_delay_alu instid0(VALU_DEP_2)
	v_cmp_eq_u32_e64 s5, 0, v33
	v_cmp_eq_u32_e32 vcc_lo, 1, v33
	v_cmp_eq_u32_e64 s6, 2, v33
	s_and_b32 s5, s4, s5
	s_wait_alu 0xfffe
	v_cndmask_b32_e64 v34, 0, 1, s5
	s_and_b32 s5, s4, vcc_lo
	v_cmp_eq_u32_e32 vcc_lo, 3, v33
	s_wait_alu 0xfffe
	v_cndmask_b32_e64 v35, 0, 1, s5
	s_and_b32 s5, s4, s6
	s_wait_alu 0xfffe
	v_cndmask_b32_e64 v33, 0, 1, s5
	v_cmp_ne_u32_e64 s5, 0, v34
	v_cmp_ne_u32_e64 s6, 0, v35
	s_and_b32 s4, s4, vcc_lo
	s_wait_alu 0xfffe
	v_cndmask_b32_e64 v34, 0, 1, s4
	s_bcnt1_i32_b32 s4, s5
	v_cmp_ne_u32_e32 vcc_lo, 0, v33
	s_bcnt1_i32_b32 s5, s6
	s_wait_alu 0xfffe
	v_add_co_u32 v2, s4, v2, s4
	s_wait_alu 0xf1ff
	v_add_co_ci_u32_e64 v3, null, 0, v3, s4
	v_add_co_u32 v4, s4, v4, s5
	s_wait_alu 0xf1ff
	v_add_co_ci_u32_e64 v5, null, 0, v5, s4
	s_bcnt1_i32_b32 s4, vcc_lo
	v_cmp_ne_u32_e32 vcc_lo, 0, v34
	s_wait_alu 0xfffe
	v_add_co_u32 v6, s4, v6, s4
	s_wait_alu 0xf1ff
	v_add_co_ci_u32_e64 v7, null, 0, v7, s4
	s_bcnt1_i32_b32 s4, vcc_lo
	v_mov_b32_e32 v33, v32
	s_wait_alu 0xfffe
	v_add_co_u32 v8, vcc_lo, v8, s4
	s_wait_alu 0xfffd
	v_add_co_ci_u32_e64 v9, null, 0, v9, vcc_lo
	s_and_not1_b32 exec_lo, exec_lo, s8
	s_cbranch_execz .LBB95_85
.LBB95_83:                              ;   Parent Loop BB95_36 Depth=1
                                        ; =>  This Inner Loop Header: Depth=2
	v_add_co_u32 v30, vcc_lo, v30, v26
	s_wait_alu 0xfffd
	v_add_co_ci_u32_e64 v31, null, 0, v31, vcc_lo
	v_mov_b32_e32 v32, 0
	s_mov_b32 s5, exec_lo
	s_delay_alu instid0(VALU_DEP_2)
	v_cmp_le_u64_e32 vcc_lo, s[24:25], v[30:31]
	v_cmpx_gt_u64_e64 s[24:25], v[30:31]
	s_cbranch_execz .LBB95_82
; %bb.84:                               ;   in Loop: Header=BB95_83 Depth=2
	v_mul_lo_u32 v32, v31, s28
	v_mul_lo_u32 v36, v30, s29
	v_mad_co_u64_u32 v[34:35], null, v30, s28, 0
	s_delay_alu instid0(VALU_DEP_1) | instskip(NEXT) | instid1(VALU_DEP_1)
	v_add3_u32 v35, v35, v36, v32
	v_lshlrev_b64_e32 v[34:35], 2, v[34:35]
	s_delay_alu instid0(VALU_DEP_1) | instskip(SKIP_1) | instid1(VALU_DEP_2)
	v_add_co_u32 v34, s4, s50, v34
	s_wait_alu 0xf1ff
	v_add_co_ci_u32_e64 v35, null, s51, v35, s4
	global_load_b32 v32, v[34:35], off
	s_branch .LBB95_82
.LBB95_85:                              ;   in Loop: Header=BB95_36 Depth=1
	s_or_b32 exec_lo, exec_lo, s8
.LBB95_86:                              ;   in Loop: Header=BB95_36 Depth=1
	s_wait_alu 0xfffe
	s_or_b32 exec_lo, exec_lo, s7
	s_branch .LBB95_65
.LBB95_87:                              ;   in Loop: Header=BB95_36 Depth=1
	global_load_u16 v2, v10, s[66:67]
	v_mov_b32_e32 v4, 0
	v_mov_b32_e32 v6, 0
	v_dual_mov_b32 v8, 0 :: v_dual_mov_b32 v7, 0
	v_mov_b32_e32 v9, 0
	s_mov_b32 s80, exec_lo
	v_mov_b32_e32 v5, 0
	s_wait_loadcnt 0x0
	v_readfirstlane_b32 s4, v2
	v_and_b32_e32 v26, 0xffff, v2
	s_and_b32 s78, 0xffff, s4
	s_wait_alu 0xfffe
	s_lshl_b32 s69, s78, 2
	s_wait_alu 0xfffe
	s_cvt_f32_u32 s4, s69
	s_sub_co_i32 s5, 0, s69
	s_wait_alu 0xfffe
	s_delay_alu instid0(SALU_CYCLE_1) | instskip(NEXT) | instid1(TRANS32_DEP_1)
	v_rcp_iflag_f32_e32 v3, s4
	v_readfirstlane_b32 s4, v3
	s_mul_f32 s4, s4, 0x4f7ffffe
	s_wait_alu 0xfffe
	s_delay_alu instid0(SALU_CYCLE_2) | instskip(SKIP_1) | instid1(SALU_CYCLE_2)
	s_cvt_u32_f32 s4, s4
	s_wait_alu 0xfffe
	s_mul_i32 s5, s5, s4
	s_wait_alu 0xfffe
	s_mul_hi_u32 s5, s4, s5
	s_wait_alu 0xfffe
	s_add_co_i32 s4, s4, s5
	s_wait_alu 0xfffe
	s_mul_hi_u32 s4, s68, s4
	s_wait_alu 0xfffe
	s_mul_i32 s5, s4, s69
	s_add_co_i32 s6, s4, 1
	s_wait_alu 0xfffe
	s_sub_co_i32 s5, s68, s5
	s_wait_alu 0xfffe
	s_sub_co_i32 s7, s5, s69
	s_cmp_ge_u32 s5, s69
	s_cselect_b32 s4, s6, s4
	s_wait_alu 0xfffe
	s_cselect_b32 s5, s7, s5
	s_add_co_i32 s6, s4, 1
	s_wait_alu 0xfffe
	s_cmp_ge_u32 s5, s69
	s_cselect_b32 s79, s6, s4
	s_wait_alu 0xfffe
	v_mul_hi_u32 v3, s79, v26
	v_mul_lo_u32 v2, s79, v26
	s_delay_alu instid0(VALU_DEP_1) | instskip(SKIP_2) | instid1(VALU_DEP_3)
	v_lshlrev_b64_e32 v[30:31], 2, v[2:3]
	v_mov_b32_e32 v2, 0
	v_mov_b32_e32 v3, 0
	v_cmpx_gt_u64_e64 v[30:31], v[13:14]
	s_cbranch_execz .LBB95_91
; %bb.88:                               ;   in Loop: Header=BB95_36 Depth=1
	v_dual_mov_b32 v34, v43 :: v_dual_mov_b32 v33, v14
	v_mov_b32_e32 v32, v13
	s_lshl_b32 s81, s78, 4
	s_mov_b64 s[70:71], 0
	s_mov_b32 s99, 0
	s_mov_b64 s[72:73], 0
	s_mov_b64 s[74:75], 0
	;; [unrolled: 1-line block ×3, first 2 shown]
.LBB95_89:                              ;   Parent Loop BB95_36 Depth=1
                                        ; =>  This Inner Loop Header: Depth=2
	ds_load_b128 v[2:5], v34
	v_add_co_u32 v32, vcc_lo, v32, s69
	s_wait_alu 0xfffd
	v_add_co_ci_u32_e64 v33, null, 0, v33, vcc_lo
	s_delay_alu instid0(VALU_DEP_1)
	v_cmp_ge_u64_e32 vcc_lo, v[32:33], v[30:31]
	s_wait_dscnt 0x0
	v_xor_b32_e32 v2, 0x80000000, v2
	v_xor_b32_e32 v3, 0x80000000, v3
	;; [unrolled: 1-line block ×4, first 2 shown]
	s_delay_alu instid0(VALU_DEP_4)
	v_and_b32_e32 v6, v2, v49
	v_bfe_u32 v2, v2, s89, 2
	v_and_b32_e32 v7, v3, v49
	v_bfe_u32 v3, v3, s89, 2
	;; [unrolled: 2-line block ×3, first 2 shown]
	v_cmp_eq_u32_e64 s4, v6, v46
	v_cmp_eq_u32_e64 s8, 0, v2
	v_and_b32_e32 v9, v5, v49
	v_bfe_u32 v5, v5, s89, 2
	v_cmp_eq_u32_e64 s5, v7, v46
	v_cmp_eq_u32_e64 s9, 0, v3
	;; [unrolled: 1-line block ×4, first 2 shown]
	s_and_b32 s8, s4, s8
	v_cmp_eq_u32_e64 s7, v9, v46
	v_cmp_eq_u32_e64 s11, 0, v5
	v_cmp_eq_u32_e64 s12, 1, v2
	v_cmp_eq_u32_e64 s16, 2, v2
	v_cmp_eq_u32_e64 s20, 3, v2
	s_wait_alu 0xfffe
	v_cndmask_b32_e64 v2, 0, 1, s8
	s_and_b32 s8, s5, s9
	v_cmp_eq_u32_e64 s13, 1, v3
	v_cmp_eq_u32_e64 s17, 2, v3
	v_cmp_eq_u32_e64 s21, 3, v3
	s_wait_alu 0xfffe
	v_cndmask_b32_e64 v3, 0, 1, s8
	s_and_b32 s8, s6, s10
	v_cmp_eq_u32_e64 s14, 1, v4
	v_cmp_eq_u32_e64 s18, 2, v4
	v_cmp_eq_u32_e64 s22, 3, v4
	;; [unrolled: 6-line block ×3, first 2 shown]
	s_wait_alu 0xfffe
	v_cndmask_b32_e64 v5, 0, 1, s8
	s_and_b32 s8, s4, s12
	s_wait_alu 0xfffe
	v_cndmask_b32_e64 v6, 0, 1, s8
	s_and_b32 s8, s5, s13
	;; [unrolled: 3-line block ×4, first 2 shown]
	v_cmp_ne_u32_e64 s9, 0, v7
	s_wait_alu 0xfffe
	v_cndmask_b32_e64 v9, 0, 1, s8
	s_and_b32 s8, s4, s16
	s_and_b32 s4, s4, s20
	s_wait_alu 0xfffe
	v_cndmask_b32_e64 v35, 0, 1, s8
	v_cndmask_b32_e64 v39, 0, 1, s4
	s_and_b32 s4, s5, s21
	s_and_b32 s8, s5, s17
	s_wait_alu 0xfffe
	v_cndmask_b32_e64 v50, 0, 1, s4
	s_and_b32 s4, s6, s22
	v_cndmask_b32_e64 v36, 0, 1, s8
	s_and_b32 s8, s6, s18
	s_wait_alu 0xfffe
	v_cndmask_b32_e64 v51, 0, 1, s4
	s_and_b32 s4, s7, s23
	v_cndmask_b32_e64 v37, 0, 1, s8
	s_and_b32 s8, s7, s19
	s_wait_alu 0xfffe
	v_cndmask_b32_e64 v52, 0, 1, s4
	v_cmp_ne_u32_e64 s4, 0, v2
	v_cmp_ne_u32_e64 s5, 0, v3
	v_cndmask_b32_e64 v38, 0, 1, s8
	v_cmp_ne_u32_e64 s6, 0, v4
	v_cmp_ne_u32_e64 s8, 0, v6
	;; [unrolled: 1-line block ×6, first 2 shown]
	s_bcnt1_i32_b32 s4, s4
	s_bcnt1_i32_b32 s5, s5
	v_cmp_ne_u32_e64 s11, 0, v9
	v_cmp_ne_u32_e64 s14, 0, v37
	;; [unrolled: 1-line block ×4, first 2 shown]
	s_bcnt1_i32_b32 s6, s6
	s_bcnt1_i32_b32 s8, s8
	;; [unrolled: 1-line block ×3, first 2 shown]
	s_wait_alu 0xfffe
	s_add_co_i32 s4, s5, s4
	v_cmp_ne_u32_e64 s15, 0, v38
	v_cmp_ne_u32_e64 s18, 0, v51
	s_bcnt1_i32_b32 s7, s7
	s_bcnt1_i32_b32 s10, s10
	s_bcnt1_i32_b32 s12, s12
	s_bcnt1_i32_b32 s13, s13
	s_add_co_i32 s5, s9, s8
	s_wait_alu 0xfffe
	s_add_co_i32 s4, s4, s6
	v_cmp_ne_u32_e64 s19, 0, v52
	s_bcnt1_i32_b32 s11, s11
	s_bcnt1_i32_b32 s14, s14
	;; [unrolled: 1-line block ×4, first 2 shown]
	s_add_co_i32 s8, s13, s12
	s_add_co_i32 s5, s5, s10
	s_wait_alu 0xfffe
	s_add_co_i32 s54, s4, s7
	s_bcnt1_i32_b32 s15, s15
	s_bcnt1_i32_b32 s18, s18
	s_add_co_i32 s9, s17, s16
	s_add_co_i32 s6, s8, s14
	s_wait_alu 0xfffe
	s_add_nc_u64 s[76:77], s[76:77], s[54:55]
	s_add_co_i32 s54, s5, s11
	s_bcnt1_i32_b32 s19, s19
	s_add_co_i32 s8, s9, s18
	s_wait_alu 0xfffe
	s_add_nc_u64 s[74:75], s[74:75], s[54:55]
	s_add_co_i32 s54, s6, s15
	v_mov_b32_e32 v2, s76
	s_wait_alu 0xfffe
	s_add_nc_u64 s[72:73], s[72:73], s[54:55]
	s_add_co_i32 s54, s8, s19
	v_mov_b32_e32 v4, s74
	s_wait_alu 0xfffe
	s_add_nc_u64 s[70:71], s[70:71], s[54:55]
	v_mov_b32_e32 v6, s72
	s_wait_alu 0xfffe
	v_mov_b32_e32 v8, s70
	v_dual_mov_b32 v3, s77 :: v_dual_add_nc_u32 v34, s81, v34
	v_mov_b32_e32 v5, s75
	v_mov_b32_e32 v7, s73
	;; [unrolled: 1-line block ×3, first 2 shown]
	s_or_b32 s99, vcc_lo, s99
	s_delay_alu instid0(SALU_CYCLE_1)
	s_and_not1_b32 exec_lo, exec_lo, s99
	s_cbranch_execnz .LBB95_89
; %bb.90:                               ;   in Loop: Header=BB95_36 Depth=1
	s_or_b32 exec_lo, exec_lo, s99
.LBB95_91:                              ;   in Loop: Header=BB95_36 Depth=1
	s_delay_alu instid0(SALU_CYCLE_1)
	s_or_b32 exec_lo, exec_lo, s80
	v_add_co_u32 v30, vcc_lo, v30, v0
	s_wait_alu 0xfffd
	v_add_co_ci_u32_e64 v31, null, 0, v31, vcc_lo
	s_and_b32 s54, s68, 0x7fffffff
	s_mov_b32 s9, exec_lo
	s_wait_alu 0xfffe
	v_cmpx_gt_u64_e64 s[54:55], v[30:31]
	s_cbranch_execz .LBB95_95
; %bb.92:                               ;   in Loop: Header=BB95_36 Depth=1
	s_mul_i32 s79, s79, s78
	s_mov_b32 s10, 0
	s_wait_alu 0xfffe
	v_lshl_add_u32 v32, s79, 4, v13
.LBB95_93:                              ;   Parent Loop BB95_36 Depth=1
                                        ; =>  This Inner Loop Header: Depth=2
	ds_load_b32 v33, v32
	v_add_co_u32 v30, vcc_lo, v30, v26
	s_wait_alu 0xfffd
	v_add_co_ci_u32_e64 v31, null, 0, v31, vcc_lo
	v_add_nc_u32_e32 v32, s69, v32
	s_delay_alu instid0(VALU_DEP_2) | instskip(SKIP_2) | instid1(VALU_DEP_1)
	v_cmp_le_u64_e32 vcc_lo, s[54:55], v[30:31]
	s_wait_dscnt 0x0
	v_xor_b32_e32 v33, 0x80000000, v33
	v_and_b32_e32 v34, v33, v49
	v_bfe_u32 v33, v33, s89, 2
	s_delay_alu instid0(VALU_DEP_2) | instskip(NEXT) | instid1(VALU_DEP_2)
	v_cmp_eq_u32_e64 s4, v34, v46
	v_cmp_eq_u32_e64 s5, 0, v33
	;; [unrolled: 1-line block ×5, first 2 shown]
	s_and_b32 s5, s4, s5
	s_wait_alu 0xfffe
	v_cndmask_b32_e64 v33, 0, 1, s5
	s_and_b32 s5, s4, s6
	s_wait_alu 0xfffe
	v_cndmask_b32_e64 v34, 0, 1, s5
	s_and_b32 s5, s4, s7
	s_and_b32 s4, s4, s8
	s_wait_alu 0xfffe
	v_cndmask_b32_e64 v35, 0, 1, s5
	v_cndmask_b32_e64 v36, 0, 1, s4
	v_cmp_ne_u32_e64 s4, 0, v33
	v_cmp_ne_u32_e64 s5, 0, v34
	s_delay_alu instid0(VALU_DEP_4) | instskip(NEXT) | instid1(VALU_DEP_4)
	v_cmp_ne_u32_e64 s6, 0, v35
	v_cmp_ne_u32_e64 s7, 0, v36
	s_bcnt1_i32_b32 s4, s4
	s_bcnt1_i32_b32 s5, s5
	s_wait_alu 0xfffe
	v_add_co_u32 v2, s4, v2, s4
	s_bcnt1_i32_b32 s6, s6
	v_add_co_ci_u32_e64 v3, null, 0, v3, s4
	v_add_co_u32 v4, s4, v4, s5
	s_bcnt1_i32_b32 s7, s7
	v_add_co_ci_u32_e64 v5, null, 0, v5, s4
	s_wait_alu 0xfffe
	v_add_co_u32 v6, s4, v6, s6
	s_wait_alu 0xf1ff
	v_add_co_ci_u32_e64 v7, null, 0, v7, s4
	v_add_co_u32 v8, s4, v8, s7
	s_wait_alu 0xf1ff
	v_add_co_ci_u32_e64 v9, null, 0, v9, s4
	s_or_b32 s10, vcc_lo, s10
	s_wait_alu 0xfffe
	s_and_not1_b32 exec_lo, exec_lo, s10
	s_cbranch_execnz .LBB95_93
; %bb.94:                               ;   in Loop: Header=BB95_36 Depth=1
	s_or_b32 exec_lo, exec_lo, s10
.LBB95_95:                              ;   in Loop: Header=BB95_36 Depth=1
	s_wait_alu 0xfffe
	s_or_b32 exec_lo, exec_lo, s9
	s_lshl_b32 s4, s92, 7
	s_and_saveexec_b32 s5, s1
	s_cbranch_execnz .LBB95_66
	s_branch .LBB95_67
.LBB95_96:                              ;   in Loop: Header=BB95_36 Depth=1
                                        ; implicit-def: $sgpr4_sgpr5
	s_branch .LBB95_75
.LBB95_97:                              ;   in Loop: Header=BB95_36 Depth=1
	s_mov_b32 s6, 0
	s_and_not1_b32 vcc_lo, exec_lo, s87
	s_wait_alu 0xfffe
	s_cbranch_vccnz .LBB95_100
.LBB95_98:                              ;   in Loop: Header=BB95_36 Depth=1
	s_lshl_b32 s7, s92, 10
	s_lshl_b32 s6, s6, 5
	s_wait_alu 0xfffe
	v_add3_u32 v4, s7, s6, v45
	s_mov_b32 s6, s84
.LBB95_99:                              ;   Parent Loop BB95_36 Depth=1
                                        ; =>  This Inner Loop Header: Depth=2
	ds_load_b64 v[5:6], v4
	v_add_nc_u32_e32 v4, 32, v4
	s_wait_alu 0xfffe
	s_add_co_i32 s6, s6, -1
	s_wait_alu 0xfffe
	s_cmp_lg_u32 s6, 0
	s_wait_dscnt 0x0
	v_add_co_u32 v2, vcc_lo, v5, v2
	s_wait_alu 0xfffd
	v_add_co_ci_u32_e64 v3, null, v6, v3, vcc_lo
	s_cbranch_scc1 .LBB95_99
.LBB95_100:                             ;   in Loop: Header=BB95_36 Depth=1
	v_add_lshl_u32 v4, s4, v40, 3
	ds_store_b64 v4, v[2:3] offset:3072
.LBB95_101:                             ;   in Loop: Header=BB95_36 Depth=1
	s_wait_alu 0xfffe
	s_or_b32 exec_lo, exec_lo, s5
	s_lshl_b32 s4, s4, 3
	s_wait_loadcnt_dscnt 0x0
	s_wait_alu 0xfffe
	v_mov_b32_e32 v6, s4
	s_barrier_signal -1
	s_barrier_wait -1
	global_inv scope:SCOPE_SE
	v_cmp_eq_u64_e32 vcc_lo, 1, v[28:29]
	ds_load_b128 v[2:5], v6 offset:3072
	ds_load_b128 v[6:9], v6 offset:3088
	s_lshl_b32 s14, 3, s89
	s_mov_b32 s16, -1
	s_wait_alu 0xfffe
	s_not_b32 s18, s14
                                        ; implicit-def: $sgpr20
                                        ; implicit-def: $sgpr19
	s_wait_dscnt 0x1
	v_cmp_eq_u64_e64 s4, 1, v[2:3]
	s_wait_dscnt 0x0
	v_readfirstlane_b32 s8, v6
	v_readfirstlane_b32 s9, v7
	;; [unrolled: 1-line block ×4, first 2 shown]
	s_and_b32 s17, s4, vcc_lo
	s_mov_b32 s4, -1
	s_wait_alu 0xfffe
	s_and_saveexec_b32 s15, s17
	s_cbranch_execz .LBB95_133
; %bb.102:                              ;   in Loop: Header=BB95_36 Depth=1
	ds_load_b64 v[6:7], v10 offset:5120
	s_wait_loadcnt_dscnt 0x0
	s_barrier_signal -1
	s_barrier_wait -1
	global_inv scope:SCOPE_SE
	v_readfirstlane_b32 s4, v6
	v_readfirstlane_b32 s5, v7
	s_and_saveexec_b32 s10, s3
; %bb.103:                              ;   in Loop: Header=BB95_36 Depth=1
	ds_store_b32 v41, v10
; %bb.104:                              ;   in Loop: Header=BB95_36 Depth=1
	s_wait_alu 0xfffe
	s_or_b32 exec_lo, exec_lo, s10
	v_and_b32_e32 v46, s18, v46
	v_or_b32_e32 v49, s14, v49
	s_mov_b32 s19, -1
	s_mov_b32 s20, 0
	s_cmp_eq_u64 s[4:5], 0
	s_mov_b32 s12, 0
	s_mov_b32 s13, -1
	s_wait_loadcnt_dscnt 0x0
	s_barrier_signal -1
	s_barrier_wait -1
	global_inv scope:SCOPE_SE
                                        ; implicit-def: $vgpr27
	s_cbranch_scc1 .LBB95_118
; %bb.105:                              ;   in Loop: Header=BB95_36 Depth=1
	s_add_nc_u64 s[10:11], s[4:5], s[56:57]
	s_mov_b32 s12, s55
	s_wait_alu 0xfffe
	s_mov_b32 s13, s11
	s_wait_alu 0xfffe
	s_cmp_lg_u64 s[12:13], 0
	s_cbranch_scc0 .LBB95_159
; %bb.106:                              ;   in Loop: Header=BB95_36 Depth=1
	s_cvt_f32_u32 s12, s44
	s_sub_nc_u64 s[22:23], 0, s[44:45]
	s_wait_alu 0xfffe
	s_delay_alu instid0(SALU_CYCLE_1) | instskip(SKIP_1) | instid1(SALU_CYCLE_2)
	s_fmamk_f32 s12, s91, 0x0, s12
	s_wait_alu 0xfffe
	v_s_rcp_f32 s12, s12
	s_delay_alu instid0(TRANS32_DEP_1) | instskip(SKIP_1) | instid1(SALU_CYCLE_2)
	s_mul_f32 s12, s12, 0x5f7ffffc
	s_wait_alu 0xfffe
	s_mul_f32 s13, s12, 0x2f800000
	s_wait_alu 0xfffe
	s_delay_alu instid0(SALU_CYCLE_2) | instskip(SKIP_1) | instid1(SALU_CYCLE_2)
	s_trunc_f32 s13, s13
	s_wait_alu 0xfffe
	s_fmamk_f32 s12, s13, 0xcf800000, s12
	s_cvt_u32_f32 s13, s13
	s_wait_alu 0xfffe
	s_delay_alu instid0(SALU_CYCLE_1) | instskip(SKIP_1) | instid1(SALU_CYCLE_2)
	s_cvt_u32_f32 s12, s12
	s_wait_alu 0xfffe
	s_mul_u64 s[68:69], s[22:23], s[12:13]
	s_wait_alu 0xfffe
	s_mul_hi_u32 s71, s12, s69
	s_mul_i32 s70, s12, s69
	s_mul_hi_u32 s54, s12, s68
	s_mul_i32 s72, s13, s68
	s_wait_alu 0xfffe
	s_add_nc_u64 s[70:71], s[54:55], s[70:71]
	s_mul_hi_u32 s21, s13, s68
	s_mul_hi_u32 s73, s13, s69
	s_wait_alu 0xfffe
	s_add_co_u32 s54, s70, s72
	s_add_co_ci_u32 s54, s71, s21
	s_mul_i32 s68, s13, s69
	s_add_co_ci_u32 s69, s73, 0
	s_wait_alu 0xfffe
	s_add_nc_u64 s[68:69], s[54:55], s[68:69]
	s_wait_alu 0xfffe
	s_add_co_u32 s12, s12, s68
	s_cselect_b32 s21, -1, 0
	s_delay_alu instid0(SALU_CYCLE_1) | instskip(SKIP_3) | instid1(SALU_CYCLE_1)
	s_cmp_lg_u32 s21, 0
	s_add_co_ci_u32 s13, s13, s69
	s_wait_alu 0xfffe
	s_mul_u64 s[22:23], s[22:23], s[12:13]
	s_mul_hi_u32 s69, s12, s23
	s_mul_i32 s68, s12, s23
	s_mul_hi_u32 s54, s12, s22
	s_mul_i32 s70, s13, s22
	s_wait_alu 0xfffe
	s_add_nc_u64 s[68:69], s[54:55], s[68:69]
	s_mul_hi_u32 s21, s13, s22
	s_mul_hi_u32 s71, s13, s23
	s_mul_i32 s22, s13, s23
	s_wait_alu 0xfffe
	s_add_co_u32 s23, s68, s70
	s_add_co_ci_u32 s54, s69, s21
	s_add_co_ci_u32 s23, s71, 0
	s_wait_alu 0xfffe
	s_add_nc_u64 s[22:23], s[54:55], s[22:23]
	s_delay_alu instid0(SALU_CYCLE_1)
	s_add_co_u32 s12, s12, s22
	s_cselect_b32 s21, -1, 0
	s_wait_alu 0xfffe
	s_mul_hi_u32 s54, s10, s12
	s_cmp_lg_u32 s21, 0
	s_mul_hi_u32 s21, s11, s12
	s_add_co_ci_u32 s22, s13, s23
	s_mul_i32 s23, s11, s12
	s_mul_hi_u32 s13, s10, s22
	s_mul_i32 s12, s10, s22
	s_mul_hi_u32 s68, s11, s22
	s_wait_alu 0xfffe
	s_add_nc_u64 s[12:13], s[54:55], s[12:13]
	s_mul_i32 s22, s11, s22
	s_wait_alu 0xfffe
	s_add_co_u32 s12, s12, s23
	s_add_co_ci_u32 s54, s13, s21
	s_add_co_ci_u32 s23, s68, 0
	s_wait_alu 0xfffe
	s_add_nc_u64 s[12:13], s[54:55], s[22:23]
	s_wait_alu 0xfffe
	s_mul_u64 s[12:13], s[44:45], s[12:13]
	s_wait_alu 0xfffe
	s_sub_co_u32 s12, s10, s12
	s_cselect_b32 s21, -1, 0
	s_delay_alu instid0(SALU_CYCLE_1) | instskip(SKIP_4) | instid1(SALU_CYCLE_1)
	s_cmp_lg_u32 s21, 0
	s_sub_co_ci_u32 s13, s11, s13
	s_wait_alu 0xfffe
	s_sub_co_u32 s21, s12, s44
	s_cselect_b32 s22, -1, 0
	s_cmp_lg_u32 s22, 0
	s_sub_co_ci_u32 s22, s13, 0
	s_sub_co_u32 s23, s21, s44
	s_cselect_b32 s54, -1, 0
	s_wait_alu 0xfffe
	s_cmp_lg_u32 s54, 0
	s_sub_co_ci_u32 s54, s22, 0
	s_cmp_ge_u32 s21, s44
	s_cselect_b32 s68, -1, 0
	s_cmp_eq_u32 s22, 0
	s_wait_alu 0xfffe
	s_cselect_b32 s68, s68, -1
	s_wait_alu 0xfffe
	s_cmp_lg_u32 s68, 0
	s_cselect_b32 s22, s54, s22
	s_cselect_b32 s21, s23, s21
	s_cmp_ge_u32 s12, s44
	s_cselect_b32 s23, -1, 0
	s_cmp_eq_u32 s13, 0
	s_cselect_b32 s23, s23, -1
	s_delay_alu instid0(SALU_CYCLE_1)
	s_cmp_lg_u32 s23, 0
	s_cselect_b32 s13, s22, s13
	s_cselect_b32 s12, s21, s12
	s_cbranch_execnz .LBB95_108
.LBB95_107:                             ;   in Loop: Header=BB95_36 Depth=1
	v_cvt_f32_u32_e32 v6, s44
	s_sub_co_i32 s13, 0, s44
	s_delay_alu instid0(VALU_DEP_1) | instskip(NEXT) | instid1(TRANS32_DEP_1)
	v_rcp_iflag_f32_e32 v6, v6
	v_mul_f32_e32 v6, 0x4f7ffffe, v6
	s_delay_alu instid0(VALU_DEP_1) | instskip(NEXT) | instid1(VALU_DEP_1)
	v_cvt_u32_f32_e32 v6, v6
	v_readfirstlane_b32 s12, v6
	s_wait_alu 0xfffe
	s_mul_i32 s13, s13, s12
	s_wait_alu 0xfffe
	s_mul_hi_u32 s13, s12, s13
	s_wait_alu 0xfffe
	s_add_co_i32 s12, s12, s13
	s_wait_alu 0xfffe
	s_mul_hi_u32 s12, s10, s12
	s_wait_alu 0xfffe
	s_mul_i32 s12, s12, s44
	s_wait_alu 0xfffe
	s_sub_co_i32 s12, s10, s12
	s_wait_alu 0xfffe
	s_sub_co_i32 s13, s12, s44
	s_cmp_ge_u32 s12, s44
	s_wait_alu 0xfffe
	s_cselect_b32 s12, s13, s12
	s_wait_alu 0xfffe
	s_sub_co_i32 s13, s12, s44
	s_cmp_ge_u32 s12, s44
	s_wait_alu 0xfffe
	s_cselect_b32 s54, s13, s12
	s_wait_alu 0xfffe
	s_mov_b64 s[12:13], s[54:55]
.LBB95_108:                             ;   in Loop: Header=BB95_36 Depth=1
	s_wait_alu 0xfffe
	s_sub_nc_u64 s[10:11], s[10:11], s[12:13]
	s_mov_b32 s13, 0
	s_mov_b32 s12, 0
	s_mov_b32 s21, exec_lo
                                        ; implicit-def: $vgpr27
	s_wait_alu 0xfffe
	v_cmpx_gt_u64_e64 s[10:11], v[0:1]
	s_cbranch_execz .LBB95_117
; %bb.109:                              ;   in Loop: Header=BB95_36 Depth=1
	v_dual_mov_b32 v8, v13 :: v_dual_mov_b32 v7, v1
	v_mov_b32_e32 v6, v0
                                        ; implicit-def: $sgpr22
	s_branch .LBB95_112
.LBB95_110:                             ;   in Loop: Header=BB95_112 Depth=2
	s_or_b32 exec_lo, exec_lo, s23
	s_wait_loadcnt_dscnt 0x0
	s_barrier_signal -1
	s_barrier_wait -1
	global_inv scope:SCOPE_SE
	ds_load_b64 v[26:27], v10 offset:3072
	s_mov_b32 s23, -1
	s_mov_b32 s54, -1
	s_wait_loadcnt_dscnt 0x0
	s_barrier_signal -1
	s_barrier_wait -1
	global_inv scope:SCOPE_SE
	v_cmp_ne_u32_e32 vcc_lo, 0, v26
	s_cbranch_vccz .LBB95_115
.LBB95_111:                             ;   in Loop: Header=BB95_112 Depth=2
	s_and_b32 s23, exec_lo, s23
	s_delay_alu instid0(SALU_CYCLE_1) | instskip(SKIP_3) | instid1(SALU_CYCLE_1)
	s_or_b32 s12, s23, s12
	s_and_not1_b32 s22, s22, exec_lo
	s_wait_alu 0xfffe
	s_and_b32 s23, s54, exec_lo
	s_or_b32 s22, s22, s23
	s_and_not1_b32 exec_lo, exec_lo, s12
	s_cbranch_execz .LBB95_116
.LBB95_112:                             ;   Parent Loop BB95_36 Depth=1
                                        ; =>  This Inner Loop Header: Depth=2
	s_mov_b32 s23, exec_lo
	s_delay_alu instid0(VALU_DEP_1)
	v_cmpx_gt_u64_e64 s[4:5], v[6:7]
	s_cbranch_execz .LBB95_110
; %bb.113:                              ;   in Loop: Header=BB95_112 Depth=2
	ds_load_b32 v26, v8
	s_wait_dscnt 0x0
	v_xor_b32_e32 v9, 0x80000000, v26
	s_delay_alu instid0(VALU_DEP_1) | instskip(NEXT) | instid1(VALU_DEP_1)
	v_and_b32_e32 v9, v9, v49
	v_cmp_eq_u32_e32 vcc_lo, v9, v46
	s_and_b32 exec_lo, exec_lo, vcc_lo
	s_cbranch_execz .LBB95_110
; %bb.114:                              ;   in Loop: Header=BB95_112 Depth=2
	ds_store_b64 v10, v[25:26] offset:3072
	s_branch .LBB95_110
.LBB95_115:                             ;   in Loop: Header=BB95_112 Depth=2
	v_add_co_u32 v6, vcc_lo, v6, s44
	s_wait_alu 0xfffd
	v_add_co_ci_u32_e64 v7, null, 0, v7, vcc_lo
	v_add_nc_u32_e32 v8, s88, v8
	s_mov_b32 s54, 0
	s_delay_alu instid0(VALU_DEP_2)
	v_cmp_le_u64_e32 vcc_lo, s[10:11], v[6:7]
	s_or_not1_b32 s23, vcc_lo, exec_lo
	s_branch .LBB95_111
.LBB95_116:                             ;   in Loop: Header=BB95_36 Depth=1
	s_or_b32 exec_lo, exec_lo, s12
	s_delay_alu instid0(SALU_CYCLE_1)
	s_and_b32 s12, s22, exec_lo
.LBB95_117:                             ;   in Loop: Header=BB95_36 Depth=1
	s_or_b32 exec_lo, exec_lo, s21
.LBB95_118:                             ;   in Loop: Header=BB95_36 Depth=1
	s_wait_alu 0xfffe
	s_and_b32 vcc_lo, exec_lo, s13
	s_wait_alu 0xfffe
	s_cbranch_vccz .LBB95_132
; %bb.119:                              ;   in Loop: Header=BB95_36 Depth=1
	s_mov_b32 s4, s55
	s_mov_b32 s5, s59
	s_wait_alu 0xfffe
	s_cmp_lg_u64 s[4:5], 0
	s_cbranch_scc0 .LBB95_163
; %bb.120:                              ;   in Loop: Header=BB95_36 Depth=1
	s_cvt_f32_u32 s4, s44
	s_sub_nc_u64 s[10:11], 0, s[44:45]
	s_wait_alu 0xfffe
	s_delay_alu instid0(SALU_CYCLE_1) | instskip(SKIP_1) | instid1(SALU_CYCLE_2)
	s_fmamk_f32 s4, s91, 0x0, s4
	s_wait_alu 0xfffe
	v_s_rcp_f32 s4, s4
	s_delay_alu instid0(TRANS32_DEP_1) | instskip(SKIP_1) | instid1(SALU_CYCLE_2)
	s_mul_f32 s4, s4, 0x5f7ffffc
	s_wait_alu 0xfffe
	s_mul_f32 s5, s4, 0x2f800000
	s_wait_alu 0xfffe
	s_delay_alu instid0(SALU_CYCLE_2) | instskip(SKIP_1) | instid1(SALU_CYCLE_2)
	s_trunc_f32 s5, s5
	s_wait_alu 0xfffe
	s_fmamk_f32 s4, s5, 0xcf800000, s4
	s_cvt_u32_f32 s5, s5
	s_wait_alu 0xfffe
	s_delay_alu instid0(SALU_CYCLE_1) | instskip(SKIP_1) | instid1(SALU_CYCLE_2)
	s_cvt_u32_f32 s4, s4
	s_wait_alu 0xfffe
	s_mul_u64 s[20:21], s[10:11], s[4:5]
	s_delay_alu instid0(SALU_CYCLE_1)
	s_mul_hi_u32 s23, s4, s21
	s_mul_i32 s22, s4, s21
	s_mul_hi_u32 s54, s4, s20
	s_mul_i32 s19, s5, s20
	s_wait_alu 0xfffe
	s_add_nc_u64 s[22:23], s[54:55], s[22:23]
	s_mul_hi_u32 s13, s5, s20
	s_mul_hi_u32 s68, s5, s21
	s_add_co_u32 s19, s22, s19
	s_wait_alu 0xfffe
	s_add_co_ci_u32 s54, s23, s13
	s_mul_i32 s20, s5, s21
	s_add_co_ci_u32 s21, s68, 0
	s_wait_alu 0xfffe
	s_add_nc_u64 s[20:21], s[54:55], s[20:21]
	s_delay_alu instid0(SALU_CYCLE_1)
	s_add_co_u32 s4, s4, s20
	s_cselect_b32 s13, -1, 0
	s_wait_alu 0xfffe
	s_cmp_lg_u32 s13, 0
	s_add_co_ci_u32 s5, s5, s21
	s_wait_alu 0xfffe
	s_mul_u64 s[10:11], s[10:11], s[4:5]
	s_wait_alu 0xfffe
	s_mul_hi_u32 s21, s4, s11
	s_mul_i32 s20, s4, s11
	s_mul_hi_u32 s54, s4, s10
	s_mul_i32 s19, s5, s10
	s_wait_alu 0xfffe
	s_add_nc_u64 s[20:21], s[54:55], s[20:21]
	s_mul_hi_u32 s13, s5, s10
	s_mul_hi_u32 s22, s5, s11
	s_mul_i32 s10, s5, s11
	s_add_co_u32 s11, s20, s19
	s_wait_alu 0xfffe
	s_add_co_ci_u32 s54, s21, s13
	s_add_co_ci_u32 s11, s22, 0
	s_wait_alu 0xfffe
	s_add_nc_u64 s[10:11], s[54:55], s[10:11]
	s_wait_alu 0xfffe
	s_add_co_u32 s4, s4, s10
	s_cselect_b32 s10, -1, 0
	s_wait_alu 0xfffe
	s_mul_hi_u32 s54, s58, s4
	s_cmp_lg_u32 s10, 0
	s_mul_hi_u32 s13, s59, s4
	s_add_co_ci_u32 s10, s5, s11
	s_mul_i32 s11, s59, s4
	s_wait_alu 0xfffe
	s_mul_hi_u32 s5, s58, s10
	s_mul_i32 s4, s58, s10
	s_mul_hi_u32 s19, s59, s10
	s_wait_alu 0xfffe
	s_add_nc_u64 s[4:5], s[54:55], s[4:5]
	s_mul_i32 s10, s59, s10
	s_wait_alu 0xfffe
	s_add_co_u32 s4, s4, s11
	s_add_co_ci_u32 s54, s5, s13
	s_add_co_ci_u32 s11, s19, 0
	s_wait_alu 0xfffe
	s_add_nc_u64 s[4:5], s[54:55], s[10:11]
	s_wait_alu 0xfffe
	s_mul_u64 s[4:5], s[44:45], s[4:5]
	s_wait_alu 0xfffe
	s_sub_co_u32 s4, s58, s4
	s_cselect_b32 s10, -1, 0
	s_wait_alu 0xfffe
	s_cmp_lg_u32 s10, 0
	s_sub_co_ci_u32 s5, s59, s5
	s_sub_co_u32 s10, s4, s44
	s_cselect_b32 s11, -1, 0
	s_wait_alu 0xfffe
	s_cmp_lg_u32 s11, 0
	s_sub_co_ci_u32 s11, s5, 0
	;; [unrolled: 5-line block ×3, first 2 shown]
	s_cmp_ge_u32 s10, s44
	s_cselect_b32 s20, -1, 0
	s_cmp_eq_u32 s11, 0
	s_cselect_b32 s20, s20, -1
	s_delay_alu instid0(SALU_CYCLE_1)
	s_cmp_lg_u32 s20, 0
	s_wait_alu 0xfffe
	s_cselect_b32 s11, s19, s11
	s_cselect_b32 s10, s13, s10
	s_cmp_ge_u32 s4, s44
	s_cselect_b32 s13, -1, 0
	s_cmp_eq_u32 s5, 0
	s_wait_alu 0xfffe
	s_cselect_b32 s13, s13, -1
	s_wait_alu 0xfffe
	s_cmp_lg_u32 s13, 0
	s_cselect_b32 s5, s11, s5
	s_cselect_b32 s4, s10, s4
	s_cbranch_execnz .LBB95_122
.LBB95_121:                             ;   in Loop: Header=BB95_36 Depth=1
	v_cvt_f32_u32_e32 v6, s44
	s_sub_co_i32 s5, 0, s44
	s_delay_alu instid0(VALU_DEP_1) | instskip(NEXT) | instid1(TRANS32_DEP_1)
	v_rcp_iflag_f32_e32 v6, v6
	v_mul_f32_e32 v6, 0x4f7ffffe, v6
	s_delay_alu instid0(VALU_DEP_1) | instskip(NEXT) | instid1(VALU_DEP_1)
	v_cvt_u32_f32_e32 v6, v6
	v_readfirstlane_b32 s4, v6
	s_wait_alu 0xfffe
	s_mul_i32 s5, s5, s4
	s_wait_alu 0xfffe
	s_mul_hi_u32 s5, s4, s5
	s_wait_alu 0xfffe
	s_add_co_i32 s4, s4, s5
	s_wait_alu 0xfffe
	s_mul_hi_u32 s4, s58, s4
	s_wait_alu 0xfffe
	s_mul_i32 s4, s4, s44
	s_wait_alu 0xfffe
	s_sub_co_i32 s4, s58, s4
	s_wait_alu 0xfffe
	s_sub_co_i32 s5, s4, s44
	s_cmp_ge_u32 s4, s44
	s_wait_alu 0xfffe
	s_cselect_b32 s4, s5, s4
	s_wait_alu 0xfffe
	s_sub_co_i32 s5, s4, s44
	s_cmp_ge_u32 s4, s44
	s_wait_alu 0xfffe
	s_cselect_b32 s54, s5, s4
	s_wait_alu 0xfffe
	s_mov_b64 s[4:5], s[54:55]
.LBB95_122:                             ;   in Loop: Header=BB95_36 Depth=1
	s_wait_alu 0xfffe
	s_sub_nc_u64 s[10:11], s[58:59], s[4:5]
	s_mov_b32 s5, exec_lo
                                        ; implicit-def: $vgpr27
	s_wait_alu 0xfffe
	v_cmpx_gt_u64_e64 s[10:11], v[0:1]
	s_cbranch_execz .LBB95_131
; %bb.123:                              ;   in Loop: Header=BB95_36 Depth=1
	v_dual_mov_b32 v6, v11 :: v_dual_mov_b32 v7, v12
	v_dual_mov_b32 v9, v1 :: v_dual_mov_b32 v8, v0
	s_mov_b32 s13, 0
                                        ; implicit-def: $sgpr19
	s_branch .LBB95_126
.LBB95_124:                             ;   in Loop: Header=BB95_126 Depth=2
	s_wait_alu 0xfffe
	s_or_b32 exec_lo, exec_lo, s4
	s_wait_loadcnt_dscnt 0x0
	s_barrier_signal -1
	s_barrier_wait -1
	global_inv scope:SCOPE_SE
	ds_load_b64 v[26:27], v10 offset:3072
	s_mov_b32 s4, -1
	s_mov_b32 s20, -1
	s_wait_loadcnt_dscnt 0x0
	s_barrier_signal -1
	s_barrier_wait -1
	global_inv scope:SCOPE_SE
	v_cmp_ne_u32_e32 vcc_lo, 0, v26
	s_cbranch_vccz .LBB95_129
.LBB95_125:                             ;   in Loop: Header=BB95_126 Depth=2
	s_wait_alu 0xfffe
	s_and_b32 s4, exec_lo, s4
	s_wait_alu 0xfffe
	s_or_b32 s13, s4, s13
	s_and_not1_b32 s4, s19, exec_lo
	s_and_b32 s19, s20, exec_lo
	s_wait_alu 0xfffe
	s_or_b32 s19, s4, s19
	s_and_not1_b32 exec_lo, exec_lo, s13
	s_cbranch_execz .LBB95_130
.LBB95_126:                             ;   Parent Loop BB95_36 Depth=1
                                        ; =>  This Inner Loop Header: Depth=2
	s_mov_b32 s4, exec_lo
	s_delay_alu instid0(VALU_DEP_1)
	v_cmpx_gt_u64_e64 s[24:25], v[8:9]
	s_cbranch_execz .LBB95_124
; %bb.127:                              ;   in Loop: Header=BB95_126 Depth=2
	global_load_b32 v26, v[6:7], off
	s_wait_loadcnt 0x0
	v_xor_b32_e32 v27, 0x80000000, v26
	s_delay_alu instid0(VALU_DEP_1) | instskip(NEXT) | instid1(VALU_DEP_1)
	v_and_b32_e32 v27, v27, v49
	v_cmp_eq_u32_e32 vcc_lo, v27, v46
	s_and_b32 exec_lo, exec_lo, vcc_lo
	s_cbranch_execz .LBB95_124
; %bb.128:                              ;   in Loop: Header=BB95_126 Depth=2
	ds_store_b64 v10, v[25:26] offset:3072
	s_branch .LBB95_124
.LBB95_129:                             ;   in Loop: Header=BB95_126 Depth=2
	v_add_co_u32 v8, vcc_lo, v8, s44
	s_wait_alu 0xfffd
	v_add_co_ci_u32_e64 v9, null, 0, v9, vcc_lo
	v_add_co_u32 v6, s4, v6, s52
	s_wait_alu 0xf1fe
	v_add_co_ci_u32_e64 v7, null, s53, v7, s4
	s_delay_alu instid0(VALU_DEP_3)
	v_cmp_le_u64_e32 vcc_lo, s[10:11], v[8:9]
	s_mov_b32 s20, 0
	s_or_not1_b32 s4, vcc_lo, exec_lo
	s_branch .LBB95_125
.LBB95_130:                             ;   in Loop: Header=BB95_36 Depth=1
	s_or_b32 exec_lo, exec_lo, s13
	s_delay_alu instid0(SALU_CYCLE_1)
	s_and_not1_b32 s4, s12, exec_lo
	s_wait_alu 0xfffe
	s_and_b32 s10, s19, exec_lo
	s_wait_alu 0xfffe
	s_or_b32 s12, s4, s10
.LBB95_131:                             ;   in Loop: Header=BB95_36 Depth=1
	s_or_b32 exec_lo, exec_lo, s5
	s_mov_b32 s19, 0
	s_mov_b32 s20, -1
.LBB95_132:                             ;   in Loop: Header=BB95_36 Depth=1
	s_wait_alu 0xfffe
	s_or_not1_b32 s4, s12, exec_lo
.LBB95_133:                             ;   in Loop: Header=BB95_36 Depth=1
	s_wait_alu 0xfffe
	s_or_b32 exec_lo, exec_lo, s15
	s_delay_alu instid0(SALU_CYCLE_1)
	s_and_not1_b32 s5, s97, exec_lo
	s_and_b32 s10, s20, exec_lo
	s_and_not1_b32 s11, s95, exec_lo
	s_and_b32 s12, s19, exec_lo
	s_and_not1_b32 s94, s94, exec_lo
	s_wait_alu 0xfffe
	s_or_b32 s97, s5, s10
	s_or_b32 s95, s11, s12
                                        ; implicit-def: $vgpr6_vgpr7
	s_and_saveexec_b32 s15, s4
	s_cbranch_execz .LBB95_35
; %bb.134:                              ;   in Loop: Header=BB95_36 Depth=1
	v_mov_b32_e32 v6, 1
	v_dual_mov_b32 v7, 0 :: v_dual_mov_b32 v30, 1
	s_xor_b32 s10, s17, -1
	s_mov_b32 s5, 0
	s_wait_alu 0xfffe
	s_and_saveexec_b32 s4, s10
	s_cbranch_execz .LBB95_143
; %bb.135:                              ;   in Loop: Header=BB95_36 Depth=1
	s_mov_b32 s5, exec_lo
	v_cmpx_le_u64_e64 v[28:29], v[2:3]
	s_wait_alu 0xfffe
	s_xor_b32 s5, exec_lo, s5
	s_cbranch_execz .LBB95_140
; %bb.136:                              ;   in Loop: Header=BB95_36 Depth=1
	ds_load_b64 v[6:7], v10 offset:5120
	v_and_b32_e32 v46, s18, v46
	v_or_b32_e32 v49, s14, v49
	s_wait_dscnt 0x0
	v_cmp_ne_u64_e32 vcc_lo, 0, v[6:7]
	s_cbranch_vccnz .LBB95_140
; %bb.137:                              ;   in Loop: Header=BB95_36 Depth=1
	s_and_saveexec_b32 s10, s2
; %bb.138:                              ;   in Loop: Header=BB95_36 Depth=1
	ds_store_b64 v10, v[2:3] offset:5128
; %bb.139:                              ;   in Loop: Header=BB95_36 Depth=1
	s_wait_alu 0xfffe
	s_or_b32 exec_lo, exec_lo, s10
	s_wait_loadcnt_dscnt 0x0
	s_barrier_signal -1
	s_barrier_wait -1
	global_inv scope:SCOPE_SE
.LBB95_140:                             ;   in Loop: Header=BB95_36 Depth=1
	s_wait_alu 0xfffe
	s_or_saveexec_b32 s5, s5
	v_mov_b32_e32 v30, 8
	s_mov_b32 s10, 0
	s_wait_alu 0xfffe
	s_xor_b32 exec_lo, exec_lo, s5
; %bb.141:                              ;   in Loop: Header=BB95_36 Depth=1
	v_sub_co_u32 v28, vcc_lo, v28, v2
	s_wait_alu 0xfffd
	v_sub_co_ci_u32_e64 v29, null, v29, v3, vcc_lo
	v_mov_b32_e32 v30, 0
	s_mov_b32 s10, exec_lo
; %bb.142:                              ;   in Loop: Header=BB95_36 Depth=1
	s_or_b32 exec_lo, exec_lo, s5
	s_delay_alu instid0(VALU_DEP_2)
	v_dual_mov_b32 v6, v28 :: v_dual_mov_b32 v7, v29
	s_wait_alu 0xfffe
	s_and_b32 s5, s10, exec_lo
.LBB95_143:                             ;   in Loop: Header=BB95_36 Depth=1
	s_wait_alu 0xfffe
	s_or_b32 exec_lo, exec_lo, s4
	s_mov_b32 s16, -1
	s_mov_b32 s4, -1
                                        ; implicit-def: $sgpr19
                                        ; implicit-def: $sgpr20
	s_and_saveexec_b32 s10, s5
	s_wait_alu 0xfffe
	s_xor_b32 s17, exec_lo, s10
	s_cbranch_execz .LBB95_288
; %bb.144:                              ;   in Loop: Header=BB95_36 Depth=1
	v_cmp_eq_u64_e32 vcc_lo, 1, v[4:5]
	v_cmp_eq_u64_e64 s4, 1, v[6:7]
                                        ; implicit-def: $sgpr20
                                        ; implicit-def: $sgpr19
	s_and_b32 s22, vcc_lo, s4
	s_mov_b32 s4, -1
	s_and_saveexec_b32 s21, s22
	s_cbranch_execz .LBB95_181
; %bb.145:                              ;   in Loop: Header=BB95_36 Depth=1
	ds_load_b64 v[2:3], v10 offset:5120
	s_wait_loadcnt_dscnt 0x0
	s_barrier_signal -1
	s_barrier_wait -1
	global_inv scope:SCOPE_SE
	v_readfirstlane_b32 s4, v2
	v_readfirstlane_b32 s5, v3
	s_and_saveexec_b32 s10, s3
; %bb.146:                              ;   in Loop: Header=BB95_36 Depth=1
	ds_store_b32 v41, v10
; %bb.147:                              ;   in Loop: Header=BB95_36 Depth=1
	s_wait_alu 0xfffe
	s_or_b32 exec_lo, exec_lo, s10
	s_lshl_b32 s10, 1, s89
	v_or_b32_e32 v49, s14, v49
	s_wait_alu 0xfffe
	v_and_or_b32 v46, v46, s18, s10
	s_mov_b32 s19, -1
	s_mov_b32 s20, 0
	s_cmp_eq_u64 s[4:5], 0
	s_mov_b32 s12, 0
	s_mov_b32 s13, -1
	s_wait_loadcnt_dscnt 0x0
	s_barrier_signal -1
	s_barrier_wait -1
	global_inv scope:SCOPE_SE
                                        ; implicit-def: $vgpr27
	s_cbranch_scc1 .LBB95_166
; %bb.148:                              ;   in Loop: Header=BB95_36 Depth=1
	s_add_nc_u64 s[10:11], s[4:5], s[56:57]
	s_mov_b32 s12, s55
	s_wait_alu 0xfffe
	s_mov_b32 s13, s11
	s_wait_alu 0xfffe
	s_cmp_lg_u64 s[12:13], 0
	s_cbranch_scc0 .LBB95_208
; %bb.149:                              ;   in Loop: Header=BB95_36 Depth=1
	s_cvt_f32_u32 s12, s44
	s_sub_nc_u64 s[68:69], 0, s[44:45]
	s_wait_alu 0xfffe
	s_delay_alu instid0(SALU_CYCLE_1) | instskip(SKIP_1) | instid1(SALU_CYCLE_2)
	s_fmamk_f32 s12, s91, 0x0, s12
	s_wait_alu 0xfffe
	v_s_rcp_f32 s12, s12
	s_delay_alu instid0(TRANS32_DEP_1) | instskip(SKIP_1) | instid1(SALU_CYCLE_2)
	s_mul_f32 s12, s12, 0x5f7ffffc
	s_wait_alu 0xfffe
	s_mul_f32 s13, s12, 0x2f800000
	s_wait_alu 0xfffe
	s_delay_alu instid0(SALU_CYCLE_2) | instskip(SKIP_1) | instid1(SALU_CYCLE_2)
	s_trunc_f32 s13, s13
	s_wait_alu 0xfffe
	s_fmamk_f32 s12, s13, 0xcf800000, s12
	s_cvt_u32_f32 s13, s13
	s_wait_alu 0xfffe
	s_delay_alu instid0(SALU_CYCLE_1) | instskip(SKIP_1) | instid1(SALU_CYCLE_2)
	s_cvt_u32_f32 s12, s12
	s_wait_alu 0xfffe
	s_mul_u64 s[70:71], s[68:69], s[12:13]
	s_wait_alu 0xfffe
	s_mul_hi_u32 s73, s12, s71
	s_mul_i32 s72, s12, s71
	s_mul_hi_u32 s54, s12, s70
	s_mul_i32 s74, s13, s70
	s_wait_alu 0xfffe
	s_add_nc_u64 s[72:73], s[54:55], s[72:73]
	s_mul_hi_u32 s23, s13, s70
	s_mul_hi_u32 s75, s13, s71
	s_wait_alu 0xfffe
	s_add_co_u32 s54, s72, s74
	s_add_co_ci_u32 s54, s73, s23
	s_mul_i32 s70, s13, s71
	s_add_co_ci_u32 s71, s75, 0
	s_wait_alu 0xfffe
	s_add_nc_u64 s[70:71], s[54:55], s[70:71]
	s_wait_alu 0xfffe
	s_add_co_u32 s12, s12, s70
	s_cselect_b32 s23, -1, 0
	s_delay_alu instid0(SALU_CYCLE_1)
	s_cmp_lg_u32 s23, 0
	s_add_co_ci_u32 s13, s13, s71
	s_wait_alu 0xfffe
	s_mul_u64 s[68:69], s[68:69], s[12:13]
	s_wait_alu 0xfffe
	s_mul_hi_u32 s71, s12, s69
	s_mul_i32 s70, s12, s69
	s_mul_hi_u32 s54, s12, s68
	s_mul_i32 s72, s13, s68
	s_wait_alu 0xfffe
	s_add_nc_u64 s[70:71], s[54:55], s[70:71]
	s_mul_hi_u32 s23, s13, s68
	s_mul_hi_u32 s73, s13, s69
	s_wait_alu 0xfffe
	s_add_co_u32 s54, s70, s72
	s_add_co_ci_u32 s54, s71, s23
	s_mul_i32 s68, s13, s69
	s_add_co_ci_u32 s69, s73, 0
	s_wait_alu 0xfffe
	s_add_nc_u64 s[68:69], s[54:55], s[68:69]
	s_wait_alu 0xfffe
	s_add_co_u32 s12, s12, s68
	s_cselect_b32 s23, -1, 0
	s_wait_alu 0xfffe
	s_mul_hi_u32 s54, s10, s12
	s_cmp_lg_u32 s23, 0
	s_mul_hi_u32 s23, s11, s12
	s_add_co_ci_u32 s68, s13, s69
	s_mul_i32 s69, s11, s12
	s_wait_alu 0xfffe
	s_mul_hi_u32 s13, s10, s68
	s_mul_i32 s12, s10, s68
	s_mul_hi_u32 s70, s11, s68
	s_wait_alu 0xfffe
	s_add_nc_u64 s[12:13], s[54:55], s[12:13]
	s_mul_i32 s68, s11, s68
	s_wait_alu 0xfffe
	s_add_co_u32 s12, s12, s69
	s_add_co_ci_u32 s54, s13, s23
	s_add_co_ci_u32 s69, s70, 0
	s_wait_alu 0xfffe
	s_add_nc_u64 s[12:13], s[54:55], s[68:69]
	s_wait_alu 0xfffe
	s_mul_u64 s[12:13], s[44:45], s[12:13]
	s_wait_alu 0xfffe
	s_sub_co_u32 s12, s10, s12
	s_cselect_b32 s23, -1, 0
	s_delay_alu instid0(SALU_CYCLE_1)
	s_cmp_lg_u32 s23, 0
	s_sub_co_ci_u32 s13, s11, s13
	s_wait_alu 0xfffe
	s_sub_co_u32 s23, s12, s44
	s_cselect_b32 s54, -1, 0
	s_wait_alu 0xfffe
	s_cmp_lg_u32 s54, 0
	s_sub_co_ci_u32 s54, s13, 0
	s_sub_co_u32 s68, s23, s44
	s_cselect_b32 s69, -1, 0
	s_wait_alu 0xfffe
	s_cmp_lg_u32 s69, 0
	s_sub_co_ci_u32 s69, s54, 0
	s_cmp_ge_u32 s23, s44
	s_cselect_b32 s70, -1, 0
	s_cmp_eq_u32 s54, 0
	s_wait_alu 0xfffe
	s_cselect_b32 s70, s70, -1
	s_wait_alu 0xfffe
	s_cmp_lg_u32 s70, 0
	s_cselect_b32 s54, s69, s54
	s_cselect_b32 s23, s68, s23
	s_cmp_ge_u32 s12, s44
	s_cselect_b32 s68, -1, 0
	s_cmp_eq_u32 s13, 0
	s_wait_alu 0xfffe
	s_cselect_b32 s68, s68, -1
	s_wait_alu 0xfffe
	s_cmp_lg_u32 s68, 0
	s_cselect_b32 s13, s54, s13
	s_cselect_b32 s12, s23, s12
	s_cbranch_execnz .LBB95_151
.LBB95_150:                             ;   in Loop: Header=BB95_36 Depth=1
	v_cvt_f32_u32_e32 v2, s44
	s_sub_co_i32 s13, 0, s44
	s_delay_alu instid0(VALU_DEP_1) | instskip(NEXT) | instid1(TRANS32_DEP_1)
	v_rcp_iflag_f32_e32 v2, v2
	v_mul_f32_e32 v2, 0x4f7ffffe, v2
	s_delay_alu instid0(VALU_DEP_1) | instskip(NEXT) | instid1(VALU_DEP_1)
	v_cvt_u32_f32_e32 v2, v2
	v_readfirstlane_b32 s12, v2
	s_wait_alu 0xfffe
	s_mul_i32 s13, s13, s12
	s_wait_alu 0xfffe
	s_mul_hi_u32 s13, s12, s13
	s_wait_alu 0xfffe
	s_add_co_i32 s12, s12, s13
	s_wait_alu 0xfffe
	s_mul_hi_u32 s12, s10, s12
	s_wait_alu 0xfffe
	s_mul_i32 s12, s12, s44
	s_wait_alu 0xfffe
	s_sub_co_i32 s12, s10, s12
	s_wait_alu 0xfffe
	s_sub_co_i32 s13, s12, s44
	s_cmp_ge_u32 s12, s44
	s_wait_alu 0xfffe
	s_cselect_b32 s12, s13, s12
	s_wait_alu 0xfffe
	s_sub_co_i32 s13, s12, s44
	s_cmp_ge_u32 s12, s44
	s_wait_alu 0xfffe
	s_cselect_b32 s54, s13, s12
	s_wait_alu 0xfffe
	s_mov_b64 s[12:13], s[54:55]
.LBB95_151:                             ;   in Loop: Header=BB95_36 Depth=1
	s_wait_alu 0xfffe
	s_sub_nc_u64 s[10:11], s[10:11], s[12:13]
	s_mov_b32 s13, 0
	s_mov_b32 s12, 0
	s_mov_b32 s23, exec_lo
                                        ; implicit-def: $vgpr27
	s_wait_alu 0xfffe
	v_cmpx_gt_u64_e64 s[10:11], v[0:1]
	s_cbranch_execz .LBB95_165
; %bb.152:                              ;   in Loop: Header=BB95_36 Depth=1
	v_dual_mov_b32 v8, v13 :: v_dual_mov_b32 v3, v1
	v_mov_b32_e32 v2, v0
                                        ; implicit-def: $sgpr54
	s_branch .LBB95_155
.LBB95_153:                             ;   in Loop: Header=BB95_155 Depth=2
	s_wait_alu 0xfffe
	s_or_b32 exec_lo, exec_lo, s68
	s_wait_loadcnt_dscnt 0x0
	s_barrier_signal -1
	s_barrier_wait -1
	global_inv scope:SCOPE_SE
	ds_load_b64 v[26:27], v10 offset:3072
	s_mov_b32 s68, -1
	s_mov_b32 s69, -1
	s_wait_loadcnt_dscnt 0x0
	s_barrier_signal -1
	s_barrier_wait -1
	global_inv scope:SCOPE_SE
	v_cmp_ne_u32_e32 vcc_lo, 0, v26
	s_cbranch_vccz .LBB95_158
.LBB95_154:                             ;   in Loop: Header=BB95_155 Depth=2
	s_wait_alu 0xfffe
	s_and_b32 s68, exec_lo, s68
	s_wait_alu 0xfffe
	s_or_b32 s12, s68, s12
	s_and_not1_b32 s54, s54, exec_lo
	s_and_b32 s68, s69, exec_lo
	s_wait_alu 0xfffe
	s_or_b32 s54, s54, s68
	s_and_not1_b32 exec_lo, exec_lo, s12
	s_cbranch_execz .LBB95_164
.LBB95_155:                             ;   Parent Loop BB95_36 Depth=1
                                        ; =>  This Inner Loop Header: Depth=2
	s_mov_b32 s68, exec_lo
	s_delay_alu instid0(VALU_DEP_1)
	v_cmpx_gt_u64_e64 s[4:5], v[2:3]
	s_cbranch_execz .LBB95_153
; %bb.156:                              ;   in Loop: Header=BB95_155 Depth=2
	ds_load_b32 v26, v8
	s_wait_dscnt 0x0
	v_xor_b32_e32 v9, 0x80000000, v26
	s_delay_alu instid0(VALU_DEP_1) | instskip(NEXT) | instid1(VALU_DEP_1)
	v_and_b32_e32 v9, v9, v49
	v_cmp_eq_u32_e32 vcc_lo, v9, v46
	s_and_b32 exec_lo, exec_lo, vcc_lo
	s_cbranch_execz .LBB95_153
; %bb.157:                              ;   in Loop: Header=BB95_155 Depth=2
	ds_store_b64 v10, v[25:26] offset:3072
	s_branch .LBB95_153
.LBB95_158:                             ;   in Loop: Header=BB95_155 Depth=2
	v_add_co_u32 v2, vcc_lo, v2, s44
	s_wait_alu 0xfffd
	v_add_co_ci_u32_e64 v3, null, 0, v3, vcc_lo
	v_add_nc_u32_e32 v8, s88, v8
	s_mov_b32 s69, 0
	s_delay_alu instid0(VALU_DEP_2)
	v_cmp_le_u64_e32 vcc_lo, s[10:11], v[2:3]
	s_or_not1_b32 s68, vcc_lo, exec_lo
	s_branch .LBB95_154
.LBB95_159:                             ;   in Loop: Header=BB95_36 Depth=1
                                        ; implicit-def: $sgpr12_sgpr13
	s_branch .LBB95_107
.LBB95_160:                             ;   in Loop: Header=BB95_36 Depth=1
	s_wait_alu 0xfffe
	s_or_b32 exec_lo, exec_lo, s7
	s_wait_loadcnt_dscnt 0x0
	s_barrier_signal -1
	s_barrier_wait -1
	global_inv scope:SCOPE_SE
	s_and_saveexec_b32 s4, s2
	s_cbranch_execz .LBB95_162
; %bb.161:                              ;   in Loop: Header=BB95_36 Depth=1
	ds_load_b32 v2, v10 offset:5144
	s_wait_dscnt 0x0
	v_ashrrev_i32_e32 v3, 31, v2
	ds_store_b64 v10, v[2:3] offset:5120
.LBB95_162:                             ;   in Loop: Header=BB95_36 Depth=1
	s_wait_alu 0xfffe
	s_or_b32 exec_lo, exec_lo, s4
	s_wait_loadcnt_dscnt 0x0
	s_barrier_signal -1
	s_mov_b32 s4, -1
	s_barrier_wait -1
	s_and_b32 vcc_lo, exec_lo, s6
	s_wait_alu 0xfffe
	s_cbranch_vccnz .LBB95_52
	s_branch .LBB95_61
.LBB95_163:                             ;   in Loop: Header=BB95_36 Depth=1
                                        ; implicit-def: $sgpr4_sgpr5
	s_branch .LBB95_121
.LBB95_164:                             ;   in Loop: Header=BB95_36 Depth=1
	s_or_b32 exec_lo, exec_lo, s12
	s_wait_alu 0xfffe
	s_and_b32 s12, s54, exec_lo
.LBB95_165:                             ;   in Loop: Header=BB95_36 Depth=1
	s_or_b32 exec_lo, exec_lo, s23
.LBB95_166:                             ;   in Loop: Header=BB95_36 Depth=1
	s_wait_alu 0xfffe
	s_and_b32 vcc_lo, exec_lo, s13
	s_wait_alu 0xfffe
	s_cbranch_vccz .LBB95_180
; %bb.167:                              ;   in Loop: Header=BB95_36 Depth=1
	s_mov_b32 s4, s55
	s_mov_b32 s5, s59
	s_wait_alu 0xfffe
	s_cmp_lg_u64 s[4:5], 0
	s_cbranch_scc0 .LBB95_209
; %bb.168:                              ;   in Loop: Header=BB95_36 Depth=1
	s_cvt_f32_u32 s4, s44
	s_sub_nc_u64 s[10:11], 0, s[44:45]
	s_wait_alu 0xfffe
	s_delay_alu instid0(SALU_CYCLE_1) | instskip(SKIP_1) | instid1(SALU_CYCLE_2)
	s_fmamk_f32 s4, s91, 0x0, s4
	s_wait_alu 0xfffe
	v_s_rcp_f32 s4, s4
	s_delay_alu instid0(TRANS32_DEP_1) | instskip(SKIP_1) | instid1(SALU_CYCLE_2)
	s_mul_f32 s4, s4, 0x5f7ffffc
	s_wait_alu 0xfffe
	s_mul_f32 s5, s4, 0x2f800000
	s_wait_alu 0xfffe
	s_delay_alu instid0(SALU_CYCLE_2) | instskip(SKIP_1) | instid1(SALU_CYCLE_2)
	s_trunc_f32 s5, s5
	s_wait_alu 0xfffe
	s_fmamk_f32 s4, s5, 0xcf800000, s4
	s_cvt_u32_f32 s5, s5
	s_wait_alu 0xfffe
	s_delay_alu instid0(SALU_CYCLE_1) | instskip(SKIP_1) | instid1(SALU_CYCLE_2)
	s_cvt_u32_f32 s4, s4
	s_wait_alu 0xfffe
	s_mul_u64 s[68:69], s[10:11], s[4:5]
	s_wait_alu 0xfffe
	s_mul_hi_u32 s71, s4, s69
	s_mul_i32 s70, s4, s69
	s_mul_hi_u32 s54, s4, s68
	s_mul_i32 s19, s5, s68
	s_wait_alu 0xfffe
	s_add_nc_u64 s[70:71], s[54:55], s[70:71]
	s_mul_hi_u32 s13, s5, s68
	s_mul_hi_u32 s20, s5, s69
	s_wait_alu 0xfffe
	s_add_co_u32 s19, s70, s19
	s_add_co_ci_u32 s54, s71, s13
	s_mul_i32 s68, s5, s69
	s_add_co_ci_u32 s69, s20, 0
	s_wait_alu 0xfffe
	s_add_nc_u64 s[68:69], s[54:55], s[68:69]
	s_wait_alu 0xfffe
	s_add_co_u32 s4, s4, s68
	s_cselect_b32 s13, -1, 0
	s_wait_alu 0xfffe
	s_cmp_lg_u32 s13, 0
	s_add_co_ci_u32 s5, s5, s69
	s_wait_alu 0xfffe
	s_mul_u64 s[10:11], s[10:11], s[4:5]
	s_wait_alu 0xfffe
	s_mul_hi_u32 s69, s4, s11
	s_mul_i32 s68, s4, s11
	s_mul_hi_u32 s54, s4, s10
	s_mul_i32 s19, s5, s10
	s_wait_alu 0xfffe
	s_add_nc_u64 s[68:69], s[54:55], s[68:69]
	s_mul_hi_u32 s13, s5, s10
	s_mul_hi_u32 s20, s5, s11
	s_mul_i32 s10, s5, s11
	s_wait_alu 0xfffe
	s_add_co_u32 s11, s68, s19
	s_add_co_ci_u32 s54, s69, s13
	s_add_co_ci_u32 s11, s20, 0
	s_wait_alu 0xfffe
	s_add_nc_u64 s[10:11], s[54:55], s[10:11]
	s_wait_alu 0xfffe
	s_add_co_u32 s4, s4, s10
	s_cselect_b32 s10, -1, 0
	s_wait_alu 0xfffe
	s_mul_hi_u32 s54, s58, s4
	s_cmp_lg_u32 s10, 0
	s_mul_hi_u32 s13, s59, s4
	s_add_co_ci_u32 s10, s5, s11
	s_mul_i32 s11, s59, s4
	s_wait_alu 0xfffe
	s_mul_hi_u32 s5, s58, s10
	s_mul_i32 s4, s58, s10
	s_mul_hi_u32 s19, s59, s10
	s_wait_alu 0xfffe
	s_add_nc_u64 s[4:5], s[54:55], s[4:5]
	s_mul_i32 s10, s59, s10
	s_wait_alu 0xfffe
	s_add_co_u32 s4, s4, s11
	s_add_co_ci_u32 s54, s5, s13
	s_add_co_ci_u32 s11, s19, 0
	s_wait_alu 0xfffe
	s_add_nc_u64 s[4:5], s[54:55], s[10:11]
	s_wait_alu 0xfffe
	s_mul_u64 s[4:5], s[44:45], s[4:5]
	s_wait_alu 0xfffe
	s_sub_co_u32 s4, s58, s4
	s_cselect_b32 s10, -1, 0
	s_wait_alu 0xfffe
	s_cmp_lg_u32 s10, 0
	s_sub_co_ci_u32 s5, s59, s5
	s_sub_co_u32 s10, s4, s44
	s_cselect_b32 s11, -1, 0
	s_wait_alu 0xfffe
	s_cmp_lg_u32 s11, 0
	s_sub_co_ci_u32 s11, s5, 0
	s_sub_co_u32 s13, s10, s44
	s_cselect_b32 s19, -1, 0
	s_wait_alu 0xfffe
	s_cmp_lg_u32 s19, 0
	s_sub_co_ci_u32 s19, s11, 0
	s_cmp_ge_u32 s10, s44
	s_cselect_b32 s20, -1, 0
	s_cmp_eq_u32 s11, 0
	s_cselect_b32 s20, s20, -1
	s_delay_alu instid0(SALU_CYCLE_1)
	s_cmp_lg_u32 s20, 0
	s_wait_alu 0xfffe
	s_cselect_b32 s11, s19, s11
	s_cselect_b32 s10, s13, s10
	s_cmp_ge_u32 s4, s44
	s_cselect_b32 s13, -1, 0
	s_cmp_eq_u32 s5, 0
	s_wait_alu 0xfffe
	s_cselect_b32 s13, s13, -1
	s_wait_alu 0xfffe
	s_cmp_lg_u32 s13, 0
	s_cselect_b32 s5, s11, s5
	s_cselect_b32 s4, s10, s4
	s_cbranch_execnz .LBB95_170
.LBB95_169:                             ;   in Loop: Header=BB95_36 Depth=1
	v_cvt_f32_u32_e32 v2, s44
	s_sub_co_i32 s5, 0, s44
	s_delay_alu instid0(VALU_DEP_1) | instskip(NEXT) | instid1(TRANS32_DEP_1)
	v_rcp_iflag_f32_e32 v2, v2
	v_mul_f32_e32 v2, 0x4f7ffffe, v2
	s_delay_alu instid0(VALU_DEP_1) | instskip(NEXT) | instid1(VALU_DEP_1)
	v_cvt_u32_f32_e32 v2, v2
	v_readfirstlane_b32 s4, v2
	s_wait_alu 0xfffe
	s_mul_i32 s5, s5, s4
	s_wait_alu 0xfffe
	s_mul_hi_u32 s5, s4, s5
	s_wait_alu 0xfffe
	s_add_co_i32 s4, s4, s5
	s_wait_alu 0xfffe
	s_mul_hi_u32 s4, s58, s4
	s_wait_alu 0xfffe
	s_mul_i32 s4, s4, s44
	s_wait_alu 0xfffe
	s_sub_co_i32 s4, s58, s4
	s_wait_alu 0xfffe
	s_sub_co_i32 s5, s4, s44
	s_cmp_ge_u32 s4, s44
	s_wait_alu 0xfffe
	s_cselect_b32 s4, s5, s4
	s_wait_alu 0xfffe
	s_sub_co_i32 s5, s4, s44
	s_cmp_ge_u32 s4, s44
	s_wait_alu 0xfffe
	s_cselect_b32 s54, s5, s4
	s_wait_alu 0xfffe
	s_mov_b64 s[4:5], s[54:55]
.LBB95_170:                             ;   in Loop: Header=BB95_36 Depth=1
	s_wait_alu 0xfffe
	s_sub_nc_u64 s[10:11], s[58:59], s[4:5]
	s_mov_b32 s5, exec_lo
                                        ; implicit-def: $vgpr27
	s_wait_alu 0xfffe
	v_cmpx_gt_u64_e64 s[10:11], v[0:1]
	s_cbranch_execz .LBB95_179
; %bb.171:                              ;   in Loop: Header=BB95_36 Depth=1
	v_dual_mov_b32 v2, v11 :: v_dual_mov_b32 v3, v12
	v_dual_mov_b32 v9, v1 :: v_dual_mov_b32 v8, v0
	s_mov_b32 s13, 0
                                        ; implicit-def: $sgpr19
	s_branch .LBB95_174
.LBB95_172:                             ;   in Loop: Header=BB95_174 Depth=2
	s_wait_alu 0xfffe
	s_or_b32 exec_lo, exec_lo, s4
	s_wait_loadcnt_dscnt 0x0
	s_barrier_signal -1
	s_barrier_wait -1
	global_inv scope:SCOPE_SE
	ds_load_b64 v[26:27], v10 offset:3072
	s_mov_b32 s4, -1
	s_mov_b32 s20, -1
	s_wait_loadcnt_dscnt 0x0
	s_barrier_signal -1
	s_barrier_wait -1
	global_inv scope:SCOPE_SE
	v_cmp_eq_u32_e32 vcc_lo, 0, v26
	s_cbranch_vccnz .LBB95_177
.LBB95_173:                             ;   in Loop: Header=BB95_174 Depth=2
	s_wait_alu 0xfffe
	s_and_b32 s4, exec_lo, s4
	s_wait_alu 0xfffe
	s_or_b32 s13, s4, s13
	s_and_not1_b32 s4, s19, exec_lo
	s_and_b32 s19, s20, exec_lo
	s_wait_alu 0xfffe
	s_or_b32 s19, s4, s19
	s_and_not1_b32 exec_lo, exec_lo, s13
	s_cbranch_execz .LBB95_178
.LBB95_174:                             ;   Parent Loop BB95_36 Depth=1
                                        ; =>  This Inner Loop Header: Depth=2
	s_mov_b32 s4, exec_lo
	s_delay_alu instid0(VALU_DEP_1)
	v_cmpx_gt_u64_e64 s[24:25], v[8:9]
	s_cbranch_execz .LBB95_172
; %bb.175:                              ;   in Loop: Header=BB95_174 Depth=2
	global_load_b32 v26, v[2:3], off
	s_wait_loadcnt 0x0
	v_xor_b32_e32 v27, 0x80000000, v26
	s_delay_alu instid0(VALU_DEP_1) | instskip(NEXT) | instid1(VALU_DEP_1)
	v_and_b32_e32 v27, v27, v49
	v_cmp_eq_u32_e32 vcc_lo, v27, v46
	s_and_b32 exec_lo, exec_lo, vcc_lo
	s_cbranch_execz .LBB95_172
; %bb.176:                              ;   in Loop: Header=BB95_174 Depth=2
	ds_store_b64 v10, v[25:26] offset:3072
	s_branch .LBB95_172
.LBB95_177:                             ;   in Loop: Header=BB95_174 Depth=2
	v_add_co_u32 v8, vcc_lo, v8, s44
	s_wait_alu 0xfffd
	v_add_co_ci_u32_e64 v9, null, 0, v9, vcc_lo
	v_add_co_u32 v2, s4, v2, s52
	s_wait_alu 0xf1fe
	v_add_co_ci_u32_e64 v3, null, s53, v3, s4
	s_delay_alu instid0(VALU_DEP_3)
	v_cmp_le_u64_e32 vcc_lo, s[10:11], v[8:9]
	s_mov_b32 s20, 0
	s_or_not1_b32 s4, vcc_lo, exec_lo
	s_branch .LBB95_173
.LBB95_178:                             ;   in Loop: Header=BB95_36 Depth=1
	s_or_b32 exec_lo, exec_lo, s13
	s_delay_alu instid0(SALU_CYCLE_1)
	s_and_not1_b32 s4, s12, exec_lo
	s_wait_alu 0xfffe
	s_and_b32 s10, s19, exec_lo
	s_wait_alu 0xfffe
	s_or_b32 s12, s4, s10
.LBB95_179:                             ;   in Loop: Header=BB95_36 Depth=1
	s_or_b32 exec_lo, exec_lo, s5
	s_mov_b32 s19, 0
	s_mov_b32 s20, -1
.LBB95_180:                             ;   in Loop: Header=BB95_36 Depth=1
	s_wait_alu 0xfffe
	s_or_not1_b32 s4, s12, exec_lo
.LBB95_181:                             ;   in Loop: Header=BB95_36 Depth=1
	s_or_b32 exec_lo, exec_lo, s21
	s_mov_b32 s5, 0
	s_wait_alu 0xfffe
	s_and_saveexec_b32 s21, s4
	s_cbranch_execz .LBB95_287
; %bb.182:                              ;   in Loop: Header=BB95_36 Depth=1
	v_mov_b32_e32 v2, 1
	v_dual_mov_b32 v3, 0 :: v_dual_mov_b32 v30, 1
	s_xor_b32 s10, s22, -1
	s_wait_alu 0xfffe
	s_and_saveexec_b32 s4, s10
	s_cbranch_execz .LBB95_192
; %bb.183:                              ;   in Loop: Header=BB95_36 Depth=1
	s_mov_b32 s5, exec_lo
	v_cmpx_le_u64_e64 v[6:7], v[4:5]
	s_wait_alu 0xfffe
	s_xor_b32 s5, exec_lo, s5
	s_cbranch_execz .LBB95_189
; %bb.184:                              ;   in Loop: Header=BB95_36 Depth=1
	ds_load_b64 v[2:3], v10 offset:5120
	s_lshl_b32 s10, 1, s89
	v_or_b32_e32 v49, s14, v49
	s_wait_alu 0xfffe
	v_and_or_b32 v46, v46, s18, s10
	s_wait_dscnt 0x0
	v_cmp_ne_u64_e32 vcc_lo, 0, v[2:3]
	s_cbranch_vccnz .LBB95_188
; %bb.185:                              ;   in Loop: Header=BB95_36 Depth=1
	s_and_saveexec_b32 s10, s2
; %bb.186:                              ;   in Loop: Header=BB95_36 Depth=1
	ds_store_b64 v10, v[4:5] offset:5128
; %bb.187:                              ;   in Loop: Header=BB95_36 Depth=1
	s_wait_alu 0xfffe
	s_or_b32 exec_lo, exec_lo, s10
	s_wait_loadcnt_dscnt 0x0
	s_barrier_signal -1
	s_barrier_wait -1
	global_inv scope:SCOPE_SE
.LBB95_188:                             ;   in Loop: Header=BB95_36 Depth=1
                                        ; implicit-def: $vgpr2_vgpr3_vgpr4_vgpr5
.LBB95_189:                             ;   in Loop: Header=BB95_36 Depth=1
	s_wait_alu 0xfffe
	s_or_saveexec_b32 s5, s5
	v_mov_b32_e32 v30, 8
	s_mov_b32 s10, 0
	s_wait_alu 0xfffe
	s_xor_b32 exec_lo, exec_lo, s5
; %bb.190:                              ;   in Loop: Header=BB95_36 Depth=1
	v_sub_co_u32 v6, vcc_lo, v6, v4
	s_wait_alu 0xfffd
	v_sub_co_ci_u32_e64 v7, null, v7, v5, vcc_lo
	v_mov_b32_e32 v30, 0
	s_mov_b32 s10, exec_lo
; %bb.191:                              ;   in Loop: Header=BB95_36 Depth=1
	s_or_b32 exec_lo, exec_lo, s5
	s_delay_alu instid0(VALU_DEP_2)
	v_dual_mov_b32 v2, v6 :: v_dual_mov_b32 v3, v7
	s_wait_alu 0xfffe
	s_and_b32 s5, s10, exec_lo
.LBB95_192:                             ;   in Loop: Header=BB95_36 Depth=1
	s_wait_alu 0xfffe
	s_or_b32 exec_lo, exec_lo, s4
	s_mov_b32 s4, -1
                                        ; implicit-def: $sgpr23
                                        ; implicit-def: $sgpr68
	s_and_saveexec_b32 s22, s5
	s_cbranch_execz .LBB95_286
; %bb.193:                              ;   in Loop: Header=BB95_36 Depth=1
	v_cmp_eq_u64_e32 vcc_lo, 1, v[2:3]
	s_cmp_eq_u64 s[8:9], 1
                                        ; implicit-def: $sgpr68
                                        ; implicit-def: $sgpr23
	s_cselect_b32 s4, -1, 0
	s_wait_alu 0xfffe
	s_and_b32 s69, s4, vcc_lo
	s_mov_b32 s4, -1
	s_wait_alu 0xfffe
	s_and_saveexec_b32 s70, s69
	s_cbranch_execz .LBB95_227
; %bb.194:                              ;   in Loop: Header=BB95_36 Depth=1
	ds_load_b64 v[4:5], v10 offset:5120
	s_wait_loadcnt_dscnt 0x0
	s_barrier_signal -1
	s_barrier_wait -1
	global_inv scope:SCOPE_SE
	v_readfirstlane_b32 s4, v4
	v_readfirstlane_b32 s5, v5
	s_and_saveexec_b32 s10, s3
; %bb.195:                              ;   in Loop: Header=BB95_36 Depth=1
	ds_store_b32 v41, v10
; %bb.196:                              ;   in Loop: Header=BB95_36 Depth=1
	s_wait_alu 0xfffe
	s_or_b32 exec_lo, exec_lo, s10
	s_lshl_b32 s10, 2, s89
	v_or_b32_e32 v49, s14, v49
	s_wait_alu 0xfffe
	v_and_or_b32 v46, v46, s18, s10
	s_mov_b32 s23, -1
	s_mov_b32 s68, 0
	s_cmp_eq_u64 s[4:5], 0
	s_mov_b32 s12, 0
	s_mov_b32 s13, -1
	s_wait_loadcnt_dscnt 0x0
	s_barrier_signal -1
	s_barrier_wait -1
	global_inv scope:SCOPE_SE
                                        ; implicit-def: $vgpr27
	s_cbranch_scc1 .LBB95_212
; %bb.197:                              ;   in Loop: Header=BB95_36 Depth=1
	s_add_nc_u64 s[10:11], s[4:5], s[56:57]
	s_mov_b32 s12, s55
	s_wait_alu 0xfffe
	s_mov_b32 s13, s11
	s_wait_alu 0xfffe
	s_cmp_lg_u64 s[12:13], 0
	s_cbranch_scc0 .LBB95_253
; %bb.198:                              ;   in Loop: Header=BB95_36 Depth=1
	s_cvt_f32_u32 s12, s44
	s_sub_nc_u64 s[72:73], 0, s[44:45]
	s_wait_alu 0xfffe
	s_delay_alu instid0(SALU_CYCLE_1) | instskip(SKIP_1) | instid1(SALU_CYCLE_2)
	s_fmamk_f32 s12, s91, 0x0, s12
	s_wait_alu 0xfffe
	v_s_rcp_f32 s12, s12
	s_delay_alu instid0(TRANS32_DEP_1) | instskip(SKIP_1) | instid1(SALU_CYCLE_2)
	s_mul_f32 s12, s12, 0x5f7ffffc
	s_wait_alu 0xfffe
	s_mul_f32 s13, s12, 0x2f800000
	s_wait_alu 0xfffe
	s_delay_alu instid0(SALU_CYCLE_2) | instskip(SKIP_1) | instid1(SALU_CYCLE_2)
	s_trunc_f32 s13, s13
	s_wait_alu 0xfffe
	s_fmamk_f32 s12, s13, 0xcf800000, s12
	s_cvt_u32_f32 s13, s13
	s_wait_alu 0xfffe
	s_delay_alu instid0(SALU_CYCLE_1) | instskip(SKIP_1) | instid1(SALU_CYCLE_2)
	s_cvt_u32_f32 s12, s12
	s_wait_alu 0xfffe
	s_mul_u64 s[74:75], s[72:73], s[12:13]
	s_wait_alu 0xfffe
	s_mul_hi_u32 s77, s12, s75
	s_mul_i32 s76, s12, s75
	s_mul_hi_u32 s54, s12, s74
	s_mul_i32 s78, s13, s74
	s_wait_alu 0xfffe
	s_add_nc_u64 s[76:77], s[54:55], s[76:77]
	s_mul_hi_u32 s71, s13, s74
	s_mul_hi_u32 s79, s13, s75
	s_wait_alu 0xfffe
	s_add_co_u32 s54, s76, s78
	s_add_co_ci_u32 s54, s77, s71
	s_mul_i32 s74, s13, s75
	s_add_co_ci_u32 s75, s79, 0
	s_wait_alu 0xfffe
	s_add_nc_u64 s[74:75], s[54:55], s[74:75]
	s_wait_alu 0xfffe
	s_add_co_u32 s12, s12, s74
	s_cselect_b32 s54, -1, 0
	s_wait_alu 0xfffe
	s_cmp_lg_u32 s54, 0
	s_add_co_ci_u32 s13, s13, s75
	s_wait_alu 0xfffe
	s_mul_u64 s[72:73], s[72:73], s[12:13]
	s_wait_alu 0xfffe
	s_mul_hi_u32 s75, s12, s73
	s_mul_i32 s74, s12, s73
	s_mul_hi_u32 s54, s12, s72
	s_mul_i32 s76, s13, s72
	s_wait_alu 0xfffe
	s_add_nc_u64 s[74:75], s[54:55], s[74:75]
	s_mul_hi_u32 s71, s13, s72
	s_mul_hi_u32 s77, s13, s73
	s_wait_alu 0xfffe
	s_add_co_u32 s54, s74, s76
	s_add_co_ci_u32 s54, s75, s71
	s_mul_i32 s72, s13, s73
	s_add_co_ci_u32 s73, s77, 0
	s_wait_alu 0xfffe
	s_add_nc_u64 s[72:73], s[54:55], s[72:73]
	s_wait_alu 0xfffe
	s_add_co_u32 s12, s12, s72
	s_cselect_b32 s71, -1, 0
	s_wait_alu 0xfffe
	s_mul_hi_u32 s54, s10, s12
	s_cmp_lg_u32 s71, 0
	s_mul_hi_u32 s71, s11, s12
	s_add_co_ci_u32 s72, s13, s73
	s_mul_i32 s73, s11, s12
	s_wait_alu 0xfffe
	s_mul_hi_u32 s13, s10, s72
	s_mul_i32 s12, s10, s72
	s_mul_hi_u32 s74, s11, s72
	s_wait_alu 0xfffe
	s_add_nc_u64 s[12:13], s[54:55], s[12:13]
	s_mul_i32 s72, s11, s72
	s_wait_alu 0xfffe
	s_add_co_u32 s12, s12, s73
	s_add_co_ci_u32 s54, s13, s71
	s_add_co_ci_u32 s73, s74, 0
	s_wait_alu 0xfffe
	s_add_nc_u64 s[12:13], s[54:55], s[72:73]
	s_wait_alu 0xfffe
	s_mul_u64 s[12:13], s[44:45], s[12:13]
	s_wait_alu 0xfffe
	s_sub_co_u32 s12, s10, s12
	s_cselect_b32 s54, -1, 0
	s_wait_alu 0xfffe
	s_cmp_lg_u32 s54, 0
	s_sub_co_ci_u32 s13, s11, s13
	s_sub_co_u32 s54, s12, s44
	s_cselect_b32 s71, -1, 0
	s_wait_alu 0xfffe
	s_cmp_lg_u32 s71, 0
	s_sub_co_ci_u32 s71, s13, 0
	;; [unrolled: 5-line block ×3, first 2 shown]
	s_cmp_ge_u32 s54, s44
	s_cselect_b32 s74, -1, 0
	s_cmp_eq_u32 s71, 0
	s_wait_alu 0xfffe
	s_cselect_b32 s74, s74, -1
	s_wait_alu 0xfffe
	s_cmp_lg_u32 s74, 0
	s_cselect_b32 s71, s73, s71
	s_cselect_b32 s54, s72, s54
	s_cmp_ge_u32 s12, s44
	s_cselect_b32 s72, -1, 0
	s_cmp_eq_u32 s13, 0
	s_wait_alu 0xfffe
	s_cselect_b32 s72, s72, -1
	s_wait_alu 0xfffe
	s_cmp_lg_u32 s72, 0
	s_cselect_b32 s13, s71, s13
	s_cselect_b32 s12, s54, s12
	s_cbranch_execnz .LBB95_200
.LBB95_199:                             ;   in Loop: Header=BB95_36 Depth=1
	v_cvt_f32_u32_e32 v4, s44
	s_sub_co_i32 s13, 0, s44
	s_delay_alu instid0(VALU_DEP_1) | instskip(NEXT) | instid1(TRANS32_DEP_1)
	v_rcp_iflag_f32_e32 v4, v4
	v_mul_f32_e32 v4, 0x4f7ffffe, v4
	s_delay_alu instid0(VALU_DEP_1) | instskip(NEXT) | instid1(VALU_DEP_1)
	v_cvt_u32_f32_e32 v4, v4
	v_readfirstlane_b32 s12, v4
	s_wait_alu 0xfffe
	s_mul_i32 s13, s13, s12
	s_wait_alu 0xfffe
	s_mul_hi_u32 s13, s12, s13
	s_wait_alu 0xfffe
	s_add_co_i32 s12, s12, s13
	s_wait_alu 0xfffe
	s_mul_hi_u32 s12, s10, s12
	s_wait_alu 0xfffe
	s_mul_i32 s12, s12, s44
	s_wait_alu 0xfffe
	s_sub_co_i32 s12, s10, s12
	s_wait_alu 0xfffe
	s_sub_co_i32 s13, s12, s44
	s_cmp_ge_u32 s12, s44
	s_wait_alu 0xfffe
	s_cselect_b32 s12, s13, s12
	s_wait_alu 0xfffe
	s_sub_co_i32 s13, s12, s44
	s_cmp_ge_u32 s12, s44
	s_wait_alu 0xfffe
	s_cselect_b32 s54, s13, s12
	s_wait_alu 0xfffe
	s_mov_b64 s[12:13], s[54:55]
.LBB95_200:                             ;   in Loop: Header=BB95_36 Depth=1
	s_wait_alu 0xfffe
	s_sub_nc_u64 s[10:11], s[10:11], s[12:13]
	s_mov_b32 s13, 0
	s_mov_b32 s12, 0
	s_mov_b32 s54, exec_lo
                                        ; implicit-def: $vgpr27
	s_wait_alu 0xfffe
	v_cmpx_gt_u64_e64 s[10:11], v[0:1]
	s_cbranch_execz .LBB95_211
; %bb.201:                              ;   in Loop: Header=BB95_36 Depth=1
	v_dual_mov_b32 v6, v13 :: v_dual_mov_b32 v5, v1
	v_mov_b32_e32 v4, v0
                                        ; implicit-def: $sgpr71
	s_branch .LBB95_204
.LBB95_202:                             ;   in Loop: Header=BB95_204 Depth=2
	s_wait_alu 0xfffe
	s_or_b32 exec_lo, exec_lo, s72
	s_wait_loadcnt_dscnt 0x0
	s_barrier_signal -1
	s_barrier_wait -1
	global_inv scope:SCOPE_SE
	ds_load_b64 v[26:27], v10 offset:3072
	s_mov_b32 s72, -1
	s_mov_b32 s73, -1
	s_wait_loadcnt_dscnt 0x0
	s_barrier_signal -1
	s_barrier_wait -1
	global_inv scope:SCOPE_SE
	v_cmp_ne_u32_e32 vcc_lo, 0, v26
	s_cbranch_vccz .LBB95_207
.LBB95_203:                             ;   in Loop: Header=BB95_204 Depth=2
	s_wait_alu 0xfffe
	s_and_b32 s72, exec_lo, s72
	s_wait_alu 0xfffe
	s_or_b32 s12, s72, s12
	s_and_not1_b32 s71, s71, exec_lo
	s_and_b32 s72, s73, exec_lo
	s_wait_alu 0xfffe
	s_or_b32 s71, s71, s72
	s_and_not1_b32 exec_lo, exec_lo, s12
	s_cbranch_execz .LBB95_210
.LBB95_204:                             ;   Parent Loop BB95_36 Depth=1
                                        ; =>  This Inner Loop Header: Depth=2
	s_mov_b32 s72, exec_lo
	s_delay_alu instid0(VALU_DEP_1)
	v_cmpx_gt_u64_e64 s[4:5], v[4:5]
	s_cbranch_execz .LBB95_202
; %bb.205:                              ;   in Loop: Header=BB95_204 Depth=2
	ds_load_b32 v26, v6
	s_wait_dscnt 0x0
	v_xor_b32_e32 v7, 0x80000000, v26
	s_delay_alu instid0(VALU_DEP_1) | instskip(NEXT) | instid1(VALU_DEP_1)
	v_and_b32_e32 v7, v7, v49
	v_cmp_eq_u32_e32 vcc_lo, v7, v46
	s_and_b32 exec_lo, exec_lo, vcc_lo
	s_cbranch_execz .LBB95_202
; %bb.206:                              ;   in Loop: Header=BB95_204 Depth=2
	ds_store_b64 v10, v[25:26] offset:3072
	s_branch .LBB95_202
.LBB95_207:                             ;   in Loop: Header=BB95_204 Depth=2
	v_add_co_u32 v4, vcc_lo, v4, s44
	s_wait_alu 0xfffd
	v_add_co_ci_u32_e64 v5, null, 0, v5, vcc_lo
	v_add_nc_u32_e32 v6, s88, v6
	s_mov_b32 s73, 0
	s_delay_alu instid0(VALU_DEP_2)
	v_cmp_le_u64_e32 vcc_lo, s[10:11], v[4:5]
	s_or_not1_b32 s72, vcc_lo, exec_lo
	s_branch .LBB95_203
.LBB95_208:                             ;   in Loop: Header=BB95_36 Depth=1
                                        ; implicit-def: $sgpr12_sgpr13
	s_branch .LBB95_150
.LBB95_209:                             ;   in Loop: Header=BB95_36 Depth=1
                                        ; implicit-def: $sgpr4_sgpr5
	s_branch .LBB95_169
.LBB95_210:                             ;   in Loop: Header=BB95_36 Depth=1
	s_or_b32 exec_lo, exec_lo, s12
	s_wait_alu 0xfffe
	s_and_b32 s12, s71, exec_lo
.LBB95_211:                             ;   in Loop: Header=BB95_36 Depth=1
	s_or_b32 exec_lo, exec_lo, s54
.LBB95_212:                             ;   in Loop: Header=BB95_36 Depth=1
	s_wait_alu 0xfffe
	s_and_b32 vcc_lo, exec_lo, s13
	s_wait_alu 0xfffe
	s_cbranch_vccz .LBB95_226
; %bb.213:                              ;   in Loop: Header=BB95_36 Depth=1
	s_mov_b32 s4, s55
	s_mov_b32 s5, s59
	s_wait_alu 0xfffe
	s_cmp_lg_u64 s[4:5], 0
	s_cbranch_scc0 .LBB95_254
; %bb.214:                              ;   in Loop: Header=BB95_36 Depth=1
	s_cvt_f32_u32 s4, s44
	s_sub_nc_u64 s[10:11], 0, s[44:45]
	s_wait_alu 0xfffe
	s_delay_alu instid0(SALU_CYCLE_1) | instskip(SKIP_1) | instid1(SALU_CYCLE_2)
	s_fmamk_f32 s4, s91, 0x0, s4
	s_wait_alu 0xfffe
	v_s_rcp_f32 s4, s4
	s_delay_alu instid0(TRANS32_DEP_1) | instskip(SKIP_1) | instid1(SALU_CYCLE_2)
	s_mul_f32 s4, s4, 0x5f7ffffc
	s_wait_alu 0xfffe
	s_mul_f32 s5, s4, 0x2f800000
	s_wait_alu 0xfffe
	s_delay_alu instid0(SALU_CYCLE_2) | instskip(SKIP_1) | instid1(SALU_CYCLE_2)
	s_trunc_f32 s5, s5
	s_wait_alu 0xfffe
	s_fmamk_f32 s4, s5, 0xcf800000, s4
	s_cvt_u32_f32 s5, s5
	s_wait_alu 0xfffe
	s_delay_alu instid0(SALU_CYCLE_1) | instskip(SKIP_1) | instid1(SALU_CYCLE_2)
	s_cvt_u32_f32 s4, s4
	s_wait_alu 0xfffe
	s_mul_u64 s[72:73], s[10:11], s[4:5]
	s_wait_alu 0xfffe
	s_mul_hi_u32 s75, s4, s73
	s_mul_i32 s74, s4, s73
	s_mul_hi_u32 s54, s4, s72
	s_mul_i32 s23, s5, s72
	s_wait_alu 0xfffe
	s_add_nc_u64 s[74:75], s[54:55], s[74:75]
	s_mul_hi_u32 s13, s5, s72
	s_mul_hi_u32 s68, s5, s73
	s_wait_alu 0xfffe
	s_add_co_u32 s23, s74, s23
	s_add_co_ci_u32 s54, s75, s13
	s_mul_i32 s72, s5, s73
	s_add_co_ci_u32 s73, s68, 0
	s_wait_alu 0xfffe
	s_add_nc_u64 s[72:73], s[54:55], s[72:73]
	s_wait_alu 0xfffe
	s_add_co_u32 s4, s4, s72
	s_cselect_b32 s13, -1, 0
	s_wait_alu 0xfffe
	s_cmp_lg_u32 s13, 0
	s_add_co_ci_u32 s5, s5, s73
	s_wait_alu 0xfffe
	s_mul_u64 s[10:11], s[10:11], s[4:5]
	s_wait_alu 0xfffe
	s_mul_hi_u32 s73, s4, s11
	s_mul_i32 s72, s4, s11
	s_mul_hi_u32 s54, s4, s10
	s_mul_i32 s23, s5, s10
	s_wait_alu 0xfffe
	s_add_nc_u64 s[72:73], s[54:55], s[72:73]
	s_mul_hi_u32 s13, s5, s10
	s_mul_hi_u32 s68, s5, s11
	s_mul_i32 s10, s5, s11
	s_wait_alu 0xfffe
	s_add_co_u32 s11, s72, s23
	s_add_co_ci_u32 s54, s73, s13
	s_add_co_ci_u32 s11, s68, 0
	s_wait_alu 0xfffe
	s_add_nc_u64 s[10:11], s[54:55], s[10:11]
	s_wait_alu 0xfffe
	s_add_co_u32 s4, s4, s10
	s_cselect_b32 s10, -1, 0
	s_wait_alu 0xfffe
	s_mul_hi_u32 s54, s58, s4
	s_cmp_lg_u32 s10, 0
	s_mul_hi_u32 s13, s59, s4
	s_add_co_ci_u32 s10, s5, s11
	s_mul_i32 s11, s59, s4
	s_wait_alu 0xfffe
	s_mul_hi_u32 s5, s58, s10
	s_mul_i32 s4, s58, s10
	s_mul_hi_u32 s23, s59, s10
	s_wait_alu 0xfffe
	s_add_nc_u64 s[4:5], s[54:55], s[4:5]
	s_mul_i32 s10, s59, s10
	s_wait_alu 0xfffe
	s_add_co_u32 s4, s4, s11
	s_add_co_ci_u32 s54, s5, s13
	s_add_co_ci_u32 s11, s23, 0
	s_wait_alu 0xfffe
	s_add_nc_u64 s[4:5], s[54:55], s[10:11]
	s_wait_alu 0xfffe
	s_mul_u64 s[4:5], s[44:45], s[4:5]
	s_wait_alu 0xfffe
	s_sub_co_u32 s4, s58, s4
	s_cselect_b32 s10, -1, 0
	s_wait_alu 0xfffe
	s_cmp_lg_u32 s10, 0
	s_sub_co_ci_u32 s5, s59, s5
	s_sub_co_u32 s10, s4, s44
	s_cselect_b32 s11, -1, 0
	s_wait_alu 0xfffe
	s_cmp_lg_u32 s11, 0
	s_sub_co_ci_u32 s11, s5, 0
	s_sub_co_u32 s13, s10, s44
	s_cselect_b32 s23, -1, 0
	s_delay_alu instid0(SALU_CYCLE_1)
	s_cmp_lg_u32 s23, 0
	s_wait_alu 0xfffe
	s_sub_co_ci_u32 s23, s11, 0
	s_cmp_ge_u32 s10, s44
	s_cselect_b32 s54, -1, 0
	s_cmp_eq_u32 s11, 0
	s_wait_alu 0xfffe
	s_cselect_b32 s54, s54, -1
	s_wait_alu 0xfffe
	s_cmp_lg_u32 s54, 0
	s_cselect_b32 s11, s23, s11
	s_cselect_b32 s10, s13, s10
	s_cmp_ge_u32 s4, s44
	s_cselect_b32 s13, -1, 0
	s_cmp_eq_u32 s5, 0
	s_wait_alu 0xfffe
	s_cselect_b32 s13, s13, -1
	s_wait_alu 0xfffe
	s_cmp_lg_u32 s13, 0
	s_cselect_b32 s5, s11, s5
	s_cselect_b32 s4, s10, s4
	s_cbranch_execnz .LBB95_216
.LBB95_215:                             ;   in Loop: Header=BB95_36 Depth=1
	v_cvt_f32_u32_e32 v4, s44
	s_sub_co_i32 s5, 0, s44
	s_delay_alu instid0(VALU_DEP_1) | instskip(NEXT) | instid1(TRANS32_DEP_1)
	v_rcp_iflag_f32_e32 v4, v4
	v_mul_f32_e32 v4, 0x4f7ffffe, v4
	s_delay_alu instid0(VALU_DEP_1) | instskip(NEXT) | instid1(VALU_DEP_1)
	v_cvt_u32_f32_e32 v4, v4
	v_readfirstlane_b32 s4, v4
	s_wait_alu 0xfffe
	s_mul_i32 s5, s5, s4
	s_wait_alu 0xfffe
	s_mul_hi_u32 s5, s4, s5
	s_wait_alu 0xfffe
	s_add_co_i32 s4, s4, s5
	s_wait_alu 0xfffe
	s_mul_hi_u32 s4, s58, s4
	s_wait_alu 0xfffe
	s_mul_i32 s4, s4, s44
	s_wait_alu 0xfffe
	s_sub_co_i32 s4, s58, s4
	s_wait_alu 0xfffe
	s_sub_co_i32 s5, s4, s44
	s_cmp_ge_u32 s4, s44
	s_wait_alu 0xfffe
	s_cselect_b32 s4, s5, s4
	s_wait_alu 0xfffe
	s_sub_co_i32 s5, s4, s44
	s_cmp_ge_u32 s4, s44
	s_wait_alu 0xfffe
	s_cselect_b32 s54, s5, s4
	s_wait_alu 0xfffe
	s_mov_b64 s[4:5], s[54:55]
.LBB95_216:                             ;   in Loop: Header=BB95_36 Depth=1
	s_wait_alu 0xfffe
	s_sub_nc_u64 s[10:11], s[58:59], s[4:5]
	s_mov_b32 s5, exec_lo
                                        ; implicit-def: $vgpr27
	s_wait_alu 0xfffe
	v_cmpx_gt_u64_e64 s[10:11], v[0:1]
	s_cbranch_execz .LBB95_225
; %bb.217:                              ;   in Loop: Header=BB95_36 Depth=1
	v_dual_mov_b32 v4, v11 :: v_dual_mov_b32 v5, v12
	v_dual_mov_b32 v7, v1 :: v_dual_mov_b32 v6, v0
	s_mov_b32 s13, 0
                                        ; implicit-def: $sgpr23
	s_branch .LBB95_220
.LBB95_218:                             ;   in Loop: Header=BB95_220 Depth=2
	s_wait_alu 0xfffe
	s_or_b32 exec_lo, exec_lo, s4
	s_wait_loadcnt_dscnt 0x0
	s_barrier_signal -1
	s_barrier_wait -1
	global_inv scope:SCOPE_SE
	ds_load_b64 v[26:27], v10 offset:3072
	s_mov_b32 s4, -1
	s_mov_b32 s54, -1
	s_wait_loadcnt_dscnt 0x0
	s_barrier_signal -1
	s_barrier_wait -1
	global_inv scope:SCOPE_SE
	v_cmp_eq_u32_e32 vcc_lo, 0, v26
	s_cbranch_vccnz .LBB95_223
.LBB95_219:                             ;   in Loop: Header=BB95_220 Depth=2
	s_wait_alu 0xfffe
	s_and_b32 s4, exec_lo, s4
	s_wait_alu 0xfffe
	s_or_b32 s13, s4, s13
	s_and_not1_b32 s4, s23, exec_lo
	s_and_b32 s23, s54, exec_lo
	s_wait_alu 0xfffe
	s_or_b32 s23, s4, s23
	s_and_not1_b32 exec_lo, exec_lo, s13
	s_cbranch_execz .LBB95_224
.LBB95_220:                             ;   Parent Loop BB95_36 Depth=1
                                        ; =>  This Inner Loop Header: Depth=2
	s_mov_b32 s4, exec_lo
	s_delay_alu instid0(VALU_DEP_1)
	v_cmpx_gt_u64_e64 s[24:25], v[6:7]
	s_cbranch_execz .LBB95_218
; %bb.221:                              ;   in Loop: Header=BB95_220 Depth=2
	global_load_b32 v26, v[4:5], off
	s_wait_loadcnt 0x0
	v_xor_b32_e32 v8, 0x80000000, v26
	s_delay_alu instid0(VALU_DEP_1) | instskip(NEXT) | instid1(VALU_DEP_1)
	v_and_b32_e32 v8, v8, v49
	v_cmp_eq_u32_e32 vcc_lo, v8, v46
	s_and_b32 exec_lo, exec_lo, vcc_lo
	s_cbranch_execz .LBB95_218
; %bb.222:                              ;   in Loop: Header=BB95_220 Depth=2
	ds_store_b64 v10, v[25:26] offset:3072
	s_branch .LBB95_218
.LBB95_223:                             ;   in Loop: Header=BB95_220 Depth=2
	v_add_co_u32 v6, vcc_lo, v6, s44
	s_wait_alu 0xfffd
	v_add_co_ci_u32_e64 v7, null, 0, v7, vcc_lo
	v_add_co_u32 v4, s4, v4, s52
	s_wait_alu 0xf1fe
	v_add_co_ci_u32_e64 v5, null, s53, v5, s4
	s_delay_alu instid0(VALU_DEP_3)
	v_cmp_le_u64_e32 vcc_lo, s[10:11], v[6:7]
	s_mov_b32 s54, 0
	s_or_not1_b32 s4, vcc_lo, exec_lo
	s_branch .LBB95_219
.LBB95_224:                             ;   in Loop: Header=BB95_36 Depth=1
	s_or_b32 exec_lo, exec_lo, s13
	s_delay_alu instid0(SALU_CYCLE_1)
	s_and_not1_b32 s4, s12, exec_lo
	s_and_b32 s10, s23, exec_lo
	s_wait_alu 0xfffe
	s_or_b32 s12, s4, s10
.LBB95_225:                             ;   in Loop: Header=BB95_36 Depth=1
	s_or_b32 exec_lo, exec_lo, s5
	s_mov_b32 s23, 0
	s_mov_b32 s68, -1
.LBB95_226:                             ;   in Loop: Header=BB95_36 Depth=1
	s_wait_alu 0xfffe
	s_or_not1_b32 s4, s12, exec_lo
.LBB95_227:                             ;   in Loop: Header=BB95_36 Depth=1
	s_wait_alu 0xfffe
	s_or_b32 exec_lo, exec_lo, s70
	s_mov_b32 s5, 0
	s_and_saveexec_b32 s12, s4
	s_cbranch_execz .LBB95_285
; %bb.228:                              ;   in Loop: Header=BB95_36 Depth=1
	v_mov_b32_e32 v4, 1
	v_dual_mov_b32 v5, 0 :: v_dual_mov_b32 v30, 1
	s_xor_b32 s10, s69, -1
	s_wait_alu 0xfffe
	s_and_saveexec_b32 s4, s10
	s_cbranch_execz .LBB95_237
; %bb.229:                              ;   in Loop: Header=BB95_36 Depth=1
	s_mov_b32 s5, exec_lo
	v_cmpx_ge_u64_e64 s[8:9], v[2:3]
	s_wait_alu 0xfffe
	s_xor_b32 s5, exec_lo, s5
	s_cbranch_execz .LBB95_234
; %bb.230:                              ;   in Loop: Header=BB95_36 Depth=1
	ds_load_b64 v[4:5], v10 offset:5120
	s_lshl_b32 s10, 2, s89
	v_or_b32_e32 v49, s14, v49
	s_wait_alu 0xfffe
	v_and_or_b32 v46, v46, s18, s10
	s_wait_dscnt 0x0
	v_cmp_ne_u64_e32 vcc_lo, 0, v[4:5]
	s_cbranch_vccnz .LBB95_234
; %bb.231:                              ;   in Loop: Header=BB95_36 Depth=1
	s_and_saveexec_b32 s10, s2
; %bb.232:                              ;   in Loop: Header=BB95_36 Depth=1
	v_dual_mov_b32 v4, s8 :: v_dual_mov_b32 v5, s9
	ds_store_b64 v10, v[4:5] offset:5128
; %bb.233:                              ;   in Loop: Header=BB95_36 Depth=1
	s_wait_alu 0xfffe
	s_or_b32 exec_lo, exec_lo, s10
	s_wait_loadcnt_dscnt 0x0
	s_barrier_signal -1
	s_barrier_wait -1
	global_inv scope:SCOPE_SE
.LBB95_234:                             ;   in Loop: Header=BB95_36 Depth=1
	s_wait_alu 0xfffe
	s_or_saveexec_b32 s5, s5
	v_mov_b32_e32 v30, 8
	s_mov_b32 s10, 0
	s_wait_alu 0xfffe
	s_xor_b32 exec_lo, exec_lo, s5
; %bb.235:                              ;   in Loop: Header=BB95_36 Depth=1
	v_sub_co_u32 v2, vcc_lo, v2, s8
	s_wait_alu 0xfffd
	v_subrev_co_ci_u32_e64 v3, null, s9, v3, vcc_lo
	v_mov_b32_e32 v30, 0
	s_mov_b32 s10, exec_lo
; %bb.236:                              ;   in Loop: Header=BB95_36 Depth=1
	s_or_b32 exec_lo, exec_lo, s5
	s_delay_alu instid0(VALU_DEP_2)
	v_dual_mov_b32 v5, v3 :: v_dual_mov_b32 v4, v2
	s_wait_alu 0xfffe
	s_and_b32 s5, s10, exec_lo
.LBB95_237:                             ;   in Loop: Header=BB95_36 Depth=1
	s_wait_alu 0xfffe
	s_or_b32 exec_lo, exec_lo, s4
	s_mov_b32 s4, -1
                                        ; implicit-def: $sgpr71
                                        ; implicit-def: $sgpr70
	s_and_saveexec_b32 s13, s5
	s_cbranch_execz .LBB95_284
; %bb.238:                              ;   in Loop: Header=BB95_36 Depth=1
	v_cmp_eq_u64_e32 vcc_lo, 1, v[4:5]
	s_cmp_eq_u64 s[6:7], 1
	s_mov_b32 s5, -1
	s_cselect_b32 s4, -1, 0
                                        ; implicit-def: $sgpr71
                                        ; implicit-def: $sgpr70
	s_wait_alu 0xfffe
	s_and_b32 s18, s4, vcc_lo
	s_wait_alu 0xfffe
	s_and_saveexec_b32 s69, s18
	s_cbranch_execz .LBB95_272
; %bb.239:                              ;   in Loop: Header=BB95_36 Depth=1
	ds_load_b64 v[2:3], v10 offset:5120
	s_wait_loadcnt_dscnt 0x0
	s_barrier_signal -1
	s_barrier_wait -1
	global_inv scope:SCOPE_SE
	v_readfirstlane_b32 s4, v2
	v_readfirstlane_b32 s5, v3
	s_and_saveexec_b32 s8, s3
; %bb.240:                              ;   in Loop: Header=BB95_36 Depth=1
	ds_store_b32 v41, v10
; %bb.241:                              ;   in Loop: Header=BB95_36 Depth=1
	s_wait_alu 0xfffe
	s_or_b32 exec_lo, exec_lo, s8
	v_or_b32_e32 v46, s14, v46
	v_or_b32_e32 v49, s14, v49
	s_mov_b32 s70, -1
	s_mov_b32 s71, 0
	s_cmp_eq_u64 s[4:5], 0
	s_mov_b32 s10, 0
	s_mov_b32 s11, -1
	s_wait_loadcnt_dscnt 0x0
	s_barrier_signal -1
	s_barrier_wait -1
	global_inv scope:SCOPE_SE
                                        ; implicit-def: $vgpr27
	s_cbranch_scc1 .LBB95_257
; %bb.242:                              ;   in Loop: Header=BB95_36 Depth=1
	s_add_nc_u64 s[8:9], s[4:5], s[56:57]
	s_mov_b32 s10, s55
	s_wait_alu 0xfffe
	s_mov_b32 s11, s9
	s_wait_alu 0xfffe
	s_cmp_lg_u64 s[10:11], 0
	s_cbranch_scc0 .LBB95_291
; %bb.243:                              ;   in Loop: Header=BB95_36 Depth=1
	s_cvt_f32_u32 s10, s44
	s_sub_nc_u64 s[72:73], 0, s[44:45]
	s_wait_alu 0xfffe
	s_delay_alu instid0(SALU_CYCLE_1) | instskip(SKIP_1) | instid1(SALU_CYCLE_2)
	s_fmamk_f32 s10, s91, 0x0, s10
	s_wait_alu 0xfffe
	v_s_rcp_f32 s10, s10
	s_delay_alu instid0(TRANS32_DEP_1) | instskip(SKIP_1) | instid1(SALU_CYCLE_2)
	s_mul_f32 s10, s10, 0x5f7ffffc
	s_wait_alu 0xfffe
	s_mul_f32 s11, s10, 0x2f800000
	s_wait_alu 0xfffe
	s_delay_alu instid0(SALU_CYCLE_2) | instskip(SKIP_1) | instid1(SALU_CYCLE_2)
	s_trunc_f32 s11, s11
	s_wait_alu 0xfffe
	s_fmamk_f32 s10, s11, 0xcf800000, s10
	s_cvt_u32_f32 s11, s11
	s_wait_alu 0xfffe
	s_delay_alu instid0(SALU_CYCLE_1) | instskip(SKIP_1) | instid1(SALU_CYCLE_2)
	s_cvt_u32_f32 s10, s10
	s_wait_alu 0xfffe
	s_mul_u64 s[74:75], s[72:73], s[10:11]
	s_wait_alu 0xfffe
	s_mul_hi_u32 s77, s10, s75
	s_mul_i32 s76, s10, s75
	s_mul_hi_u32 s54, s10, s74
	s_mul_i32 s79, s11, s74
	s_wait_alu 0xfffe
	s_add_nc_u64 s[76:77], s[54:55], s[76:77]
	s_mul_hi_u32 s78, s11, s74
	s_mul_hi_u32 s80, s11, s75
	s_wait_alu 0xfffe
	s_add_co_u32 s54, s76, s79
	s_add_co_ci_u32 s54, s77, s78
	s_mul_i32 s74, s11, s75
	s_add_co_ci_u32 s75, s80, 0
	s_wait_alu 0xfffe
	s_add_nc_u64 s[74:75], s[54:55], s[74:75]
	s_wait_alu 0xfffe
	s_add_co_u32 s10, s10, s74
	s_cselect_b32 s54, -1, 0
	s_wait_alu 0xfffe
	s_cmp_lg_u32 s54, 0
	s_add_co_ci_u32 s11, s11, s75
	s_wait_alu 0xfffe
	s_mul_u64 s[72:73], s[72:73], s[10:11]
	s_wait_alu 0xfffe
	s_mul_hi_u32 s75, s10, s73
	s_mul_i32 s74, s10, s73
	s_mul_hi_u32 s54, s10, s72
	s_mul_i32 s77, s11, s72
	s_wait_alu 0xfffe
	s_add_nc_u64 s[74:75], s[54:55], s[74:75]
	s_mul_hi_u32 s76, s11, s72
	s_mul_hi_u32 s78, s11, s73
	s_wait_alu 0xfffe
	s_add_co_u32 s54, s74, s77
	s_add_co_ci_u32 s54, s75, s76
	s_mul_i32 s72, s11, s73
	s_add_co_ci_u32 s73, s78, 0
	s_wait_alu 0xfffe
	s_add_nc_u64 s[72:73], s[54:55], s[72:73]
	s_wait_alu 0xfffe
	s_add_co_u32 s10, s10, s72
	s_cselect_b32 s72, -1, 0
	s_wait_alu 0xfffe
	s_mul_hi_u32 s54, s8, s10
	s_cmp_lg_u32 s72, 0
	s_mul_hi_u32 s74, s9, s10
	s_add_co_ci_u32 s72, s11, s73
	s_mul_i32 s73, s9, s10
	s_wait_alu 0xfffe
	s_mul_hi_u32 s11, s8, s72
	s_mul_i32 s10, s8, s72
	s_mul_hi_u32 s75, s9, s72
	s_wait_alu 0xfffe
	s_add_nc_u64 s[10:11], s[54:55], s[10:11]
	s_mul_i32 s72, s9, s72
	s_wait_alu 0xfffe
	s_add_co_u32 s10, s10, s73
	s_add_co_ci_u32 s54, s11, s74
	s_add_co_ci_u32 s73, s75, 0
	s_wait_alu 0xfffe
	s_add_nc_u64 s[10:11], s[54:55], s[72:73]
	s_wait_alu 0xfffe
	s_mul_u64 s[10:11], s[44:45], s[10:11]
	s_wait_alu 0xfffe
	s_sub_co_u32 s10, s8, s10
	s_cselect_b32 s54, -1, 0
	s_wait_alu 0xfffe
	s_cmp_lg_u32 s54, 0
	s_sub_co_ci_u32 s11, s9, s11
	s_sub_co_u32 s54, s10, s44
	s_cselect_b32 s72, -1, 0
	s_wait_alu 0xfffe
	s_cmp_lg_u32 s72, 0
	s_sub_co_ci_u32 s72, s11, 0
	;; [unrolled: 5-line block ×3, first 2 shown]
	s_cmp_ge_u32 s54, s44
	s_cselect_b32 s75, -1, 0
	s_cmp_eq_u32 s72, 0
	s_wait_alu 0xfffe
	s_cselect_b32 s75, s75, -1
	s_wait_alu 0xfffe
	s_cmp_lg_u32 s75, 0
	s_cselect_b32 s72, s74, s72
	s_cselect_b32 s54, s73, s54
	s_cmp_ge_u32 s10, s44
	s_cselect_b32 s73, -1, 0
	s_cmp_eq_u32 s11, 0
	s_wait_alu 0xfffe
	s_cselect_b32 s73, s73, -1
	s_wait_alu 0xfffe
	s_cmp_lg_u32 s73, 0
	s_cselect_b32 s11, s72, s11
	s_cselect_b32 s10, s54, s10
	s_cbranch_execnz .LBB95_245
.LBB95_244:                             ;   in Loop: Header=BB95_36 Depth=1
	v_cvt_f32_u32_e32 v2, s44
	s_sub_co_i32 s11, 0, s44
	s_delay_alu instid0(VALU_DEP_1) | instskip(NEXT) | instid1(TRANS32_DEP_1)
	v_rcp_iflag_f32_e32 v2, v2
	v_mul_f32_e32 v2, 0x4f7ffffe, v2
	s_delay_alu instid0(VALU_DEP_1) | instskip(NEXT) | instid1(VALU_DEP_1)
	v_cvt_u32_f32_e32 v2, v2
	v_readfirstlane_b32 s10, v2
	s_wait_alu 0xfffe
	s_mul_i32 s11, s11, s10
	s_wait_alu 0xfffe
	s_mul_hi_u32 s11, s10, s11
	s_wait_alu 0xfffe
	s_add_co_i32 s10, s10, s11
	s_wait_alu 0xfffe
	s_mul_hi_u32 s10, s8, s10
	s_wait_alu 0xfffe
	s_mul_i32 s10, s10, s44
	s_wait_alu 0xfffe
	s_sub_co_i32 s10, s8, s10
	s_wait_alu 0xfffe
	s_sub_co_i32 s11, s10, s44
	s_cmp_ge_u32 s10, s44
	s_wait_alu 0xfffe
	s_cselect_b32 s10, s11, s10
	s_wait_alu 0xfffe
	s_sub_co_i32 s11, s10, s44
	s_cmp_ge_u32 s10, s44
	s_wait_alu 0xfffe
	s_cselect_b32 s54, s11, s10
	s_wait_alu 0xfffe
	s_mov_b64 s[10:11], s[54:55]
.LBB95_245:                             ;   in Loop: Header=BB95_36 Depth=1
	s_wait_alu 0xfffe
	s_sub_nc_u64 s[8:9], s[8:9], s[10:11]
	s_mov_b32 s11, 0
	s_mov_b32 s10, 0
	s_mov_b32 s54, exec_lo
                                        ; implicit-def: $vgpr27
	s_wait_alu 0xfffe
	v_cmpx_gt_u64_e64 s[8:9], v[0:1]
	s_cbranch_execz .LBB95_256
; %bb.246:                              ;   in Loop: Header=BB95_36 Depth=1
	v_dual_mov_b32 v6, v13 :: v_dual_mov_b32 v3, v1
	v_mov_b32_e32 v2, v0
                                        ; implicit-def: $sgpr72
	s_branch .LBB95_249
.LBB95_247:                             ;   in Loop: Header=BB95_249 Depth=2
	s_wait_alu 0xfffe
	s_or_b32 exec_lo, exec_lo, s73
	s_wait_loadcnt_dscnt 0x0
	s_barrier_signal -1
	s_barrier_wait -1
	global_inv scope:SCOPE_SE
	ds_load_b64 v[26:27], v10 offset:3072
	s_mov_b32 s73, -1
	s_mov_b32 s74, -1
	s_wait_loadcnt_dscnt 0x0
	s_barrier_signal -1
	s_barrier_wait -1
	global_inv scope:SCOPE_SE
	v_cmp_ne_u32_e32 vcc_lo, 0, v26
	s_cbranch_vccz .LBB95_252
.LBB95_248:                             ;   in Loop: Header=BB95_249 Depth=2
	s_wait_alu 0xfffe
	s_and_b32 s73, exec_lo, s73
	s_wait_alu 0xfffe
	s_or_b32 s10, s73, s10
	s_and_not1_b32 s72, s72, exec_lo
	s_and_b32 s73, s74, exec_lo
	s_wait_alu 0xfffe
	s_or_b32 s72, s72, s73
	s_and_not1_b32 exec_lo, exec_lo, s10
	s_cbranch_execz .LBB95_255
.LBB95_249:                             ;   Parent Loop BB95_36 Depth=1
                                        ; =>  This Inner Loop Header: Depth=2
	s_mov_b32 s73, exec_lo
	s_delay_alu instid0(VALU_DEP_1)
	v_cmpx_gt_u64_e64 s[4:5], v[2:3]
	s_cbranch_execz .LBB95_247
; %bb.250:                              ;   in Loop: Header=BB95_249 Depth=2
	ds_load_b32 v26, v6
	s_wait_dscnt 0x0
	v_xor_b32_e32 v7, 0x80000000, v26
	s_delay_alu instid0(VALU_DEP_1) | instskip(NEXT) | instid1(VALU_DEP_1)
	v_and_b32_e32 v7, v7, v49
	v_cmp_eq_u32_e32 vcc_lo, v7, v46
	s_and_b32 exec_lo, exec_lo, vcc_lo
	s_cbranch_execz .LBB95_247
; %bb.251:                              ;   in Loop: Header=BB95_249 Depth=2
	ds_store_b64 v10, v[25:26] offset:3072
	s_branch .LBB95_247
.LBB95_252:                             ;   in Loop: Header=BB95_249 Depth=2
	v_add_co_u32 v2, vcc_lo, v2, s44
	s_wait_alu 0xfffd
	v_add_co_ci_u32_e64 v3, null, 0, v3, vcc_lo
	v_add_nc_u32_e32 v6, s88, v6
	s_mov_b32 s74, 0
	s_delay_alu instid0(VALU_DEP_2)
	v_cmp_le_u64_e32 vcc_lo, s[8:9], v[2:3]
	s_or_not1_b32 s73, vcc_lo, exec_lo
	s_branch .LBB95_248
.LBB95_253:                             ;   in Loop: Header=BB95_36 Depth=1
                                        ; implicit-def: $sgpr12_sgpr13
	s_branch .LBB95_199
.LBB95_254:                             ;   in Loop: Header=BB95_36 Depth=1
                                        ; implicit-def: $sgpr4_sgpr5
	s_branch .LBB95_215
.LBB95_255:                             ;   in Loop: Header=BB95_36 Depth=1
	s_or_b32 exec_lo, exec_lo, s10
	s_wait_alu 0xfffe
	s_and_b32 s10, s72, exec_lo
.LBB95_256:                             ;   in Loop: Header=BB95_36 Depth=1
	s_or_b32 exec_lo, exec_lo, s54
.LBB95_257:                             ;   in Loop: Header=BB95_36 Depth=1
	s_wait_alu 0xfffe
	s_and_b32 vcc_lo, exec_lo, s11
	s_wait_alu 0xfffe
	s_cbranch_vccz .LBB95_271
; %bb.258:                              ;   in Loop: Header=BB95_36 Depth=1
	s_mov_b32 s4, s55
	s_mov_b32 s5, s59
	s_wait_alu 0xfffe
	s_cmp_lg_u64 s[4:5], 0
	s_cbranch_scc0 .LBB95_292
; %bb.259:                              ;   in Loop: Header=BB95_36 Depth=1
	s_cvt_f32_u32 s4, s44
	s_sub_nc_u64 s[8:9], 0, s[44:45]
	s_wait_alu 0xfffe
	s_delay_alu instid0(SALU_CYCLE_1) | instskip(SKIP_1) | instid1(SALU_CYCLE_2)
	s_fmamk_f32 s4, s91, 0x0, s4
	s_wait_alu 0xfffe
	v_s_rcp_f32 s4, s4
	s_delay_alu instid0(TRANS32_DEP_1) | instskip(SKIP_1) | instid1(SALU_CYCLE_2)
	s_mul_f32 s4, s4, 0x5f7ffffc
	s_wait_alu 0xfffe
	s_mul_f32 s5, s4, 0x2f800000
	s_wait_alu 0xfffe
	s_delay_alu instid0(SALU_CYCLE_2) | instskip(SKIP_1) | instid1(SALU_CYCLE_2)
	s_trunc_f32 s5, s5
	s_wait_alu 0xfffe
	s_fmamk_f32 s4, s5, 0xcf800000, s4
	s_cvt_u32_f32 s5, s5
	s_wait_alu 0xfffe
	s_delay_alu instid0(SALU_CYCLE_1) | instskip(SKIP_1) | instid1(SALU_CYCLE_2)
	s_cvt_u32_f32 s4, s4
	s_wait_alu 0xfffe
	s_mul_u64 s[70:71], s[8:9], s[4:5]
	s_wait_alu 0xfffe
	s_mul_hi_u32 s73, s4, s71
	s_mul_i32 s72, s4, s71
	s_mul_hi_u32 s54, s4, s70
	s_mul_i32 s74, s5, s70
	s_wait_alu 0xfffe
	s_add_nc_u64 s[72:73], s[54:55], s[72:73]
	s_mul_hi_u32 s11, s5, s70
	s_mul_hi_u32 s75, s5, s71
	s_wait_alu 0xfffe
	s_add_co_u32 s54, s72, s74
	s_add_co_ci_u32 s54, s73, s11
	s_mul_i32 s70, s5, s71
	s_add_co_ci_u32 s71, s75, 0
	s_wait_alu 0xfffe
	s_add_nc_u64 s[70:71], s[54:55], s[70:71]
	s_wait_alu 0xfffe
	s_add_co_u32 s4, s4, s70
	s_cselect_b32 s11, -1, 0
	s_wait_alu 0xfffe
	s_cmp_lg_u32 s11, 0
	s_add_co_ci_u32 s5, s5, s71
	s_wait_alu 0xfffe
	s_mul_u64 s[8:9], s[8:9], s[4:5]
	s_wait_alu 0xfffe
	s_mul_hi_u32 s71, s4, s9
	s_mul_i32 s70, s4, s9
	s_mul_hi_u32 s54, s4, s8
	s_mul_i32 s72, s5, s8
	s_wait_alu 0xfffe
	s_add_nc_u64 s[70:71], s[54:55], s[70:71]
	s_mul_hi_u32 s11, s5, s8
	s_mul_hi_u32 s73, s5, s9
	s_mul_i32 s8, s5, s9
	s_wait_alu 0xfffe
	s_add_co_u32 s9, s70, s72
	s_add_co_ci_u32 s54, s71, s11
	s_add_co_ci_u32 s9, s73, 0
	s_wait_alu 0xfffe
	s_add_nc_u64 s[8:9], s[54:55], s[8:9]
	s_wait_alu 0xfffe
	s_add_co_u32 s4, s4, s8
	s_cselect_b32 s8, -1, 0
	s_wait_alu 0xfffe
	s_mul_hi_u32 s54, s58, s4
	s_cmp_lg_u32 s8, 0
	s_mul_hi_u32 s11, s59, s4
	s_add_co_ci_u32 s8, s5, s9
	s_mul_i32 s9, s59, s4
	s_wait_alu 0xfffe
	s_mul_hi_u32 s5, s58, s8
	s_mul_i32 s4, s58, s8
	s_mul_hi_u32 s70, s59, s8
	s_wait_alu 0xfffe
	s_add_nc_u64 s[4:5], s[54:55], s[4:5]
	s_mul_i32 s8, s59, s8
	s_wait_alu 0xfffe
	s_add_co_u32 s4, s4, s9
	s_add_co_ci_u32 s54, s5, s11
	s_add_co_ci_u32 s9, s70, 0
	s_wait_alu 0xfffe
	s_add_nc_u64 s[4:5], s[54:55], s[8:9]
	s_wait_alu 0xfffe
	s_mul_u64 s[4:5], s[44:45], s[4:5]
	s_wait_alu 0xfffe
	s_sub_co_u32 s4, s58, s4
	s_cselect_b32 s8, -1, 0
	s_wait_alu 0xfffe
	s_cmp_lg_u32 s8, 0
	s_sub_co_ci_u32 s5, s59, s5
	s_sub_co_u32 s8, s4, s44
	s_cselect_b32 s9, -1, 0
	s_wait_alu 0xfffe
	s_cmp_lg_u32 s9, 0
	s_sub_co_ci_u32 s9, s5, 0
	;; [unrolled: 5-line block ×3, first 2 shown]
	s_cmp_ge_u32 s8, s44
	s_cselect_b32 s70, -1, 0
	s_cmp_eq_u32 s9, 0
	s_wait_alu 0xfffe
	s_cselect_b32 s70, s70, -1
	s_wait_alu 0xfffe
	s_cmp_lg_u32 s70, 0
	s_cselect_b32 s9, s54, s9
	s_cselect_b32 s8, s11, s8
	s_cmp_ge_u32 s4, s44
	s_cselect_b32 s11, -1, 0
	s_cmp_eq_u32 s5, 0
	s_wait_alu 0xfffe
	s_cselect_b32 s11, s11, -1
	s_wait_alu 0xfffe
	s_cmp_lg_u32 s11, 0
	s_cselect_b32 s5, s9, s5
	s_cselect_b32 s4, s8, s4
	s_cbranch_execnz .LBB95_261
.LBB95_260:                             ;   in Loop: Header=BB95_36 Depth=1
	v_cvt_f32_u32_e32 v2, s44
	s_sub_co_i32 s5, 0, s44
	s_delay_alu instid0(VALU_DEP_1) | instskip(NEXT) | instid1(TRANS32_DEP_1)
	v_rcp_iflag_f32_e32 v2, v2
	v_mul_f32_e32 v2, 0x4f7ffffe, v2
	s_delay_alu instid0(VALU_DEP_1) | instskip(NEXT) | instid1(VALU_DEP_1)
	v_cvt_u32_f32_e32 v2, v2
	v_readfirstlane_b32 s4, v2
	s_wait_alu 0xfffe
	s_mul_i32 s5, s5, s4
	s_wait_alu 0xfffe
	s_mul_hi_u32 s5, s4, s5
	s_wait_alu 0xfffe
	s_add_co_i32 s4, s4, s5
	s_wait_alu 0xfffe
	s_mul_hi_u32 s4, s58, s4
	s_wait_alu 0xfffe
	s_mul_i32 s4, s4, s44
	s_wait_alu 0xfffe
	s_sub_co_i32 s4, s58, s4
	s_wait_alu 0xfffe
	s_sub_co_i32 s5, s4, s44
	s_cmp_ge_u32 s4, s44
	s_wait_alu 0xfffe
	s_cselect_b32 s4, s5, s4
	s_wait_alu 0xfffe
	s_sub_co_i32 s5, s4, s44
	s_cmp_ge_u32 s4, s44
	s_wait_alu 0xfffe
	s_cselect_b32 s54, s5, s4
	s_wait_alu 0xfffe
	s_mov_b64 s[4:5], s[54:55]
.LBB95_261:                             ;   in Loop: Header=BB95_36 Depth=1
	s_wait_alu 0xfffe
	s_sub_nc_u64 s[8:9], s[58:59], s[4:5]
	s_mov_b32 s5, exec_lo
                                        ; implicit-def: $vgpr27
	s_wait_alu 0xfffe
	v_cmpx_gt_u64_e64 s[8:9], v[0:1]
	s_cbranch_execz .LBB95_270
; %bb.262:                              ;   in Loop: Header=BB95_36 Depth=1
	v_dual_mov_b32 v2, v11 :: v_dual_mov_b32 v3, v12
	v_dual_mov_b32 v7, v1 :: v_dual_mov_b32 v6, v0
	s_mov_b32 s11, 0
                                        ; implicit-def: $sgpr54
	s_branch .LBB95_265
.LBB95_263:                             ;   in Loop: Header=BB95_265 Depth=2
	s_wait_alu 0xfffe
	s_or_b32 exec_lo, exec_lo, s4
	s_wait_loadcnt_dscnt 0x0
	s_barrier_signal -1
	s_barrier_wait -1
	global_inv scope:SCOPE_SE
	ds_load_b64 v[26:27], v10 offset:3072
	s_mov_b32 s4, -1
	s_mov_b32 s70, -1
	s_wait_loadcnt_dscnt 0x0
	s_barrier_signal -1
	s_barrier_wait -1
	global_inv scope:SCOPE_SE
	v_cmp_eq_u32_e32 vcc_lo, 0, v26
	s_cbranch_vccnz .LBB95_268
.LBB95_264:                             ;   in Loop: Header=BB95_265 Depth=2
	s_wait_alu 0xfffe
	s_and_b32 s4, exec_lo, s4
	s_wait_alu 0xfffe
	s_or_b32 s11, s4, s11
	s_and_not1_b32 s4, s54, exec_lo
	s_and_b32 s54, s70, exec_lo
	s_wait_alu 0xfffe
	s_or_b32 s54, s4, s54
	s_and_not1_b32 exec_lo, exec_lo, s11
	s_cbranch_execz .LBB95_269
.LBB95_265:                             ;   Parent Loop BB95_36 Depth=1
                                        ; =>  This Inner Loop Header: Depth=2
	s_mov_b32 s4, exec_lo
	s_delay_alu instid0(VALU_DEP_1)
	v_cmpx_gt_u64_e64 s[24:25], v[6:7]
	s_cbranch_execz .LBB95_263
; %bb.266:                              ;   in Loop: Header=BB95_265 Depth=2
	global_load_b32 v26, v[2:3], off
	s_wait_loadcnt 0x0
	v_xor_b32_e32 v8, 0x80000000, v26
	s_delay_alu instid0(VALU_DEP_1) | instskip(NEXT) | instid1(VALU_DEP_1)
	v_and_b32_e32 v8, v8, v49
	v_cmp_eq_u32_e32 vcc_lo, v8, v46
	s_and_b32 exec_lo, exec_lo, vcc_lo
	s_cbranch_execz .LBB95_263
; %bb.267:                              ;   in Loop: Header=BB95_265 Depth=2
	ds_store_b64 v10, v[25:26] offset:3072
	s_branch .LBB95_263
.LBB95_268:                             ;   in Loop: Header=BB95_265 Depth=2
	v_add_co_u32 v6, vcc_lo, v6, s44
	s_wait_alu 0xfffd
	v_add_co_ci_u32_e64 v7, null, 0, v7, vcc_lo
	v_add_co_u32 v2, s4, v2, s52
	s_wait_alu 0xf1fe
	v_add_co_ci_u32_e64 v3, null, s53, v3, s4
	s_delay_alu instid0(VALU_DEP_3)
	v_cmp_le_u64_e32 vcc_lo, s[8:9], v[6:7]
	s_mov_b32 s70, 0
	s_or_not1_b32 s4, vcc_lo, exec_lo
	s_branch .LBB95_264
.LBB95_269:                             ;   in Loop: Header=BB95_36 Depth=1
	s_or_b32 exec_lo, exec_lo, s11
	s_delay_alu instid0(SALU_CYCLE_1)
	s_and_not1_b32 s4, s10, exec_lo
	s_wait_alu 0xfffe
	s_and_b32 s8, s54, exec_lo
	s_wait_alu 0xfffe
	s_or_b32 s10, s4, s8
.LBB95_270:                             ;   in Loop: Header=BB95_36 Depth=1
	s_or_b32 exec_lo, exec_lo, s5
	s_mov_b32 s70, 0
	s_mov_b32 s71, -1
.LBB95_271:                             ;   in Loop: Header=BB95_36 Depth=1
	s_wait_alu 0xfffe
	s_or_not1_b32 s5, s10, exec_lo
.LBB95_272:                             ;   in Loop: Header=BB95_36 Depth=1
	s_wait_alu 0xfffe
	s_or_b32 exec_lo, exec_lo, s69
	s_mov_b32 s8, 0
	s_and_saveexec_b32 s4, s5
	s_cbranch_execz .LBB95_283
; %bb.273:                              ;   in Loop: Header=BB95_36 Depth=1
	v_mov_b32_e32 v2, 1
	v_dual_mov_b32 v3, 0 :: v_dual_mov_b32 v30, 1
	s_xor_b32 s8, s18, -1
	s_wait_alu 0xfffe
	s_and_saveexec_b32 s5, s8
	s_cbranch_execz .LBB95_282
; %bb.274:                              ;   in Loop: Header=BB95_36 Depth=1
	s_mov_b32 s8, exec_lo
	v_cmpx_ge_u64_e64 s[6:7], v[4:5]
	s_wait_alu 0xfffe
	s_xor_b32 s8, exec_lo, s8
	s_cbranch_execz .LBB95_279
; %bb.275:                              ;   in Loop: Header=BB95_36 Depth=1
	ds_load_b64 v[2:3], v10 offset:5120
	v_or_b32_e32 v46, s14, v46
	v_or_b32_e32 v49, s14, v49
	s_wait_dscnt 0x0
	v_cmp_ne_u64_e32 vcc_lo, 0, v[2:3]
	s_cbranch_vccnz .LBB95_279
; %bb.276:                              ;   in Loop: Header=BB95_36 Depth=1
	s_and_saveexec_b32 s9, s2
; %bb.277:                              ;   in Loop: Header=BB95_36 Depth=1
	v_dual_mov_b32 v2, s6 :: v_dual_mov_b32 v3, s7
	ds_store_b64 v10, v[2:3] offset:5128
; %bb.278:                              ;   in Loop: Header=BB95_36 Depth=1
	s_wait_alu 0xfffe
	s_or_b32 exec_lo, exec_lo, s9
	s_wait_loadcnt_dscnt 0x0
	s_barrier_signal -1
	s_barrier_wait -1
	global_inv scope:SCOPE_SE
.LBB95_279:                             ;   in Loop: Header=BB95_36 Depth=1
	s_wait_alu 0xfffe
	s_and_not1_saveexec_b32 s8, s8
; %bb.280:                              ;   in Loop: Header=BB95_36 Depth=1
	v_sub_co_u32 v4, vcc_lo, v4, s6
	s_wait_alu 0xfffd
	v_subrev_co_ci_u32_e64 v5, null, s7, v5, vcc_lo
; %bb.281:                              ;   in Loop: Header=BB95_36 Depth=1
	s_wait_alu 0xfffe
	s_or_b32 exec_lo, exec_lo, s8
	v_mov_b32_e32 v2, v4
	s_delay_alu instid0(VALU_DEP_2)
	v_dual_mov_b32 v30, 8 :: v_dual_mov_b32 v3, v5
.LBB95_282:                             ;   in Loop: Header=BB95_36 Depth=1
	s_wait_alu 0xfffe
	s_or_b32 exec_lo, exec_lo, s5
	s_delay_alu instid0(VALU_DEP_1)
	v_dual_mov_b32 v5, v3 :: v_dual_mov_b32 v4, v2
	s_mov_b32 s8, exec_lo
.LBB95_283:                             ;   in Loop: Header=BB95_36 Depth=1
	s_wait_alu 0xfffe
	s_or_b32 exec_lo, exec_lo, s4
	s_delay_alu instid0(SALU_CYCLE_1)
	s_or_not1_b32 s4, s8, exec_lo
.LBB95_284:                             ;   in Loop: Header=BB95_36 Depth=1
	s_wait_alu 0xfffe
	s_or_b32 exec_lo, exec_lo, s13
	v_dual_mov_b32 v2, v4 :: v_dual_mov_b32 v3, v5
	s_and_not1_b32 s5, s68, exec_lo
	s_and_b32 s6, s71, exec_lo
	s_and_not1_b32 s7, s23, exec_lo
	s_and_b32 s8, s70, exec_lo
	s_wait_alu 0xfffe
	s_or_b32 s68, s5, s6
	s_or_b32 s23, s7, s8
	s_and_b32 s5, s4, exec_lo
.LBB95_285:                             ;   in Loop: Header=BB95_36 Depth=1
	s_wait_alu 0xfffe
	s_or_b32 exec_lo, exec_lo, s12
	s_delay_alu instid0(SALU_CYCLE_1)
	s_or_not1_b32 s4, s5, exec_lo
.LBB95_286:                             ;   in Loop: Header=BB95_36 Depth=1
	s_or_b32 exec_lo, exec_lo, s22
	v_dual_mov_b32 v7, v3 :: v_dual_mov_b32 v6, v2
	s_and_not1_b32 s5, s20, exec_lo
	s_and_b32 s6, s68, exec_lo
	s_and_not1_b32 s7, s19, exec_lo
	s_and_b32 s8, s23, exec_lo
	s_wait_alu 0xfffe
	s_or_b32 s20, s5, s6
	s_or_b32 s19, s7, s8
	s_and_b32 s5, s4, exec_lo
.LBB95_287:                             ;   in Loop: Header=BB95_36 Depth=1
	s_or_b32 exec_lo, exec_lo, s21
	s_wait_alu 0xfffe
	s_or_not1_b32 s4, s5, exec_lo
.LBB95_288:                             ;   in Loop: Header=BB95_36 Depth=1
	s_wait_alu 0xfffe
	s_or_b32 exec_lo, exec_lo, s17
	s_mov_b32 s5, 0
	s_and_saveexec_b32 s6, s4
	s_wait_alu 0xfffe
	s_xor_b32 s4, exec_lo, s6
	s_cbranch_execz .LBB95_34
; %bb.289:                              ;   in Loop: Header=BB95_36 Depth=1
	v_and_b32_e32 v2, 7, v30
	s_mov_b32 s6, -1
	s_mov_b32 s5, -1
	s_mov_b32 s7, exec_lo
	s_delay_alu instid0(VALU_DEP_1)
	v_cmpx_eq_u32_e32 0, v2
	s_cbranch_execz .LBB95_33
; %bb.290:                              ;   in Loop: Header=BB95_36 Depth=1
	s_xor_b32 s92, s92, 1
	s_add_co_i32 s8, s89, -2
	s_cmp_eq_u32 s89, 0
	s_wait_alu 0xfffe
	s_mov_b32 s89, s8
	s_cselect_b32 s6, -1, 0
	s_xor_b32 s5, exec_lo, -1
	s_wait_alu 0xfffe
	s_or_not1_b32 s6, s6, exec_lo
	s_branch .LBB95_33
.LBB95_291:                             ;   in Loop: Header=BB95_36 Depth=1
                                        ; implicit-def: $sgpr10_sgpr11
	s_branch .LBB95_244
.LBB95_292:                             ;   in Loop: Header=BB95_36 Depth=1
                                        ; implicit-def: $sgpr4_sgpr5
	s_branch .LBB95_260
.LBB95_293:
	s_or_b32 exec_lo, exec_lo, s90
	s_xor_b32 s4, s98, -1
	s_xor_b32 s1, s96, -1
	;; [unrolled: 1-line block ×3, first 2 shown]
	s_mov_b32 s2, 0
	s_and_saveexec_b32 s5, s1
	s_wait_alu 0xfffe
	s_xor_b32 s1, exec_lo, s5
	s_cbranch_execnz .LBB95_298
; %bb.294:
	s_and_not1_saveexec_b32 s0, s1
	s_cbranch_execnz .LBB95_311
.LBB95_295:
	s_wait_alu 0xfffe
	s_or_b32 exec_lo, exec_lo, s0
	s_and_saveexec_b32 s0, s2
.LBB95_296:
	; divergent unreachable
.LBB95_297:
	s_endpgm
.LBB95_298:
	s_and_saveexec_b32 s2, s4
	s_wait_alu 0xfffe
	s_xor_b32 s2, exec_lo, s2
	s_cbranch_execz .LBB95_309
; %bb.299:
	s_and_saveexec_b32 s4, s3
	s_wait_alu 0xfffe
	s_xor_b32 s3, exec_lo, s4
; %bb.300:
	v_xor_b32_e32 v27, 0x80000000, v46
; %bb.301:
	s_wait_alu 0xfffe
	s_or_b32 exec_lo, exec_lo, s3
	s_mul_u64 s[4:5], s[38:39], s[34:35]
	v_mov_b32_e32 v2, 0
	s_wait_alu 0xfffe
	s_lshl_b64 s[4:5], s[4:5], 2
	s_lshl_b64 s[6:7], s[26:27], 2
	s_wait_alu 0xfffe
	s_add_nc_u64 s[4:5], s[46:47], s[4:5]
	s_wait_alu 0xfffe
	s_add_nc_u64 s[4:5], s[4:5], s[6:7]
	global_store_b32 v2, v27, s[4:5]
	s_and_saveexec_b32 s3, s0
	s_cbranch_execz .LBB95_308
; %bb.302:
	s_mov_b32 s4, 0
                                        ; implicit-def: $sgpr5
                                        ; implicit-def: $sgpr7
                                        ; implicit-def: $sgpr6
	s_branch .LBB95_304
.LBB95_303:                             ;   in Loop: Header=BB95_304 Depth=1
	s_wait_alu 0xfffe
	s_or_b32 exec_lo, exec_lo, s8
	s_delay_alu instid0(SALU_CYCLE_1)
	s_and_b32 s0, exec_lo, s7
	s_wait_alu 0xfffe
	s_or_b32 s4, s0, s4
	s_and_not1_b32 s0, s5, exec_lo
	s_and_b32 s5, s6, exec_lo
	s_wait_alu 0xfffe
	s_or_b32 s5, s0, s5
	s_and_not1_b32 exec_lo, exec_lo, s4
	s_cbranch_execz .LBB95_306
.LBB95_304:                             ; =>This Inner Loop Header: Depth=1
	global_load_b32 v4, v[11:12], off
	v_dual_mov_b32 v3, v1 :: v_dual_mov_b32 v2, v0
	s_or_b32 s6, s6, exec_lo
	s_or_b32 s7, s7, exec_lo
	s_mov_b32 s8, exec_lo
                                        ; implicit-def: $vgpr0_vgpr1
	s_wait_loadcnt 0x0
	v_cmpx_ne_u32_e64 v4, v27
	s_cbranch_execz .LBB95_303
; %bb.305:                              ;   in Loop: Header=BB95_304 Depth=1
	v_add_co_u32 v0, vcc_lo, v2, s44
	s_wait_alu 0xfffd
	v_add_co_ci_u32_e64 v1, null, 0, v3, vcc_lo
	v_add_co_u32 v11, s0, v11, s52
	s_wait_alu 0xf1ff
	v_add_co_ci_u32_e64 v12, null, s53, v12, s0
	s_delay_alu instid0(VALU_DEP_3)
	v_cmp_le_u64_e32 vcc_lo, s[24:25], v[0:1]
	s_wait_alu 0xfffe
	s_and_not1_b32 s0, s7, exec_lo
	s_and_not1_b32 s6, s6, exec_lo
	s_and_b32 s7, vcc_lo, exec_lo
	s_wait_alu 0xfffe
	s_or_b32 s7, s0, s7
	s_branch .LBB95_303
.LBB95_306:
	s_or_b32 exec_lo, exec_lo, s4
	s_wait_alu 0xfffe
	s_and_saveexec_b32 s0, s5
	s_wait_alu 0xfffe
	s_xor_b32 s0, exec_lo, s0
	s_cbranch_execz .LBB95_308
; %bb.307:
	s_mul_u64 s[4:5], s[40:41], s[36:37]
	v_mov_b32_e32 v0, 0
	s_wait_alu 0xfffe
	s_lshl_b64 s[4:5], s[4:5], 3
	s_lshl_b64 s[6:7], s[30:31], 3
	s_wait_alu 0xfffe
	s_add_nc_u64 s[4:5], s[42:43], s[4:5]
	s_wait_alu 0xfffe
	s_add_nc_u64 s[4:5], s[4:5], s[6:7]
	global_store_b64 v0, v[2:3], s[4:5]
.LBB95_308:
	s_wait_alu 0xfffe
	s_or_b32 exec_lo, exec_lo, s3
.LBB95_309:
	s_wait_alu 0xfffe
	s_or_saveexec_b32 s0, s2
	s_mov_b32 s2, 0
	s_wait_alu 0xfffe
	s_xor_b32 exec_lo, exec_lo, s0
	s_cbranch_execnz .LBB95_312
.LBB95_310:
	s_or_b32 exec_lo, exec_lo, s0
	s_wait_alu 0xfffe
	s_and_b32 s2, s2, exec_lo
	s_and_not1_saveexec_b32 s0, s1
	s_cbranch_execz .LBB95_295
.LBB95_311:
	s_wait_alu 0xfffe
	s_or_b32 s2, s2, exec_lo
	s_trap 2
	s_or_b32 exec_lo, exec_lo, s0
	s_wait_alu 0xfffe
	s_and_saveexec_b32 s0, s2
	s_cbranch_execnz .LBB95_296
	s_branch .LBB95_297
.LBB95_312:
	s_mov_b32 s2, exec_lo
	s_trap 2
	s_branch .LBB95_310
	.section	.rodata,"a",@progbits
	.p2align	6, 0x0
	.amdhsa_kernel _ZN2at6native12_GLOBAL__N_112gatherMedianIimLin1EEEvNS_4cuda6detail10TensorInfoIT_T0_EENS5_IlS7_EENS5_IKS6_S7_EES7_S7_S7_b
		.amdhsa_group_segment_fixed_size 5152
		.amdhsa_private_segment_fixed_size 0
		.amdhsa_kernarg_size 1536
		.amdhsa_user_sgpr_count 2
		.amdhsa_user_sgpr_dispatch_ptr 0
		.amdhsa_user_sgpr_queue_ptr 0
		.amdhsa_user_sgpr_kernarg_segment_ptr 1
		.amdhsa_user_sgpr_dispatch_id 0
		.amdhsa_user_sgpr_private_segment_size 0
		.amdhsa_wavefront_size32 1
		.amdhsa_uses_dynamic_stack 0
		.amdhsa_enable_private_segment 0
		.amdhsa_system_sgpr_workgroup_id_x 1
		.amdhsa_system_sgpr_workgroup_id_y 1
		.amdhsa_system_sgpr_workgroup_id_z 1
		.amdhsa_system_sgpr_workgroup_info 0
		.amdhsa_system_vgpr_workitem_id 0
		.amdhsa_next_free_vgpr 60
		.amdhsa_next_free_sgpr 100
		.amdhsa_reserve_vcc 1
		.amdhsa_float_round_mode_32 0
		.amdhsa_float_round_mode_16_64 0
		.amdhsa_float_denorm_mode_32 3
		.amdhsa_float_denorm_mode_16_64 3
		.amdhsa_fp16_overflow 0
		.amdhsa_workgroup_processor_mode 1
		.amdhsa_memory_ordered 1
		.amdhsa_forward_progress 1
		.amdhsa_inst_pref_size 155
		.amdhsa_round_robin_scheduling 0
		.amdhsa_exception_fp_ieee_invalid_op 0
		.amdhsa_exception_fp_denorm_src 0
		.amdhsa_exception_fp_ieee_div_zero 0
		.amdhsa_exception_fp_ieee_overflow 0
		.amdhsa_exception_fp_ieee_underflow 0
		.amdhsa_exception_fp_ieee_inexact 0
		.amdhsa_exception_int_div_zero 0
	.end_amdhsa_kernel
	.section	.text._ZN2at6native12_GLOBAL__N_112gatherMedianIimLin1EEEvNS_4cuda6detail10TensorInfoIT_T0_EENS5_IlS7_EENS5_IKS6_S7_EES7_S7_S7_b,"axG",@progbits,_ZN2at6native12_GLOBAL__N_112gatherMedianIimLin1EEEvNS_4cuda6detail10TensorInfoIT_T0_EENS5_IlS7_EENS5_IKS6_S7_EES7_S7_S7_b,comdat
.Lfunc_end95:
	.size	_ZN2at6native12_GLOBAL__N_112gatherMedianIimLin1EEEvNS_4cuda6detail10TensorInfoIT_T0_EENS5_IlS7_EENS5_IKS6_S7_EES7_S7_S7_b, .Lfunc_end95-_ZN2at6native12_GLOBAL__N_112gatherMedianIimLin1EEEvNS_4cuda6detail10TensorInfoIT_T0_EENS5_IlS7_EENS5_IKS6_S7_EES7_S7_S7_b
                                        ; -- End function
	.set _ZN2at6native12_GLOBAL__N_112gatherMedianIimLin1EEEvNS_4cuda6detail10TensorInfoIT_T0_EENS5_IlS7_EENS5_IKS6_S7_EES7_S7_S7_b.num_vgpr, 60
	.set _ZN2at6native12_GLOBAL__N_112gatherMedianIimLin1EEEvNS_4cuda6detail10TensorInfoIT_T0_EENS5_IlS7_EENS5_IKS6_S7_EES7_S7_S7_b.num_agpr, 0
	.set _ZN2at6native12_GLOBAL__N_112gatherMedianIimLin1EEEvNS_4cuda6detail10TensorInfoIT_T0_EENS5_IlS7_EENS5_IKS6_S7_EES7_S7_S7_b.numbered_sgpr, 100
	.set _ZN2at6native12_GLOBAL__N_112gatherMedianIimLin1EEEvNS_4cuda6detail10TensorInfoIT_T0_EENS5_IlS7_EENS5_IKS6_S7_EES7_S7_S7_b.num_named_barrier, 0
	.set _ZN2at6native12_GLOBAL__N_112gatherMedianIimLin1EEEvNS_4cuda6detail10TensorInfoIT_T0_EENS5_IlS7_EENS5_IKS6_S7_EES7_S7_S7_b.private_seg_size, 0
	.set _ZN2at6native12_GLOBAL__N_112gatherMedianIimLin1EEEvNS_4cuda6detail10TensorInfoIT_T0_EENS5_IlS7_EENS5_IKS6_S7_EES7_S7_S7_b.uses_vcc, 1
	.set _ZN2at6native12_GLOBAL__N_112gatherMedianIimLin1EEEvNS_4cuda6detail10TensorInfoIT_T0_EENS5_IlS7_EENS5_IKS6_S7_EES7_S7_S7_b.uses_flat_scratch, 0
	.set _ZN2at6native12_GLOBAL__N_112gatherMedianIimLin1EEEvNS_4cuda6detail10TensorInfoIT_T0_EENS5_IlS7_EENS5_IKS6_S7_EES7_S7_S7_b.has_dyn_sized_stack, 0
	.set _ZN2at6native12_GLOBAL__N_112gatherMedianIimLin1EEEvNS_4cuda6detail10TensorInfoIT_T0_EENS5_IlS7_EENS5_IKS6_S7_EES7_S7_S7_b.has_recursion, 0
	.set _ZN2at6native12_GLOBAL__N_112gatherMedianIimLin1EEEvNS_4cuda6detail10TensorInfoIT_T0_EENS5_IlS7_EENS5_IKS6_S7_EES7_S7_S7_b.has_indirect_call, 0
	.section	.AMDGPU.csdata,"",@progbits
; Kernel info:
; codeLenInByte = 19780
; TotalNumSgprs: 102
; NumVgprs: 60
; ScratchSize: 0
; MemoryBound: 0
; FloatMode: 240
; IeeeMode: 1
; LDSByteSize: 5152 bytes/workgroup (compile time only)
; SGPRBlocks: 0
; VGPRBlocks: 7
; NumSGPRsForWavesPerEU: 102
; NumVGPRsForWavesPerEU: 60
; Occupancy: 16
; WaveLimiterHint : 1
; COMPUTE_PGM_RSRC2:SCRATCH_EN: 0
; COMPUTE_PGM_RSRC2:USER_SGPR: 2
; COMPUTE_PGM_RSRC2:TRAP_HANDLER: 0
; COMPUTE_PGM_RSRC2:TGID_X_EN: 1
; COMPUTE_PGM_RSRC2:TGID_Y_EN: 1
; COMPUTE_PGM_RSRC2:TGID_Z_EN: 1
; COMPUTE_PGM_RSRC2:TIDIG_COMP_CNT: 0
	.section	.text._ZN2at6native12_GLOBAL__N_112gatherMedianIljLi1EEEvNS_4cuda6detail10TensorInfoIT_T0_EENS5_IlS7_EENS5_IKS6_S7_EES7_S7_S7_b,"axG",@progbits,_ZN2at6native12_GLOBAL__N_112gatherMedianIljLi1EEEvNS_4cuda6detail10TensorInfoIT_T0_EENS5_IlS7_EENS5_IKS6_S7_EES7_S7_S7_b,comdat
	.globl	_ZN2at6native12_GLOBAL__N_112gatherMedianIljLi1EEEvNS_4cuda6detail10TensorInfoIT_T0_EENS5_IlS7_EENS5_IKS6_S7_EES7_S7_S7_b ; -- Begin function _ZN2at6native12_GLOBAL__N_112gatherMedianIljLi1EEEvNS_4cuda6detail10TensorInfoIT_T0_EENS5_IlS7_EENS5_IKS6_S7_EES7_S7_S7_b
	.p2align	8
	.type	_ZN2at6native12_GLOBAL__N_112gatherMedianIljLi1EEEvNS_4cuda6detail10TensorInfoIT_T0_EENS5_IlS7_EENS5_IKS6_S7_EES7_S7_S7_b,@function
_ZN2at6native12_GLOBAL__N_112gatherMedianIljLi1EEEvNS_4cuda6detail10TensorInfoIT_T0_EENS5_IlS7_EENS5_IKS6_S7_EES7_S7_S7_b: ; @_ZN2at6native12_GLOBAL__N_112gatherMedianIljLi1EEEvNS_4cuda6detail10TensorInfoIT_T0_EENS5_IlS7_EENS5_IKS6_S7_EES7_S7_S7_b
; %bb.0:
	s_clause 0x1
	s_load_b64 s[4:5], s[0:1], 0x298
	s_load_b128 s[28:31], s[0:1], 0x288
	s_lshr_b32 s2, ttmp7, 16
	s_and_b32 s3, ttmp7, 0xffff
	s_wait_kmcnt 0x0
	s_mul_i32 s2, s5, s2
	s_delay_alu instid0(SALU_CYCLE_1) | instskip(NEXT) | instid1(SALU_CYCLE_1)
	s_add_co_i32 s2, s2, s3
	s_mul_i32 s27, s2, s4
	s_delay_alu instid0(SALU_CYCLE_1) | instskip(NEXT) | instid1(SALU_CYCLE_1)
	s_add_co_i32 s27, s27, ttmp9
	s_cmp_ge_u32 s27, s29
	s_cbranch_scc1 .LBB96_235
; %bb.1:
	v_cmp_eq_u32_e64 s2, 0, v0
	s_and_saveexec_b32 s3, s2
; %bb.2:
	v_mov_b32_e32 v1, 0
	s_delay_alu instid0(VALU_DEP_1)
	v_mov_b32_e32 v2, v1
	ds_store_b64 v1, v[1:2] offset:4096
; %bb.3:
	s_or_b32 exec_lo, exec_lo, s3
	v_mov_b32_e32 v1, 0
	s_wait_dscnt 0x0
	s_barrier_signal -1
	s_barrier_wait -1
	global_inv scope:SCOPE_SE
	s_wait_loadcnt 0x0
	s_barrier_signal -1
	s_barrier_wait -1
	global_inv scope:SCOPE_SE
	ds_load_b64 v[1:2], v1 offset:4096
	s_bitcmp1_b32 s31, 0
	s_mov_b32 s10, s28
	s_cselect_b32 s5, -1, 0
	s_wait_dscnt 0x0
	v_readfirstlane_b32 s6, v1
	v_readfirstlane_b32 s7, v2
	s_delay_alu instid0(VALU_DEP_1) | instskip(SKIP_1) | instid1(SALU_CYCLE_1)
	v_cmp_lt_i64_e64 s3, s[6:7], 1
	s_or_b32 s3, s5, s3
	s_and_not1_b32 vcc_lo, exec_lo, s3
	s_cbranch_vccnz .LBB96_5
; %bb.4:
	s_not_b64 s[6:7], s[6:7]
	s_mov_b32 s29, 0
	s_wait_alu 0xfffe
	s_add_nc_u64 s[6:7], s[6:7], s[28:29]
	s_mov_b32 s9, s29
	s_wait_alu 0xfffe
	s_lshr_b32 s8, s7, 31
	s_delay_alu instid0(SALU_CYCLE_1)
	s_add_nc_u64 s[6:7], s[6:7], s[8:9]
	s_wait_alu 0xfffe
	s_lshr_b64 s[6:7], s[6:7], 1
	s_wait_alu 0xfffe
	s_add_co_i32 s10, s6, 1
.LBB96_5:
	s_clause 0x1
	s_load_b32 s3, s[0:1], 0x21c
	s_load_b64 s[6:7], s[0:1], 0x1b0
	s_add_nc_u64 s[8:9], s[0:1], 0x298
	s_and_saveexec_b32 s5, s2
	s_cbranch_execz .LBB96_7
; %bb.6:
	v_dual_mov_b32 v1, 0 :: v_dual_mov_b32 v2, s28
	ds_store_b32 v1, v1 offset:4112
	ds_store_b64 v1, v[1:2] offset:4104
.LBB96_7:
	s_or_b32 exec_lo, exec_lo, s5
	s_wait_loadcnt_dscnt 0x0
	s_barrier_signal -1
	s_barrier_wait -1
	global_inv scope:SCOPE_SE
	s_load_b32 s5, s[8:9], 0xc
	s_clause 0x3
	s_load_b32 s29, s[0:1], 0x144
	s_load_b64 s[34:35], s[0:1], 0xd8
	s_load_b32 s33, s[0:1], 0x6c
	s_load_b64 s[38:39], s[0:1], 0x0
	v_mbcnt_lo_u32_b32 v26, -1, 0
	s_wait_kmcnt 0x0
	s_mul_i32 s40, s3, s27
	v_cmp_gt_u32_e32 vcc_lo, 32, v0
	s_mov_b32 s41, 0
	v_dual_mov_b32 v12, 0 :: v_dual_lshlrev_b32 v27, 2, v0
	v_cmp_gt_i32_e64 s3, 4, v26
	s_lshl_b64 s[12:13], s[40:41], 3
	v_mul_lo_u32 v10, s30, v0
	s_add_nc_u64 s[36:37], s[6:7], s[12:13]
	v_dual_mov_b32 v11, v12 :: v_dual_lshlrev_b32 v28, 3, v0
	s_and_b32 s48, vcc_lo, s3
	v_dual_mov_b32 v20, 0 :: v_dual_lshlrev_b32 v37, 5, v0
	s_and_b32 s31, s5, 0xffff
	s_bfe_u32 s5, s5, 0xb0005
	s_wait_alu 0xfffe
	s_lshl_b32 s49, s31, 2
	s_add_co_i32 s50, s31, -1
	s_cvt_f32_u32 s3, s49
	s_add_co_i32 s11, s50, s28
	s_cmp_gt_u32 s28, 0x180
	s_cvt_f32_u32 s6, s31
	v_rcp_iflag_f32_e32 v1, s3
	s_cselect_b32 s52, -1, 0
	s_cmp_gt_u32 s31, 31
	s_wait_alu 0xfffe
	v_rcp_iflag_f32_e32 v4, s6
	s_cselect_b32 s53, -1, 0
	s_cmp_lt_u32 ttmp9, s4
	v_mad_co_u64_u32 v[17:18], null, s30, v27, s[30:31]
	s_cselect_b32 s40, 12, 18
	s_add_co_i32 s3, s5, -1
	v_readfirstlane_b32 s4, v1
	s_wait_alu 0xfffe
	s_and_b32 s3, s3, 0xffff
	s_bfe_u32 s54, s31, 0x30005
	s_wait_alu 0xfffe
	s_cmp_gt_u32 s3, 6
	v_lshlrev_b64_e64 v[1:2], v26, -1
	s_mul_f32 s3, s4, 0x4f7ffffe
	s_cselect_b32 s55, -1, 0
	s_and_b32 s56, s5, 0x7f8
	s_cmp_lg_u32 s54, 0
	s_wait_alu 0xfffe
	s_cvt_u32_f32 s4, s3
	s_cselect_b32 s57, -1, 0
	s_sub_co_i32 s5, 0, s49
	v_lshlrev_b64_e32 v[2:3], 3, v[10:11]
	s_mul_i32 s5, s5, s4
	v_not_b32_e32 v30, v1
	s_mul_hi_u32 s5, s4, s5
	v_lshrrev_b32_e32 v1, 1, v0
	s_add_co_i32 s42, s4, s5
	v_readfirstlane_b32 s5, v4
	s_mul_hi_u32 s4, s28, s42
	v_add_co_u32 v13, vcc_lo, s36, v2
	s_mul_i32 s4, s4, s49
	s_mul_f32 s5, s5, 0x4f7ffffe
	s_sub_co_i32 s4, s28, s4
	v_add_co_ci_u32_e64 v14, null, s37, v3, vcc_lo
	s_sub_co_i32 s6, s4, s49
	s_cmp_ge_u32 s4, s49
	s_cvt_u32_f32 s5, s5
	s_wait_alu 0xfffe
	s_cselect_b32 s4, s6, s4
	v_or_b32_e32 v3, 3, v27
	s_sub_co_i32 s6, s4, s49
	s_cmp_ge_u32 s4, s49
	v_mov_b32_e32 v40, s10
	s_wait_alu 0xfffe
	s_cselect_b32 s7, s6, s4
	s_sub_co_i32 s4, 0, s31
	s_wait_alu 0xfffe
	s_sub_co_i32 s58, s28, s7
	s_mul_i32 s4, s4, s5
	v_add_nc_u32_e32 v31, s58, v0
	s_mul_hi_u32 s4, s5, s4
	v_mul_lo_u32 v34, s30, v3
	s_add_co_i32 s44, s5, s4
	s_movk_i32 s4, 0x1f0
	v_mul_lo_u32 v11, v31, s30
	v_and_or_b32 v32, v1, s4, 0xc00
	s_mul_hi_u32 s5, s11, s44
	v_dual_mov_b32 v4, 0 :: v_dual_add_nc_u32 v29, 0xc00, v28
	s_wait_alu 0xfffe
	s_mul_i32 s5, s5, s31
	v_dual_mov_b32 v18, 0 :: v_dual_lshlrev_b32 v35, 2, v10
	s_delay_alu instid0(VALU_DEP_4)
	v_lshlrev_b64_e32 v[1:2], 3, v[11:12]
	s_wait_alu 0xfffe
	s_sub_co_i32 s5, s11, s5
	v_cmp_gt_u32_e64 s0, s28, v0
	s_wait_alu 0xfffe
	s_sub_co_i32 s6, s5, s31
	s_cmp_ge_u32 s5, s31
	v_cmp_gt_u32_e64 s1, 2, v0
	v_add_co_u32 v15, vcc_lo, s36, v1
	v_add3_u32 v1, s31, s28, v0
	s_wait_alu 0xfffe
	s_cselect_b32 s6, s6, s5
	s_wait_alu 0xfffd
	v_add_co_ci_u32_e64 v16, null, s37, v2, vcc_lo
	v_or_b32_e32 v2, 2, v27
	v_subrev_nc_u32_e32 v1, s7, v1
	s_wait_alu 0xfffe
	s_sub_co_i32 s12, s6, s31
	s_cmp_ge_u32 s6, s31
	v_cmp_eq_u32_e64 s3, 0, v26
	s_cselect_b32 s6, s12, s6
	v_mul_lo_u32 v33, s30, v2
	v_mul_lo_u32 v36, s30, v1
	s_wait_alu 0xfffe
	s_sub_co_i32 s59, s11, s6
	v_cmp_gt_u32_e64 s4, s58, v27
	v_cmp_gt_u32_e64 s5, s28, v31
	s_wait_alu 0xfffe
	v_cmp_gt_u32_e64 s6, s59, v0
	v_lshl_or_b32 v38, v26, 2, 0xc00
	v_mov_b32_e32 v5, 0
	v_mov_b32_e32 v1, 1
	;; [unrolled: 1-line block ×5, first 2 shown]
	s_mul_i32 s51, s30, s31
	s_mov_b32 s43, s41
	s_mov_b32 s45, s41
	s_lshl_b32 s60, s51, 2
	s_lshl_b32 s61, s31, 5
	;; [unrolled: 1-line block ×3, first 2 shown]
	s_mov_b32 s70, 62
	s_add_nc_u64 s[46:47], s[8:9], s[40:41]
	s_mov_b32 s63, 0
                                        ; implicit-def: $sgpr67
                                        ; implicit-def: $sgpr69
                                        ; implicit-def: $sgpr64
                                        ; implicit-def: $sgpr66
                                        ; implicit-def: $sgpr68
                                        ; implicit-def: $sgpr65
	s_branch .LBB96_11
.LBB96_8:                               ;   in Loop: Header=BB96_11 Depth=1
	s_wait_alu 0xfffe
	s_or_b32 exec_lo, exec_lo, s10
	s_delay_alu instid0(SALU_CYCLE_1)
	s_and_b32 s8, s8, exec_lo
	s_and_not1_b32 s16, s16, exec_lo
	s_and_not1_b32 s15, s15, exec_lo
	s_or_not1_b32 s13, s9, exec_lo
.LBB96_9:                               ;   in Loop: Header=BB96_11 Depth=1
	s_wait_alu 0xfffe
	s_or_b32 exec_lo, exec_lo, s7
	s_delay_alu instid0(SALU_CYCLE_1)
	s_and_not1_b32 s7, s65, exec_lo
	s_and_b32 s8, s8, exec_lo
	s_and_not1_b32 s9, s66, exec_lo
	s_wait_alu 0xfffe
	s_or_b32 s65, s7, s8
	s_and_not1_b32 s7, s68, exec_lo
	s_and_b32 s8, s16, exec_lo
	s_and_b32 s10, s15, exec_lo
	s_wait_alu 0xfffe
	s_or_b32 s68, s7, s8
	s_or_b32 s66, s9, s10
	s_or_not1_b32 s14, s13, exec_lo
.LBB96_10:                              ;   in Loop: Header=BB96_11 Depth=1
	s_wait_alu 0xfffe
	s_or_b32 exec_lo, exec_lo, s12
	s_delay_alu instid0(SALU_CYCLE_1)
	s_and_b32 s7, exec_lo, s14
	v_mov_b32_e32 v40, v7
	s_wait_alu 0xfffe
	s_or_b32 s63, s7, s63
	s_and_not1_b32 s7, s64, exec_lo
	s_and_b32 s8, s65, exec_lo
	s_and_not1_b32 s9, s69, exec_lo
	s_wait_alu 0xfffe
	s_or_b32 s64, s7, s8
	s_and_b32 s7, s68, exec_lo
	s_and_not1_b32 s8, s67, exec_lo
	s_and_b32 s10, s66, exec_lo
	s_wait_alu 0xfffe
	s_or_b32 s69, s9, s7
	s_or_b32 s67, s8, s10
	s_mov_b32 s70, s20
	s_and_not1_b32 exec_lo, exec_lo, s63
	s_cbranch_execz .LBB96_231
.LBB96_11:                              ; =>This Loop Header: Depth=1
                                        ;     Child Loop BB96_17 Depth 2
                                        ;     Child Loop BB96_30 Depth 2
	;; [unrolled: 1-line block ×16, first 2 shown]
	ds_load_b64 v[2:3], v12 offset:4104
	s_wait_dscnt 0x0
	v_readfirstlane_b32 s40, v2
	s_cmp_lg_u32 s40, 0
	s_cbranch_scc1 .LBB96_38
; %bb.12:                               ;   in Loop: Header=BB96_11 Depth=1
	s_and_b32 vcc_lo, exec_lo, s52
	s_wait_alu 0xfffe
	s_cbranch_vccz .LBB96_25
; %bb.13:                               ;   in Loop: Header=BB96_11 Depth=1
	v_cmp_gt_u32_e32 vcc_lo, 0x181, v3
	s_mov_b32 s9, 0
	s_mov_b32 s7, 0
	s_cbranch_vccz .LBB96_26
; %bb.14:                               ;   in Loop: Header=BB96_11 Depth=1
	s_and_saveexec_b32 s10, s0
	s_cbranch_execz .LBB96_121
; %bb.15:                               ;   in Loop: Header=BB96_11 Depth=1
	global_load_b64 v[2:3], v[13:14], off
	s_load_u16 s11, s[46:47], 0x0
	v_mov_b32_e32 v8, v0
	s_mov_b32 s13, 0
	s_wait_kmcnt 0x0
	v_add_nc_u32_e32 v6, s11, v0
	s_mul_i32 s12, s30, s11
	s_delay_alu instid0(VALU_DEP_1)
	v_mul_lo_u32 v11, s30, v6
	s_branch .LBB96_17
.LBB96_16:                              ;   in Loop: Header=BB96_17 Depth=2
	s_wait_alu 0xfffe
	s_or_b32 exec_lo, exec_lo, s8
	v_dual_mov_b32 v2, v6 :: v_dual_add_nc_u32 v11, s12, v11
	v_mov_b32_e32 v3, v7
	s_and_not1_b32 exec_lo, exec_lo, s13
	s_cbranch_execz .LBB96_121
.LBB96_17:                              ;   Parent Loop BB96_11 Depth=1
                                        ; =>  This Inner Loop Header: Depth=2
	v_mov_b32_e32 v6, 0
	v_dual_mov_b32 v7, 0 :: v_dual_add_nc_u32 v8, s11, v8
	s_mov_b32 s8, exec_lo
	s_delay_alu instid0(VALU_DEP_1)
	v_cmp_le_u32_e32 vcc_lo, s28, v8
	v_cmpx_gt_u32_e64 s28, v8
	s_cbranch_execz .LBB96_19
; %bb.18:                               ;   in Loop: Header=BB96_17 Depth=2
	v_lshlrev_b64_e32 v[6:7], 3, v[11:12]
	s_delay_alu instid0(VALU_DEP_1) | instskip(SKIP_1) | instid1(VALU_DEP_2)
	v_add_co_u32 v6, s7, s36, v6
	s_wait_alu 0xf1ff
	v_add_co_ci_u32_e64 v7, null, s37, v7, s7
	global_load_b64 v[6:7], v[6:7], off
.LBB96_19:                              ;   in Loop: Header=BB96_17 Depth=2
	s_wait_alu 0xfffe
	s_or_b32 exec_lo, exec_lo, s8
	s_wait_loadcnt_dscnt 0x0
	v_xor_b32_e32 v9, 0x80000000, v3
	v_and_b32_e32 v22, v2, v20
	s_delay_alu instid0(VALU_DEP_2) | instskip(SKIP_1) | instid1(VALU_DEP_2)
	v_and_b32_e32 v23, v9, v21
	v_mov_b32_e32 v9, 0
	v_cmp_eq_u64_e64 s7, v[22:23], v[18:19]
	s_cmp_lg_u32 s7, 0
	s_cselect_b32 s8, -1, 0
	s_wait_alu 0xfffe
	s_and_b32 s8, s3, s8
	s_wait_alu 0xfffe
	s_and_saveexec_b32 s14, s8
	s_cbranch_execz .LBB96_23
; %bb.20:                               ;   in Loop: Header=BB96_17 Depth=2
	s_mov_b32 s17, exec_lo
	s_bcnt1_i32_b32 s15, s7
	s_wait_alu 0xfffe
	v_mbcnt_lo_u32_b32 v9, s17, 0
	s_mov_b32 s16, exec_lo
                                        ; implicit-def: $vgpr22
	s_delay_alu instid0(VALU_DEP_1)
	v_cmpx_eq_u32_e32 0, v9
; %bb.21:                               ;   in Loop: Header=BB96_17 Depth=2
	s_bcnt1_i32_b32 s8, s17
	s_wait_alu 0xfffe
	s_mul_i32 s8, s15, s8
	s_wait_alu 0xfffe
	v_mov_b32_e32 v22, s8
	ds_add_rtn_u32 v22, v12, v22 offset:4112
; %bb.22:                               ;   in Loop: Header=BB96_17 Depth=2
	s_or_b32 exec_lo, exec_lo, s16
	s_wait_dscnt 0x0
	v_readfirstlane_b32 s8, v22
	s_wait_alu 0xf1ff
	s_delay_alu instid0(VALU_DEP_1)
	v_mad_u32_u24 v9, s15, v9, s8
.LBB96_23:                              ;   in Loop: Header=BB96_17 Depth=2
	s_wait_alu 0xfffe
	s_or_b32 exec_lo, exec_lo, s14
	ds_bpermute_b32 v9, v12, v9
	s_and_b32 s8, exec_lo, vcc_lo
	s_wait_alu 0xfffe
	s_or_b32 s13, s8, s13
	s_and_saveexec_b32 s8, s7
	s_cbranch_execz .LBB96_16
; %bb.24:                               ;   in Loop: Header=BB96_17 Depth=2
	v_and_b32_e32 v22, s7, v30
	s_delay_alu instid0(VALU_DEP_1) | instskip(NEXT) | instid1(VALU_DEP_1)
	v_bcnt_u32_b32 v22, v22, 0
	v_lshlrev_b32_e32 v22, 3, v22
	s_wait_dscnt 0x0
	s_delay_alu instid0(VALU_DEP_1)
	v_lshl_add_u32 v9, v9, 3, v22
	ds_store_b64 v9, v[2:3]
	s_branch .LBB96_16
.LBB96_25:                              ;   in Loop: Header=BB96_11 Depth=1
	s_mov_b32 s9, -1
	s_mov_b32 s7, 0
.LBB96_26:                              ;   in Loop: Header=BB96_11 Depth=1
	s_wait_alu 0xfffe
	s_and_b32 vcc_lo, exec_lo, s9
	s_wait_alu 0xfffe
	s_cbranch_vccz .LBB96_36
.LBB96_27:                              ;   in Loop: Header=BB96_11 Depth=1
	s_and_saveexec_b32 s7, s0
	s_cbranch_execz .LBB96_33
; %bb.28:                               ;   in Loop: Header=BB96_11 Depth=1
	global_load_b64 v[2:3], v[13:14], off
	s_load_u16 s9, s[46:47], 0x0
	v_mov_b32_e32 v8, v0
	s_mov_b32 s8, exec_lo
	s_wait_kmcnt 0x0
	v_add_nc_u32_e32 v6, s9, v0
	s_delay_alu instid0(VALU_DEP_1)
	v_cmpx_gt_u32_e64 s28, v6
	s_cbranch_execz .LBB96_32
; %bb.29:                               ;   in Loop: Header=BB96_11 Depth=1
	v_mul_lo_u32 v11, s30, v6
	v_dual_mov_b32 v9, v28 :: v_dual_mov_b32 v8, v0
	s_lshl_b32 s10, s9, 3
	s_mul_i32 s12, s30, s9
	s_mov_b32 s11, 0
.LBB96_30:                              ;   Parent Loop BB96_11 Depth=1
                                        ; =>  This Inner Loop Header: Depth=2
	s_delay_alu instid0(VALU_DEP_2)
	v_lshlrev_b64_e32 v[6:7], 3, v[11:12]
	s_wait_loadcnt 0x0
	ds_store_b64 v9, v[2:3]
	s_wait_alu 0xfffe
	v_add_nc_u32_e32 v11, s12, v11
	v_add_co_u32 v6, vcc_lo, s36, v6
	s_wait_alu 0xfffd
	v_add_co_ci_u32_e64 v7, null, s37, v7, vcc_lo
	global_load_b64 v[6:7], v[6:7], off
	v_add_nc_u32_e32 v8, s9, v8
	s_wait_loadcnt 0x0
	v_dual_mov_b32 v2, v6 :: v_dual_add_nc_u32 v9, s10, v9
	s_delay_alu instid0(VALU_DEP_2) | instskip(NEXT) | instid1(VALU_DEP_1)
	v_dual_mov_b32 v3, v7 :: v_dual_add_nc_u32 v22, s9, v8
	v_cmp_le_u32_e32 vcc_lo, s28, v22
	s_or_b32 s11, vcc_lo, s11
	s_wait_alu 0xfffe
	s_and_not1_b32 exec_lo, exec_lo, s11
	s_cbranch_execnz .LBB96_30
; %bb.31:                               ;   in Loop: Header=BB96_11 Depth=1
	s_or_b32 exec_lo, exec_lo, s11
	v_dual_mov_b32 v2, v6 :: v_dual_mov_b32 v3, v7
.LBB96_32:                              ;   in Loop: Header=BB96_11 Depth=1
	s_wait_alu 0xfffe
	s_or_b32 exec_lo, exec_lo, s8
	v_lshlrev_b32_e32 v6, 3, v8
	s_wait_loadcnt 0x0
	ds_store_b64 v6, v[2:3]
.LBB96_33:                              ;   in Loop: Header=BB96_11 Depth=1
	s_wait_alu 0xfffe
	s_or_b32 exec_lo, exec_lo, s7
	s_wait_loadcnt_dscnt 0x0
	s_barrier_signal -1
	s_barrier_wait -1
	global_inv scope:SCOPE_SE
	s_and_saveexec_b32 s7, s2
; %bb.34:                               ;   in Loop: Header=BB96_11 Depth=1
	v_mov_b32_e32 v2, s28
	ds_store_b32 v12, v2 offset:4104
; %bb.35:                               ;   in Loop: Header=BB96_11 Depth=1
	s_wait_alu 0xfffe
	s_or_b32 exec_lo, exec_lo, s7
	s_mov_b32 s7, -1
	s_wait_loadcnt_dscnt 0x0
	s_barrier_signal -1
	s_barrier_wait -1
.LBB96_36:                              ;   in Loop: Header=BB96_11 Depth=1
	s_wait_alu 0xfffe
	s_and_b32 vcc_lo, exec_lo, s7
	s_mov_b32 s40, 0
	s_wait_alu 0xfffe
	s_cbranch_vccz .LBB96_38
; %bb.37:                               ;   in Loop: Header=BB96_11 Depth=1
	s_wait_loadcnt 0x0
	global_inv scope:SCOPE_SE
	ds_load_b32 v2, v12 offset:4104
	s_wait_dscnt 0x0
	v_readfirstlane_b32 s40, v2
.LBB96_38:                              ;   in Loop: Header=BB96_11 Depth=1
	s_delay_alu instid0(VALU_DEP_1)
	s_cmp_lt_i32 s40, 1
	s_mov_b32 s7, -1
                                        ; implicit-def: $vgpr6
	s_cbranch_scc1 .LBB96_48
; %bb.39:                               ;   in Loop: Header=BB96_11 Depth=1
	s_wait_alu 0xfffe
	s_and_b32 vcc_lo, exec_lo, s7
	s_wait_alu 0xfffe
	s_cbranch_vccnz .LBB96_59
.LBB96_40:                              ;   in Loop: Header=BB96_11 Depth=1
	v_lshlrev_b32_e32 v2, 7, v39
	s_and_saveexec_b32 s7, s3
.LBB96_41:                              ;   in Loop: Header=BB96_11 Depth=1
	s_delay_alu instid0(VALU_DEP_1)
	v_lshl_add_u32 v3, v2, 2, v32
	ds_store_b128 v3, v[6:9]
.LBB96_42:                              ;   in Loop: Header=BB96_11 Depth=1
	s_wait_alu 0xfffe
	s_or_b32 exec_lo, exec_lo, s7
	s_wait_loadcnt_dscnt 0x0
	s_barrier_signal -1
	s_barrier_wait -1
	global_inv scope:SCOPE_SE
	s_and_saveexec_b32 s7, s48
	s_cbranch_execz .LBB96_72
; %bb.43:                               ;   in Loop: Header=BB96_11 Depth=1
	v_mov_b32_e32 v3, 0
	s_and_not1_b32 vcc_lo, exec_lo, s53
	s_wait_alu 0xfffe
	s_cbranch_vccnz .LBB96_71
; %bb.44:                               ;   in Loop: Header=BB96_11 Depth=1
	s_and_not1_b32 vcc_lo, exec_lo, s55
	s_wait_alu 0xfffe
	s_cbranch_vccnz .LBB96_68
; %bb.45:                               ;   in Loop: Header=BB96_11 Depth=1
	v_lshl_add_u32 v6, v39, 9, v38
	v_mov_b32_e32 v3, 0
	s_mov_b32 s8, 0
.LBB96_46:                              ;   Parent Loop BB96_11 Depth=1
                                        ; =>  This Inner Loop Header: Depth=2
	ds_load_2addr_b32 v[7:8], v6 offset1:4
	ds_load_2addr_b32 v[22:23], v6 offset0:8 offset1:12
	ds_load_2addr_b32 v[24:25], v6 offset0:16 offset1:20
	;; [unrolled: 1-line block ×3, first 2 shown]
	v_add_nc_u32_e32 v6, 0x80, v6
	s_wait_alu 0xfffe
	s_add_co_i32 s8, s8, 8
	s_wait_alu 0xfffe
	s_cmp_eq_u32 s56, s8
	s_wait_dscnt 0x3
	v_add3_u32 v3, v7, v3, v8
	s_wait_dscnt 0x2
	s_delay_alu instid0(VALU_DEP_1) | instskip(SKIP_1) | instid1(VALU_DEP_1)
	v_add3_u32 v3, v22, v3, v23
	s_wait_dscnt 0x1
	v_add3_u32 v3, v24, v3, v25
	s_wait_dscnt 0x0
	s_delay_alu instid0(VALU_DEP_1)
	v_add3_u32 v3, v41, v3, v42
	s_cbranch_scc0 .LBB96_46
; %bb.47:                               ;   in Loop: Header=BB96_11 Depth=1
	s_mov_b32 s8, s56
	s_and_not1_b32 vcc_lo, exec_lo, s57
	s_wait_alu 0xfffe
	s_cbranch_vccz .LBB96_69
	s_branch .LBB96_71
.LBB96_48:                              ;   in Loop: Header=BB96_11 Depth=1
	v_dual_mov_b32 v6, 0 :: v_dual_mov_b32 v7, 0
	v_dual_mov_b32 v8, 0 :: v_dual_mov_b32 v9, 0
	s_and_saveexec_b32 s21, s4
	s_cbranch_execz .LBB96_52
; %bb.49:                               ;   in Loop: Header=BB96_11 Depth=1
	v_mov_b32_e32 v2, v27
	s_mov_b32 s22, 0
	s_mov_b32 s23, 0
	;; [unrolled: 1-line block ×6, first 2 shown]
.LBB96_50:                              ;   Parent Loop BB96_11 Depth=1
                                        ; =>  This Inner Loop Header: Depth=2
	s_wait_alu 0xfffe
	v_dual_mov_b32 v42, v12 :: v_dual_add_nc_u32 v11, s23, v35
	v_mov_b32_e32 v44, v12
	v_mov_b32_e32 v46, v12
	s_delay_alu instid0(VALU_DEP_3) | instskip(SKIP_1) | instid1(VALU_DEP_1)
	v_lshlrev_b64_e32 v[6:7], 3, v[11:12]
	v_add_nc_u32_e32 v11, s23, v17
	v_lshlrev_b64_e32 v[8:9], 3, v[11:12]
	v_add_nc_u32_e32 v11, s23, v33
	s_delay_alu instid0(VALU_DEP_4) | instskip(SKIP_2) | instid1(VALU_DEP_3)
	v_add_co_u32 v6, vcc_lo, s36, v6
	s_wait_alu 0xfffd
	v_add_co_ci_u32_e64 v7, null, s37, v7, vcc_lo
	v_lshlrev_b64_e32 v[22:23], 3, v[11:12]
	v_add_co_u32 v8, vcc_lo, s36, v8
	global_load_b64 v[6:7], v[6:7], off
	v_add_nc_u32_e32 v11, s23, v34
	s_wait_alu 0xfffd
	v_add_co_ci_u32_e64 v9, null, s37, v9, vcc_lo
	v_add_co_u32 v22, vcc_lo, s36, v22
	s_wait_alu 0xfffd
	v_add_co_ci_u32_e64 v23, null, s37, v23, vcc_lo
	v_lshlrev_b64_e32 v[24:25], 3, v[11:12]
	s_clause 0x1
	global_load_b64 v[8:9], v[8:9], off
	global_load_b64 v[22:23], v[22:23], off
	s_add_co_i32 s23, s23, s60
	v_add_co_u32 v24, vcc_lo, s36, v24
	s_wait_alu 0xfffd
	v_add_co_ci_u32_e64 v25, null, s37, v25, vcc_lo
	global_load_b64 v[24:25], v[24:25], off
	s_wait_loadcnt 0x3
	v_xor_b32_e32 v7, 0x80000000, v7
	v_and_b32_e32 v47, v6, v20
	s_delay_alu instid0(VALU_DEP_2)
	v_and_b32_e32 v48, v7, v21
	v_lshrrev_b64 v[6:7], s70, v[6:7]
	s_wait_loadcnt 0x2
	v_xor_b32_e32 v9, 0x80000000, v9
	s_wait_loadcnt 0x1
	v_xor_b32_e32 v23, 0x80000000, v23
	v_cmp_eq_u64_e64 s7, v[47:48], v[18:19]
	v_and_b32_e32 v11, 3, v6
	v_and_b32_e32 v49, v8, v20
	v_lshrrev_b64 v[47:48], s70, v[8:9]
	v_and_b32_e32 v7, v22, v20
	v_and_b32_e32 v8, v23, v21
	v_cmp_eq_u64_e64 s9, 0, v[11:12]
	v_lshrrev_b64 v[22:23], s70, v[22:23]
	v_and_b32_e32 v50, v9, v21
	v_and_b32_e32 v41, 3, v47
	v_cmp_eq_u64_e64 s10, 1, v[11:12]
	s_wait_loadcnt 0x0
	v_xor_b32_e32 v25, 0x80000000, v25
	v_cmp_eq_u64_e64 s11, 2, v[11:12]
	v_cmp_eq_u64_e64 s12, 3, v[11:12]
	s_and_b32 s9, s7, s9
	v_cmp_eq_u64_e64 s8, v[49:50], v[18:19]
	v_and_b32_e32 v43, 3, v22
	v_cmp_eq_u64_e64 s14, 0, v[41:42]
	v_cmp_eq_u64_e64 s15, 1, v[41:42]
	;; [unrolled: 1-line block ×3, first 2 shown]
	v_lshrrev_b64 v[8:9], s70, v[24:25]
	s_wait_alu 0xfffe
	v_cndmask_b32_e64 v3, 0, 1, s9
	s_and_b32 s9, s7, s10
	v_and_b32_e32 v6, v24, v20
	v_and_b32_e32 v7, v25, v21
	v_cmp_eq_u64_e64 s16, 2, v[41:42]
	s_wait_alu 0xfffe
	v_cndmask_b32_e64 v9, 0, 1, s9
	s_and_b32 s9, s7, s11
	v_cmp_eq_u64_e64 s17, 3, v[41:42]
	s_and_b32 s7, s7, s12
	s_wait_alu 0xfffe
	v_cndmask_b32_e64 v11, 0, 1, s9
	v_cmp_eq_u64_e64 s9, 0, v[43:44]
	v_cndmask_b32_e64 v22, 0, 1, s7
	s_and_b32 s14, s8, s14
	s_and_b32 s15, s8, s15
	v_and_b32_e32 v45, 3, v8
	v_cmp_eq_u64_e64 s10, 1, v[43:44]
	v_cmp_eq_u64_e64 s7, v[6:7], v[18:19]
	v_cmp_ne_u32_e64 s18, 0, v3
	s_wait_alu 0xfffe
	v_cndmask_b32_e64 v3, 0, 1, s14
	v_cndmask_b32_e64 v6, 0, 1, s15
	s_and_b32 s16, s8, s16
	v_cmp_eq_u64_e64 s11, 2, v[43:44]
	s_and_b32 s8, s8, s17
	s_wait_alu 0xfffe
	v_cndmask_b32_e64 v7, 0, 1, s16
	v_cmp_ne_u32_e64 s16, 0, v22
	s_and_b32 s9, s13, s9
	v_cmp_eq_u64_e64 s12, 3, v[43:44]
	v_cndmask_b32_e64 v8, 0, 1, s8
	v_cmp_eq_u64_e64 s8, 0, v[45:46]
	v_cmp_eq_u64_e64 s17, 1, v[45:46]
	s_bcnt1_i32_b32 s72, s18
	v_cmp_ne_u32_e64 s18, 0, v3
	s_wait_alu 0xfffe
	v_cndmask_b32_e64 v3, 0, 1, s9
	v_cmp_ne_u32_e64 s9, 0, v6
	s_and_b32 s10, s13, s10
	s_and_b32 s11, s13, s11
	s_wait_alu 0xfffe
	v_cndmask_b32_e64 v6, 0, 1, s10
	s_bcnt1_i32_b32 s16, s16
	v_cmp_eq_u64_e64 s19, 2, v[45:46]
	v_cmp_eq_u64_e64 s20, 3, v[45:46]
	v_cmp_ne_u32_e64 s10, 0, v7
	v_cndmask_b32_e64 v7, 0, 1, s11
	v_cmp_ne_u32_e64 s11, 0, v8
	s_and_b32 s12, s13, s12
	s_wait_alu 0xfffe
	s_add_co_i32 s16, s16, s24
	s_and_b32 s8, s7, s8
	s_bcnt1_i32_b32 s24, s9
	s_and_b32 s9, s7, s17
	v_cmp_ne_u32_e64 s14, 0, v9
	v_cndmask_b32_e64 v8, 0, 1, s12
	v_cmp_ne_u32_e64 s12, 0, v3
	s_wait_alu 0xfffe
	v_cndmask_b32_e64 v3, 0, 1, s8
	v_cmp_ne_u32_e64 s8, 0, v6
	v_cndmask_b32_e64 v6, 0, 1, s9
	v_cmp_ne_u32_e64 s15, 0, v11
	s_bcnt1_i32_b32 s17, s10
	s_and_b32 s10, s7, s19
	s_bcnt1_i32_b32 s11, s11
	s_and_b32 s7, s7, s20
	s_bcnt1_i32_b32 s14, s14
	v_cmp_ne_u32_e64 s9, 0, v7
	s_wait_alu 0xfffe
	v_cndmask_b32_e64 v7, 0, 1, s10
	v_cmp_ne_u32_e64 s10, 0, v8
	v_cndmask_b32_e64 v8, 0, 1, s7
	s_add_co_i32 s11, s16, s11
	s_bcnt1_i32_b32 s16, s8
	v_cmp_ne_u32_e64 s8, 0, v6
	s_bcnt1_i32_b32 s15, s15
	s_add_co_i32 s13, s72, s71
	s_add_co_i32 s14, s14, s26
	s_bcnt1_i32_b32 s18, s18
	s_wait_alu 0xfffe
	s_add_co_i32 s15, s15, s25
	s_add_co_i32 s13, s13, s18
	s_add_co_i32 s14, s14, s24
	s_bcnt1_i32_b32 s12, s12
	s_wait_alu 0xfffe
	s_add_co_i32 s15, s15, s17
	v_cmp_ne_u32_e64 s7, 0, v3
	s_bcnt1_i32_b32 s17, s9
	v_cmp_ne_u32_e64 s9, 0, v7
	s_bcnt1_i32_b32 s18, s10
	v_cmp_ne_u32_e64 s10, 0, v8
	s_add_co_i32 s12, s13, s12
	s_add_co_i32 s13, s14, s16
	s_bcnt1_i32_b32 s8, s8
	s_wait_alu 0xfffe
	s_add_co_i32 s14, s15, s17
	s_add_co_i32 s26, s13, s8
	s_wait_alu 0xfffe
	v_dual_mov_b32 v7, s26 :: v_dual_add_nc_u32 v2, s49, v2
	s_add_co_i32 s11, s11, s18
	s_bcnt1_i32_b32 s7, s7
	s_bcnt1_i32_b32 s9, s9
	;; [unrolled: 1-line block ×3, first 2 shown]
	v_cmp_le_u32_e32 vcc_lo, s58, v2
	s_wait_alu 0xfffe
	s_add_co_i32 s71, s12, s7
	s_add_co_i32 s25, s14, s9
	;; [unrolled: 1-line block ×3, first 2 shown]
	s_wait_alu 0xfffe
	v_mov_b32_e32 v6, s71
	v_dual_mov_b32 v8, s25 :: v_dual_mov_b32 v9, s24
	s_or_b32 s22, vcc_lo, s22
	s_wait_alu 0xfffe
	s_and_not1_b32 exec_lo, exec_lo, s22
	s_cbranch_execnz .LBB96_50
; %bb.51:                               ;   in Loop: Header=BB96_11 Depth=1
	s_or_b32 exec_lo, exec_lo, s22
.LBB96_52:                              ;   in Loop: Header=BB96_11 Depth=1
	s_wait_alu 0xfffe
	s_or_b32 exec_lo, exec_lo, s21
	s_and_saveexec_b32 s11, s5
	s_cbranch_execz .LBB96_58
; %bb.53:                               ;   in Loop: Header=BB96_11 Depth=1
	global_load_b64 v[24:25], v[15:16], off
	v_dual_mov_b32 v2, v36 :: v_dual_mov_b32 v41, v31
	s_mov_b32 s12, 0
	s_branch .LBB96_55
.LBB96_54:                              ;   in Loop: Header=BB96_55 Depth=2
	s_wait_alu 0xfffe
	s_or_b32 exec_lo, exec_lo, s8
	s_wait_loadcnt 0x0
	v_xor_b32_e32 v25, 0x80000000, v25
	s_and_b32 s9, exec_lo, vcc_lo
	v_add_nc_u32_e32 v2, s51, v2
	s_wait_alu 0xfffe
	s_or_b32 s12, s9, s12
	v_lshrrev_b64 v[42:43], s70, v[24:25]
	v_and_b32_e32 v24, v24, v20
	v_and_b32_e32 v25, v25, v21
	s_delay_alu instid0(VALU_DEP_3) | instskip(NEXT) | instid1(VALU_DEP_2)
	v_and_b32_e32 v11, 3, v42
	v_cmp_eq_u64_e64 s7, v[24:25], v[18:19]
	s_delay_alu instid0(VALU_DEP_2)
	v_cmp_eq_u64_e64 s8, 0, v[11:12]
	v_cmp_eq_u64_e32 vcc_lo, 1, v[11:12]
	v_cmp_eq_u64_e64 s9, 2, v[11:12]
	v_cmp_eq_u64_e64 s10, 3, v[11:12]
	s_and_b32 s8, s7, s8
	s_wait_alu 0xfffe
	v_cndmask_b32_e64 v3, 0, 1, s8
	s_and_b32 s8, s7, vcc_lo
	s_wait_alu 0xfffe
	v_cndmask_b32_e64 v11, 0, 1, s8
	s_and_b32 s8, s7, s9
	s_and_b32 s7, s7, s10
	s_wait_alu 0xfffe
	v_cndmask_b32_e64 v24, 0, 1, s8
	v_cndmask_b32_e64 v25, 0, 1, s7
	v_cmp_ne_u32_e32 vcc_lo, 0, v3
	v_cmp_ne_u32_e64 s7, 0, v11
	s_delay_alu instid0(VALU_DEP_4) | instskip(NEXT) | instid1(VALU_DEP_4)
	v_cmp_ne_u32_e64 s8, 0, v24
	v_cmp_ne_u32_e64 s9, 0, v25
	s_bcnt1_i32_b32 s10, vcc_lo
	s_bcnt1_i32_b32 s7, s7
	v_mov_b32_e32 v25, v23
	s_bcnt1_i32_b32 s8, s8
	s_bcnt1_i32_b32 s9, s9
	s_wait_alu 0xfffe
	v_add_nc_u32_e32 v6, s10, v6
	v_add_nc_u32_e32 v7, s7, v7
	;; [unrolled: 1-line block ×3, first 2 shown]
	v_dual_mov_b32 v24, v22 :: v_dual_add_nc_u32 v9, s9, v9
	s_and_not1_b32 exec_lo, exec_lo, s12
	s_cbranch_execz .LBB96_57
.LBB96_55:                              ;   Parent Loop BB96_11 Depth=1
                                        ; =>  This Inner Loop Header: Depth=2
	s_delay_alu instid0(VALU_DEP_1) | instskip(SKIP_2) | instid1(VALU_DEP_2)
	v_dual_mov_b32 v22, 0 :: v_dual_add_nc_u32 v41, s31, v41
	v_mov_b32_e32 v23, 0
	s_mov_b32 s8, exec_lo
	v_cmp_le_u32_e32 vcc_lo, s28, v41
	v_cmpx_gt_u32_e64 s28, v41
	s_cbranch_execz .LBB96_54
; %bb.56:                               ;   in Loop: Header=BB96_55 Depth=2
	v_mov_b32_e32 v3, v12
	s_delay_alu instid0(VALU_DEP_1) | instskip(NEXT) | instid1(VALU_DEP_1)
	v_lshlrev_b64_e32 v[22:23], 3, v[2:3]
	v_add_co_u32 v22, s7, s36, v22
	s_wait_alu 0xf1fe
	s_delay_alu instid0(VALU_DEP_2)
	v_add_co_ci_u32_e64 v23, null, s37, v23, s7
	global_load_b64 v[22:23], v[22:23], off
	s_branch .LBB96_54
.LBB96_57:                              ;   in Loop: Header=BB96_11 Depth=1
	s_or_b32 exec_lo, exec_lo, s12
.LBB96_58:                              ;   in Loop: Header=BB96_11 Depth=1
	s_wait_alu 0xfffe
	s_or_b32 exec_lo, exec_lo, s11
	s_branch .LBB96_40
.LBB96_59:                              ;   in Loop: Header=BB96_11 Depth=1
	s_mul_u64 s[8:9], s[40:41], s[42:43]
	v_dual_mov_b32 v6, 0 :: v_dual_mov_b32 v7, 0
	s_wait_alu 0xfffe
	s_mul_i32 s7, s9, s49
	v_dual_mov_b32 v8, 0 :: v_dual_mov_b32 v9, 0
	s_wait_alu 0xfffe
	s_sub_co_i32 s7, s40, s7
	s_mov_b32 s72, exec_lo
	s_wait_alu 0xfffe
	s_sub_co_i32 s8, s7, s49
	s_cmp_ge_u32 s7, s49
	s_wait_alu 0xfffe
	s_cselect_b32 s7, s8, s7
	s_wait_alu 0xfffe
	s_sub_co_i32 s8, s7, s49
	s_cmp_ge_u32 s7, s49
	s_wait_alu 0xfffe
	s_cselect_b32 s7, s8, s7
	s_wait_alu 0xfffe
	s_sub_co_i32 s71, s40, s7
	s_wait_alu 0xfffe
	v_cmpx_gt_u32_e64 s71, v27
	s_cbranch_execz .LBB96_63
; %bb.60:                               ;   in Loop: Header=BB96_11 Depth=1
	v_dual_mov_b32 v2, v37 :: v_dual_mov_b32 v3, v27
	s_mov_b32 s73, 0
	s_mov_b32 s74, 0
	;; [unrolled: 1-line block ×5, first 2 shown]
.LBB96_61:                              ;   Parent Loop BB96_11 Depth=1
                                        ; =>  This Inner Loop Header: Depth=2
	ds_load_b128 v[6:9], v2
	ds_load_b128 v[22:25], v2 offset:16
	v_mov_b32_e32 v44, v12
	v_dual_mov_b32 v46, v12 :: v_dual_add_nc_u32 v3, s49, v3
	v_mov_b32_e32 v42, v12
	s_delay_alu instid0(VALU_DEP_2)
	v_cmp_le_u32_e32 vcc_lo, s71, v3
	s_wait_dscnt 0x1
	v_xor_b32_e32 v7, 0x80000000, v7
	v_xor_b32_e32 v9, 0x80000000, v9
	s_wait_dscnt 0x0
	v_xor_b32_e32 v23, 0x80000000, v23
	v_and_b32_e32 v47, v6, v20
	v_xor_b32_e32 v25, 0x80000000, v25
	v_and_b32_e32 v48, v7, v21
	v_lshrrev_b64 v[6:7], s70, v[6:7]
	v_and_b32_e32 v49, v8, v20
	v_lshrrev_b64 v[7:8], s70, v[8:9]
	;; [unrolled: 2-line block ×3, first 2 shown]
	v_and_b32_e32 v51, v22, v20
	v_and_b32_e32 v52, v23, v21
	v_lshrrev_b64 v[22:23], s70, v[24:25]
	v_and_b32_e32 v11, 3, v6
	v_and_b32_e32 v41, 3, v7
	;; [unrolled: 1-line block ×3, first 2 shown]
	v_cmp_eq_u64_e64 s7, v[47:48], v[18:19]
	v_and_b32_e32 v53, v24, v20
	v_cmp_eq_u64_e64 s11, 0, v[11:12]
	v_and_b32_e32 v54, v25, v21
	v_and_b32_e32 v45, 3, v22
	v_cmp_eq_u64_e64 s8, v[49:50], v[18:19]
	v_cmp_eq_u64_e64 s12, 0, v[41:42]
	;; [unrolled: 1-line block ×6, first 2 shown]
	s_and_b32 s11, s7, s11
	v_cmp_eq_u64_e64 s15, 1, v[11:12]
	s_wait_alu 0xfffe
	v_cndmask_b32_e64 v6, 0, 1, s11
	s_and_b32 s11, s8, s12
	v_cmp_eq_u64_e64 s16, 1, v[41:42]
	s_wait_alu 0xfffe
	v_cndmask_b32_e64 v7, 0, 1, s11
	;; [unrolled: 4-line block ×4, first 2 shown]
	s_and_b32 s11, s7, s15
	v_cmp_eq_u64_e64 s19, 2, v[11:12]
	v_cmp_eq_u64_e64 s23, 3, v[11:12]
	s_wait_alu 0xfffe
	v_cndmask_b32_e64 v11, 0, 1, s11
	s_and_b32 s11, s8, s16
	v_cmp_eq_u64_e64 s20, 2, v[41:42]
	v_cmp_eq_u64_e64 s24, 3, v[41:42]
	s_wait_alu 0xfffe
	v_cndmask_b32_e64 v22, 0, 1, s11
	s_and_b32 s11, s9, s17
	v_cmp_eq_u64_e64 s21, 2, v[43:44]
	v_cmp_eq_u64_e64 s25, 3, v[43:44]
	s_wait_alu 0xfffe
	v_cndmask_b32_e64 v23, 0, 1, s11
	s_and_b32 s11, s10, s18
	v_cmp_eq_u64_e64 s22, 2, v[45:46]
	v_cmp_eq_u64_e64 s26, 3, v[45:46]
	s_wait_alu 0xfffe
	v_cndmask_b32_e64 v24, 0, 1, s11
	s_and_b32 s11, s7, s19
	s_and_b32 s7, s7, s23
	s_wait_alu 0xfffe
	v_cndmask_b32_e64 v25, 0, 1, s11
	s_and_b32 s11, s8, s20
	v_cndmask_b32_e64 v44, 0, 1, s7
	s_and_b32 s7, s8, s24
	s_wait_alu 0xfffe
	v_cndmask_b32_e64 v41, 0, 1, s11
	s_and_b32 s11, s9, s21
	v_cndmask_b32_e64 v45, 0, 1, s7
	;; [unrolled: 5-line block ×3, first 2 shown]
	s_and_b32 s7, s10, s26
	s_wait_alu 0xfffe
	v_cndmask_b32_e64 v43, 0, 1, s11
	v_cndmask_b32_e64 v47, 0, 1, s7
	v_cmp_ne_u32_e64 s7, 0, v6
	v_cmp_ne_u32_e64 s11, 0, v11
	;; [unrolled: 1-line block ×12, first 2 shown]
	s_bcnt1_i32_b32 s7, s7
	s_bcnt1_i32_b32 s11, s11
	;; [unrolled: 1-line block ×4, first 2 shown]
	v_cmp_ne_u32_e64 s10, 0, v9
	v_cmp_ne_u32_e64 s14, 0, v24
	;; [unrolled: 1-line block ×4, first 2 shown]
	s_bcnt1_i32_b32 s8, s8
	s_bcnt1_i32_b32 s12, s12
	s_bcnt1_i32_b32 s16, s16
	s_bcnt1_i32_b32 s20, s20
	s_wait_alu 0xfffe
	s_add_co_i32 s7, s7, s77
	s_add_co_i32 s11, s11, s76
	s_add_co_i32 s15, s15, s75
	s_add_co_i32 s19, s19, s74
	s_bcnt1_i32_b32 s9, s9
	s_bcnt1_i32_b32 s13, s13
	s_bcnt1_i32_b32 s17, s17
	s_bcnt1_i32_b32 s21, s21
	s_wait_alu 0xfffe
	s_add_co_i32 s7, s7, s8
	s_add_co_i32 s8, s11, s12
	s_add_co_i32 s11, s15, s16
	s_add_co_i32 s12, s19, s20
	;; [unrolled: 9-line block ×3, first 2 shown]
	s_wait_alu 0xfffe
	s_add_co_i32 s77, s7, s10
	s_add_co_i32 s76, s8, s14
	;; [unrolled: 1-line block ×4, first 2 shown]
	s_wait_alu 0xfffe
	v_dual_mov_b32 v7, s76 :: v_dual_add_nc_u32 v2, s61, v2
	v_mov_b32_e32 v6, s77
	v_dual_mov_b32 v8, s75 :: v_dual_mov_b32 v9, s74
	s_or_b32 s73, vcc_lo, s73
	s_wait_alu 0xfffe
	s_and_not1_b32 exec_lo, exec_lo, s73
	s_cbranch_execnz .LBB96_61
; %bb.62:                               ;   in Loop: Header=BB96_11 Depth=1
	s_or_b32 exec_lo, exec_lo, s73
.LBB96_63:                              ;   in Loop: Header=BB96_11 Depth=1
	s_delay_alu instid0(SALU_CYCLE_1) | instskip(SKIP_2) | instid1(VALU_DEP_1)
	s_or_b32 exec_lo, exec_lo, s72
	v_add_nc_u32_e32 v2, s71, v0
	s_mov_b32 s12, exec_lo
	v_cmpx_gt_u32_e64 s40, v2
	s_cbranch_execz .LBB96_67
; %bb.64:                               ;   in Loop: Header=BB96_11 Depth=1
	v_lshlrev_b32_e32 v3, 3, v2
	s_mov_b32 s13, 0
.LBB96_65:                              ;   Parent Loop BB96_11 Depth=1
                                        ; =>  This Inner Loop Header: Depth=2
	ds_load_b64 v[22:23], v3
	v_add_nc_u32_e32 v2, s31, v2
	v_add_nc_u32_e32 v3, s62, v3
	s_delay_alu instid0(VALU_DEP_2) | instskip(SKIP_3) | instid1(VALU_DEP_2)
	v_cmp_le_u32_e32 vcc_lo, s40, v2
	s_wait_dscnt 0x0
	v_xor_b32_e32 v23, 0x80000000, v23
	v_and_b32_e32 v24, v22, v20
	v_and_b32_e32 v25, v23, v21
	v_lshrrev_b64 v[22:23], s70, v[22:23]
	s_delay_alu instid0(VALU_DEP_2) | instskip(NEXT) | instid1(VALU_DEP_2)
	v_cmp_eq_u64_e64 s7, v[24:25], v[18:19]
	v_and_b32_e32 v11, 3, v22
	s_delay_alu instid0(VALU_DEP_1)
	v_cmp_eq_u64_e64 s8, 0, v[11:12]
	v_cmp_eq_u64_e64 s9, 1, v[11:12]
	;; [unrolled: 1-line block ×4, first 2 shown]
	s_and_b32 s8, s7, s8
	s_wait_alu 0xfffe
	v_cndmask_b32_e64 v11, 0, 1, s8
	s_and_b32 s8, s7, s9
	s_wait_alu 0xfffe
	v_cndmask_b32_e64 v22, 0, 1, s8
	s_and_b32 s8, s7, s10
	s_and_b32 s7, s7, s11
	s_wait_alu 0xfffe
	v_cndmask_b32_e64 v23, 0, 1, s8
	v_cndmask_b32_e64 v24, 0, 1, s7
	v_cmp_ne_u32_e64 s7, 0, v11
	v_cmp_ne_u32_e64 s8, 0, v22
	s_delay_alu instid0(VALU_DEP_4) | instskip(NEXT) | instid1(VALU_DEP_4)
	v_cmp_ne_u32_e64 s9, 0, v23
	v_cmp_ne_u32_e64 s10, 0, v24
	s_bcnt1_i32_b32 s7, s7
	s_bcnt1_i32_b32 s8, s8
	s_wait_alu 0xfffe
	v_add_nc_u32_e32 v6, s7, v6
	s_bcnt1_i32_b32 s9, s9
	s_bcnt1_i32_b32 s10, s10
	v_add_nc_u32_e32 v7, s8, v7
	s_wait_alu 0xfffe
	v_add_nc_u32_e32 v8, s9, v8
	v_add_nc_u32_e32 v9, s10, v9
	s_or_b32 s13, vcc_lo, s13
	s_wait_alu 0xfffe
	s_and_not1_b32 exec_lo, exec_lo, s13
	s_cbranch_execnz .LBB96_65
; %bb.66:                               ;   in Loop: Header=BB96_11 Depth=1
	s_or_b32 exec_lo, exec_lo, s13
.LBB96_67:                              ;   in Loop: Header=BB96_11 Depth=1
	s_wait_alu 0xfffe
	s_or_b32 exec_lo, exec_lo, s12
	v_lshlrev_b32_e32 v2, 7, v39
	s_and_saveexec_b32 s7, s3
	s_cbranch_execnz .LBB96_41
	s_branch .LBB96_42
.LBB96_68:                              ;   in Loop: Header=BB96_11 Depth=1
	v_mov_b32_e32 v3, 0
	s_mov_b32 s8, 0
	s_and_not1_b32 vcc_lo, exec_lo, s57
	s_wait_alu 0xfffe
	s_cbranch_vccnz .LBB96_71
.LBB96_69:                              ;   in Loop: Header=BB96_11 Depth=1
	v_lshlrev_b32_e32 v6, 9, v39
	s_lshl_b32 s8, s8, 4
	s_wait_alu 0xfffe
	s_delay_alu instid0(VALU_DEP_1)
	v_add3_u32 v6, v6, s8, v38
	s_mov_b32 s8, s54
.LBB96_70:                              ;   Parent Loop BB96_11 Depth=1
                                        ; =>  This Inner Loop Header: Depth=2
	ds_load_b32 v7, v6
	v_add_nc_u32_e32 v6, 16, v6
	s_wait_alu 0xfffe
	s_add_co_i32 s8, s8, -1
	s_wait_alu 0xfffe
	s_cmp_lg_u32 s8, 0
	s_wait_dscnt 0x0
	v_add_nc_u32_e32 v3, v7, v3
	s_cbranch_scc1 .LBB96_70
.LBB96_71:                              ;   in Loop: Header=BB96_11 Depth=1
	v_add_lshl_u32 v6, v2, v26, 2
	ds_store_b32 v6, v3 offset:3072
.LBB96_72:                              ;   in Loop: Header=BB96_11 Depth=1
	s_wait_alu 0xfffe
	s_or_b32 exec_lo, exec_lo, s7
	v_lshlrev_b32_e32 v2, 2, v2
	s_wait_loadcnt_dscnt 0x0
	s_barrier_signal -1
	s_barrier_wait -1
	global_inv scope:SCOPE_SE
	ds_load_b128 v[6:9], v2 offset:3072
	s_lshl_b64 s[8:9], 3, s70
	v_cmp_eq_u32_e32 vcc_lo, 1, v40
	s_wait_alu 0xfffe
	s_not_b64 s[10:11], s[8:9]
	s_mov_b32 s14, -1
	s_mov_b32 s21, -1
                                        ; implicit-def: $sgpr18
                                        ; implicit-def: $sgpr16
	s_wait_dscnt 0x0
	v_readfirstlane_b32 s13, v6
	v_readfirstlane_b32 s19, v7
	;; [unrolled: 1-line block ×4, first 2 shown]
	s_cmp_eq_u32 s13, 1
	s_cselect_b32 s12, -1, 0
	s_wait_alu 0xfffe
	s_and_b32 s15, s12, vcc_lo
	s_wait_alu 0xfffe
	s_and_saveexec_b32 s12, s15
	s_cbranch_execz .LBB96_98
; %bb.73:                               ;   in Loop: Header=BB96_11 Depth=1
	ds_load_b32 v2, v12 offset:4104
	s_wait_loadcnt_dscnt 0x0
	s_barrier_signal -1
	s_barrier_wait -1
	global_inv scope:SCOPE_SE
	v_readfirstlane_b32 s21, v2
	s_and_saveexec_b32 s16, s1
; %bb.74:                               ;   in Loop: Header=BB96_11 Depth=1
	v_mov_b32_e32 v11, v12
	ds_store_b64 v29, v[11:12]
; %bb.75:                               ;   in Loop: Header=BB96_11 Depth=1
	s_wait_alu 0xfffe
	s_or_b32 exec_lo, exec_lo, s16
	v_and_b32_e32 v19, s11, v19
	v_and_b32_e32 v18, s10, v18
	v_or_b32_e32 v21, s9, v21
	v_or_b32_e32 v20, s8, v20
	s_mov_b32 s16, -1
	s_mov_b32 s18, 0
	s_cmp_eq_u32 s21, 0
	s_mov_b32 s20, 0
	s_mov_b32 s22, -1
	s_wait_loadcnt_dscnt 0x0
	s_barrier_signal -1
	s_barrier_wait -1
	global_inv scope:SCOPE_SE
                                        ; implicit-def: $vgpr4_vgpr5
	s_cbranch_scc1 .LBB96_86
; %bb.76:                               ;   in Loop: Header=BB96_11 Depth=1
	s_add_co_i32 s40, s21, s50
                                        ; implicit-def: $vgpr4_vgpr5
	s_wait_alu 0xfffe
	s_mul_u64 s[22:23], s[40:41], s[44:45]
	s_wait_alu 0xfffe
	s_mul_i32 s20, s23, s31
	s_mov_b32 s23, exec_lo
	s_wait_alu 0xfffe
	s_sub_co_i32 s20, s40, s20
	s_wait_alu 0xfffe
	s_sub_co_i32 s22, s20, s31
	s_cmp_ge_u32 s20, s31
	s_wait_alu 0xfffe
	s_cselect_b32 s20, s22, s20
	s_wait_alu 0xfffe
	s_sub_co_i32 s22, s20, s31
	s_cmp_ge_u32 s20, s31
	s_wait_alu 0xfffe
	s_cselect_b32 s20, s22, s20
	s_mov_b32 s22, 0
	s_wait_alu 0xfffe
	s_sub_co_i32 s24, s40, s20
	s_mov_b32 s20, 0
	s_wait_alu 0xfffe
	v_cmpx_gt_u32_e64 s24, v0
	s_cbranch_execz .LBB96_85
; %bb.77:                               ;   in Loop: Header=BB96_11 Depth=1
	v_dual_mov_b32 v6, v28 :: v_dual_mov_b32 v7, v0
                                        ; implicit-def: $sgpr25
	s_branch .LBB96_80
.LBB96_78:                              ;   in Loop: Header=BB96_80 Depth=2
	s_wait_alu 0xfffe
	s_or_b32 exec_lo, exec_lo, s26
	s_wait_loadcnt_dscnt 0x0
	s_barrier_signal -1
	s_barrier_wait -1
	global_inv scope:SCOPE_SE
	ds_load_b128 v[2:5], v12 offset:3072
	s_mov_b32 s26, -1
	s_mov_b32 s40, -1
	s_wait_loadcnt_dscnt 0x0
	s_barrier_signal -1
	s_barrier_wait -1
	global_inv scope:SCOPE_SE
	v_cmp_ne_u64_e32 vcc_lo, 0, v[2:3]
	s_cbranch_vccz .LBB96_83
.LBB96_79:                              ;   in Loop: Header=BB96_80 Depth=2
	s_wait_alu 0xfffe
	s_and_b32 s26, exec_lo, s26
	s_wait_alu 0xfffe
	s_or_b32 s20, s26, s20
	s_and_not1_b32 s25, s25, exec_lo
	s_and_b32 s26, s40, exec_lo
	s_wait_alu 0xfffe
	s_or_b32 s25, s25, s26
	s_and_not1_b32 exec_lo, exec_lo, s20
	s_cbranch_execz .LBB96_84
.LBB96_80:                              ;   Parent Loop BB96_11 Depth=1
                                        ; =>  This Inner Loop Header: Depth=2
	s_mov_b32 s26, exec_lo
	s_delay_alu instid0(VALU_DEP_1)
	v_cmpx_gt_u32_e64 s21, v7
	s_cbranch_execz .LBB96_78
; %bb.81:                               ;   in Loop: Header=BB96_80 Depth=2
	ds_load_b64 v[3:4], v6
	s_wait_dscnt 0x0
	v_xor_b32_e32 v2, 0x80000000, v4
	v_and_b32_e32 v8, v3, v20
	s_delay_alu instid0(VALU_DEP_2) | instskip(NEXT) | instid1(VALU_DEP_1)
	v_and_b32_e32 v9, v2, v21
	v_cmp_eq_u64_e32 vcc_lo, v[8:9], v[18:19]
	s_and_b32 exec_lo, exec_lo, vcc_lo
	s_cbranch_execz .LBB96_78
; %bb.82:                               ;   in Loop: Header=BB96_80 Depth=2
	v_mov_b32_e32 v2, v12
	ds_store_b128 v12, v[1:4] offset:3072
	s_branch .LBB96_78
.LBB96_83:                              ;   in Loop: Header=BB96_80 Depth=2
	v_add_nc_u32_e32 v7, s31, v7
	v_add_nc_u32_e32 v6, s62, v6
	s_mov_b32 s40, 0
	s_delay_alu instid0(VALU_DEP_2)
	v_cmp_le_u32_e32 vcc_lo, s24, v7
	s_or_not1_b32 s26, vcc_lo, exec_lo
	s_branch .LBB96_79
.LBB96_84:                              ;   in Loop: Header=BB96_11 Depth=1
	s_or_b32 exec_lo, exec_lo, s20
	s_wait_alu 0xfffe
	s_and_b32 s20, s25, exec_lo
.LBB96_85:                              ;   in Loop: Header=BB96_11 Depth=1
	s_or_b32 exec_lo, exec_lo, s23
.LBB96_86:                              ;   in Loop: Header=BB96_11 Depth=1
	s_wait_alu 0xfffe
	s_and_b32 vcc_lo, exec_lo, s22
	s_wait_alu 0xfffe
	s_cbranch_vccz .LBB96_97
; %bb.87:                               ;   in Loop: Header=BB96_11 Depth=1
                                        ; implicit-def: $vgpr4_vgpr5
	s_and_saveexec_b32 s16, s6
	s_cbranch_execz .LBB96_96
; %bb.88:                               ;   in Loop: Header=BB96_11 Depth=1
	v_dual_mov_b32 v11, v10 :: v_dual_mov_b32 v6, v0
	s_mov_b32 s21, 0
                                        ; implicit-def: $sgpr18
	s_branch .LBB96_91
.LBB96_89:                              ;   in Loop: Header=BB96_91 Depth=2
	s_wait_alu 0xfffe
	s_or_b32 exec_lo, exec_lo, s22
	s_wait_loadcnt_dscnt 0x0
	s_barrier_signal -1
	s_barrier_wait -1
	global_inv scope:SCOPE_SE
	ds_load_b128 v[2:5], v12 offset:3072
	s_mov_b32 s22, -1
	s_mov_b32 s23, -1
	s_wait_loadcnt_dscnt 0x0
	s_barrier_signal -1
	s_barrier_wait -1
	global_inv scope:SCOPE_SE
	v_cmp_ne_u64_e32 vcc_lo, 0, v[2:3]
	s_cbranch_vccz .LBB96_94
.LBB96_90:                              ;   in Loop: Header=BB96_91 Depth=2
	s_wait_alu 0xfffe
	s_and_b32 s22, exec_lo, s22
	s_wait_alu 0xfffe
	s_or_b32 s21, s22, s21
	s_and_not1_b32 s18, s18, exec_lo
	s_and_b32 s22, s23, exec_lo
	s_wait_alu 0xfffe
	s_or_b32 s18, s18, s22
	s_and_not1_b32 exec_lo, exec_lo, s21
	s_cbranch_execz .LBB96_95
.LBB96_91:                              ;   Parent Loop BB96_11 Depth=1
                                        ; =>  This Inner Loop Header: Depth=2
	s_mov_b32 s22, exec_lo
	s_delay_alu instid0(VALU_DEP_1)
	v_cmpx_gt_u32_e64 s28, v6
	s_cbranch_execz .LBB96_89
; %bb.92:                               ;   in Loop: Header=BB96_91 Depth=2
	v_lshlrev_b64_e32 v[2:3], 3, v[11:12]
	s_delay_alu instid0(VALU_DEP_1) | instskip(SKIP_1) | instid1(VALU_DEP_2)
	v_add_co_u32 v2, vcc_lo, s36, v2
	s_wait_alu 0xfffd
	v_add_co_ci_u32_e64 v3, null, s37, v3, vcc_lo
	global_load_b64 v[3:4], v[2:3], off
	s_wait_loadcnt 0x0
	v_xor_b32_e32 v2, 0x80000000, v4
	v_and_b32_e32 v7, v3, v20
	s_delay_alu instid0(VALU_DEP_2) | instskip(NEXT) | instid1(VALU_DEP_1)
	v_and_b32_e32 v8, v2, v21
	v_cmp_eq_u64_e32 vcc_lo, v[7:8], v[18:19]
	s_and_b32 exec_lo, exec_lo, vcc_lo
	s_cbranch_execz .LBB96_89
; %bb.93:                               ;   in Loop: Header=BB96_91 Depth=2
	v_mov_b32_e32 v2, v12
	ds_store_b128 v12, v[1:4] offset:3072
	s_branch .LBB96_89
.LBB96_94:                              ;   in Loop: Header=BB96_91 Depth=2
	v_add_nc_u32_e32 v6, s31, v6
	v_add_nc_u32_e32 v11, s51, v11
	s_mov_b32 s23, 0
	s_delay_alu instid0(VALU_DEP_2)
	v_cmp_le_u32_e32 vcc_lo, s59, v6
	s_or_not1_b32 s22, vcc_lo, exec_lo
	s_branch .LBB96_90
.LBB96_95:                              ;   in Loop: Header=BB96_11 Depth=1
	s_or_b32 exec_lo, exec_lo, s21
	s_delay_alu instid0(SALU_CYCLE_1)
	s_and_not1_b32 s20, s20, exec_lo
	s_wait_alu 0xfffe
	s_and_b32 s18, s18, exec_lo
	s_wait_alu 0xfffe
	s_or_b32 s20, s20, s18
.LBB96_96:                              ;   in Loop: Header=BB96_11 Depth=1
	s_wait_alu 0xfffe
	s_or_b32 exec_lo, exec_lo, s16
	s_mov_b32 s16, 0
	s_mov_b32 s18, -1
.LBB96_97:                              ;   in Loop: Header=BB96_11 Depth=1
	s_or_not1_b32 s21, s20, exec_lo
.LBB96_98:                              ;   in Loop: Header=BB96_11 Depth=1
	s_wait_alu 0xfffe
	s_or_b32 exec_lo, exec_lo, s12
	v_readfirstlane_b32 s20, v0
	s_and_not1_b32 s12, s68, exec_lo
	s_and_b32 s18, s18, exec_lo
	s_and_not1_b32 s22, s66, exec_lo
	s_and_b32 s16, s16, exec_lo
	s_and_not1_b32 s65, s65, exec_lo
	s_wait_alu 0xfffe
	s_or_b32 s68, s12, s18
	s_or_b32 s66, s22, s16
                                        ; implicit-def: $vgpr7
	s_and_saveexec_b32 s12, s21
	s_cbranch_execz .LBB96_10
; %bb.99:                               ;   in Loop: Header=BB96_11 Depth=1
	v_dual_mov_b32 v7, 1 :: v_dual_mov_b32 v6, 1
	s_xor_b32 s15, s15, -1
	s_mov_b32 s20, 0
	s_wait_alu 0xfffe
	s_and_saveexec_b32 s14, s15
	s_cbranch_execz .LBB96_108
; %bb.100:                              ;   in Loop: Header=BB96_11 Depth=1
	s_mov_b32 s15, exec_lo
	v_cmpx_ge_u32_e64 s13, v40
	s_wait_alu 0xfffe
	s_xor_b32 s15, exec_lo, s15
	s_cbranch_execz .LBB96_105
; %bb.101:                              ;   in Loop: Header=BB96_11 Depth=1
	ds_load_b32 v2, v12 offset:4104
	v_and_b32_e32 v19, s11, v19
	v_and_b32_e32 v18, s10, v18
	v_or_b32_e32 v21, s9, v21
	v_or_b32_e32 v20, s8, v20
	s_wait_dscnt 0x0
	v_cmp_ne_u32_e32 vcc_lo, 0, v2
	s_cbranch_vccnz .LBB96_105
; %bb.102:                              ;   in Loop: Header=BB96_11 Depth=1
	s_and_saveexec_b32 s16, s2
; %bb.103:                              ;   in Loop: Header=BB96_11 Depth=1
	v_mov_b32_e32 v2, s13
	ds_store_b32 v12, v2 offset:4108
; %bb.104:                              ;   in Loop: Header=BB96_11 Depth=1
	s_wait_alu 0xfffe
	s_or_b32 exec_lo, exec_lo, s16
	s_wait_loadcnt_dscnt 0x0
	s_barrier_signal -1
	s_barrier_wait -1
	global_inv scope:SCOPE_SE
.LBB96_105:                             ;   in Loop: Header=BB96_11 Depth=1
	s_wait_alu 0xfffe
	s_or_saveexec_b32 s15, s15
	v_mov_b32_e32 v6, 8
	s_mov_b32 s16, 0
	s_wait_alu 0xfffe
	s_xor_b32 exec_lo, exec_lo, s15
; %bb.106:                              ;   in Loop: Header=BB96_11 Depth=1
	v_subrev_nc_u32_e32 v40, s13, v40
	v_mov_b32_e32 v6, 0
	s_mov_b32 s16, exec_lo
; %bb.107:                              ;   in Loop: Header=BB96_11 Depth=1
	s_or_b32 exec_lo, exec_lo, s15
	s_delay_alu instid0(VALU_DEP_2)
	v_mov_b32_e32 v7, v40
	s_wait_alu 0xfffe
	s_and_b32 s20, s16, exec_lo
.LBB96_108:                             ;   in Loop: Header=BB96_11 Depth=1
	s_wait_alu 0xfffe
	s_or_b32 exec_lo, exec_lo, s14
	s_mov_b32 s13, -1
	s_mov_b32 s18, -1
                                        ; implicit-def: $sgpr15
                                        ; implicit-def: $sgpr16
	s_and_saveexec_b32 s14, s20
	s_wait_alu 0xfffe
	s_xor_b32 s14, exec_lo, s14
	s_cbranch_execz .LBB96_228
; %bb.109:                              ;   in Loop: Header=BB96_11 Depth=1
	v_cmp_eq_u32_e32 vcc_lo, 1, v7
	s_cmp_eq_u32 s19, 1
	s_mov_b32 s21, -1
	s_cselect_b32 s15, -1, 0
                                        ; implicit-def: $sgpr16
	s_wait_alu 0xfffe
	s_and_b32 s20, s15, vcc_lo
                                        ; implicit-def: $sgpr15
	s_wait_alu 0xfffe
	s_and_saveexec_b32 s18, s20
	s_cbranch_execz .LBB96_138
; %bb.110:                              ;   in Loop: Header=BB96_11 Depth=1
	ds_load_b32 v2, v12 offset:4104
	s_wait_loadcnt_dscnt 0x0
	s_barrier_signal -1
	s_barrier_wait -1
	global_inv scope:SCOPE_SE
	v_readfirstlane_b32 s22, v2
	s_and_saveexec_b32 s15, s1
; %bb.111:                              ;   in Loop: Header=BB96_11 Depth=1
	v_mov_b32_e32 v11, v12
	ds_store_b64 v29, v[11:12]
; %bb.112:                              ;   in Loop: Header=BB96_11 Depth=1
	s_wait_alu 0xfffe
	s_or_b32 exec_lo, exec_lo, s15
	v_and_b32_e32 v2, s11, v19
	v_and_b32_e32 v3, s10, v18
	s_lshl_b64 s[24:25], 1, s70
	v_or_b32_e32 v21, s9, v21
	v_or_b32_e32 v20, s8, v20
	s_wait_alu 0xfffe
	v_or_b32_e32 v19, s25, v2
	v_or_b32_e32 v18, s24, v3
	s_mov_b32 s15, -1
	s_mov_b32 s16, 0
	s_cmp_eq_u32 s22, 0
	s_mov_b32 s21, 0
	s_mov_b32 s23, -1
	s_wait_loadcnt_dscnt 0x0
	s_barrier_signal -1
	s_barrier_wait -1
	global_inv scope:SCOPE_SE
                                        ; implicit-def: $vgpr4_vgpr5
	s_cbranch_scc1 .LBB96_126
; %bb.113:                              ;   in Loop: Header=BB96_11 Depth=1
	s_add_co_i32 s40, s22, s50
                                        ; implicit-def: $vgpr4_vgpr5
	s_wait_alu 0xfffe
	s_mul_u64 s[24:25], s[40:41], s[44:45]
	s_mov_b32 s24, exec_lo
	s_wait_alu 0xfffe
	s_mul_i32 s21, s25, s31
	s_wait_alu 0xfffe
	s_sub_co_i32 s21, s40, s21
	s_wait_alu 0xfffe
	s_sub_co_i32 s23, s21, s31
	s_cmp_ge_u32 s21, s31
	s_wait_alu 0xfffe
	s_cselect_b32 s21, s23, s21
	s_wait_alu 0xfffe
	s_sub_co_i32 s23, s21, s31
	s_cmp_ge_u32 s21, s31
	s_wait_alu 0xfffe
	s_cselect_b32 s21, s23, s21
	s_mov_b32 s23, 0
	s_wait_alu 0xfffe
	s_sub_co_i32 s25, s40, s21
	s_mov_b32 s21, 0
	s_wait_alu 0xfffe
	v_cmpx_gt_u32_e64 s25, v0
	s_cbranch_execz .LBB96_125
; %bb.114:                              ;   in Loop: Header=BB96_11 Depth=1
	v_dual_mov_b32 v8, v28 :: v_dual_mov_b32 v9, v0
                                        ; implicit-def: $sgpr26
	s_branch .LBB96_117
.LBB96_115:                             ;   in Loop: Header=BB96_117 Depth=2
	s_wait_alu 0xfffe
	s_or_b32 exec_lo, exec_lo, s40
	s_wait_loadcnt_dscnt 0x0
	s_barrier_signal -1
	s_barrier_wait -1
	global_inv scope:SCOPE_SE
	ds_load_b128 v[2:5], v12 offset:3072
	s_mov_b32 s40, -1
	s_mov_b32 s71, -1
	s_wait_loadcnt_dscnt 0x0
	s_barrier_signal -1
	s_barrier_wait -1
	global_inv scope:SCOPE_SE
	v_cmp_ne_u64_e32 vcc_lo, 0, v[2:3]
	s_cbranch_vccz .LBB96_120
.LBB96_116:                             ;   in Loop: Header=BB96_117 Depth=2
	s_wait_alu 0xfffe
	s_and_b32 s40, exec_lo, s40
	s_wait_alu 0xfffe
	s_or_b32 s21, s40, s21
	s_and_not1_b32 s26, s26, exec_lo
	s_and_b32 s40, s71, exec_lo
	s_wait_alu 0xfffe
	s_or_b32 s26, s26, s40
	s_and_not1_b32 exec_lo, exec_lo, s21
	s_cbranch_execz .LBB96_124
.LBB96_117:                             ;   Parent Loop BB96_11 Depth=1
                                        ; =>  This Inner Loop Header: Depth=2
	s_mov_b32 s40, exec_lo
	s_delay_alu instid0(VALU_DEP_1)
	v_cmpx_gt_u32_e64 s22, v9
	s_cbranch_execz .LBB96_115
; %bb.118:                              ;   in Loop: Header=BB96_117 Depth=2
	ds_load_b64 v[3:4], v8
	s_wait_dscnt 0x0
	v_xor_b32_e32 v2, 0x80000000, v4
	v_and_b32_e32 v22, v3, v20
	s_delay_alu instid0(VALU_DEP_2) | instskip(NEXT) | instid1(VALU_DEP_1)
	v_and_b32_e32 v23, v2, v21
	v_cmp_eq_u64_e32 vcc_lo, v[22:23], v[18:19]
	s_and_b32 exec_lo, exec_lo, vcc_lo
	s_cbranch_execz .LBB96_115
; %bb.119:                              ;   in Loop: Header=BB96_117 Depth=2
	v_mov_b32_e32 v2, v12
	ds_store_b128 v12, v[1:4] offset:3072
	s_branch .LBB96_115
.LBB96_120:                             ;   in Loop: Header=BB96_117 Depth=2
	v_add_nc_u32_e32 v9, s31, v9
	v_add_nc_u32_e32 v8, s62, v8
	s_mov_b32 s71, 0
	s_delay_alu instid0(VALU_DEP_2)
	v_cmp_le_u32_e32 vcc_lo, s25, v9
	s_or_not1_b32 s40, vcc_lo, exec_lo
	s_branch .LBB96_116
.LBB96_121:                             ;   in Loop: Header=BB96_11 Depth=1
	s_wait_alu 0xfffe
	s_or_b32 exec_lo, exec_lo, s10
	s_wait_loadcnt_dscnt 0x0
	s_barrier_signal -1
	s_barrier_wait -1
	global_inv scope:SCOPE_SE
	s_and_saveexec_b32 s7, s2
	s_cbranch_execz .LBB96_123
; %bb.122:                              ;   in Loop: Header=BB96_11 Depth=1
	ds_load_b32 v2, v12 offset:4112
	s_wait_dscnt 0x0
	ds_store_b32 v12, v2 offset:4104
.LBB96_123:                             ;   in Loop: Header=BB96_11 Depth=1
	s_wait_alu 0xfffe
	s_or_b32 exec_lo, exec_lo, s7
	s_wait_loadcnt_dscnt 0x0
	s_barrier_signal -1
	s_mov_b32 s7, -1
	s_barrier_wait -1
	s_and_b32 vcc_lo, exec_lo, s9
	s_wait_alu 0xfffe
	s_cbranch_vccnz .LBB96_27
	s_branch .LBB96_36
.LBB96_124:                             ;   in Loop: Header=BB96_11 Depth=1
	s_or_b32 exec_lo, exec_lo, s21
	s_wait_alu 0xfffe
	s_and_b32 s21, s26, exec_lo
.LBB96_125:                             ;   in Loop: Header=BB96_11 Depth=1
	s_or_b32 exec_lo, exec_lo, s24
.LBB96_126:                             ;   in Loop: Header=BB96_11 Depth=1
	s_wait_alu 0xfffe
	s_and_b32 vcc_lo, exec_lo, s23
	s_wait_alu 0xfffe
	s_cbranch_vccz .LBB96_137
; %bb.127:                              ;   in Loop: Header=BB96_11 Depth=1
                                        ; implicit-def: $vgpr4_vgpr5
	s_and_saveexec_b32 s15, s6
	s_cbranch_execz .LBB96_136
; %bb.128:                              ;   in Loop: Header=BB96_11 Depth=1
	v_dual_mov_b32 v11, v10 :: v_dual_mov_b32 v8, v0
	s_mov_b32 s16, 0
                                        ; implicit-def: $sgpr22
	s_branch .LBB96_131
.LBB96_129:                             ;   in Loop: Header=BB96_131 Depth=2
	s_wait_alu 0xfffe
	s_or_b32 exec_lo, exec_lo, s23
	s_wait_loadcnt_dscnt 0x0
	s_barrier_signal -1
	s_barrier_wait -1
	global_inv scope:SCOPE_SE
	ds_load_b128 v[2:5], v12 offset:3072
	s_mov_b32 s23, -1
	s_mov_b32 s24, -1
	s_wait_loadcnt_dscnt 0x0
	s_barrier_signal -1
	s_barrier_wait -1
	global_inv scope:SCOPE_SE
	v_cmp_eq_u64_e32 vcc_lo, 0, v[2:3]
	s_cbranch_vccnz .LBB96_134
.LBB96_130:                             ;   in Loop: Header=BB96_131 Depth=2
	s_wait_alu 0xfffe
	s_and_b32 s23, exec_lo, s23
	s_wait_alu 0xfffe
	s_or_b32 s16, s23, s16
	s_and_not1_b32 s22, s22, exec_lo
	s_and_b32 s23, s24, exec_lo
	s_wait_alu 0xfffe
	s_or_b32 s22, s22, s23
	s_and_not1_b32 exec_lo, exec_lo, s16
	s_cbranch_execz .LBB96_135
.LBB96_131:                             ;   Parent Loop BB96_11 Depth=1
                                        ; =>  This Inner Loop Header: Depth=2
	s_mov_b32 s23, exec_lo
	s_delay_alu instid0(VALU_DEP_1)
	v_cmpx_gt_u32_e64 s28, v8
	s_cbranch_execz .LBB96_129
; %bb.132:                              ;   in Loop: Header=BB96_131 Depth=2
	v_lshlrev_b64_e32 v[2:3], 3, v[11:12]
	s_delay_alu instid0(VALU_DEP_1) | instskip(SKIP_1) | instid1(VALU_DEP_2)
	v_add_co_u32 v2, vcc_lo, s36, v2
	s_wait_alu 0xfffd
	v_add_co_ci_u32_e64 v3, null, s37, v3, vcc_lo
	global_load_b64 v[3:4], v[2:3], off
	s_wait_loadcnt 0x0
	v_xor_b32_e32 v2, 0x80000000, v4
	v_and_b32_e32 v22, v3, v20
	s_delay_alu instid0(VALU_DEP_2) | instskip(NEXT) | instid1(VALU_DEP_1)
	v_and_b32_e32 v23, v2, v21
	v_cmp_eq_u64_e32 vcc_lo, v[22:23], v[18:19]
	s_and_b32 exec_lo, exec_lo, vcc_lo
	s_cbranch_execz .LBB96_129
; %bb.133:                              ;   in Loop: Header=BB96_131 Depth=2
	v_mov_b32_e32 v2, v12
	ds_store_b128 v12, v[1:4] offset:3072
	s_branch .LBB96_129
.LBB96_134:                             ;   in Loop: Header=BB96_131 Depth=2
	v_add_nc_u32_e32 v8, s31, v8
	v_add_nc_u32_e32 v11, s51, v11
	s_mov_b32 s24, 0
	s_delay_alu instid0(VALU_DEP_2)
	v_cmp_le_u32_e32 vcc_lo, s59, v8
	s_or_not1_b32 s23, vcc_lo, exec_lo
	s_branch .LBB96_130
.LBB96_135:                             ;   in Loop: Header=BB96_11 Depth=1
	s_or_b32 exec_lo, exec_lo, s16
	s_delay_alu instid0(SALU_CYCLE_1)
	s_and_not1_b32 s16, s21, exec_lo
	s_wait_alu 0xfffe
	s_and_b32 s21, s22, exec_lo
	s_wait_alu 0xfffe
	s_or_b32 s21, s16, s21
.LBB96_136:                             ;   in Loop: Header=BB96_11 Depth=1
	s_wait_alu 0xfffe
	s_or_b32 exec_lo, exec_lo, s15
	s_mov_b32 s15, 0
	s_mov_b32 s16, -1
.LBB96_137:                             ;   in Loop: Header=BB96_11 Depth=1
	s_or_not1_b32 s21, s21, exec_lo
.LBB96_138:                             ;   in Loop: Header=BB96_11 Depth=1
	s_wait_alu 0xfffe
	s_or_b32 exec_lo, exec_lo, s18
	s_mov_b32 s22, 0
	s_and_saveexec_b32 s18, s21
	s_cbranch_execz .LBB96_227
; %bb.139:                              ;   in Loop: Header=BB96_11 Depth=1
	v_mov_b32_e32 v8, 1
	v_mov_b32_e32 v6, 1
	s_xor_b32 s21, s20, -1
	s_mov_b32 s23, 0
	s_wait_alu 0xfffe
	s_and_saveexec_b32 s20, s21
	s_cbranch_execz .LBB96_148
; %bb.140:                              ;   in Loop: Header=BB96_11 Depth=1
	s_mov_b32 s21, exec_lo
	v_cmpx_ge_u32_e64 s19, v7
	s_wait_alu 0xfffe
	s_xor_b32 s21, exec_lo, s21
	s_cbranch_execz .LBB96_145
; %bb.141:                              ;   in Loop: Header=BB96_11 Depth=1
	ds_load_b32 v2, v12 offset:4104
	v_and_b32_e32 v3, s11, v19
	v_and_b32_e32 v6, s10, v18
	s_lshl_b64 s[22:23], 1, s70
	v_or_b32_e32 v21, s9, v21
	v_or_b32_e32 v20, s8, v20
	s_wait_alu 0xfffe
	v_or_b32_e32 v19, s23, v3
	v_or_b32_e32 v18, s22, v6
	s_wait_dscnt 0x0
	v_cmp_ne_u32_e32 vcc_lo, 0, v2
	s_cbranch_vccnz .LBB96_145
; %bb.142:                              ;   in Loop: Header=BB96_11 Depth=1
	s_and_saveexec_b32 s22, s2
; %bb.143:                              ;   in Loop: Header=BB96_11 Depth=1
	v_mov_b32_e32 v2, s19
	ds_store_b32 v12, v2 offset:4108
; %bb.144:                              ;   in Loop: Header=BB96_11 Depth=1
	s_wait_alu 0xfffe
	s_or_b32 exec_lo, exec_lo, s22
	s_wait_loadcnt_dscnt 0x0
	s_barrier_signal -1
	s_barrier_wait -1
	global_inv scope:SCOPE_SE
.LBB96_145:                             ;   in Loop: Header=BB96_11 Depth=1
	s_wait_alu 0xfffe
	s_or_saveexec_b32 s21, s21
	v_mov_b32_e32 v6, 8
	s_mov_b32 s22, 0
	s_wait_alu 0xfffe
	s_xor_b32 exec_lo, exec_lo, s21
; %bb.146:                              ;   in Loop: Header=BB96_11 Depth=1
	v_subrev_nc_u32_e32 v7, s19, v7
	v_mov_b32_e32 v6, 0
	s_mov_b32 s22, exec_lo
; %bb.147:                              ;   in Loop: Header=BB96_11 Depth=1
	s_or_b32 exec_lo, exec_lo, s21
	s_delay_alu instid0(VALU_DEP_2)
	v_mov_b32_e32 v8, v7
	s_wait_alu 0xfffe
	s_and_b32 s23, s22, exec_lo
.LBB96_148:                             ;   in Loop: Header=BB96_11 Depth=1
	s_wait_alu 0xfffe
	s_or_b32 exec_lo, exec_lo, s20
	s_mov_b32 s22, -1
                                        ; implicit-def: $sgpr20
                                        ; implicit-def: $sgpr21
	s_and_saveexec_b32 s19, s23
	s_cbranch_execz .LBB96_226
; %bb.149:                              ;   in Loop: Header=BB96_11 Depth=1
	v_cmp_eq_u32_e32 vcc_lo, 1, v8
	s_cmp_eq_u32 s17, 1
	s_mov_b32 s24, -1
	s_cselect_b32 s20, -1, 0
                                        ; implicit-def: $sgpr21
	s_wait_alu 0xfffe
	s_and_b32 s23, s20, vcc_lo
                                        ; implicit-def: $sgpr20
	s_wait_alu 0xfffe
	s_and_saveexec_b32 s22, s23
	s_cbranch_execz .LBB96_175
; %bb.150:                              ;   in Loop: Header=BB96_11 Depth=1
	ds_load_b32 v2, v12 offset:4104
	s_wait_loadcnt_dscnt 0x0
	s_barrier_signal -1
	s_barrier_wait -1
	global_inv scope:SCOPE_SE
	v_readfirstlane_b32 s25, v2
	s_and_saveexec_b32 s20, s1
; %bb.151:                              ;   in Loop: Header=BB96_11 Depth=1
	v_mov_b32_e32 v11, v12
	ds_store_b64 v29, v[11:12]
; %bb.152:                              ;   in Loop: Header=BB96_11 Depth=1
	s_wait_alu 0xfffe
	s_or_b32 exec_lo, exec_lo, s20
	v_and_b32_e32 v2, s11, v19
	v_and_b32_e32 v3, s10, v18
	s_lshl_b64 s[20:21], 2, s70
	v_or_b32_e32 v21, s9, v21
	v_or_b32_e32 v20, s8, v20
	s_wait_alu 0xfffe
	v_or_b32_e32 v19, s21, v2
	v_or_b32_e32 v18, s20, v3
	s_mov_b32 s20, -1
	s_mov_b32 s21, 0
	s_cmp_eq_u32 s25, 0
	s_mov_b32 s24, 0
	s_mov_b32 s26, -1
	s_wait_loadcnt_dscnt 0x0
	s_barrier_signal -1
	s_barrier_wait -1
	global_inv scope:SCOPE_SE
                                        ; implicit-def: $vgpr4_vgpr5
	s_cbranch_scc1 .LBB96_163
; %bb.153:                              ;   in Loop: Header=BB96_11 Depth=1
	s_add_co_i32 s40, s25, s50
                                        ; implicit-def: $vgpr4_vgpr5
	s_wait_alu 0xfffe
	s_mul_u64 s[72:73], s[40:41], s[44:45]
	s_wait_alu 0xfffe
	s_mul_i32 s24, s73, s31
	s_wait_alu 0xfffe
	s_sub_co_i32 s24, s40, s24
	s_wait_alu 0xfffe
	s_sub_co_i32 s26, s24, s31
	s_cmp_ge_u32 s24, s31
	s_wait_alu 0xfffe
	s_cselect_b32 s24, s26, s24
	s_wait_alu 0xfffe
	s_sub_co_i32 s26, s24, s31
	s_cmp_ge_u32 s24, s31
	s_wait_alu 0xfffe
	s_cselect_b32 s24, s26, s24
	s_mov_b32 s26, 0
	s_wait_alu 0xfffe
	s_sub_co_i32 s71, s40, s24
	s_mov_b32 s24, 0
	s_mov_b32 s40, exec_lo
	s_wait_alu 0xfffe
	v_cmpx_gt_u32_e64 s71, v0
	s_cbranch_execz .LBB96_162
; %bb.154:                              ;   in Loop: Header=BB96_11 Depth=1
	v_mov_b32_e32 v7, v28
	v_mov_b32_e32 v9, v0
                                        ; implicit-def: $sgpr72
	s_branch .LBB96_157
.LBB96_155:                             ;   in Loop: Header=BB96_157 Depth=2
	s_wait_alu 0xfffe
	s_or_b32 exec_lo, exec_lo, s73
	s_wait_loadcnt_dscnt 0x0
	s_barrier_signal -1
	s_barrier_wait -1
	global_inv scope:SCOPE_SE
	ds_load_b128 v[2:5], v12 offset:3072
	s_mov_b32 s73, -1
	s_mov_b32 s74, -1
	s_wait_loadcnt_dscnt 0x0
	s_barrier_signal -1
	s_barrier_wait -1
	global_inv scope:SCOPE_SE
	v_cmp_ne_u64_e32 vcc_lo, 0, v[2:3]
	s_cbranch_vccz .LBB96_160
.LBB96_156:                             ;   in Loop: Header=BB96_157 Depth=2
	s_wait_alu 0xfffe
	s_and_b32 s73, exec_lo, s73
	s_wait_alu 0xfffe
	s_or_b32 s24, s73, s24
	s_and_not1_b32 s72, s72, exec_lo
	s_and_b32 s73, s74, exec_lo
	s_wait_alu 0xfffe
	s_or_b32 s72, s72, s73
	s_and_not1_b32 exec_lo, exec_lo, s24
	s_cbranch_execz .LBB96_161
.LBB96_157:                             ;   Parent Loop BB96_11 Depth=1
                                        ; =>  This Inner Loop Header: Depth=2
	s_mov_b32 s73, exec_lo
	s_delay_alu instid0(VALU_DEP_1)
	v_cmpx_gt_u32_e64 s25, v9
	s_cbranch_execz .LBB96_155
; %bb.158:                              ;   in Loop: Header=BB96_157 Depth=2
	ds_load_b64 v[3:4], v7
	s_wait_dscnt 0x0
	v_xor_b32_e32 v2, 0x80000000, v4
	v_and_b32_e32 v22, v3, v20
	s_delay_alu instid0(VALU_DEP_2) | instskip(NEXT) | instid1(VALU_DEP_1)
	v_and_b32_e32 v23, v2, v21
	v_cmp_eq_u64_e32 vcc_lo, v[22:23], v[18:19]
	s_and_b32 exec_lo, exec_lo, vcc_lo
	s_cbranch_execz .LBB96_155
; %bb.159:                              ;   in Loop: Header=BB96_157 Depth=2
	v_mov_b32_e32 v2, v12
	ds_store_b128 v12, v[1:4] offset:3072
	s_branch .LBB96_155
.LBB96_160:                             ;   in Loop: Header=BB96_157 Depth=2
	v_add_nc_u32_e32 v9, s31, v9
	v_add_nc_u32_e32 v7, s62, v7
	s_mov_b32 s74, 0
	s_delay_alu instid0(VALU_DEP_2)
	v_cmp_le_u32_e32 vcc_lo, s71, v9
	s_or_not1_b32 s73, vcc_lo, exec_lo
	s_branch .LBB96_156
.LBB96_161:                             ;   in Loop: Header=BB96_11 Depth=1
	s_or_b32 exec_lo, exec_lo, s24
	s_wait_alu 0xfffe
	s_and_b32 s24, s72, exec_lo
.LBB96_162:                             ;   in Loop: Header=BB96_11 Depth=1
	s_or_b32 exec_lo, exec_lo, s40
.LBB96_163:                             ;   in Loop: Header=BB96_11 Depth=1
	s_wait_alu 0xfffe
	s_and_b32 vcc_lo, exec_lo, s26
	s_wait_alu 0xfffe
	s_cbranch_vccz .LBB96_174
; %bb.164:                              ;   in Loop: Header=BB96_11 Depth=1
                                        ; implicit-def: $vgpr4_vgpr5
	s_and_saveexec_b32 s20, s6
	s_cbranch_execz .LBB96_173
; %bb.165:                              ;   in Loop: Header=BB96_11 Depth=1
	v_mov_b32_e32 v11, v10
	v_mov_b32_e32 v7, v0
	s_mov_b32 s21, 0
                                        ; implicit-def: $sgpr25
	s_branch .LBB96_168
.LBB96_166:                             ;   in Loop: Header=BB96_168 Depth=2
	s_wait_alu 0xfffe
	s_or_b32 exec_lo, exec_lo, s26
	s_wait_loadcnt_dscnt 0x0
	s_barrier_signal -1
	s_barrier_wait -1
	global_inv scope:SCOPE_SE
	ds_load_b128 v[2:5], v12 offset:3072
	s_mov_b32 s26, -1
	s_mov_b32 s40, -1
	s_wait_loadcnt_dscnt 0x0
	s_barrier_signal -1
	s_barrier_wait -1
	global_inv scope:SCOPE_SE
	v_cmp_eq_u64_e32 vcc_lo, 0, v[2:3]
	s_cbranch_vccnz .LBB96_171
.LBB96_167:                             ;   in Loop: Header=BB96_168 Depth=2
	s_wait_alu 0xfffe
	s_and_b32 s26, exec_lo, s26
	s_wait_alu 0xfffe
	s_or_b32 s21, s26, s21
	s_and_not1_b32 s25, s25, exec_lo
	s_and_b32 s26, s40, exec_lo
	s_wait_alu 0xfffe
	s_or_b32 s25, s25, s26
	s_and_not1_b32 exec_lo, exec_lo, s21
	s_cbranch_execz .LBB96_172
.LBB96_168:                             ;   Parent Loop BB96_11 Depth=1
                                        ; =>  This Inner Loop Header: Depth=2
	s_mov_b32 s26, exec_lo
	s_delay_alu instid0(VALU_DEP_1)
	v_cmpx_gt_u32_e64 s28, v7
	s_cbranch_execz .LBB96_166
; %bb.169:                              ;   in Loop: Header=BB96_168 Depth=2
	v_lshlrev_b64_e32 v[2:3], 3, v[11:12]
	s_delay_alu instid0(VALU_DEP_1) | instskip(SKIP_1) | instid1(VALU_DEP_2)
	v_add_co_u32 v2, vcc_lo, s36, v2
	s_wait_alu 0xfffd
	v_add_co_ci_u32_e64 v3, null, s37, v3, vcc_lo
	global_load_b64 v[3:4], v[2:3], off
	s_wait_loadcnt 0x0
	v_xor_b32_e32 v2, 0x80000000, v4
	v_and_b32_e32 v22, v3, v20
	s_delay_alu instid0(VALU_DEP_2) | instskip(NEXT) | instid1(VALU_DEP_1)
	v_and_b32_e32 v23, v2, v21
	v_cmp_eq_u64_e32 vcc_lo, v[22:23], v[18:19]
	s_and_b32 exec_lo, exec_lo, vcc_lo
	s_cbranch_execz .LBB96_166
; %bb.170:                              ;   in Loop: Header=BB96_168 Depth=2
	v_mov_b32_e32 v2, v12
	ds_store_b128 v12, v[1:4] offset:3072
	s_branch .LBB96_166
.LBB96_171:                             ;   in Loop: Header=BB96_168 Depth=2
	v_add_nc_u32_e32 v7, s31, v7
	v_add_nc_u32_e32 v11, s51, v11
	s_mov_b32 s40, 0
	s_delay_alu instid0(VALU_DEP_2)
	v_cmp_le_u32_e32 vcc_lo, s59, v7
	s_or_not1_b32 s26, vcc_lo, exec_lo
	s_branch .LBB96_167
.LBB96_172:                             ;   in Loop: Header=BB96_11 Depth=1
	s_or_b32 exec_lo, exec_lo, s21
	s_delay_alu instid0(SALU_CYCLE_1)
	s_and_not1_b32 s21, s24, exec_lo
	s_wait_alu 0xfffe
	s_and_b32 s24, s25, exec_lo
	s_wait_alu 0xfffe
	s_or_b32 s24, s21, s24
.LBB96_173:                             ;   in Loop: Header=BB96_11 Depth=1
	s_wait_alu 0xfffe
	s_or_b32 exec_lo, exec_lo, s20
	s_mov_b32 s20, 0
	s_mov_b32 s21, -1
.LBB96_174:                             ;   in Loop: Header=BB96_11 Depth=1
	s_or_not1_b32 s24, s24, exec_lo
.LBB96_175:                             ;   in Loop: Header=BB96_11 Depth=1
	s_wait_alu 0xfffe
	s_or_b32 exec_lo, exec_lo, s22
	s_mov_b32 s25, 0
	s_and_saveexec_b32 s22, s24
	s_cbranch_execz .LBB96_225
; %bb.176:                              ;   in Loop: Header=BB96_11 Depth=1
	v_dual_mov_b32 v7, 1 :: v_dual_mov_b32 v6, 1
	s_xor_b32 s25, s23, -1
	s_mov_b32 s24, 0
	s_wait_alu 0xfffe
	s_and_saveexec_b32 s23, s25
	s_cbranch_execz .LBB96_185
; %bb.177:                              ;   in Loop: Header=BB96_11 Depth=1
	s_mov_b32 s24, exec_lo
	v_cmpx_ge_u32_e64 s17, v8
	s_wait_alu 0xfffe
	s_xor_b32 s24, exec_lo, s24
	s_cbranch_execz .LBB96_182
; %bb.178:                              ;   in Loop: Header=BB96_11 Depth=1
	ds_load_b32 v2, v12 offset:4104
	v_and_b32_e32 v3, s11, v19
	v_and_b32_e32 v6, s10, v18
	s_lshl_b64 s[10:11], 2, s70
	v_or_b32_e32 v21, s9, v21
	v_or_b32_e32 v20, s8, v20
	s_wait_alu 0xfffe
	v_or_b32_e32 v19, s11, v3
	v_or_b32_e32 v18, s10, v6
	s_wait_dscnt 0x0
	v_cmp_ne_u32_e32 vcc_lo, 0, v2
	s_cbranch_vccnz .LBB96_182
; %bb.179:                              ;   in Loop: Header=BB96_11 Depth=1
	s_and_saveexec_b32 s10, s2
; %bb.180:                              ;   in Loop: Header=BB96_11 Depth=1
	v_mov_b32_e32 v2, s17
	ds_store_b32 v12, v2 offset:4108
; %bb.181:                              ;   in Loop: Header=BB96_11 Depth=1
	s_wait_alu 0xfffe
	s_or_b32 exec_lo, exec_lo, s10
	s_wait_loadcnt_dscnt 0x0
	s_barrier_signal -1
	s_barrier_wait -1
	global_inv scope:SCOPE_SE
.LBB96_182:                             ;   in Loop: Header=BB96_11 Depth=1
	s_wait_alu 0xfffe
	s_or_saveexec_b32 s10, s24
	v_mov_b32_e32 v6, 8
	s_mov_b32 s11, 0
	s_wait_alu 0xfffe
	s_xor_b32 exec_lo, exec_lo, s10
; %bb.183:                              ;   in Loop: Header=BB96_11 Depth=1
	v_subrev_nc_u32_e32 v8, s17, v8
	v_mov_b32_e32 v6, 0
	s_mov_b32 s11, exec_lo
; %bb.184:                              ;   in Loop: Header=BB96_11 Depth=1
	s_or_b32 exec_lo, exec_lo, s10
	s_delay_alu instid0(VALU_DEP_2)
	v_mov_b32_e32 v7, v8
	s_wait_alu 0xfffe
	s_and_b32 s24, s11, exec_lo
.LBB96_185:                             ;   in Loop: Header=BB96_11 Depth=1
	s_wait_alu 0xfffe
	s_or_b32 exec_lo, exec_lo, s23
	s_mov_b32 s11, -1
                                        ; implicit-def: $sgpr23
                                        ; implicit-def: $sgpr17
	s_and_saveexec_b32 s10, s24
	s_cbranch_execz .LBB96_224
; %bb.186:                              ;   in Loop: Header=BB96_11 Depth=1
	v_cmp_eq_u32_e32 vcc_lo, 1, v7
	s_cmp_eq_u32 s7, 1
	s_mov_b32 s25, -1
	s_cselect_b32 s11, -1, 0
                                        ; implicit-def: $sgpr23
                                        ; implicit-def: $sgpr17
	s_wait_alu 0xfffe
	s_and_b32 s11, s11, vcc_lo
	s_wait_alu 0xfffe
	s_and_saveexec_b32 s24, s11
	s_cbranch_execz .LBB96_212
; %bb.187:                              ;   in Loop: Header=BB96_11 Depth=1
	ds_load_b32 v2, v12 offset:4104
	s_wait_loadcnt_dscnt 0x0
	s_barrier_signal -1
	s_barrier_wait -1
	global_inv scope:SCOPE_SE
	v_readfirstlane_b32 s26, v2
	s_and_saveexec_b32 s17, s1
; %bb.188:                              ;   in Loop: Header=BB96_11 Depth=1
	v_mov_b32_e32 v11, v12
	ds_store_b64 v29, v[11:12]
; %bb.189:                              ;   in Loop: Header=BB96_11 Depth=1
	s_wait_alu 0xfffe
	s_or_b32 exec_lo, exec_lo, s17
	v_or_b32_e32 v19, s9, v19
	v_or_b32_e32 v18, s8, v18
	;; [unrolled: 1-line block ×4, first 2 shown]
	s_mov_b32 s17, -1
	s_mov_b32 s23, 0
	s_cmp_eq_u32 s26, 0
	s_mov_b32 s25, 0
	s_mov_b32 s40, -1
	s_wait_loadcnt_dscnt 0x0
	s_barrier_signal -1
	s_barrier_wait -1
	global_inv scope:SCOPE_SE
                                        ; implicit-def: $vgpr4_vgpr5
	s_cbranch_scc1 .LBB96_200
; %bb.190:                              ;   in Loop: Header=BB96_11 Depth=1
	s_add_co_i32 s40, s26, s50
                                        ; implicit-def: $vgpr4_vgpr5
	s_wait_alu 0xfffe
	s_mul_u64 s[72:73], s[40:41], s[44:45]
	s_wait_alu 0xfffe
	s_mul_i32 s25, s73, s31
	s_wait_alu 0xfffe
	s_sub_co_i32 s25, s40, s25
	s_wait_alu 0xfffe
	s_sub_co_i32 s71, s25, s31
	s_cmp_ge_u32 s25, s31
	s_wait_alu 0xfffe
	s_cselect_b32 s25, s71, s25
	s_wait_alu 0xfffe
	s_sub_co_i32 s71, s25, s31
	s_cmp_ge_u32 s25, s31
	s_wait_alu 0xfffe
	s_cselect_b32 s25, s71, s25
	s_mov_b32 s71, exec_lo
	s_wait_alu 0xfffe
	s_sub_co_i32 s72, s40, s25
	s_mov_b32 s40, 0
	s_mov_b32 s25, 0
	s_wait_alu 0xfffe
	v_cmpx_gt_u32_e64 s72, v0
	s_cbranch_execz .LBB96_199
; %bb.191:                              ;   in Loop: Header=BB96_11 Depth=1
	v_dual_mov_b32 v8, v28 :: v_dual_mov_b32 v9, v0
                                        ; implicit-def: $sgpr73
	s_branch .LBB96_194
.LBB96_192:                             ;   in Loop: Header=BB96_194 Depth=2
	s_wait_alu 0xfffe
	s_or_b32 exec_lo, exec_lo, s74
	s_wait_loadcnt_dscnt 0x0
	s_barrier_signal -1
	s_barrier_wait -1
	global_inv scope:SCOPE_SE
	ds_load_b128 v[2:5], v12 offset:3072
	s_mov_b32 s74, -1
	s_mov_b32 s75, -1
	s_wait_loadcnt_dscnt 0x0
	s_barrier_signal -1
	s_barrier_wait -1
	global_inv scope:SCOPE_SE
	v_cmp_ne_u64_e32 vcc_lo, 0, v[2:3]
	s_cbranch_vccz .LBB96_197
.LBB96_193:                             ;   in Loop: Header=BB96_194 Depth=2
	s_wait_alu 0xfffe
	s_and_b32 s74, exec_lo, s74
	s_wait_alu 0xfffe
	s_or_b32 s25, s74, s25
	s_and_not1_b32 s73, s73, exec_lo
	s_and_b32 s74, s75, exec_lo
	s_wait_alu 0xfffe
	s_or_b32 s73, s73, s74
	s_and_not1_b32 exec_lo, exec_lo, s25
	s_cbranch_execz .LBB96_198
.LBB96_194:                             ;   Parent Loop BB96_11 Depth=1
                                        ; =>  This Inner Loop Header: Depth=2
	s_mov_b32 s74, exec_lo
	s_delay_alu instid0(VALU_DEP_1)
	v_cmpx_gt_u32_e64 s26, v9
	s_cbranch_execz .LBB96_192
; %bb.195:                              ;   in Loop: Header=BB96_194 Depth=2
	ds_load_b64 v[3:4], v8
	s_wait_dscnt 0x0
	v_xor_b32_e32 v2, 0x80000000, v4
	v_and_b32_e32 v22, v3, v20
	s_delay_alu instid0(VALU_DEP_2) | instskip(NEXT) | instid1(VALU_DEP_1)
	v_and_b32_e32 v23, v2, v21
	v_cmp_eq_u64_e32 vcc_lo, v[22:23], v[18:19]
	s_and_b32 exec_lo, exec_lo, vcc_lo
	s_cbranch_execz .LBB96_192
; %bb.196:                              ;   in Loop: Header=BB96_194 Depth=2
	v_mov_b32_e32 v2, v12
	ds_store_b128 v12, v[1:4] offset:3072
	s_branch .LBB96_192
.LBB96_197:                             ;   in Loop: Header=BB96_194 Depth=2
	v_add_nc_u32_e32 v9, s31, v9
	v_add_nc_u32_e32 v8, s62, v8
	s_mov_b32 s75, 0
	s_delay_alu instid0(VALU_DEP_2)
	v_cmp_le_u32_e32 vcc_lo, s72, v9
	s_or_not1_b32 s74, vcc_lo, exec_lo
	s_branch .LBB96_193
.LBB96_198:                             ;   in Loop: Header=BB96_11 Depth=1
	s_or_b32 exec_lo, exec_lo, s25
	s_wait_alu 0xfffe
	s_and_b32 s25, s73, exec_lo
.LBB96_199:                             ;   in Loop: Header=BB96_11 Depth=1
	s_or_b32 exec_lo, exec_lo, s71
.LBB96_200:                             ;   in Loop: Header=BB96_11 Depth=1
	s_wait_alu 0xfffe
	s_and_b32 vcc_lo, exec_lo, s40
	s_wait_alu 0xfffe
	s_cbranch_vccz .LBB96_211
; %bb.201:                              ;   in Loop: Header=BB96_11 Depth=1
                                        ; implicit-def: $vgpr4_vgpr5
	s_and_saveexec_b32 s17, s6
	s_cbranch_execz .LBB96_210
; %bb.202:                              ;   in Loop: Header=BB96_11 Depth=1
	v_dual_mov_b32 v11, v10 :: v_dual_mov_b32 v8, v0
	s_mov_b32 s23, 0
                                        ; implicit-def: $sgpr26
	s_branch .LBB96_205
.LBB96_203:                             ;   in Loop: Header=BB96_205 Depth=2
	s_wait_alu 0xfffe
	s_or_b32 exec_lo, exec_lo, s40
	s_wait_loadcnt_dscnt 0x0
	s_barrier_signal -1
	s_barrier_wait -1
	global_inv scope:SCOPE_SE
	ds_load_b128 v[2:5], v12 offset:3072
	s_mov_b32 s40, -1
	s_mov_b32 s71, -1
	s_wait_loadcnt_dscnt 0x0
	s_barrier_signal -1
	s_barrier_wait -1
	global_inv scope:SCOPE_SE
	v_cmp_eq_u64_e32 vcc_lo, 0, v[2:3]
	s_cbranch_vccnz .LBB96_208
.LBB96_204:                             ;   in Loop: Header=BB96_205 Depth=2
	s_wait_alu 0xfffe
	s_and_b32 s40, exec_lo, s40
	s_wait_alu 0xfffe
	s_or_b32 s23, s40, s23
	s_and_not1_b32 s26, s26, exec_lo
	s_and_b32 s40, s71, exec_lo
	s_wait_alu 0xfffe
	s_or_b32 s26, s26, s40
	s_and_not1_b32 exec_lo, exec_lo, s23
	s_cbranch_execz .LBB96_209
.LBB96_205:                             ;   Parent Loop BB96_11 Depth=1
                                        ; =>  This Inner Loop Header: Depth=2
	s_mov_b32 s40, exec_lo
	s_delay_alu instid0(VALU_DEP_1)
	v_cmpx_gt_u32_e64 s28, v8
	s_cbranch_execz .LBB96_203
; %bb.206:                              ;   in Loop: Header=BB96_205 Depth=2
	v_lshlrev_b64_e32 v[2:3], 3, v[11:12]
	s_delay_alu instid0(VALU_DEP_1) | instskip(SKIP_1) | instid1(VALU_DEP_2)
	v_add_co_u32 v2, vcc_lo, s36, v2
	s_wait_alu 0xfffd
	v_add_co_ci_u32_e64 v3, null, s37, v3, vcc_lo
	global_load_b64 v[3:4], v[2:3], off
	s_wait_loadcnt 0x0
	v_xor_b32_e32 v2, 0x80000000, v4
	v_and_b32_e32 v22, v3, v20
	s_delay_alu instid0(VALU_DEP_2) | instskip(NEXT) | instid1(VALU_DEP_1)
	v_and_b32_e32 v23, v2, v21
	v_cmp_eq_u64_e32 vcc_lo, v[22:23], v[18:19]
	s_and_b32 exec_lo, exec_lo, vcc_lo
	s_cbranch_execz .LBB96_203
; %bb.207:                              ;   in Loop: Header=BB96_205 Depth=2
	v_mov_b32_e32 v2, v12
	ds_store_b128 v12, v[1:4] offset:3072
	s_branch .LBB96_203
.LBB96_208:                             ;   in Loop: Header=BB96_205 Depth=2
	v_add_nc_u32_e32 v8, s31, v8
	v_add_nc_u32_e32 v11, s51, v11
	s_mov_b32 s71, 0
	s_delay_alu instid0(VALU_DEP_2)
	v_cmp_le_u32_e32 vcc_lo, s59, v8
	s_or_not1_b32 s40, vcc_lo, exec_lo
	s_branch .LBB96_204
.LBB96_209:                             ;   in Loop: Header=BB96_11 Depth=1
	s_or_b32 exec_lo, exec_lo, s23
	s_delay_alu instid0(SALU_CYCLE_1)
	s_and_not1_b32 s23, s25, exec_lo
	s_wait_alu 0xfffe
	s_and_b32 s25, s26, exec_lo
	s_wait_alu 0xfffe
	s_or_b32 s25, s23, s25
.LBB96_210:                             ;   in Loop: Header=BB96_11 Depth=1
	s_wait_alu 0xfffe
	s_or_b32 exec_lo, exec_lo, s17
	s_mov_b32 s17, 0
	s_mov_b32 s23, -1
.LBB96_211:                             ;   in Loop: Header=BB96_11 Depth=1
	s_or_not1_b32 s25, s25, exec_lo
.LBB96_212:                             ;   in Loop: Header=BB96_11 Depth=1
	s_wait_alu 0xfffe
	s_or_b32 exec_lo, exec_lo, s24
	s_mov_b32 s26, 0
	s_and_saveexec_b32 s24, s25
	s_cbranch_execz .LBB96_223
; %bb.213:                              ;   in Loop: Header=BB96_11 Depth=1
	v_mov_b32_e32 v6, 1
	v_mov_b32_e32 v2, 1
	s_xor_b32 s25, s11, -1
	s_wait_alu 0xfffe
	s_and_saveexec_b32 s11, s25
	s_cbranch_execz .LBB96_222
; %bb.214:                              ;   in Loop: Header=BB96_11 Depth=1
	s_mov_b32 s25, exec_lo
	v_cmpx_ge_u32_e64 s7, v7
	s_wait_alu 0xfffe
	s_xor_b32 s25, exec_lo, s25
	s_cbranch_execz .LBB96_219
; %bb.215:                              ;   in Loop: Header=BB96_11 Depth=1
	ds_load_b32 v2, v12 offset:4104
	v_or_b32_e32 v19, s9, v19
	v_or_b32_e32 v18, s8, v18
	;; [unrolled: 1-line block ×4, first 2 shown]
	s_wait_dscnt 0x0
	v_cmp_ne_u32_e32 vcc_lo, 0, v2
	s_cbranch_vccnz .LBB96_219
; %bb.216:                              ;   in Loop: Header=BB96_11 Depth=1
	s_and_saveexec_b32 s8, s2
; %bb.217:                              ;   in Loop: Header=BB96_11 Depth=1
	v_mov_b32_e32 v2, s7
	ds_store_b32 v12, v2 offset:4108
; %bb.218:                              ;   in Loop: Header=BB96_11 Depth=1
	s_wait_alu 0xfffe
	s_or_b32 exec_lo, exec_lo, s8
	s_wait_loadcnt_dscnt 0x0
	s_barrier_signal -1
	s_barrier_wait -1
	global_inv scope:SCOPE_SE
.LBB96_219:                             ;   in Loop: Header=BB96_11 Depth=1
	s_wait_alu 0xfffe
	s_and_not1_saveexec_b32 s8, s25
; %bb.220:                              ;   in Loop: Header=BB96_11 Depth=1
	v_subrev_nc_u32_e32 v7, s7, v7
; %bb.221:                              ;   in Loop: Header=BB96_11 Depth=1
	s_wait_alu 0xfffe
	s_or_b32 exec_lo, exec_lo, s8
	v_mov_b32_e32 v6, 8
	s_delay_alu instid0(VALU_DEP_2)
	v_mov_b32_e32 v2, v7
.LBB96_222:                             ;   in Loop: Header=BB96_11 Depth=1
	s_wait_alu 0xfffe
	s_or_b32 exec_lo, exec_lo, s11
	s_delay_alu instid0(VALU_DEP_1)
	v_mov_b32_e32 v7, v2
	s_mov_b32 s26, exec_lo
.LBB96_223:                             ;   in Loop: Header=BB96_11 Depth=1
	s_wait_alu 0xfffe
	s_or_b32 exec_lo, exec_lo, s24
	s_delay_alu instid0(SALU_CYCLE_1)
	s_or_not1_b32 s11, s26, exec_lo
.LBB96_224:                             ;   in Loop: Header=BB96_11 Depth=1
	s_wait_alu 0xfffe
	s_or_b32 exec_lo, exec_lo, s10
	v_mov_b32_e32 v8, v7
	s_and_not1_b32 s7, s21, exec_lo
	s_and_b32 s8, s23, exec_lo
	s_and_not1_b32 s9, s20, exec_lo
	s_and_b32 s10, s17, exec_lo
	s_wait_alu 0xfffe
	s_or_b32 s21, s7, s8
	s_or_b32 s20, s9, s10
	s_and_b32 s25, s11, exec_lo
.LBB96_225:                             ;   in Loop: Header=BB96_11 Depth=1
	s_wait_alu 0xfffe
	s_or_b32 exec_lo, exec_lo, s22
	s_delay_alu instid0(SALU_CYCLE_1)
	s_or_not1_b32 s22, s25, exec_lo
.LBB96_226:                             ;   in Loop: Header=BB96_11 Depth=1
	s_wait_alu 0xfffe
	s_or_b32 exec_lo, exec_lo, s19
	v_mov_b32_e32 v7, v8
	s_and_not1_b32 s7, s16, exec_lo
	s_and_b32 s8, s21, exec_lo
	s_and_not1_b32 s9, s15, exec_lo
	s_and_b32 s10, s20, exec_lo
	s_wait_alu 0xfffe
	s_or_b32 s16, s7, s8
	s_or_b32 s15, s9, s10
	s_and_b32 s22, s22, exec_lo
.LBB96_227:                             ;   in Loop: Header=BB96_11 Depth=1
	s_wait_alu 0xfffe
	s_or_b32 exec_lo, exec_lo, s18
	s_delay_alu instid0(SALU_CYCLE_1)
	s_or_not1_b32 s18, s22, exec_lo
.LBB96_228:                             ;   in Loop: Header=BB96_11 Depth=1
	s_wait_alu 0xfffe
	s_or_b32 exec_lo, exec_lo, s14
	s_mov_b32 s8, 0
                                        ; implicit-def: $sgpr20
	s_and_saveexec_b32 s7, s18
	s_wait_alu 0xfffe
	s_xor_b32 s7, exec_lo, s7
	s_cbranch_execz .LBB96_9
; %bb.229:                              ;   in Loop: Header=BB96_11 Depth=1
	v_and_b32_e32 v2, 7, v6
	s_mov_b32 s9, -1
	s_mov_b32 s8, -1
	s_mov_b32 s10, exec_lo
                                        ; implicit-def: $sgpr20
	s_delay_alu instid0(VALU_DEP_1)
	v_cmpx_eq_u32_e32 0, v2
	s_cbranch_execz .LBB96_8
; %bb.230:                              ;   in Loop: Header=BB96_11 Depth=1
	s_add_co_i32 s20, s70, -2
	s_cmp_eq_u32 s70, 0
	v_xor_b32_e32 v39, 1, v39
	s_cselect_b32 s9, -1, 0
	s_xor_b32 s8, exec_lo, -1
	s_wait_alu 0xfffe
	s_or_not1_b32 s9, s9, exec_lo
	s_branch .LBB96_8
.LBB96_231:
	s_or_b32 exec_lo, exec_lo, s63
	s_xor_b32 s4, s69, -1
	s_xor_b32 s1, s67, -1
	;; [unrolled: 1-line block ×3, first 2 shown]
	s_mov_b32 s2, 0
	s_and_saveexec_b32 s5, s1
	s_wait_alu 0xfffe
	s_xor_b32 s1, exec_lo, s5
	s_cbranch_execnz .LBB96_236
; %bb.232:
	s_and_not1_saveexec_b32 s0, s1
	s_cbranch_execnz .LBB96_249
.LBB96_233:
	s_or_b32 exec_lo, exec_lo, s0
	s_wait_alu 0xfffe
	s_and_saveexec_b32 s0, s2
.LBB96_234:
	; divergent unreachable
.LBB96_235:
	s_endpgm
.LBB96_236:
	s_and_saveexec_b32 s2, s4
	s_wait_alu 0xfffe
	s_xor_b32 s4, exec_lo, s2
	s_cbranch_execz .LBB96_247
; %bb.237:
	s_and_saveexec_b32 s2, s3
	s_wait_alu 0xfffe
	s_xor_b32 s2, exec_lo, s2
; %bb.238:
	v_xor_b32_e32 v19, 0x80000000, v19
	s_delay_alu instid0(VALU_DEP_1)
	v_dual_mov_b32 v4, v18 :: v_dual_mov_b32 v5, v19
; %bb.239:
	s_wait_alu 0xfffe
	s_or_b32 exec_lo, exec_lo, s2
	s_mul_i32 s2, s33, s27
	s_mov_b32 s3, 0
	v_mov_b32_e32 v11, 0
	s_wait_alu 0xfffe
	s_lshl_b64 s[6:7], s[2:3], 3
	s_wait_alu 0xfffe
	s_add_nc_u64 s[6:7], s[38:39], s[6:7]
	global_store_b64 v11, v[4:5], s[6:7]
	s_and_saveexec_b32 s2, s0
	s_cbranch_execz .LBB96_246
; %bb.240:
                                        ; implicit-def: $sgpr0
                                        ; implicit-def: $sgpr6
                                        ; implicit-def: $sgpr5
	s_branch .LBB96_242
.LBB96_241:                             ;   in Loop: Header=BB96_242 Depth=1
	s_wait_alu 0xfffe
	s_or_b32 exec_lo, exec_lo, s7
	s_delay_alu instid0(SALU_CYCLE_1)
	s_and_b32 s7, exec_lo, s6
	s_wait_alu 0xfffe
	s_or_b32 s3, s7, s3
	s_and_not1_b32 s0, s0, exec_lo
	s_and_b32 s7, s5, exec_lo
	s_wait_alu 0xfffe
	s_or_b32 s0, s0, s7
	s_and_not1_b32 exec_lo, exec_lo, s3
	s_cbranch_execz .LBB96_244
.LBB96_242:                             ; =>This Inner Loop Header: Depth=1
	v_lshlrev_b64_e32 v[1:2], 3, v[10:11]
	s_or_b32 s5, s5, exec_lo
	s_wait_alu 0xfffe
	s_or_b32 s6, s6, exec_lo
	s_delay_alu instid0(VALU_DEP_1)
	v_add_co_u32 v1, vcc_lo, s36, v1
	s_wait_alu 0xfffd
	v_add_co_ci_u32_e64 v2, null, s37, v2, vcc_lo
	global_load_b64 v[1:2], v[1:2], off
	s_wait_loadcnt 0x0
	v_cmp_ne_u64_e32 vcc_lo, v[1:2], v[4:5]
	v_mov_b32_e32 v1, v0
                                        ; implicit-def: $vgpr0
	s_and_saveexec_b32 s7, vcc_lo
	s_cbranch_execz .LBB96_241
; %bb.243:                              ;   in Loop: Header=BB96_242 Depth=1
	s_delay_alu instid0(VALU_DEP_1)
	v_add_nc_u32_e32 v0, s31, v1
	v_add_nc_u32_e32 v10, s51, v10
	s_wait_alu 0xfffe
	s_and_not1_b32 s6, s6, exec_lo
	s_and_not1_b32 s5, s5, exec_lo
	v_cmp_le_u32_e32 vcc_lo, s28, v0
	s_and_b32 s8, vcc_lo, exec_lo
	s_wait_alu 0xfffe
	s_or_b32 s6, s6, s8
	s_branch .LBB96_241
.LBB96_244:
	s_or_b32 exec_lo, exec_lo, s3
	s_and_saveexec_b32 s3, s0
	s_wait_alu 0xfffe
	s_xor_b32 s3, exec_lo, s3
	s_cbranch_execz .LBB96_246
; %bb.245:
	s_mul_i32 s6, s29, s27
	s_mov_b32 s7, 0
	v_mov_b32_e32 v2, 0
	s_wait_alu 0xfffe
	s_lshl_b64 s[6:7], s[6:7], 3
	s_wait_alu 0xfffe
	s_add_nc_u64 s[6:7], s[34:35], s[6:7]
	global_store_b64 v2, v[1:2], s[6:7]
.LBB96_246:
	s_wait_alu 0xfffe
	s_or_b32 exec_lo, exec_lo, s2
.LBB96_247:
	s_wait_alu 0xfffe
	s_or_saveexec_b32 s0, s4
	s_mov_b32 s2, 0
	s_xor_b32 exec_lo, exec_lo, s0
	s_cbranch_execnz .LBB96_250
.LBB96_248:
	s_or_b32 exec_lo, exec_lo, s0
	s_wait_alu 0xfffe
	s_and_b32 s2, s2, exec_lo
	s_and_not1_saveexec_b32 s0, s1
	s_cbranch_execz .LBB96_233
.LBB96_249:
	s_wait_alu 0xfffe
	s_or_b32 s2, s2, exec_lo
	s_trap 2
	s_or_b32 exec_lo, exec_lo, s0
	s_wait_alu 0xfffe
	s_and_saveexec_b32 s0, s2
	s_cbranch_execnz .LBB96_234
	s_branch .LBB96_235
.LBB96_250:
	s_mov_b32 s2, exec_lo
	s_trap 2
	s_branch .LBB96_248
	.section	.rodata,"a",@progbits
	.p2align	6, 0x0
	.amdhsa_kernel _ZN2at6native12_GLOBAL__N_112gatherMedianIljLi1EEEvNS_4cuda6detail10TensorInfoIT_T0_EENS5_IlS7_EENS5_IKS6_S7_EES7_S7_S7_b
		.amdhsa_group_segment_fixed_size 4120
		.amdhsa_private_segment_fixed_size 0
		.amdhsa_kernarg_size 920
		.amdhsa_user_sgpr_count 2
		.amdhsa_user_sgpr_dispatch_ptr 0
		.amdhsa_user_sgpr_queue_ptr 0
		.amdhsa_user_sgpr_kernarg_segment_ptr 1
		.amdhsa_user_sgpr_dispatch_id 0
		.amdhsa_user_sgpr_private_segment_size 0
		.amdhsa_wavefront_size32 1
		.amdhsa_uses_dynamic_stack 0
		.amdhsa_enable_private_segment 0
		.amdhsa_system_sgpr_workgroup_id_x 1
		.amdhsa_system_sgpr_workgroup_id_y 1
		.amdhsa_system_sgpr_workgroup_id_z 1
		.amdhsa_system_sgpr_workgroup_info 0
		.amdhsa_system_vgpr_workitem_id 0
		.amdhsa_next_free_vgpr 55
		.amdhsa_next_free_sgpr 78
		.amdhsa_reserve_vcc 1
		.amdhsa_float_round_mode_32 0
		.amdhsa_float_round_mode_16_64 0
		.amdhsa_float_denorm_mode_32 3
		.amdhsa_float_denorm_mode_16_64 3
		.amdhsa_fp16_overflow 0
		.amdhsa_workgroup_processor_mode 1
		.amdhsa_memory_ordered 1
		.amdhsa_forward_progress 1
		.amdhsa_inst_pref_size 84
		.amdhsa_round_robin_scheduling 0
		.amdhsa_exception_fp_ieee_invalid_op 0
		.amdhsa_exception_fp_denorm_src 0
		.amdhsa_exception_fp_ieee_div_zero 0
		.amdhsa_exception_fp_ieee_overflow 0
		.amdhsa_exception_fp_ieee_underflow 0
		.amdhsa_exception_fp_ieee_inexact 0
		.amdhsa_exception_int_div_zero 0
	.end_amdhsa_kernel
	.section	.text._ZN2at6native12_GLOBAL__N_112gatherMedianIljLi1EEEvNS_4cuda6detail10TensorInfoIT_T0_EENS5_IlS7_EENS5_IKS6_S7_EES7_S7_S7_b,"axG",@progbits,_ZN2at6native12_GLOBAL__N_112gatherMedianIljLi1EEEvNS_4cuda6detail10TensorInfoIT_T0_EENS5_IlS7_EENS5_IKS6_S7_EES7_S7_S7_b,comdat
.Lfunc_end96:
	.size	_ZN2at6native12_GLOBAL__N_112gatherMedianIljLi1EEEvNS_4cuda6detail10TensorInfoIT_T0_EENS5_IlS7_EENS5_IKS6_S7_EES7_S7_S7_b, .Lfunc_end96-_ZN2at6native12_GLOBAL__N_112gatherMedianIljLi1EEEvNS_4cuda6detail10TensorInfoIT_T0_EENS5_IlS7_EENS5_IKS6_S7_EES7_S7_S7_b
                                        ; -- End function
	.set _ZN2at6native12_GLOBAL__N_112gatherMedianIljLi1EEEvNS_4cuda6detail10TensorInfoIT_T0_EENS5_IlS7_EENS5_IKS6_S7_EES7_S7_S7_b.num_vgpr, 55
	.set _ZN2at6native12_GLOBAL__N_112gatherMedianIljLi1EEEvNS_4cuda6detail10TensorInfoIT_T0_EENS5_IlS7_EENS5_IKS6_S7_EES7_S7_S7_b.num_agpr, 0
	.set _ZN2at6native12_GLOBAL__N_112gatherMedianIljLi1EEEvNS_4cuda6detail10TensorInfoIT_T0_EENS5_IlS7_EENS5_IKS6_S7_EES7_S7_S7_b.numbered_sgpr, 78
	.set _ZN2at6native12_GLOBAL__N_112gatherMedianIljLi1EEEvNS_4cuda6detail10TensorInfoIT_T0_EENS5_IlS7_EENS5_IKS6_S7_EES7_S7_S7_b.num_named_barrier, 0
	.set _ZN2at6native12_GLOBAL__N_112gatherMedianIljLi1EEEvNS_4cuda6detail10TensorInfoIT_T0_EENS5_IlS7_EENS5_IKS6_S7_EES7_S7_S7_b.private_seg_size, 0
	.set _ZN2at6native12_GLOBAL__N_112gatherMedianIljLi1EEEvNS_4cuda6detail10TensorInfoIT_T0_EENS5_IlS7_EENS5_IKS6_S7_EES7_S7_S7_b.uses_vcc, 1
	.set _ZN2at6native12_GLOBAL__N_112gatherMedianIljLi1EEEvNS_4cuda6detail10TensorInfoIT_T0_EENS5_IlS7_EENS5_IKS6_S7_EES7_S7_S7_b.uses_flat_scratch, 0
	.set _ZN2at6native12_GLOBAL__N_112gatherMedianIljLi1EEEvNS_4cuda6detail10TensorInfoIT_T0_EENS5_IlS7_EENS5_IKS6_S7_EES7_S7_S7_b.has_dyn_sized_stack, 0
	.set _ZN2at6native12_GLOBAL__N_112gatherMedianIljLi1EEEvNS_4cuda6detail10TensorInfoIT_T0_EENS5_IlS7_EENS5_IKS6_S7_EES7_S7_S7_b.has_recursion, 0
	.set _ZN2at6native12_GLOBAL__N_112gatherMedianIljLi1EEEvNS_4cuda6detail10TensorInfoIT_T0_EENS5_IlS7_EENS5_IKS6_S7_EES7_S7_S7_b.has_indirect_call, 0
	.section	.AMDGPU.csdata,"",@progbits
; Kernel info:
; codeLenInByte = 10664
; TotalNumSgprs: 80
; NumVgprs: 55
; ScratchSize: 0
; MemoryBound: 0
; FloatMode: 240
; IeeeMode: 1
; LDSByteSize: 4120 bytes/workgroup (compile time only)
; SGPRBlocks: 0
; VGPRBlocks: 6
; NumSGPRsForWavesPerEU: 80
; NumVGPRsForWavesPerEU: 55
; Occupancy: 16
; WaveLimiterHint : 1
; COMPUTE_PGM_RSRC2:SCRATCH_EN: 0
; COMPUTE_PGM_RSRC2:USER_SGPR: 2
; COMPUTE_PGM_RSRC2:TRAP_HANDLER: 0
; COMPUTE_PGM_RSRC2:TGID_X_EN: 1
; COMPUTE_PGM_RSRC2:TGID_Y_EN: 1
; COMPUTE_PGM_RSRC2:TGID_Z_EN: 1
; COMPUTE_PGM_RSRC2:TIDIG_COMP_CNT: 0
	.section	.text._ZN2at6native12_GLOBAL__N_112gatherMedianIljLi2EEEvNS_4cuda6detail10TensorInfoIT_T0_EENS5_IlS7_EENS5_IKS6_S7_EES7_S7_S7_b,"axG",@progbits,_ZN2at6native12_GLOBAL__N_112gatherMedianIljLi2EEEvNS_4cuda6detail10TensorInfoIT_T0_EENS5_IlS7_EENS5_IKS6_S7_EES7_S7_S7_b,comdat
	.globl	_ZN2at6native12_GLOBAL__N_112gatherMedianIljLi2EEEvNS_4cuda6detail10TensorInfoIT_T0_EENS5_IlS7_EENS5_IKS6_S7_EES7_S7_S7_b ; -- Begin function _ZN2at6native12_GLOBAL__N_112gatherMedianIljLi2EEEvNS_4cuda6detail10TensorInfoIT_T0_EENS5_IlS7_EENS5_IKS6_S7_EES7_S7_S7_b
	.p2align	8
	.type	_ZN2at6native12_GLOBAL__N_112gatherMedianIljLi2EEEvNS_4cuda6detail10TensorInfoIT_T0_EENS5_IlS7_EENS5_IKS6_S7_EES7_S7_S7_b,@function
_ZN2at6native12_GLOBAL__N_112gatherMedianIljLi2EEEvNS_4cuda6detail10TensorInfoIT_T0_EENS5_IlS7_EENS5_IKS6_S7_EES7_S7_S7_b: ; @_ZN2at6native12_GLOBAL__N_112gatherMedianIljLi2EEEvNS_4cuda6detail10TensorInfoIT_T0_EENS5_IlS7_EENS5_IKS6_S7_EES7_S7_S7_b
; %bb.0:
	s_clause 0x1
	s_load_b64 s[4:5], s[0:1], 0x298
	s_load_b128 s[28:31], s[0:1], 0x288
	s_lshr_b32 s2, ttmp7, 16
	s_and_b32 s3, ttmp7, 0xffff
	s_wait_kmcnt 0x0
	s_mul_i32 s2, s5, s2
	s_delay_alu instid0(SALU_CYCLE_1) | instskip(NEXT) | instid1(SALU_CYCLE_1)
	s_add_co_i32 s2, s2, s3
	s_mul_i32 s2, s2, s4
	s_delay_alu instid0(SALU_CYCLE_1) | instskip(NEXT) | instid1(SALU_CYCLE_1)
	s_add_co_i32 s34, s2, ttmp9
	s_cmp_ge_u32 s34, s29
	s_cbranch_scc1 .LBB97_235
; %bb.1:
	s_clause 0x2
	s_load_b32 s56, s[0:1], 0xc
	s_load_b32 s33, s[0:1], 0xe4
	;; [unrolled: 1-line block ×3, first 2 shown]
	s_mov_b32 s35, 0
	s_wait_kmcnt 0x0
	s_cvt_f32_u32 s2, s56
	s_cvt_f32_u32 s5, s33
	;; [unrolled: 1-line block ×3, first 2 shown]
	s_sub_co_i32 s8, 0, s56
	v_rcp_iflag_f32_e32 v1, s2
	v_rcp_iflag_f32_e32 v2, s5
	;; [unrolled: 1-line block ×3, first 2 shown]
	s_sub_co_i32 s10, 0, s33
	v_cmp_eq_u32_e64 s2, 0, v0
	s_delay_alu instid0(TRANS32_DEP_3) | instskip(NEXT) | instid1(TRANS32_DEP_2)
	v_readfirstlane_b32 s5, v1
	v_readfirstlane_b32 s6, v2
	s_delay_alu instid0(TRANS32_DEP_1)
	v_readfirstlane_b32 s7, v3
	s_mul_f32 s5, s5, 0x4f7ffffe
	s_mul_f32 s9, s6, 0x4f7ffffe
	;; [unrolled: 1-line block ×3, first 2 shown]
	s_wait_alu 0xfffe
	s_cvt_u32_f32 s6, s5
	s_cvt_u32_f32 s5, s9
	;; [unrolled: 1-line block ×3, first 2 shown]
	s_sub_co_i32 s7, 0, s3
	s_wait_alu 0xfffe
	s_mul_i32 s8, s8, s6
	s_mul_i32 s10, s10, s5
	;; [unrolled: 1-line block ×3, first 2 shown]
	s_mul_hi_u32 s9, s6, s8
	s_wait_alu 0xfffe
	s_mul_hi_u32 s8, s11, s7
	s_mul_hi_u32 s7, s5, s10
	s_add_co_i32 s8, s11, s8
	s_and_saveexec_b32 s10, s2
; %bb.2:
	v_mov_b32_e32 v1, 0
	s_delay_alu instid0(VALU_DEP_1)
	v_mov_b32_e32 v2, v1
	ds_store_b64 v1, v[1:2] offset:4096
; %bb.3:
	s_or_b32 exec_lo, exec_lo, s10
	v_mov_b32_e32 v1, 0
	s_wait_dscnt 0x0
	s_barrier_signal -1
	s_barrier_wait -1
	global_inv scope:SCOPE_SE
	s_wait_loadcnt 0x0
	s_barrier_signal -1
	s_barrier_wait -1
	global_inv scope:SCOPE_SE
	ds_load_b64 v[1:2], v1 offset:4096
	s_load_b64 s[10:11], s[0:1], 0x21c
	s_add_co_i32 s6, s6, s9
	s_add_co_i32 s12, s5, s7
	s_bitcmp1_b32 s31, 0
	s_mov_b32 s18, s28
	s_cselect_b32 s5, -1, 0
	s_wait_dscnt 0x0
	v_readfirstlane_b32 s14, v1
	v_readfirstlane_b32 s15, v2
	s_delay_alu instid0(VALU_DEP_1)
	v_cmp_lt_i64_e64 s9, s[14:15], 1
	s_wait_alu 0xfffe
	s_or_b32 s5, s5, s9
	s_mov_b32 s9, s35
	s_wait_alu 0xfffe
	s_and_not1_b32 vcc_lo, exec_lo, s5
	s_cbranch_vccnz .LBB97_5
; %bb.4:
	s_not_b64 s[14:15], s[14:15]
	s_mov_b32 s29, 0
	s_wait_alu 0xfffe
	s_add_nc_u64 s[14:15], s[14:15], s[28:29]
	s_mov_b32 s17, s29
	s_wait_alu 0xfffe
	s_lshr_b32 s16, s15, 31
	s_delay_alu instid0(SALU_CYCLE_1)
	s_add_nc_u64 s[14:15], s[14:15], s[16:17]
	s_wait_alu 0xfffe
	s_lshr_b64 s[14:15], s[14:15], 1
	s_wait_alu 0xfffe
	s_add_co_i32 s18, s14, 1
.LBB97_5:
	s_clause 0x2
	s_load_b64 s[36:37], s[0:1], 0x144
	s_load_b64 s[14:15], s[0:1], 0x1b0
	;; [unrolled: 1-line block ×3, first 2 shown]
	s_mul_u64 s[16:17], s[34:35], s[8:9]
	s_mov_b32 s7, s35
	s_mov_b32 s13, s35
	s_add_nc_u64 s[8:9], s[0:1], 0x298
	s_and_saveexec_b32 s5, s2
	s_cbranch_execz .LBB97_7
; %bb.6:
	v_dual_mov_b32 v1, 0 :: v_dual_mov_b32 v2, s28
	ds_store_b32 v1, v1 offset:4112
	ds_store_b64 v1, v[1:2] offset:4104
.LBB97_7:
	s_wait_alu 0xfffe
	s_or_b32 exec_lo, exec_lo, s5
	s_mul_i32 s5, s17, s3
	s_add_co_i32 s16, s17, 1
	s_wait_alu 0xfffe
	s_sub_co_i32 s5, s34, s5
	s_wait_loadcnt_dscnt 0x0
	s_wait_alu 0xfffe
	s_sub_co_i32 s19, s5, s3
	s_cmp_ge_u32 s5, s3
	s_barrier_signal -1
	s_cselect_b32 s5, s19, s5
	s_barrier_wait -1
	global_inv scope:SCOPE_SE
	s_load_b32 s19, s[8:9], 0xc
	s_cselect_b32 s16, s16, s17
	s_clause 0x1
	s_load_b64 s[38:39], s[0:1], 0xd8
	s_load_b64 s[44:45], s[0:1], 0x0
	s_add_co_i32 s17, s16, 1
	s_cmp_ge_u32 s5, s3
	v_mbcnt_lo_u32_b32 v26, -1, 0
	s_cselect_b32 s5, s17, s16
	s_mov_b32 s49, 0
	s_wait_alu 0xfffe
	s_mul_i32 s3, s5, s3
	s_wait_kmcnt 0x0
	s_mul_i32 s0, s5, s10
	s_wait_alu 0xfffe
	s_sub_co_i32 s3, s34, s3
	v_cmp_gt_u32_e32 vcc_lo, 32, v0
	s_wait_alu 0xfffe
	s_mul_i32 s3, s3, s11
	s_mul_u64 s[46:47], s[34:35], s[6:7]
	s_wait_alu 0xfffe
	s_add_co_i32 s48, s0, s3
	s_mul_u64 s[26:27], s[34:35], s[12:13]
	s_lshl_b64 s[0:1], s[48:49], 3
	v_dual_mov_b32 v12, 0 :: v_dual_lshlrev_b32 v27, 2, v0
	s_add_nc_u64 s[40:41], s[14:15], s[0:1]
	s_and_b32 s29, s19, 0xffff
	v_cmp_gt_i32_e64 s1, 4, v26
	s_wait_alu 0xfffe
	s_lshl_b32 s31, s29, 2
	s_add_co_i32 s35, s29, -1
	s_cvt_f32_u32 s5, s31
	s_bfe_u32 s3, s19, 0xb0005
	s_and_b32 s57, vcc_lo, s1
	s_add_co_i32 s6, s35, s28
	s_wait_alu 0xfffe
	v_rcp_iflag_f32_e32 v1, s5
	s_cmp_gt_u32 s28, 0x180
	v_mul_lo_u32 v10, s30, v0
	s_cselect_b32 s58, -1, 0
	s_cmp_gt_u32 s29, 31
	v_dual_mov_b32 v11, v12 :: v_dual_lshlrev_b32 v28, 3, v0
	s_cselect_b32 s59, -1, 0
	s_cmp_lt_u32 ttmp9, s4
	v_lshlrev_b64_e64 v[3:4], v26, -1
	s_delay_alu instid0(TRANS32_DEP_1)
	v_readfirstlane_b32 s5, v1
	s_cselect_b32 s48, 12, 18
	s_add_co_i32 s4, s3, -1
	s_bfe_u32 s60, s29, 0x30005
	s_wait_alu 0xfffe
	s_and_b32 s4, s4, 0xffff
	v_lshlrev_b64_e32 v[1:2], 3, v[10:11]
	s_wait_alu 0xfffe
	s_cmp_gt_u32 s4, 6
	s_mul_f32 s4, s5, 0x4f7ffffe
	s_cselect_b32 s61, -1, 0
	s_and_b32 s62, s3, 0x7f8
	s_cmp_lg_u32 s60, 0
	s_wait_alu 0xfffe
	s_cvt_u32_f32 s3, s4
	s_cselect_b32 s63, -1, 0
	s_sub_co_i32 s4, 0, s31
	s_cvt_f32_u32 s5, s29
	s_wait_alu 0xfffe
	s_mul_i32 s4, s4, s3
	v_add_co_u32 v13, vcc_lo, s40, v1
	s_wait_alu 0xfffe
	s_mul_hi_u32 s4, s3, s4
	v_rcp_iflag_f32_e32 v5, s5
	s_wait_alu 0xfffe
	s_add_co_i32 s50, s3, s4
	v_lshrrev_b32_e32 v1, 1, v0
	s_mul_hi_u32 s4, s28, s50
	v_add_co_ci_u32_e64 v14, null, s41, v2, vcc_lo
	s_wait_alu 0xfffe
	s_mul_i32 s4, s4, s31
	v_not_b32_e32 v30, v3
	s_wait_alu 0xfffe
	s_sub_co_i32 s4, s28, s4
	v_or_b32_e32 v3, 3, v27
	s_wait_alu 0xfffe
	s_sub_co_i32 s5, s4, s31
	v_readfirstlane_b32 s7, v5
	s_cmp_ge_u32 s4, s31
	v_mad_co_u64_u32 v[17:18], null, s30, v27, s[30:31]
	s_wait_alu 0xfffe
	s_cselect_b32 s4, s5, s4
	s_mul_f32 s5, s7, 0x4f7ffffe
	s_wait_alu 0xfffe
	s_sub_co_i32 s7, s4, s31
	s_cmp_ge_u32 s4, s31
	v_mov_b32_e32 v40, s18
	s_wait_alu 0xfffe
	s_cselect_b32 s7, s7, s4
	s_cvt_u32_f32 s5, s5
	s_wait_alu 0xfffe
	s_sub_co_i32 s64, s28, s7
	s_sub_co_i32 s4, 0, s29
	v_add_nc_u32_e32 v31, s64, v0
	s_wait_alu 0xfffe
	s_mul_i32 s4, s4, s5
	v_mul_lo_u32 v34, s30, v3
	s_wait_alu 0xfffe
	s_mul_hi_u32 s4, s5, s4
	v_dual_mov_b32 v4, 0 :: v_dual_add_nc_u32 v29, 0xc00, v28
	v_mul_lo_u32 v11, v31, s30
	s_wait_alu 0xfffe
	s_add_co_i32 s52, s5, s4
	s_movk_i32 s4, 0x1f0
	s_mul_hi_u32 s5, s6, s52
	s_wait_alu 0xfffe
	v_and_or_b32 v32, v1, s4, 0xc00
	s_mul_i32 s5, s5, s29
	v_dual_mov_b32 v18, 0 :: v_dual_lshlrev_b32 v35, 2, v10
	v_lshlrev_b64_e32 v[1:2], 3, v[11:12]
	s_wait_alu 0xfffe
	s_sub_co_i32 s5, s6, s5
	v_dual_mov_b32 v20, 0 :: v_dual_lshlrev_b32 v37, 5, v0
	s_wait_alu 0xfffe
	s_sub_co_i32 s10, s5, s29
	s_cmp_ge_u32 s5, s29
	v_add_co_u32 v15, vcc_lo, s40, v1
	v_add3_u32 v1, s29, s28, v0
	s_cselect_b32 s10, s10, s5
	s_wait_alu 0xfffd
	v_add_co_ci_u32_e64 v16, null, s41, v2, vcc_lo
	v_or_b32_e32 v2, 2, v27
	v_subrev_nc_u32_e32 v1, s7, v1
	s_sub_co_i32 s11, s10, s29
	s_cmp_ge_u32 s10, s29
	v_cmp_gt_u32_e64 s0, s28, v0
	s_cselect_b32 s10, s11, s10
	v_mul_lo_u32 v33, s30, v2
	v_mul_lo_u32 v36, s30, v1
	s_sub_co_i32 s65, s6, s10
	v_cmp_eq_u32_e64 s1, 0, v26
	v_cmp_gt_u32_e64 s3, 2, v0
	v_cmp_gt_u32_e64 s4, s64, v27
	;; [unrolled: 1-line block ×3, first 2 shown]
	s_wait_alu 0xfffe
	v_cmp_gt_u32_e64 s6, s65, v0
	v_lshl_or_b32 v38, v26, 2, 0xc00
	v_mov_b32_e32 v5, 0
	v_mov_b32_e32 v1, 1
	;; [unrolled: 1-line block ×5, first 2 shown]
	s_mul_i32 s46, s30, s29
	s_mov_b32 s51, s49
	s_mov_b32 s53, s49
	s_lshl_b32 s66, s46, 2
	s_lshl_b32 s67, s29, 5
	;; [unrolled: 1-line block ×3, first 2 shown]
	s_mov_b32 s76, 62
	s_add_nc_u64 s[54:55], s[8:9], s[48:49]
	s_mov_b32 s69, 0
                                        ; implicit-def: $sgpr73
                                        ; implicit-def: $sgpr75
                                        ; implicit-def: $sgpr70
                                        ; implicit-def: $sgpr72
                                        ; implicit-def: $sgpr74
                                        ; implicit-def: $sgpr71
	s_branch .LBB97_11
.LBB97_8:                               ;   in Loop: Header=BB97_11 Depth=1
	s_wait_alu 0xfffe
	s_or_b32 exec_lo, exec_lo, s10
	s_delay_alu instid0(SALU_CYCLE_1)
	s_and_b32 s8, s8, exec_lo
	s_and_not1_b32 s16, s16, exec_lo
	s_and_not1_b32 s15, s15, exec_lo
	s_or_not1_b32 s13, s9, exec_lo
.LBB97_9:                               ;   in Loop: Header=BB97_11 Depth=1
	s_wait_alu 0xfffe
	s_or_b32 exec_lo, exec_lo, s7
	s_delay_alu instid0(SALU_CYCLE_1)
	s_and_not1_b32 s7, s71, exec_lo
	s_and_b32 s8, s8, exec_lo
	s_and_not1_b32 s9, s72, exec_lo
	s_wait_alu 0xfffe
	s_or_b32 s71, s7, s8
	s_and_not1_b32 s7, s74, exec_lo
	s_and_b32 s8, s16, exec_lo
	s_and_b32 s10, s15, exec_lo
	s_wait_alu 0xfffe
	s_or_b32 s74, s7, s8
	s_or_b32 s72, s9, s10
	s_or_not1_b32 s14, s13, exec_lo
.LBB97_10:                              ;   in Loop: Header=BB97_11 Depth=1
	s_wait_alu 0xfffe
	s_or_b32 exec_lo, exec_lo, s12
	s_delay_alu instid0(SALU_CYCLE_1)
	s_and_b32 s7, exec_lo, s14
	v_mov_b32_e32 v40, v7
	s_wait_alu 0xfffe
	s_or_b32 s69, s7, s69
	s_and_not1_b32 s7, s70, exec_lo
	s_and_b32 s8, s71, exec_lo
	s_and_not1_b32 s9, s75, exec_lo
	s_wait_alu 0xfffe
	s_or_b32 s70, s7, s8
	s_and_b32 s7, s74, exec_lo
	s_and_not1_b32 s8, s73, exec_lo
	s_and_b32 s10, s72, exec_lo
	s_wait_alu 0xfffe
	s_or_b32 s75, s9, s7
	s_or_b32 s73, s8, s10
	s_mov_b32 s76, s20
	s_and_not1_b32 exec_lo, exec_lo, s69
	s_cbranch_execz .LBB97_231
.LBB97_11:                              ; =>This Loop Header: Depth=1
                                        ;     Child Loop BB97_17 Depth 2
                                        ;     Child Loop BB97_30 Depth 2
	;; [unrolled: 1-line block ×16, first 2 shown]
	ds_load_b64 v[2:3], v12 offset:4104
	s_wait_dscnt 0x0
	v_readfirstlane_b32 s48, v2
	s_cmp_lg_u32 s48, 0
	s_cbranch_scc1 .LBB97_38
; %bb.12:                               ;   in Loop: Header=BB97_11 Depth=1
	s_and_b32 vcc_lo, exec_lo, s58
	s_wait_alu 0xfffe
	s_cbranch_vccz .LBB97_25
; %bb.13:                               ;   in Loop: Header=BB97_11 Depth=1
	v_cmp_gt_u32_e32 vcc_lo, 0x181, v3
	s_mov_b32 s9, 0
	s_mov_b32 s7, 0
	s_cbranch_vccz .LBB97_26
; %bb.14:                               ;   in Loop: Header=BB97_11 Depth=1
	s_and_saveexec_b32 s10, s0
	s_cbranch_execz .LBB97_121
; %bb.15:                               ;   in Loop: Header=BB97_11 Depth=1
	global_load_b64 v[2:3], v[13:14], off
	s_load_u16 s11, s[54:55], 0x0
	v_mov_b32_e32 v8, v0
	s_mov_b32 s13, 0
	s_wait_kmcnt 0x0
	v_add_nc_u32_e32 v6, s11, v0
	s_mul_i32 s12, s30, s11
	s_delay_alu instid0(VALU_DEP_1)
	v_mul_lo_u32 v11, s30, v6
	s_branch .LBB97_17
.LBB97_16:                              ;   in Loop: Header=BB97_17 Depth=2
	s_wait_alu 0xfffe
	s_or_b32 exec_lo, exec_lo, s8
	v_dual_mov_b32 v2, v6 :: v_dual_add_nc_u32 v11, s12, v11
	v_mov_b32_e32 v3, v7
	s_and_not1_b32 exec_lo, exec_lo, s13
	s_cbranch_execz .LBB97_121
.LBB97_17:                              ;   Parent Loop BB97_11 Depth=1
                                        ; =>  This Inner Loop Header: Depth=2
	v_mov_b32_e32 v6, 0
	v_dual_mov_b32 v7, 0 :: v_dual_add_nc_u32 v8, s11, v8
	s_mov_b32 s8, exec_lo
	s_delay_alu instid0(VALU_DEP_1)
	v_cmp_le_u32_e32 vcc_lo, s28, v8
	v_cmpx_gt_u32_e64 s28, v8
	s_cbranch_execz .LBB97_19
; %bb.18:                               ;   in Loop: Header=BB97_17 Depth=2
	v_lshlrev_b64_e32 v[6:7], 3, v[11:12]
	s_delay_alu instid0(VALU_DEP_1) | instskip(SKIP_1) | instid1(VALU_DEP_2)
	v_add_co_u32 v6, s7, s40, v6
	s_wait_alu 0xf1ff
	v_add_co_ci_u32_e64 v7, null, s41, v7, s7
	global_load_b64 v[6:7], v[6:7], off
.LBB97_19:                              ;   in Loop: Header=BB97_17 Depth=2
	s_wait_alu 0xfffe
	s_or_b32 exec_lo, exec_lo, s8
	s_wait_loadcnt_dscnt 0x0
	v_xor_b32_e32 v9, 0x80000000, v3
	v_and_b32_e32 v22, v2, v20
	s_delay_alu instid0(VALU_DEP_2) | instskip(SKIP_1) | instid1(VALU_DEP_2)
	v_and_b32_e32 v23, v9, v21
	v_mov_b32_e32 v9, 0
	v_cmp_eq_u64_e64 s7, v[22:23], v[18:19]
	s_cmp_lg_u32 s7, 0
	s_cselect_b32 s8, -1, 0
	s_wait_alu 0xfffe
	s_and_b32 s8, s1, s8
	s_wait_alu 0xfffe
	s_and_saveexec_b32 s14, s8
	s_cbranch_execz .LBB97_23
; %bb.20:                               ;   in Loop: Header=BB97_17 Depth=2
	s_mov_b32 s17, exec_lo
	s_bcnt1_i32_b32 s15, s7
	s_wait_alu 0xfffe
	v_mbcnt_lo_u32_b32 v9, s17, 0
	s_mov_b32 s16, exec_lo
                                        ; implicit-def: $vgpr22
	s_delay_alu instid0(VALU_DEP_1)
	v_cmpx_eq_u32_e32 0, v9
; %bb.21:                               ;   in Loop: Header=BB97_17 Depth=2
	s_bcnt1_i32_b32 s8, s17
	s_wait_alu 0xfffe
	s_mul_i32 s8, s15, s8
	s_wait_alu 0xfffe
	v_mov_b32_e32 v22, s8
	ds_add_rtn_u32 v22, v12, v22 offset:4112
; %bb.22:                               ;   in Loop: Header=BB97_17 Depth=2
	s_or_b32 exec_lo, exec_lo, s16
	s_wait_dscnt 0x0
	v_readfirstlane_b32 s8, v22
	s_wait_alu 0xf1ff
	s_delay_alu instid0(VALU_DEP_1)
	v_mad_u32_u24 v9, s15, v9, s8
.LBB97_23:                              ;   in Loop: Header=BB97_17 Depth=2
	s_wait_alu 0xfffe
	s_or_b32 exec_lo, exec_lo, s14
	ds_bpermute_b32 v9, v12, v9
	s_and_b32 s8, exec_lo, vcc_lo
	s_wait_alu 0xfffe
	s_or_b32 s13, s8, s13
	s_and_saveexec_b32 s8, s7
	s_cbranch_execz .LBB97_16
; %bb.24:                               ;   in Loop: Header=BB97_17 Depth=2
	v_and_b32_e32 v22, s7, v30
	s_delay_alu instid0(VALU_DEP_1) | instskip(NEXT) | instid1(VALU_DEP_1)
	v_bcnt_u32_b32 v22, v22, 0
	v_lshlrev_b32_e32 v22, 3, v22
	s_wait_dscnt 0x0
	s_delay_alu instid0(VALU_DEP_1)
	v_lshl_add_u32 v9, v9, 3, v22
	ds_store_b64 v9, v[2:3]
	s_branch .LBB97_16
.LBB97_25:                              ;   in Loop: Header=BB97_11 Depth=1
	s_mov_b32 s9, -1
	s_mov_b32 s7, 0
.LBB97_26:                              ;   in Loop: Header=BB97_11 Depth=1
	s_wait_alu 0xfffe
	s_and_b32 vcc_lo, exec_lo, s9
	s_wait_alu 0xfffe
	s_cbranch_vccz .LBB97_36
.LBB97_27:                              ;   in Loop: Header=BB97_11 Depth=1
	s_and_saveexec_b32 s7, s0
	s_cbranch_execz .LBB97_33
; %bb.28:                               ;   in Loop: Header=BB97_11 Depth=1
	global_load_b64 v[2:3], v[13:14], off
	s_load_u16 s9, s[54:55], 0x0
	v_mov_b32_e32 v8, v0
	s_mov_b32 s8, exec_lo
	s_wait_kmcnt 0x0
	v_add_nc_u32_e32 v6, s9, v0
	s_delay_alu instid0(VALU_DEP_1)
	v_cmpx_gt_u32_e64 s28, v6
	s_cbranch_execz .LBB97_32
; %bb.29:                               ;   in Loop: Header=BB97_11 Depth=1
	v_mul_lo_u32 v11, s30, v6
	v_dual_mov_b32 v9, v28 :: v_dual_mov_b32 v8, v0
	s_lshl_b32 s10, s9, 3
	s_mul_i32 s12, s30, s9
	s_mov_b32 s11, 0
.LBB97_30:                              ;   Parent Loop BB97_11 Depth=1
                                        ; =>  This Inner Loop Header: Depth=2
	s_delay_alu instid0(VALU_DEP_2)
	v_lshlrev_b64_e32 v[6:7], 3, v[11:12]
	s_wait_loadcnt 0x0
	ds_store_b64 v9, v[2:3]
	s_wait_alu 0xfffe
	v_add_nc_u32_e32 v11, s12, v11
	v_add_co_u32 v6, vcc_lo, s40, v6
	s_wait_alu 0xfffd
	v_add_co_ci_u32_e64 v7, null, s41, v7, vcc_lo
	global_load_b64 v[6:7], v[6:7], off
	v_add_nc_u32_e32 v8, s9, v8
	s_wait_loadcnt 0x0
	v_dual_mov_b32 v2, v6 :: v_dual_add_nc_u32 v9, s10, v9
	s_delay_alu instid0(VALU_DEP_2) | instskip(NEXT) | instid1(VALU_DEP_1)
	v_dual_mov_b32 v3, v7 :: v_dual_add_nc_u32 v22, s9, v8
	v_cmp_le_u32_e32 vcc_lo, s28, v22
	s_or_b32 s11, vcc_lo, s11
	s_wait_alu 0xfffe
	s_and_not1_b32 exec_lo, exec_lo, s11
	s_cbranch_execnz .LBB97_30
; %bb.31:                               ;   in Loop: Header=BB97_11 Depth=1
	s_or_b32 exec_lo, exec_lo, s11
	v_dual_mov_b32 v2, v6 :: v_dual_mov_b32 v3, v7
.LBB97_32:                              ;   in Loop: Header=BB97_11 Depth=1
	s_wait_alu 0xfffe
	s_or_b32 exec_lo, exec_lo, s8
	v_lshlrev_b32_e32 v6, 3, v8
	s_wait_loadcnt 0x0
	ds_store_b64 v6, v[2:3]
.LBB97_33:                              ;   in Loop: Header=BB97_11 Depth=1
	s_wait_alu 0xfffe
	s_or_b32 exec_lo, exec_lo, s7
	s_wait_loadcnt_dscnt 0x0
	s_barrier_signal -1
	s_barrier_wait -1
	global_inv scope:SCOPE_SE
	s_and_saveexec_b32 s7, s2
; %bb.34:                               ;   in Loop: Header=BB97_11 Depth=1
	v_mov_b32_e32 v2, s28
	ds_store_b32 v12, v2 offset:4104
; %bb.35:                               ;   in Loop: Header=BB97_11 Depth=1
	s_wait_alu 0xfffe
	s_or_b32 exec_lo, exec_lo, s7
	s_mov_b32 s7, -1
	s_wait_loadcnt_dscnt 0x0
	s_barrier_signal -1
	s_barrier_wait -1
.LBB97_36:                              ;   in Loop: Header=BB97_11 Depth=1
	s_wait_alu 0xfffe
	s_and_b32 vcc_lo, exec_lo, s7
	s_mov_b32 s48, 0
	s_wait_alu 0xfffe
	s_cbranch_vccz .LBB97_38
; %bb.37:                               ;   in Loop: Header=BB97_11 Depth=1
	s_wait_loadcnt 0x0
	global_inv scope:SCOPE_SE
	ds_load_b32 v2, v12 offset:4104
	s_wait_dscnt 0x0
	v_readfirstlane_b32 s48, v2
.LBB97_38:                              ;   in Loop: Header=BB97_11 Depth=1
	s_delay_alu instid0(VALU_DEP_1)
	s_cmp_lt_i32 s48, 1
	s_mov_b32 s7, -1
                                        ; implicit-def: $vgpr6
	s_cbranch_scc1 .LBB97_48
; %bb.39:                               ;   in Loop: Header=BB97_11 Depth=1
	s_wait_alu 0xfffe
	s_and_b32 vcc_lo, exec_lo, s7
	s_wait_alu 0xfffe
	s_cbranch_vccnz .LBB97_59
.LBB97_40:                              ;   in Loop: Header=BB97_11 Depth=1
	v_lshlrev_b32_e32 v2, 7, v39
	s_and_saveexec_b32 s7, s1
.LBB97_41:                              ;   in Loop: Header=BB97_11 Depth=1
	s_delay_alu instid0(VALU_DEP_1)
	v_lshl_add_u32 v3, v2, 2, v32
	ds_store_b128 v3, v[6:9]
.LBB97_42:                              ;   in Loop: Header=BB97_11 Depth=1
	s_wait_alu 0xfffe
	s_or_b32 exec_lo, exec_lo, s7
	s_wait_loadcnt_dscnt 0x0
	s_barrier_signal -1
	s_barrier_wait -1
	global_inv scope:SCOPE_SE
	s_and_saveexec_b32 s7, s57
	s_cbranch_execz .LBB97_72
; %bb.43:                               ;   in Loop: Header=BB97_11 Depth=1
	v_mov_b32_e32 v3, 0
	s_and_not1_b32 vcc_lo, exec_lo, s59
	s_wait_alu 0xfffe
	s_cbranch_vccnz .LBB97_71
; %bb.44:                               ;   in Loop: Header=BB97_11 Depth=1
	s_and_not1_b32 vcc_lo, exec_lo, s61
	s_wait_alu 0xfffe
	s_cbranch_vccnz .LBB97_68
; %bb.45:                               ;   in Loop: Header=BB97_11 Depth=1
	v_lshl_add_u32 v6, v39, 9, v38
	v_mov_b32_e32 v3, 0
	s_mov_b32 s8, 0
.LBB97_46:                              ;   Parent Loop BB97_11 Depth=1
                                        ; =>  This Inner Loop Header: Depth=2
	ds_load_2addr_b32 v[7:8], v6 offset1:4
	ds_load_2addr_b32 v[22:23], v6 offset0:8 offset1:12
	ds_load_2addr_b32 v[24:25], v6 offset0:16 offset1:20
	;; [unrolled: 1-line block ×3, first 2 shown]
	v_add_nc_u32_e32 v6, 0x80, v6
	s_wait_alu 0xfffe
	s_add_co_i32 s8, s8, 8
	s_wait_alu 0xfffe
	s_cmp_eq_u32 s62, s8
	s_wait_dscnt 0x3
	v_add3_u32 v3, v7, v3, v8
	s_wait_dscnt 0x2
	s_delay_alu instid0(VALU_DEP_1) | instskip(SKIP_1) | instid1(VALU_DEP_1)
	v_add3_u32 v3, v22, v3, v23
	s_wait_dscnt 0x1
	v_add3_u32 v3, v24, v3, v25
	s_wait_dscnt 0x0
	s_delay_alu instid0(VALU_DEP_1)
	v_add3_u32 v3, v41, v3, v42
	s_cbranch_scc0 .LBB97_46
; %bb.47:                               ;   in Loop: Header=BB97_11 Depth=1
	s_mov_b32 s8, s62
	s_and_not1_b32 vcc_lo, exec_lo, s63
	s_wait_alu 0xfffe
	s_cbranch_vccz .LBB97_69
	s_branch .LBB97_71
.LBB97_48:                              ;   in Loop: Header=BB97_11 Depth=1
	v_dual_mov_b32 v6, 0 :: v_dual_mov_b32 v7, 0
	v_dual_mov_b32 v8, 0 :: v_dual_mov_b32 v9, 0
	s_and_saveexec_b32 s21, s4
	s_cbranch_execz .LBB97_52
; %bb.49:                               ;   in Loop: Header=BB97_11 Depth=1
	v_mov_b32_e32 v2, v27
	s_mov_b32 s22, 0
	s_mov_b32 s23, 0
	;; [unrolled: 1-line block ×6, first 2 shown]
.LBB97_50:                              ;   Parent Loop BB97_11 Depth=1
                                        ; =>  This Inner Loop Header: Depth=2
	s_wait_alu 0xfffe
	v_dual_mov_b32 v42, v12 :: v_dual_add_nc_u32 v11, s23, v35
	v_mov_b32_e32 v44, v12
	v_mov_b32_e32 v46, v12
	s_delay_alu instid0(VALU_DEP_3) | instskip(SKIP_1) | instid1(VALU_DEP_1)
	v_lshlrev_b64_e32 v[6:7], 3, v[11:12]
	v_add_nc_u32_e32 v11, s23, v17
	v_lshlrev_b64_e32 v[8:9], 3, v[11:12]
	v_add_nc_u32_e32 v11, s23, v33
	s_delay_alu instid0(VALU_DEP_4) | instskip(SKIP_2) | instid1(VALU_DEP_3)
	v_add_co_u32 v6, vcc_lo, s40, v6
	s_wait_alu 0xfffd
	v_add_co_ci_u32_e64 v7, null, s41, v7, vcc_lo
	v_lshlrev_b64_e32 v[22:23], 3, v[11:12]
	v_add_co_u32 v8, vcc_lo, s40, v8
	global_load_b64 v[6:7], v[6:7], off
	v_add_nc_u32_e32 v11, s23, v34
	s_wait_alu 0xfffd
	v_add_co_ci_u32_e64 v9, null, s41, v9, vcc_lo
	v_add_co_u32 v22, vcc_lo, s40, v22
	s_wait_alu 0xfffd
	v_add_co_ci_u32_e64 v23, null, s41, v23, vcc_lo
	v_lshlrev_b64_e32 v[24:25], 3, v[11:12]
	s_clause 0x1
	global_load_b64 v[8:9], v[8:9], off
	global_load_b64 v[22:23], v[22:23], off
	s_add_co_i32 s23, s23, s66
	v_add_co_u32 v24, vcc_lo, s40, v24
	s_wait_alu 0xfffd
	v_add_co_ci_u32_e64 v25, null, s41, v25, vcc_lo
	global_load_b64 v[24:25], v[24:25], off
	s_wait_loadcnt 0x3
	v_xor_b32_e32 v7, 0x80000000, v7
	v_and_b32_e32 v47, v6, v20
	s_delay_alu instid0(VALU_DEP_2)
	v_and_b32_e32 v48, v7, v21
	v_lshrrev_b64 v[6:7], s76, v[6:7]
	s_wait_loadcnt 0x2
	v_xor_b32_e32 v9, 0x80000000, v9
	s_wait_loadcnt 0x1
	v_xor_b32_e32 v23, 0x80000000, v23
	v_cmp_eq_u64_e64 s7, v[47:48], v[18:19]
	v_and_b32_e32 v11, 3, v6
	v_and_b32_e32 v49, v8, v20
	v_lshrrev_b64 v[47:48], s76, v[8:9]
	v_and_b32_e32 v7, v22, v20
	v_and_b32_e32 v8, v23, v21
	v_cmp_eq_u64_e64 s9, 0, v[11:12]
	v_lshrrev_b64 v[22:23], s76, v[22:23]
	v_and_b32_e32 v50, v9, v21
	v_and_b32_e32 v41, 3, v47
	v_cmp_eq_u64_e64 s10, 1, v[11:12]
	s_wait_loadcnt 0x0
	v_xor_b32_e32 v25, 0x80000000, v25
	v_cmp_eq_u64_e64 s11, 2, v[11:12]
	v_cmp_eq_u64_e64 s12, 3, v[11:12]
	s_and_b32 s9, s7, s9
	v_cmp_eq_u64_e64 s8, v[49:50], v[18:19]
	v_and_b32_e32 v43, 3, v22
	v_cmp_eq_u64_e64 s14, 0, v[41:42]
	v_cmp_eq_u64_e64 s15, 1, v[41:42]
	;; [unrolled: 1-line block ×3, first 2 shown]
	v_lshrrev_b64 v[8:9], s76, v[24:25]
	s_wait_alu 0xfffe
	v_cndmask_b32_e64 v3, 0, 1, s9
	s_and_b32 s9, s7, s10
	v_and_b32_e32 v6, v24, v20
	v_and_b32_e32 v7, v25, v21
	v_cmp_eq_u64_e64 s16, 2, v[41:42]
	s_wait_alu 0xfffe
	v_cndmask_b32_e64 v9, 0, 1, s9
	s_and_b32 s9, s7, s11
	v_cmp_eq_u64_e64 s17, 3, v[41:42]
	s_and_b32 s7, s7, s12
	s_wait_alu 0xfffe
	v_cndmask_b32_e64 v11, 0, 1, s9
	v_cmp_eq_u64_e64 s9, 0, v[43:44]
	v_cndmask_b32_e64 v22, 0, 1, s7
	s_and_b32 s14, s8, s14
	s_and_b32 s15, s8, s15
	v_and_b32_e32 v45, 3, v8
	v_cmp_eq_u64_e64 s10, 1, v[43:44]
	v_cmp_eq_u64_e64 s7, v[6:7], v[18:19]
	v_cmp_ne_u32_e64 s18, 0, v3
	s_wait_alu 0xfffe
	v_cndmask_b32_e64 v3, 0, 1, s14
	v_cndmask_b32_e64 v6, 0, 1, s15
	s_and_b32 s16, s8, s16
	v_cmp_eq_u64_e64 s11, 2, v[43:44]
	s_and_b32 s8, s8, s17
	s_wait_alu 0xfffe
	v_cndmask_b32_e64 v7, 0, 1, s16
	v_cmp_ne_u32_e64 s16, 0, v22
	s_and_b32 s9, s13, s9
	v_cmp_eq_u64_e64 s12, 3, v[43:44]
	v_cndmask_b32_e64 v8, 0, 1, s8
	v_cmp_eq_u64_e64 s8, 0, v[45:46]
	v_cmp_eq_u64_e64 s17, 1, v[45:46]
	s_bcnt1_i32_b32 s78, s18
	v_cmp_ne_u32_e64 s18, 0, v3
	s_wait_alu 0xfffe
	v_cndmask_b32_e64 v3, 0, 1, s9
	v_cmp_ne_u32_e64 s9, 0, v6
	s_and_b32 s10, s13, s10
	s_and_b32 s11, s13, s11
	s_wait_alu 0xfffe
	v_cndmask_b32_e64 v6, 0, 1, s10
	s_bcnt1_i32_b32 s16, s16
	v_cmp_eq_u64_e64 s19, 2, v[45:46]
	v_cmp_eq_u64_e64 s20, 3, v[45:46]
	v_cmp_ne_u32_e64 s10, 0, v7
	v_cndmask_b32_e64 v7, 0, 1, s11
	v_cmp_ne_u32_e64 s11, 0, v8
	s_and_b32 s12, s13, s12
	s_wait_alu 0xfffe
	s_add_co_i32 s16, s16, s24
	s_and_b32 s8, s7, s8
	s_bcnt1_i32_b32 s24, s9
	s_and_b32 s9, s7, s17
	v_cmp_ne_u32_e64 s14, 0, v9
	v_cndmask_b32_e64 v8, 0, 1, s12
	v_cmp_ne_u32_e64 s12, 0, v3
	s_wait_alu 0xfffe
	v_cndmask_b32_e64 v3, 0, 1, s8
	v_cmp_ne_u32_e64 s8, 0, v6
	v_cndmask_b32_e64 v6, 0, 1, s9
	v_cmp_ne_u32_e64 s15, 0, v11
	s_bcnt1_i32_b32 s17, s10
	s_and_b32 s10, s7, s19
	s_bcnt1_i32_b32 s11, s11
	s_and_b32 s7, s7, s20
	s_bcnt1_i32_b32 s14, s14
	v_cmp_ne_u32_e64 s9, 0, v7
	s_wait_alu 0xfffe
	v_cndmask_b32_e64 v7, 0, 1, s10
	v_cmp_ne_u32_e64 s10, 0, v8
	v_cndmask_b32_e64 v8, 0, 1, s7
	s_add_co_i32 s11, s16, s11
	s_bcnt1_i32_b32 s16, s8
	v_cmp_ne_u32_e64 s8, 0, v6
	s_bcnt1_i32_b32 s15, s15
	s_add_co_i32 s13, s78, s77
	s_add_co_i32 s14, s14, s26
	s_bcnt1_i32_b32 s18, s18
	s_wait_alu 0xfffe
	s_add_co_i32 s15, s15, s25
	s_add_co_i32 s13, s13, s18
	;; [unrolled: 1-line block ×3, first 2 shown]
	s_bcnt1_i32_b32 s12, s12
	s_wait_alu 0xfffe
	s_add_co_i32 s15, s15, s17
	v_cmp_ne_u32_e64 s7, 0, v3
	s_bcnt1_i32_b32 s17, s9
	v_cmp_ne_u32_e64 s9, 0, v7
	s_bcnt1_i32_b32 s18, s10
	v_cmp_ne_u32_e64 s10, 0, v8
	s_add_co_i32 s12, s13, s12
	s_add_co_i32 s13, s14, s16
	s_bcnt1_i32_b32 s8, s8
	s_wait_alu 0xfffe
	s_add_co_i32 s14, s15, s17
	s_add_co_i32 s26, s13, s8
	s_wait_alu 0xfffe
	v_dual_mov_b32 v7, s26 :: v_dual_add_nc_u32 v2, s31, v2
	s_add_co_i32 s11, s11, s18
	s_bcnt1_i32_b32 s7, s7
	s_bcnt1_i32_b32 s9, s9
	;; [unrolled: 1-line block ×3, first 2 shown]
	v_cmp_le_u32_e32 vcc_lo, s64, v2
	s_wait_alu 0xfffe
	s_add_co_i32 s77, s12, s7
	s_add_co_i32 s25, s14, s9
	;; [unrolled: 1-line block ×3, first 2 shown]
	s_wait_alu 0xfffe
	v_mov_b32_e32 v6, s77
	v_dual_mov_b32 v8, s25 :: v_dual_mov_b32 v9, s24
	s_or_b32 s22, vcc_lo, s22
	s_wait_alu 0xfffe
	s_and_not1_b32 exec_lo, exec_lo, s22
	s_cbranch_execnz .LBB97_50
; %bb.51:                               ;   in Loop: Header=BB97_11 Depth=1
	s_or_b32 exec_lo, exec_lo, s22
.LBB97_52:                              ;   in Loop: Header=BB97_11 Depth=1
	s_wait_alu 0xfffe
	s_or_b32 exec_lo, exec_lo, s21
	s_and_saveexec_b32 s11, s5
	s_cbranch_execz .LBB97_58
; %bb.53:                               ;   in Loop: Header=BB97_11 Depth=1
	global_load_b64 v[24:25], v[15:16], off
	v_dual_mov_b32 v2, v36 :: v_dual_mov_b32 v41, v31
	s_mov_b32 s12, 0
	s_branch .LBB97_55
.LBB97_54:                              ;   in Loop: Header=BB97_55 Depth=2
	s_wait_alu 0xfffe
	s_or_b32 exec_lo, exec_lo, s8
	s_wait_loadcnt 0x0
	v_xor_b32_e32 v25, 0x80000000, v25
	s_and_b32 s9, exec_lo, vcc_lo
	v_add_nc_u32_e32 v2, s46, v2
	s_wait_alu 0xfffe
	s_or_b32 s12, s9, s12
	v_lshrrev_b64 v[42:43], s76, v[24:25]
	v_and_b32_e32 v24, v24, v20
	v_and_b32_e32 v25, v25, v21
	s_delay_alu instid0(VALU_DEP_3) | instskip(NEXT) | instid1(VALU_DEP_2)
	v_and_b32_e32 v11, 3, v42
	v_cmp_eq_u64_e64 s7, v[24:25], v[18:19]
	s_delay_alu instid0(VALU_DEP_2)
	v_cmp_eq_u64_e64 s8, 0, v[11:12]
	v_cmp_eq_u64_e32 vcc_lo, 1, v[11:12]
	v_cmp_eq_u64_e64 s9, 2, v[11:12]
	v_cmp_eq_u64_e64 s10, 3, v[11:12]
	s_and_b32 s8, s7, s8
	s_wait_alu 0xfffe
	v_cndmask_b32_e64 v3, 0, 1, s8
	s_and_b32 s8, s7, vcc_lo
	s_wait_alu 0xfffe
	v_cndmask_b32_e64 v11, 0, 1, s8
	s_and_b32 s8, s7, s9
	s_and_b32 s7, s7, s10
	s_wait_alu 0xfffe
	v_cndmask_b32_e64 v24, 0, 1, s8
	v_cndmask_b32_e64 v25, 0, 1, s7
	v_cmp_ne_u32_e32 vcc_lo, 0, v3
	v_cmp_ne_u32_e64 s7, 0, v11
	s_delay_alu instid0(VALU_DEP_4) | instskip(NEXT) | instid1(VALU_DEP_4)
	v_cmp_ne_u32_e64 s8, 0, v24
	v_cmp_ne_u32_e64 s9, 0, v25
	s_bcnt1_i32_b32 s10, vcc_lo
	s_bcnt1_i32_b32 s7, s7
	v_mov_b32_e32 v25, v23
	s_bcnt1_i32_b32 s8, s8
	s_bcnt1_i32_b32 s9, s9
	s_wait_alu 0xfffe
	v_add_nc_u32_e32 v6, s10, v6
	v_add_nc_u32_e32 v7, s7, v7
	;; [unrolled: 1-line block ×3, first 2 shown]
	v_dual_mov_b32 v24, v22 :: v_dual_add_nc_u32 v9, s9, v9
	s_and_not1_b32 exec_lo, exec_lo, s12
	s_cbranch_execz .LBB97_57
.LBB97_55:                              ;   Parent Loop BB97_11 Depth=1
                                        ; =>  This Inner Loop Header: Depth=2
	s_delay_alu instid0(VALU_DEP_1) | instskip(SKIP_2) | instid1(VALU_DEP_2)
	v_dual_mov_b32 v22, 0 :: v_dual_add_nc_u32 v41, s29, v41
	v_mov_b32_e32 v23, 0
	s_mov_b32 s8, exec_lo
	v_cmp_le_u32_e32 vcc_lo, s28, v41
	v_cmpx_gt_u32_e64 s28, v41
	s_cbranch_execz .LBB97_54
; %bb.56:                               ;   in Loop: Header=BB97_55 Depth=2
	v_mov_b32_e32 v3, v12
	s_delay_alu instid0(VALU_DEP_1) | instskip(NEXT) | instid1(VALU_DEP_1)
	v_lshlrev_b64_e32 v[22:23], 3, v[2:3]
	v_add_co_u32 v22, s7, s40, v22
	s_wait_alu 0xf1fe
	s_delay_alu instid0(VALU_DEP_2)
	v_add_co_ci_u32_e64 v23, null, s41, v23, s7
	global_load_b64 v[22:23], v[22:23], off
	s_branch .LBB97_54
.LBB97_57:                              ;   in Loop: Header=BB97_11 Depth=1
	s_or_b32 exec_lo, exec_lo, s12
.LBB97_58:                              ;   in Loop: Header=BB97_11 Depth=1
	s_wait_alu 0xfffe
	s_or_b32 exec_lo, exec_lo, s11
	s_branch .LBB97_40
.LBB97_59:                              ;   in Loop: Header=BB97_11 Depth=1
	s_mul_u64 s[8:9], s[48:49], s[50:51]
	v_dual_mov_b32 v6, 0 :: v_dual_mov_b32 v7, 0
	s_wait_alu 0xfffe
	s_mul_i32 s7, s9, s31
	v_dual_mov_b32 v8, 0 :: v_dual_mov_b32 v9, 0
	s_wait_alu 0xfffe
	s_sub_co_i32 s7, s48, s7
	s_mov_b32 s78, exec_lo
	s_wait_alu 0xfffe
	s_sub_co_i32 s8, s7, s31
	s_cmp_ge_u32 s7, s31
	s_wait_alu 0xfffe
	s_cselect_b32 s7, s8, s7
	s_wait_alu 0xfffe
	s_sub_co_i32 s8, s7, s31
	s_cmp_ge_u32 s7, s31
	s_wait_alu 0xfffe
	s_cselect_b32 s7, s8, s7
	s_wait_alu 0xfffe
	s_sub_co_i32 s77, s48, s7
	s_wait_alu 0xfffe
	v_cmpx_gt_u32_e64 s77, v27
	s_cbranch_execz .LBB97_63
; %bb.60:                               ;   in Loop: Header=BB97_11 Depth=1
	v_dual_mov_b32 v2, v37 :: v_dual_mov_b32 v3, v27
	s_mov_b32 s79, 0
	s_mov_b32 s80, 0
	;; [unrolled: 1-line block ×5, first 2 shown]
.LBB97_61:                              ;   Parent Loop BB97_11 Depth=1
                                        ; =>  This Inner Loop Header: Depth=2
	ds_load_b128 v[6:9], v2
	ds_load_b128 v[22:25], v2 offset:16
	v_mov_b32_e32 v44, v12
	v_dual_mov_b32 v46, v12 :: v_dual_add_nc_u32 v3, s31, v3
	v_mov_b32_e32 v42, v12
	s_delay_alu instid0(VALU_DEP_2)
	v_cmp_le_u32_e32 vcc_lo, s77, v3
	s_wait_dscnt 0x1
	v_xor_b32_e32 v7, 0x80000000, v7
	v_xor_b32_e32 v9, 0x80000000, v9
	s_wait_dscnt 0x0
	v_xor_b32_e32 v23, 0x80000000, v23
	v_and_b32_e32 v47, v6, v20
	v_xor_b32_e32 v25, 0x80000000, v25
	v_and_b32_e32 v48, v7, v21
	v_lshrrev_b64 v[6:7], s76, v[6:7]
	v_and_b32_e32 v49, v8, v20
	v_lshrrev_b64 v[7:8], s76, v[8:9]
	;; [unrolled: 2-line block ×3, first 2 shown]
	v_and_b32_e32 v51, v22, v20
	v_and_b32_e32 v52, v23, v21
	v_lshrrev_b64 v[22:23], s76, v[24:25]
	v_and_b32_e32 v11, 3, v6
	v_and_b32_e32 v41, 3, v7
	;; [unrolled: 1-line block ×3, first 2 shown]
	v_cmp_eq_u64_e64 s7, v[47:48], v[18:19]
	v_and_b32_e32 v53, v24, v20
	v_cmp_eq_u64_e64 s11, 0, v[11:12]
	v_and_b32_e32 v54, v25, v21
	v_and_b32_e32 v45, 3, v22
	v_cmp_eq_u64_e64 s8, v[49:50], v[18:19]
	v_cmp_eq_u64_e64 s12, 0, v[41:42]
	;; [unrolled: 1-line block ×6, first 2 shown]
	s_and_b32 s11, s7, s11
	v_cmp_eq_u64_e64 s15, 1, v[11:12]
	s_wait_alu 0xfffe
	v_cndmask_b32_e64 v6, 0, 1, s11
	s_and_b32 s11, s8, s12
	v_cmp_eq_u64_e64 s16, 1, v[41:42]
	s_wait_alu 0xfffe
	v_cndmask_b32_e64 v7, 0, 1, s11
	;; [unrolled: 4-line block ×4, first 2 shown]
	s_and_b32 s11, s7, s15
	v_cmp_eq_u64_e64 s19, 2, v[11:12]
	v_cmp_eq_u64_e64 s23, 3, v[11:12]
	s_wait_alu 0xfffe
	v_cndmask_b32_e64 v11, 0, 1, s11
	s_and_b32 s11, s8, s16
	v_cmp_eq_u64_e64 s20, 2, v[41:42]
	v_cmp_eq_u64_e64 s24, 3, v[41:42]
	s_wait_alu 0xfffe
	v_cndmask_b32_e64 v22, 0, 1, s11
	;; [unrolled: 5-line block ×4, first 2 shown]
	s_and_b32 s11, s7, s19
	s_and_b32 s7, s7, s23
	s_wait_alu 0xfffe
	v_cndmask_b32_e64 v25, 0, 1, s11
	s_and_b32 s11, s8, s20
	v_cndmask_b32_e64 v44, 0, 1, s7
	s_and_b32 s7, s8, s24
	s_wait_alu 0xfffe
	v_cndmask_b32_e64 v41, 0, 1, s11
	s_and_b32 s11, s9, s21
	v_cndmask_b32_e64 v45, 0, 1, s7
	;; [unrolled: 5-line block ×3, first 2 shown]
	s_and_b32 s7, s10, s26
	s_wait_alu 0xfffe
	v_cndmask_b32_e64 v43, 0, 1, s11
	v_cndmask_b32_e64 v47, 0, 1, s7
	v_cmp_ne_u32_e64 s7, 0, v6
	v_cmp_ne_u32_e64 s11, 0, v11
	;; [unrolled: 1-line block ×12, first 2 shown]
	s_bcnt1_i32_b32 s7, s7
	s_bcnt1_i32_b32 s11, s11
	;; [unrolled: 1-line block ×4, first 2 shown]
	v_cmp_ne_u32_e64 s10, 0, v9
	v_cmp_ne_u32_e64 s14, 0, v24
	;; [unrolled: 1-line block ×4, first 2 shown]
	s_bcnt1_i32_b32 s8, s8
	s_bcnt1_i32_b32 s12, s12
	s_bcnt1_i32_b32 s16, s16
	s_bcnt1_i32_b32 s20, s20
	s_wait_alu 0xfffe
	s_add_co_i32 s7, s7, s83
	s_add_co_i32 s11, s11, s82
	s_add_co_i32 s15, s15, s81
	s_add_co_i32 s19, s19, s80
	s_bcnt1_i32_b32 s9, s9
	s_bcnt1_i32_b32 s13, s13
	s_bcnt1_i32_b32 s17, s17
	s_bcnt1_i32_b32 s21, s21
	s_wait_alu 0xfffe
	s_add_co_i32 s7, s7, s8
	s_add_co_i32 s8, s11, s12
	s_add_co_i32 s11, s15, s16
	s_add_co_i32 s12, s19, s20
	;; [unrolled: 9-line block ×3, first 2 shown]
	s_wait_alu 0xfffe
	s_add_co_i32 s83, s7, s10
	s_add_co_i32 s82, s8, s14
	;; [unrolled: 1-line block ×4, first 2 shown]
	s_wait_alu 0xfffe
	v_dual_mov_b32 v7, s82 :: v_dual_add_nc_u32 v2, s67, v2
	v_mov_b32_e32 v6, s83
	v_dual_mov_b32 v8, s81 :: v_dual_mov_b32 v9, s80
	s_or_b32 s79, vcc_lo, s79
	s_wait_alu 0xfffe
	s_and_not1_b32 exec_lo, exec_lo, s79
	s_cbranch_execnz .LBB97_61
; %bb.62:                               ;   in Loop: Header=BB97_11 Depth=1
	s_or_b32 exec_lo, exec_lo, s79
.LBB97_63:                              ;   in Loop: Header=BB97_11 Depth=1
	s_delay_alu instid0(SALU_CYCLE_1) | instskip(SKIP_2) | instid1(VALU_DEP_1)
	s_or_b32 exec_lo, exec_lo, s78
	v_add_nc_u32_e32 v2, s77, v0
	s_mov_b32 s12, exec_lo
	v_cmpx_gt_u32_e64 s48, v2
	s_cbranch_execz .LBB97_67
; %bb.64:                               ;   in Loop: Header=BB97_11 Depth=1
	v_lshlrev_b32_e32 v3, 3, v2
	s_mov_b32 s13, 0
.LBB97_65:                              ;   Parent Loop BB97_11 Depth=1
                                        ; =>  This Inner Loop Header: Depth=2
	ds_load_b64 v[22:23], v3
	v_add_nc_u32_e32 v2, s29, v2
	v_add_nc_u32_e32 v3, s68, v3
	s_delay_alu instid0(VALU_DEP_2) | instskip(SKIP_3) | instid1(VALU_DEP_2)
	v_cmp_le_u32_e32 vcc_lo, s48, v2
	s_wait_dscnt 0x0
	v_xor_b32_e32 v23, 0x80000000, v23
	v_and_b32_e32 v24, v22, v20
	v_and_b32_e32 v25, v23, v21
	v_lshrrev_b64 v[22:23], s76, v[22:23]
	s_delay_alu instid0(VALU_DEP_2) | instskip(NEXT) | instid1(VALU_DEP_2)
	v_cmp_eq_u64_e64 s7, v[24:25], v[18:19]
	v_and_b32_e32 v11, 3, v22
	s_delay_alu instid0(VALU_DEP_1)
	v_cmp_eq_u64_e64 s8, 0, v[11:12]
	v_cmp_eq_u64_e64 s9, 1, v[11:12]
	v_cmp_eq_u64_e64 s10, 2, v[11:12]
	v_cmp_eq_u64_e64 s11, 3, v[11:12]
	s_and_b32 s8, s7, s8
	s_wait_alu 0xfffe
	v_cndmask_b32_e64 v11, 0, 1, s8
	s_and_b32 s8, s7, s9
	s_wait_alu 0xfffe
	v_cndmask_b32_e64 v22, 0, 1, s8
	s_and_b32 s8, s7, s10
	s_and_b32 s7, s7, s11
	s_wait_alu 0xfffe
	v_cndmask_b32_e64 v23, 0, 1, s8
	v_cndmask_b32_e64 v24, 0, 1, s7
	v_cmp_ne_u32_e64 s7, 0, v11
	v_cmp_ne_u32_e64 s8, 0, v22
	s_delay_alu instid0(VALU_DEP_4) | instskip(NEXT) | instid1(VALU_DEP_4)
	v_cmp_ne_u32_e64 s9, 0, v23
	v_cmp_ne_u32_e64 s10, 0, v24
	s_bcnt1_i32_b32 s7, s7
	s_bcnt1_i32_b32 s8, s8
	s_wait_alu 0xfffe
	v_add_nc_u32_e32 v6, s7, v6
	s_bcnt1_i32_b32 s9, s9
	s_bcnt1_i32_b32 s10, s10
	v_add_nc_u32_e32 v7, s8, v7
	s_wait_alu 0xfffe
	v_add_nc_u32_e32 v8, s9, v8
	v_add_nc_u32_e32 v9, s10, v9
	s_or_b32 s13, vcc_lo, s13
	s_wait_alu 0xfffe
	s_and_not1_b32 exec_lo, exec_lo, s13
	s_cbranch_execnz .LBB97_65
; %bb.66:                               ;   in Loop: Header=BB97_11 Depth=1
	s_or_b32 exec_lo, exec_lo, s13
.LBB97_67:                              ;   in Loop: Header=BB97_11 Depth=1
	s_wait_alu 0xfffe
	s_or_b32 exec_lo, exec_lo, s12
	v_lshlrev_b32_e32 v2, 7, v39
	s_and_saveexec_b32 s7, s1
	s_cbranch_execnz .LBB97_41
	s_branch .LBB97_42
.LBB97_68:                              ;   in Loop: Header=BB97_11 Depth=1
	v_mov_b32_e32 v3, 0
	s_mov_b32 s8, 0
	s_and_not1_b32 vcc_lo, exec_lo, s63
	s_wait_alu 0xfffe
	s_cbranch_vccnz .LBB97_71
.LBB97_69:                              ;   in Loop: Header=BB97_11 Depth=1
	v_lshlrev_b32_e32 v6, 9, v39
	s_lshl_b32 s8, s8, 4
	s_wait_alu 0xfffe
	s_delay_alu instid0(VALU_DEP_1)
	v_add3_u32 v6, v6, s8, v38
	s_mov_b32 s8, s60
.LBB97_70:                              ;   Parent Loop BB97_11 Depth=1
                                        ; =>  This Inner Loop Header: Depth=2
	ds_load_b32 v7, v6
	v_add_nc_u32_e32 v6, 16, v6
	s_wait_alu 0xfffe
	s_add_co_i32 s8, s8, -1
	s_wait_alu 0xfffe
	s_cmp_lg_u32 s8, 0
	s_wait_dscnt 0x0
	v_add_nc_u32_e32 v3, v7, v3
	s_cbranch_scc1 .LBB97_70
.LBB97_71:                              ;   in Loop: Header=BB97_11 Depth=1
	v_add_lshl_u32 v6, v2, v26, 2
	ds_store_b32 v6, v3 offset:3072
.LBB97_72:                              ;   in Loop: Header=BB97_11 Depth=1
	s_wait_alu 0xfffe
	s_or_b32 exec_lo, exec_lo, s7
	v_lshlrev_b32_e32 v2, 2, v2
	s_wait_loadcnt_dscnt 0x0
	s_barrier_signal -1
	s_barrier_wait -1
	global_inv scope:SCOPE_SE
	ds_load_b128 v[6:9], v2 offset:3072
	s_lshl_b64 s[8:9], 3, s76
	v_cmp_eq_u32_e32 vcc_lo, 1, v40
	s_wait_alu 0xfffe
	s_not_b64 s[10:11], s[8:9]
	s_mov_b32 s14, -1
	s_mov_b32 s21, -1
                                        ; implicit-def: $sgpr18
                                        ; implicit-def: $sgpr16
	s_wait_dscnt 0x0
	v_readfirstlane_b32 s13, v6
	v_readfirstlane_b32 s19, v7
	;; [unrolled: 1-line block ×4, first 2 shown]
	s_cmp_eq_u32 s13, 1
	s_cselect_b32 s12, -1, 0
	s_wait_alu 0xfffe
	s_and_b32 s15, s12, vcc_lo
	s_wait_alu 0xfffe
	s_and_saveexec_b32 s12, s15
	s_cbranch_execz .LBB97_98
; %bb.73:                               ;   in Loop: Header=BB97_11 Depth=1
	ds_load_b32 v2, v12 offset:4104
	s_wait_loadcnt_dscnt 0x0
	s_barrier_signal -1
	s_barrier_wait -1
	global_inv scope:SCOPE_SE
	v_readfirstlane_b32 s21, v2
	s_and_saveexec_b32 s16, s3
; %bb.74:                               ;   in Loop: Header=BB97_11 Depth=1
	v_mov_b32_e32 v11, v12
	ds_store_b64 v29, v[11:12]
; %bb.75:                               ;   in Loop: Header=BB97_11 Depth=1
	s_wait_alu 0xfffe
	s_or_b32 exec_lo, exec_lo, s16
	v_and_b32_e32 v19, s11, v19
	v_and_b32_e32 v18, s10, v18
	v_or_b32_e32 v21, s9, v21
	v_or_b32_e32 v20, s8, v20
	s_mov_b32 s16, -1
	s_mov_b32 s18, 0
	s_cmp_eq_u32 s21, 0
	s_mov_b32 s20, 0
	s_mov_b32 s22, -1
	s_wait_loadcnt_dscnt 0x0
	s_barrier_signal -1
	s_barrier_wait -1
	global_inv scope:SCOPE_SE
                                        ; implicit-def: $vgpr4_vgpr5
	s_cbranch_scc1 .LBB97_86
; %bb.76:                               ;   in Loop: Header=BB97_11 Depth=1
	s_add_co_i32 s48, s21, s35
                                        ; implicit-def: $vgpr4_vgpr5
	s_wait_alu 0xfffe
	s_mul_u64 s[22:23], s[48:49], s[52:53]
	s_wait_alu 0xfffe
	s_mul_i32 s20, s23, s29
	s_mov_b32 s23, exec_lo
	s_wait_alu 0xfffe
	s_sub_co_i32 s20, s48, s20
	s_wait_alu 0xfffe
	s_sub_co_i32 s22, s20, s29
	s_cmp_ge_u32 s20, s29
	s_wait_alu 0xfffe
	s_cselect_b32 s20, s22, s20
	s_wait_alu 0xfffe
	s_sub_co_i32 s22, s20, s29
	s_cmp_ge_u32 s20, s29
	s_wait_alu 0xfffe
	s_cselect_b32 s20, s22, s20
	s_mov_b32 s22, 0
	s_wait_alu 0xfffe
	s_sub_co_i32 s24, s48, s20
	s_mov_b32 s20, 0
	s_wait_alu 0xfffe
	v_cmpx_gt_u32_e64 s24, v0
	s_cbranch_execz .LBB97_85
; %bb.77:                               ;   in Loop: Header=BB97_11 Depth=1
	v_dual_mov_b32 v6, v28 :: v_dual_mov_b32 v7, v0
                                        ; implicit-def: $sgpr25
	s_branch .LBB97_80
.LBB97_78:                              ;   in Loop: Header=BB97_80 Depth=2
	s_wait_alu 0xfffe
	s_or_b32 exec_lo, exec_lo, s26
	s_wait_loadcnt_dscnt 0x0
	s_barrier_signal -1
	s_barrier_wait -1
	global_inv scope:SCOPE_SE
	ds_load_b128 v[2:5], v12 offset:3072
	s_mov_b32 s26, -1
	s_mov_b32 s48, -1
	s_wait_loadcnt_dscnt 0x0
	s_barrier_signal -1
	s_barrier_wait -1
	global_inv scope:SCOPE_SE
	v_cmp_ne_u64_e32 vcc_lo, 0, v[2:3]
	s_cbranch_vccz .LBB97_83
.LBB97_79:                              ;   in Loop: Header=BB97_80 Depth=2
	s_wait_alu 0xfffe
	s_and_b32 s26, exec_lo, s26
	s_wait_alu 0xfffe
	s_or_b32 s20, s26, s20
	s_and_not1_b32 s25, s25, exec_lo
	s_and_b32 s26, s48, exec_lo
	s_wait_alu 0xfffe
	s_or_b32 s25, s25, s26
	s_and_not1_b32 exec_lo, exec_lo, s20
	s_cbranch_execz .LBB97_84
.LBB97_80:                              ;   Parent Loop BB97_11 Depth=1
                                        ; =>  This Inner Loop Header: Depth=2
	s_mov_b32 s26, exec_lo
	s_delay_alu instid0(VALU_DEP_1)
	v_cmpx_gt_u32_e64 s21, v7
	s_cbranch_execz .LBB97_78
; %bb.81:                               ;   in Loop: Header=BB97_80 Depth=2
	ds_load_b64 v[3:4], v6
	s_wait_dscnt 0x0
	v_xor_b32_e32 v2, 0x80000000, v4
	v_and_b32_e32 v8, v3, v20
	s_delay_alu instid0(VALU_DEP_2) | instskip(NEXT) | instid1(VALU_DEP_1)
	v_and_b32_e32 v9, v2, v21
	v_cmp_eq_u64_e32 vcc_lo, v[8:9], v[18:19]
	s_and_b32 exec_lo, exec_lo, vcc_lo
	s_cbranch_execz .LBB97_78
; %bb.82:                               ;   in Loop: Header=BB97_80 Depth=2
	v_mov_b32_e32 v2, v12
	ds_store_b128 v12, v[1:4] offset:3072
	s_branch .LBB97_78
.LBB97_83:                              ;   in Loop: Header=BB97_80 Depth=2
	v_add_nc_u32_e32 v7, s29, v7
	v_add_nc_u32_e32 v6, s68, v6
	s_mov_b32 s48, 0
	s_delay_alu instid0(VALU_DEP_2)
	v_cmp_le_u32_e32 vcc_lo, s24, v7
	s_or_not1_b32 s26, vcc_lo, exec_lo
	s_branch .LBB97_79
.LBB97_84:                              ;   in Loop: Header=BB97_11 Depth=1
	s_or_b32 exec_lo, exec_lo, s20
	s_wait_alu 0xfffe
	s_and_b32 s20, s25, exec_lo
.LBB97_85:                              ;   in Loop: Header=BB97_11 Depth=1
	s_or_b32 exec_lo, exec_lo, s23
.LBB97_86:                              ;   in Loop: Header=BB97_11 Depth=1
	s_wait_alu 0xfffe
	s_and_b32 vcc_lo, exec_lo, s22
	s_wait_alu 0xfffe
	s_cbranch_vccz .LBB97_97
; %bb.87:                               ;   in Loop: Header=BB97_11 Depth=1
                                        ; implicit-def: $vgpr4_vgpr5
	s_and_saveexec_b32 s16, s6
	s_cbranch_execz .LBB97_96
; %bb.88:                               ;   in Loop: Header=BB97_11 Depth=1
	v_dual_mov_b32 v11, v10 :: v_dual_mov_b32 v6, v0
	s_mov_b32 s21, 0
                                        ; implicit-def: $sgpr18
	s_branch .LBB97_91
.LBB97_89:                              ;   in Loop: Header=BB97_91 Depth=2
	s_wait_alu 0xfffe
	s_or_b32 exec_lo, exec_lo, s22
	s_wait_loadcnt_dscnt 0x0
	s_barrier_signal -1
	s_barrier_wait -1
	global_inv scope:SCOPE_SE
	ds_load_b128 v[2:5], v12 offset:3072
	s_mov_b32 s22, -1
	s_mov_b32 s23, -1
	s_wait_loadcnt_dscnt 0x0
	s_barrier_signal -1
	s_barrier_wait -1
	global_inv scope:SCOPE_SE
	v_cmp_ne_u64_e32 vcc_lo, 0, v[2:3]
	s_cbranch_vccz .LBB97_94
.LBB97_90:                              ;   in Loop: Header=BB97_91 Depth=2
	s_wait_alu 0xfffe
	s_and_b32 s22, exec_lo, s22
	s_wait_alu 0xfffe
	s_or_b32 s21, s22, s21
	s_and_not1_b32 s18, s18, exec_lo
	s_and_b32 s22, s23, exec_lo
	s_wait_alu 0xfffe
	s_or_b32 s18, s18, s22
	s_and_not1_b32 exec_lo, exec_lo, s21
	s_cbranch_execz .LBB97_95
.LBB97_91:                              ;   Parent Loop BB97_11 Depth=1
                                        ; =>  This Inner Loop Header: Depth=2
	s_mov_b32 s22, exec_lo
	s_delay_alu instid0(VALU_DEP_1)
	v_cmpx_gt_u32_e64 s28, v6
	s_cbranch_execz .LBB97_89
; %bb.92:                               ;   in Loop: Header=BB97_91 Depth=2
	v_lshlrev_b64_e32 v[2:3], 3, v[11:12]
	s_delay_alu instid0(VALU_DEP_1) | instskip(SKIP_1) | instid1(VALU_DEP_2)
	v_add_co_u32 v2, vcc_lo, s40, v2
	s_wait_alu 0xfffd
	v_add_co_ci_u32_e64 v3, null, s41, v3, vcc_lo
	global_load_b64 v[3:4], v[2:3], off
	s_wait_loadcnt 0x0
	v_xor_b32_e32 v2, 0x80000000, v4
	v_and_b32_e32 v7, v3, v20
	s_delay_alu instid0(VALU_DEP_2) | instskip(NEXT) | instid1(VALU_DEP_1)
	v_and_b32_e32 v8, v2, v21
	v_cmp_eq_u64_e32 vcc_lo, v[7:8], v[18:19]
	s_and_b32 exec_lo, exec_lo, vcc_lo
	s_cbranch_execz .LBB97_89
; %bb.93:                               ;   in Loop: Header=BB97_91 Depth=2
	v_mov_b32_e32 v2, v12
	ds_store_b128 v12, v[1:4] offset:3072
	s_branch .LBB97_89
.LBB97_94:                              ;   in Loop: Header=BB97_91 Depth=2
	v_add_nc_u32_e32 v6, s29, v6
	v_add_nc_u32_e32 v11, s46, v11
	s_mov_b32 s23, 0
	s_delay_alu instid0(VALU_DEP_2)
	v_cmp_le_u32_e32 vcc_lo, s65, v6
	s_or_not1_b32 s22, vcc_lo, exec_lo
	s_branch .LBB97_90
.LBB97_95:                              ;   in Loop: Header=BB97_11 Depth=1
	s_or_b32 exec_lo, exec_lo, s21
	s_delay_alu instid0(SALU_CYCLE_1)
	s_and_not1_b32 s20, s20, exec_lo
	s_wait_alu 0xfffe
	s_and_b32 s18, s18, exec_lo
	s_wait_alu 0xfffe
	s_or_b32 s20, s20, s18
.LBB97_96:                              ;   in Loop: Header=BB97_11 Depth=1
	s_wait_alu 0xfffe
	s_or_b32 exec_lo, exec_lo, s16
	s_mov_b32 s16, 0
	s_mov_b32 s18, -1
.LBB97_97:                              ;   in Loop: Header=BB97_11 Depth=1
	s_or_not1_b32 s21, s20, exec_lo
.LBB97_98:                              ;   in Loop: Header=BB97_11 Depth=1
	s_wait_alu 0xfffe
	s_or_b32 exec_lo, exec_lo, s12
	v_readfirstlane_b32 s20, v0
	s_and_not1_b32 s12, s74, exec_lo
	s_and_b32 s18, s18, exec_lo
	s_and_not1_b32 s22, s72, exec_lo
	s_and_b32 s16, s16, exec_lo
	s_and_not1_b32 s71, s71, exec_lo
	s_wait_alu 0xfffe
	s_or_b32 s74, s12, s18
	s_or_b32 s72, s22, s16
                                        ; implicit-def: $vgpr7
	s_and_saveexec_b32 s12, s21
	s_cbranch_execz .LBB97_10
; %bb.99:                               ;   in Loop: Header=BB97_11 Depth=1
	v_dual_mov_b32 v7, 1 :: v_dual_mov_b32 v6, 1
	s_xor_b32 s15, s15, -1
	s_mov_b32 s20, 0
	s_wait_alu 0xfffe
	s_and_saveexec_b32 s14, s15
	s_cbranch_execz .LBB97_108
; %bb.100:                              ;   in Loop: Header=BB97_11 Depth=1
	s_mov_b32 s15, exec_lo
	v_cmpx_ge_u32_e64 s13, v40
	s_wait_alu 0xfffe
	s_xor_b32 s15, exec_lo, s15
	s_cbranch_execz .LBB97_105
; %bb.101:                              ;   in Loop: Header=BB97_11 Depth=1
	ds_load_b32 v2, v12 offset:4104
	v_and_b32_e32 v19, s11, v19
	v_and_b32_e32 v18, s10, v18
	v_or_b32_e32 v21, s9, v21
	v_or_b32_e32 v20, s8, v20
	s_wait_dscnt 0x0
	v_cmp_ne_u32_e32 vcc_lo, 0, v2
	s_cbranch_vccnz .LBB97_105
; %bb.102:                              ;   in Loop: Header=BB97_11 Depth=1
	s_and_saveexec_b32 s16, s2
; %bb.103:                              ;   in Loop: Header=BB97_11 Depth=1
	v_mov_b32_e32 v2, s13
	ds_store_b32 v12, v2 offset:4108
; %bb.104:                              ;   in Loop: Header=BB97_11 Depth=1
	s_wait_alu 0xfffe
	s_or_b32 exec_lo, exec_lo, s16
	s_wait_loadcnt_dscnt 0x0
	s_barrier_signal -1
	s_barrier_wait -1
	global_inv scope:SCOPE_SE
.LBB97_105:                             ;   in Loop: Header=BB97_11 Depth=1
	s_wait_alu 0xfffe
	s_or_saveexec_b32 s15, s15
	v_mov_b32_e32 v6, 8
	s_mov_b32 s16, 0
	s_wait_alu 0xfffe
	s_xor_b32 exec_lo, exec_lo, s15
; %bb.106:                              ;   in Loop: Header=BB97_11 Depth=1
	v_subrev_nc_u32_e32 v40, s13, v40
	v_mov_b32_e32 v6, 0
	s_mov_b32 s16, exec_lo
; %bb.107:                              ;   in Loop: Header=BB97_11 Depth=1
	s_or_b32 exec_lo, exec_lo, s15
	s_delay_alu instid0(VALU_DEP_2)
	v_mov_b32_e32 v7, v40
	s_wait_alu 0xfffe
	s_and_b32 s20, s16, exec_lo
.LBB97_108:                             ;   in Loop: Header=BB97_11 Depth=1
	s_wait_alu 0xfffe
	s_or_b32 exec_lo, exec_lo, s14
	s_mov_b32 s13, -1
	s_mov_b32 s18, -1
                                        ; implicit-def: $sgpr15
                                        ; implicit-def: $sgpr16
	s_and_saveexec_b32 s14, s20
	s_wait_alu 0xfffe
	s_xor_b32 s14, exec_lo, s14
	s_cbranch_execz .LBB97_228
; %bb.109:                              ;   in Loop: Header=BB97_11 Depth=1
	v_cmp_eq_u32_e32 vcc_lo, 1, v7
	s_cmp_eq_u32 s19, 1
	s_mov_b32 s21, -1
	s_cselect_b32 s15, -1, 0
                                        ; implicit-def: $sgpr16
	s_wait_alu 0xfffe
	s_and_b32 s20, s15, vcc_lo
                                        ; implicit-def: $sgpr15
	s_wait_alu 0xfffe
	s_and_saveexec_b32 s18, s20
	s_cbranch_execz .LBB97_138
; %bb.110:                              ;   in Loop: Header=BB97_11 Depth=1
	ds_load_b32 v2, v12 offset:4104
	s_wait_loadcnt_dscnt 0x0
	s_barrier_signal -1
	s_barrier_wait -1
	global_inv scope:SCOPE_SE
	v_readfirstlane_b32 s22, v2
	s_and_saveexec_b32 s15, s3
; %bb.111:                              ;   in Loop: Header=BB97_11 Depth=1
	v_mov_b32_e32 v11, v12
	ds_store_b64 v29, v[11:12]
; %bb.112:                              ;   in Loop: Header=BB97_11 Depth=1
	s_wait_alu 0xfffe
	s_or_b32 exec_lo, exec_lo, s15
	v_and_b32_e32 v2, s11, v19
	v_and_b32_e32 v3, s10, v18
	s_lshl_b64 s[24:25], 1, s76
	v_or_b32_e32 v21, s9, v21
	v_or_b32_e32 v20, s8, v20
	s_wait_alu 0xfffe
	v_or_b32_e32 v19, s25, v2
	v_or_b32_e32 v18, s24, v3
	s_mov_b32 s15, -1
	s_mov_b32 s16, 0
	s_cmp_eq_u32 s22, 0
	s_mov_b32 s21, 0
	s_mov_b32 s23, -1
	s_wait_loadcnt_dscnt 0x0
	s_barrier_signal -1
	s_barrier_wait -1
	global_inv scope:SCOPE_SE
                                        ; implicit-def: $vgpr4_vgpr5
	s_cbranch_scc1 .LBB97_126
; %bb.113:                              ;   in Loop: Header=BB97_11 Depth=1
	s_add_co_i32 s48, s22, s35
                                        ; implicit-def: $vgpr4_vgpr5
	s_wait_alu 0xfffe
	s_mul_u64 s[24:25], s[48:49], s[52:53]
	s_mov_b32 s24, exec_lo
	s_wait_alu 0xfffe
	s_mul_i32 s21, s25, s29
	s_wait_alu 0xfffe
	s_sub_co_i32 s21, s48, s21
	s_wait_alu 0xfffe
	s_sub_co_i32 s23, s21, s29
	s_cmp_ge_u32 s21, s29
	s_wait_alu 0xfffe
	s_cselect_b32 s21, s23, s21
	s_wait_alu 0xfffe
	s_sub_co_i32 s23, s21, s29
	s_cmp_ge_u32 s21, s29
	s_wait_alu 0xfffe
	s_cselect_b32 s21, s23, s21
	s_mov_b32 s23, 0
	s_wait_alu 0xfffe
	s_sub_co_i32 s25, s48, s21
	s_mov_b32 s21, 0
	s_wait_alu 0xfffe
	v_cmpx_gt_u32_e64 s25, v0
	s_cbranch_execz .LBB97_125
; %bb.114:                              ;   in Loop: Header=BB97_11 Depth=1
	v_dual_mov_b32 v8, v28 :: v_dual_mov_b32 v9, v0
                                        ; implicit-def: $sgpr26
	s_branch .LBB97_117
.LBB97_115:                             ;   in Loop: Header=BB97_117 Depth=2
	s_wait_alu 0xfffe
	s_or_b32 exec_lo, exec_lo, s48
	s_wait_loadcnt_dscnt 0x0
	s_barrier_signal -1
	s_barrier_wait -1
	global_inv scope:SCOPE_SE
	ds_load_b128 v[2:5], v12 offset:3072
	s_mov_b32 s48, -1
	s_mov_b32 s77, -1
	s_wait_loadcnt_dscnt 0x0
	s_barrier_signal -1
	s_barrier_wait -1
	global_inv scope:SCOPE_SE
	v_cmp_ne_u64_e32 vcc_lo, 0, v[2:3]
	s_cbranch_vccz .LBB97_120
.LBB97_116:                             ;   in Loop: Header=BB97_117 Depth=2
	s_wait_alu 0xfffe
	s_and_b32 s48, exec_lo, s48
	s_wait_alu 0xfffe
	s_or_b32 s21, s48, s21
	s_and_not1_b32 s26, s26, exec_lo
	s_and_b32 s48, s77, exec_lo
	s_wait_alu 0xfffe
	s_or_b32 s26, s26, s48
	s_and_not1_b32 exec_lo, exec_lo, s21
	s_cbranch_execz .LBB97_124
.LBB97_117:                             ;   Parent Loop BB97_11 Depth=1
                                        ; =>  This Inner Loop Header: Depth=2
	s_mov_b32 s48, exec_lo
	s_delay_alu instid0(VALU_DEP_1)
	v_cmpx_gt_u32_e64 s22, v9
	s_cbranch_execz .LBB97_115
; %bb.118:                              ;   in Loop: Header=BB97_117 Depth=2
	ds_load_b64 v[3:4], v8
	s_wait_dscnt 0x0
	v_xor_b32_e32 v2, 0x80000000, v4
	v_and_b32_e32 v22, v3, v20
	s_delay_alu instid0(VALU_DEP_2) | instskip(NEXT) | instid1(VALU_DEP_1)
	v_and_b32_e32 v23, v2, v21
	v_cmp_eq_u64_e32 vcc_lo, v[22:23], v[18:19]
	s_and_b32 exec_lo, exec_lo, vcc_lo
	s_cbranch_execz .LBB97_115
; %bb.119:                              ;   in Loop: Header=BB97_117 Depth=2
	v_mov_b32_e32 v2, v12
	ds_store_b128 v12, v[1:4] offset:3072
	s_branch .LBB97_115
.LBB97_120:                             ;   in Loop: Header=BB97_117 Depth=2
	v_add_nc_u32_e32 v9, s29, v9
	v_add_nc_u32_e32 v8, s68, v8
	s_mov_b32 s77, 0
	s_delay_alu instid0(VALU_DEP_2)
	v_cmp_le_u32_e32 vcc_lo, s25, v9
	s_or_not1_b32 s48, vcc_lo, exec_lo
	s_branch .LBB97_116
.LBB97_121:                             ;   in Loop: Header=BB97_11 Depth=1
	s_wait_alu 0xfffe
	s_or_b32 exec_lo, exec_lo, s10
	s_wait_loadcnt_dscnt 0x0
	s_barrier_signal -1
	s_barrier_wait -1
	global_inv scope:SCOPE_SE
	s_and_saveexec_b32 s7, s2
	s_cbranch_execz .LBB97_123
; %bb.122:                              ;   in Loop: Header=BB97_11 Depth=1
	ds_load_b32 v2, v12 offset:4112
	s_wait_dscnt 0x0
	ds_store_b32 v12, v2 offset:4104
.LBB97_123:                             ;   in Loop: Header=BB97_11 Depth=1
	s_wait_alu 0xfffe
	s_or_b32 exec_lo, exec_lo, s7
	s_wait_loadcnt_dscnt 0x0
	s_barrier_signal -1
	s_mov_b32 s7, -1
	s_barrier_wait -1
	s_and_b32 vcc_lo, exec_lo, s9
	s_wait_alu 0xfffe
	s_cbranch_vccnz .LBB97_27
	s_branch .LBB97_36
.LBB97_124:                             ;   in Loop: Header=BB97_11 Depth=1
	s_or_b32 exec_lo, exec_lo, s21
	s_wait_alu 0xfffe
	s_and_b32 s21, s26, exec_lo
.LBB97_125:                             ;   in Loop: Header=BB97_11 Depth=1
	s_or_b32 exec_lo, exec_lo, s24
.LBB97_126:                             ;   in Loop: Header=BB97_11 Depth=1
	s_wait_alu 0xfffe
	s_and_b32 vcc_lo, exec_lo, s23
	s_wait_alu 0xfffe
	s_cbranch_vccz .LBB97_137
; %bb.127:                              ;   in Loop: Header=BB97_11 Depth=1
                                        ; implicit-def: $vgpr4_vgpr5
	s_and_saveexec_b32 s15, s6
	s_cbranch_execz .LBB97_136
; %bb.128:                              ;   in Loop: Header=BB97_11 Depth=1
	v_dual_mov_b32 v11, v10 :: v_dual_mov_b32 v8, v0
	s_mov_b32 s16, 0
                                        ; implicit-def: $sgpr22
	s_branch .LBB97_131
.LBB97_129:                             ;   in Loop: Header=BB97_131 Depth=2
	s_wait_alu 0xfffe
	s_or_b32 exec_lo, exec_lo, s23
	s_wait_loadcnt_dscnt 0x0
	s_barrier_signal -1
	s_barrier_wait -1
	global_inv scope:SCOPE_SE
	ds_load_b128 v[2:5], v12 offset:3072
	s_mov_b32 s23, -1
	s_mov_b32 s24, -1
	s_wait_loadcnt_dscnt 0x0
	s_barrier_signal -1
	s_barrier_wait -1
	global_inv scope:SCOPE_SE
	v_cmp_eq_u64_e32 vcc_lo, 0, v[2:3]
	s_cbranch_vccnz .LBB97_134
.LBB97_130:                             ;   in Loop: Header=BB97_131 Depth=2
	s_wait_alu 0xfffe
	s_and_b32 s23, exec_lo, s23
	s_wait_alu 0xfffe
	s_or_b32 s16, s23, s16
	s_and_not1_b32 s22, s22, exec_lo
	s_and_b32 s23, s24, exec_lo
	s_wait_alu 0xfffe
	s_or_b32 s22, s22, s23
	s_and_not1_b32 exec_lo, exec_lo, s16
	s_cbranch_execz .LBB97_135
.LBB97_131:                             ;   Parent Loop BB97_11 Depth=1
                                        ; =>  This Inner Loop Header: Depth=2
	s_mov_b32 s23, exec_lo
	s_delay_alu instid0(VALU_DEP_1)
	v_cmpx_gt_u32_e64 s28, v8
	s_cbranch_execz .LBB97_129
; %bb.132:                              ;   in Loop: Header=BB97_131 Depth=2
	v_lshlrev_b64_e32 v[2:3], 3, v[11:12]
	s_delay_alu instid0(VALU_DEP_1) | instskip(SKIP_1) | instid1(VALU_DEP_2)
	v_add_co_u32 v2, vcc_lo, s40, v2
	s_wait_alu 0xfffd
	v_add_co_ci_u32_e64 v3, null, s41, v3, vcc_lo
	global_load_b64 v[3:4], v[2:3], off
	s_wait_loadcnt 0x0
	v_xor_b32_e32 v2, 0x80000000, v4
	v_and_b32_e32 v22, v3, v20
	s_delay_alu instid0(VALU_DEP_2) | instskip(NEXT) | instid1(VALU_DEP_1)
	v_and_b32_e32 v23, v2, v21
	v_cmp_eq_u64_e32 vcc_lo, v[22:23], v[18:19]
	s_and_b32 exec_lo, exec_lo, vcc_lo
	s_cbranch_execz .LBB97_129
; %bb.133:                              ;   in Loop: Header=BB97_131 Depth=2
	v_mov_b32_e32 v2, v12
	ds_store_b128 v12, v[1:4] offset:3072
	s_branch .LBB97_129
.LBB97_134:                             ;   in Loop: Header=BB97_131 Depth=2
	v_add_nc_u32_e32 v8, s29, v8
	v_add_nc_u32_e32 v11, s46, v11
	s_mov_b32 s24, 0
	s_delay_alu instid0(VALU_DEP_2)
	v_cmp_le_u32_e32 vcc_lo, s65, v8
	s_or_not1_b32 s23, vcc_lo, exec_lo
	s_branch .LBB97_130
.LBB97_135:                             ;   in Loop: Header=BB97_11 Depth=1
	s_or_b32 exec_lo, exec_lo, s16
	s_delay_alu instid0(SALU_CYCLE_1)
	s_and_not1_b32 s16, s21, exec_lo
	s_wait_alu 0xfffe
	s_and_b32 s21, s22, exec_lo
	s_wait_alu 0xfffe
	s_or_b32 s21, s16, s21
.LBB97_136:                             ;   in Loop: Header=BB97_11 Depth=1
	s_wait_alu 0xfffe
	s_or_b32 exec_lo, exec_lo, s15
	s_mov_b32 s15, 0
	s_mov_b32 s16, -1
.LBB97_137:                             ;   in Loop: Header=BB97_11 Depth=1
	s_or_not1_b32 s21, s21, exec_lo
.LBB97_138:                             ;   in Loop: Header=BB97_11 Depth=1
	s_wait_alu 0xfffe
	s_or_b32 exec_lo, exec_lo, s18
	s_mov_b32 s22, 0
	s_and_saveexec_b32 s18, s21
	s_cbranch_execz .LBB97_227
; %bb.139:                              ;   in Loop: Header=BB97_11 Depth=1
	v_mov_b32_e32 v8, 1
	v_mov_b32_e32 v6, 1
	s_xor_b32 s21, s20, -1
	s_mov_b32 s23, 0
	s_wait_alu 0xfffe
	s_and_saveexec_b32 s20, s21
	s_cbranch_execz .LBB97_148
; %bb.140:                              ;   in Loop: Header=BB97_11 Depth=1
	s_mov_b32 s21, exec_lo
	v_cmpx_ge_u32_e64 s19, v7
	s_wait_alu 0xfffe
	s_xor_b32 s21, exec_lo, s21
	s_cbranch_execz .LBB97_145
; %bb.141:                              ;   in Loop: Header=BB97_11 Depth=1
	ds_load_b32 v2, v12 offset:4104
	v_and_b32_e32 v3, s11, v19
	v_and_b32_e32 v6, s10, v18
	s_lshl_b64 s[22:23], 1, s76
	v_or_b32_e32 v21, s9, v21
	v_or_b32_e32 v20, s8, v20
	s_wait_alu 0xfffe
	v_or_b32_e32 v19, s23, v3
	v_or_b32_e32 v18, s22, v6
	s_wait_dscnt 0x0
	v_cmp_ne_u32_e32 vcc_lo, 0, v2
	s_cbranch_vccnz .LBB97_145
; %bb.142:                              ;   in Loop: Header=BB97_11 Depth=1
	s_and_saveexec_b32 s22, s2
; %bb.143:                              ;   in Loop: Header=BB97_11 Depth=1
	v_mov_b32_e32 v2, s19
	ds_store_b32 v12, v2 offset:4108
; %bb.144:                              ;   in Loop: Header=BB97_11 Depth=1
	s_wait_alu 0xfffe
	s_or_b32 exec_lo, exec_lo, s22
	s_wait_loadcnt_dscnt 0x0
	s_barrier_signal -1
	s_barrier_wait -1
	global_inv scope:SCOPE_SE
.LBB97_145:                             ;   in Loop: Header=BB97_11 Depth=1
	s_wait_alu 0xfffe
	s_or_saveexec_b32 s21, s21
	v_mov_b32_e32 v6, 8
	s_mov_b32 s22, 0
	s_wait_alu 0xfffe
	s_xor_b32 exec_lo, exec_lo, s21
; %bb.146:                              ;   in Loop: Header=BB97_11 Depth=1
	v_subrev_nc_u32_e32 v7, s19, v7
	v_mov_b32_e32 v6, 0
	s_mov_b32 s22, exec_lo
; %bb.147:                              ;   in Loop: Header=BB97_11 Depth=1
	s_or_b32 exec_lo, exec_lo, s21
	s_delay_alu instid0(VALU_DEP_2)
	v_mov_b32_e32 v8, v7
	s_wait_alu 0xfffe
	s_and_b32 s23, s22, exec_lo
.LBB97_148:                             ;   in Loop: Header=BB97_11 Depth=1
	s_wait_alu 0xfffe
	s_or_b32 exec_lo, exec_lo, s20
	s_mov_b32 s22, -1
                                        ; implicit-def: $sgpr20
                                        ; implicit-def: $sgpr21
	s_and_saveexec_b32 s19, s23
	s_cbranch_execz .LBB97_226
; %bb.149:                              ;   in Loop: Header=BB97_11 Depth=1
	v_cmp_eq_u32_e32 vcc_lo, 1, v8
	s_cmp_eq_u32 s17, 1
	s_mov_b32 s24, -1
	s_cselect_b32 s20, -1, 0
                                        ; implicit-def: $sgpr21
	s_wait_alu 0xfffe
	s_and_b32 s23, s20, vcc_lo
                                        ; implicit-def: $sgpr20
	s_wait_alu 0xfffe
	s_and_saveexec_b32 s22, s23
	s_cbranch_execz .LBB97_175
; %bb.150:                              ;   in Loop: Header=BB97_11 Depth=1
	ds_load_b32 v2, v12 offset:4104
	s_wait_loadcnt_dscnt 0x0
	s_barrier_signal -1
	s_barrier_wait -1
	global_inv scope:SCOPE_SE
	v_readfirstlane_b32 s25, v2
	s_and_saveexec_b32 s20, s3
; %bb.151:                              ;   in Loop: Header=BB97_11 Depth=1
	v_mov_b32_e32 v11, v12
	ds_store_b64 v29, v[11:12]
; %bb.152:                              ;   in Loop: Header=BB97_11 Depth=1
	s_wait_alu 0xfffe
	s_or_b32 exec_lo, exec_lo, s20
	v_and_b32_e32 v2, s11, v19
	v_and_b32_e32 v3, s10, v18
	s_lshl_b64 s[20:21], 2, s76
	v_or_b32_e32 v21, s9, v21
	v_or_b32_e32 v20, s8, v20
	s_wait_alu 0xfffe
	v_or_b32_e32 v19, s21, v2
	v_or_b32_e32 v18, s20, v3
	s_mov_b32 s20, -1
	s_mov_b32 s21, 0
	s_cmp_eq_u32 s25, 0
	s_mov_b32 s24, 0
	s_mov_b32 s26, -1
	s_wait_loadcnt_dscnt 0x0
	s_barrier_signal -1
	s_barrier_wait -1
	global_inv scope:SCOPE_SE
                                        ; implicit-def: $vgpr4_vgpr5
	s_cbranch_scc1 .LBB97_163
; %bb.153:                              ;   in Loop: Header=BB97_11 Depth=1
	s_add_co_i32 s48, s25, s35
                                        ; implicit-def: $vgpr4_vgpr5
	s_wait_alu 0xfffe
	s_mul_u64 s[78:79], s[48:49], s[52:53]
	s_wait_alu 0xfffe
	s_mul_i32 s24, s79, s29
	s_wait_alu 0xfffe
	s_sub_co_i32 s24, s48, s24
	s_wait_alu 0xfffe
	s_sub_co_i32 s26, s24, s29
	s_cmp_ge_u32 s24, s29
	s_wait_alu 0xfffe
	s_cselect_b32 s24, s26, s24
	s_wait_alu 0xfffe
	s_sub_co_i32 s26, s24, s29
	s_cmp_ge_u32 s24, s29
	s_wait_alu 0xfffe
	s_cselect_b32 s24, s26, s24
	s_mov_b32 s26, 0
	s_wait_alu 0xfffe
	s_sub_co_i32 s77, s48, s24
	s_mov_b32 s24, 0
	s_mov_b32 s48, exec_lo
	s_wait_alu 0xfffe
	v_cmpx_gt_u32_e64 s77, v0
	s_cbranch_execz .LBB97_162
; %bb.154:                              ;   in Loop: Header=BB97_11 Depth=1
	v_mov_b32_e32 v7, v28
	v_mov_b32_e32 v9, v0
                                        ; implicit-def: $sgpr78
	s_branch .LBB97_157
.LBB97_155:                             ;   in Loop: Header=BB97_157 Depth=2
	s_wait_alu 0xfffe
	s_or_b32 exec_lo, exec_lo, s79
	s_wait_loadcnt_dscnt 0x0
	s_barrier_signal -1
	s_barrier_wait -1
	global_inv scope:SCOPE_SE
	ds_load_b128 v[2:5], v12 offset:3072
	s_mov_b32 s79, -1
	s_mov_b32 s80, -1
	s_wait_loadcnt_dscnt 0x0
	s_barrier_signal -1
	s_barrier_wait -1
	global_inv scope:SCOPE_SE
	v_cmp_ne_u64_e32 vcc_lo, 0, v[2:3]
	s_cbranch_vccz .LBB97_160
.LBB97_156:                             ;   in Loop: Header=BB97_157 Depth=2
	s_wait_alu 0xfffe
	s_and_b32 s79, exec_lo, s79
	s_wait_alu 0xfffe
	s_or_b32 s24, s79, s24
	s_and_not1_b32 s78, s78, exec_lo
	s_and_b32 s79, s80, exec_lo
	s_wait_alu 0xfffe
	s_or_b32 s78, s78, s79
	s_and_not1_b32 exec_lo, exec_lo, s24
	s_cbranch_execz .LBB97_161
.LBB97_157:                             ;   Parent Loop BB97_11 Depth=1
                                        ; =>  This Inner Loop Header: Depth=2
	s_mov_b32 s79, exec_lo
	s_delay_alu instid0(VALU_DEP_1)
	v_cmpx_gt_u32_e64 s25, v9
	s_cbranch_execz .LBB97_155
; %bb.158:                              ;   in Loop: Header=BB97_157 Depth=2
	ds_load_b64 v[3:4], v7
	s_wait_dscnt 0x0
	v_xor_b32_e32 v2, 0x80000000, v4
	v_and_b32_e32 v22, v3, v20
	s_delay_alu instid0(VALU_DEP_2) | instskip(NEXT) | instid1(VALU_DEP_1)
	v_and_b32_e32 v23, v2, v21
	v_cmp_eq_u64_e32 vcc_lo, v[22:23], v[18:19]
	s_and_b32 exec_lo, exec_lo, vcc_lo
	s_cbranch_execz .LBB97_155
; %bb.159:                              ;   in Loop: Header=BB97_157 Depth=2
	v_mov_b32_e32 v2, v12
	ds_store_b128 v12, v[1:4] offset:3072
	s_branch .LBB97_155
.LBB97_160:                             ;   in Loop: Header=BB97_157 Depth=2
	v_add_nc_u32_e32 v9, s29, v9
	v_add_nc_u32_e32 v7, s68, v7
	s_mov_b32 s80, 0
	s_delay_alu instid0(VALU_DEP_2)
	v_cmp_le_u32_e32 vcc_lo, s77, v9
	s_or_not1_b32 s79, vcc_lo, exec_lo
	s_branch .LBB97_156
.LBB97_161:                             ;   in Loop: Header=BB97_11 Depth=1
	s_or_b32 exec_lo, exec_lo, s24
	s_wait_alu 0xfffe
	s_and_b32 s24, s78, exec_lo
.LBB97_162:                             ;   in Loop: Header=BB97_11 Depth=1
	s_or_b32 exec_lo, exec_lo, s48
.LBB97_163:                             ;   in Loop: Header=BB97_11 Depth=1
	s_wait_alu 0xfffe
	s_and_b32 vcc_lo, exec_lo, s26
	s_wait_alu 0xfffe
	s_cbranch_vccz .LBB97_174
; %bb.164:                              ;   in Loop: Header=BB97_11 Depth=1
                                        ; implicit-def: $vgpr4_vgpr5
	s_and_saveexec_b32 s20, s6
	s_cbranch_execz .LBB97_173
; %bb.165:                              ;   in Loop: Header=BB97_11 Depth=1
	v_mov_b32_e32 v11, v10
	v_mov_b32_e32 v7, v0
	s_mov_b32 s21, 0
                                        ; implicit-def: $sgpr25
	s_branch .LBB97_168
.LBB97_166:                             ;   in Loop: Header=BB97_168 Depth=2
	s_wait_alu 0xfffe
	s_or_b32 exec_lo, exec_lo, s26
	s_wait_loadcnt_dscnt 0x0
	s_barrier_signal -1
	s_barrier_wait -1
	global_inv scope:SCOPE_SE
	ds_load_b128 v[2:5], v12 offset:3072
	s_mov_b32 s26, -1
	s_mov_b32 s48, -1
	s_wait_loadcnt_dscnt 0x0
	s_barrier_signal -1
	s_barrier_wait -1
	global_inv scope:SCOPE_SE
	v_cmp_eq_u64_e32 vcc_lo, 0, v[2:3]
	s_cbranch_vccnz .LBB97_171
.LBB97_167:                             ;   in Loop: Header=BB97_168 Depth=2
	s_wait_alu 0xfffe
	s_and_b32 s26, exec_lo, s26
	s_wait_alu 0xfffe
	s_or_b32 s21, s26, s21
	s_and_not1_b32 s25, s25, exec_lo
	s_and_b32 s26, s48, exec_lo
	s_wait_alu 0xfffe
	s_or_b32 s25, s25, s26
	s_and_not1_b32 exec_lo, exec_lo, s21
	s_cbranch_execz .LBB97_172
.LBB97_168:                             ;   Parent Loop BB97_11 Depth=1
                                        ; =>  This Inner Loop Header: Depth=2
	s_mov_b32 s26, exec_lo
	s_delay_alu instid0(VALU_DEP_1)
	v_cmpx_gt_u32_e64 s28, v7
	s_cbranch_execz .LBB97_166
; %bb.169:                              ;   in Loop: Header=BB97_168 Depth=2
	v_lshlrev_b64_e32 v[2:3], 3, v[11:12]
	s_delay_alu instid0(VALU_DEP_1) | instskip(SKIP_1) | instid1(VALU_DEP_2)
	v_add_co_u32 v2, vcc_lo, s40, v2
	s_wait_alu 0xfffd
	v_add_co_ci_u32_e64 v3, null, s41, v3, vcc_lo
	global_load_b64 v[3:4], v[2:3], off
	s_wait_loadcnt 0x0
	v_xor_b32_e32 v2, 0x80000000, v4
	v_and_b32_e32 v22, v3, v20
	s_delay_alu instid0(VALU_DEP_2) | instskip(NEXT) | instid1(VALU_DEP_1)
	v_and_b32_e32 v23, v2, v21
	v_cmp_eq_u64_e32 vcc_lo, v[22:23], v[18:19]
	s_and_b32 exec_lo, exec_lo, vcc_lo
	s_cbranch_execz .LBB97_166
; %bb.170:                              ;   in Loop: Header=BB97_168 Depth=2
	v_mov_b32_e32 v2, v12
	ds_store_b128 v12, v[1:4] offset:3072
	s_branch .LBB97_166
.LBB97_171:                             ;   in Loop: Header=BB97_168 Depth=2
	v_add_nc_u32_e32 v7, s29, v7
	v_add_nc_u32_e32 v11, s46, v11
	s_mov_b32 s48, 0
	s_delay_alu instid0(VALU_DEP_2)
	v_cmp_le_u32_e32 vcc_lo, s65, v7
	s_or_not1_b32 s26, vcc_lo, exec_lo
	s_branch .LBB97_167
.LBB97_172:                             ;   in Loop: Header=BB97_11 Depth=1
	s_or_b32 exec_lo, exec_lo, s21
	s_delay_alu instid0(SALU_CYCLE_1)
	s_and_not1_b32 s21, s24, exec_lo
	s_wait_alu 0xfffe
	s_and_b32 s24, s25, exec_lo
	s_wait_alu 0xfffe
	s_or_b32 s24, s21, s24
.LBB97_173:                             ;   in Loop: Header=BB97_11 Depth=1
	s_wait_alu 0xfffe
	s_or_b32 exec_lo, exec_lo, s20
	s_mov_b32 s20, 0
	s_mov_b32 s21, -1
.LBB97_174:                             ;   in Loop: Header=BB97_11 Depth=1
	s_or_not1_b32 s24, s24, exec_lo
.LBB97_175:                             ;   in Loop: Header=BB97_11 Depth=1
	s_wait_alu 0xfffe
	s_or_b32 exec_lo, exec_lo, s22
	s_mov_b32 s25, 0
	s_and_saveexec_b32 s22, s24
	s_cbranch_execz .LBB97_225
; %bb.176:                              ;   in Loop: Header=BB97_11 Depth=1
	v_dual_mov_b32 v7, 1 :: v_dual_mov_b32 v6, 1
	s_xor_b32 s25, s23, -1
	s_mov_b32 s24, 0
	s_wait_alu 0xfffe
	s_and_saveexec_b32 s23, s25
	s_cbranch_execz .LBB97_185
; %bb.177:                              ;   in Loop: Header=BB97_11 Depth=1
	s_mov_b32 s24, exec_lo
	v_cmpx_ge_u32_e64 s17, v8
	s_wait_alu 0xfffe
	s_xor_b32 s24, exec_lo, s24
	s_cbranch_execz .LBB97_182
; %bb.178:                              ;   in Loop: Header=BB97_11 Depth=1
	ds_load_b32 v2, v12 offset:4104
	v_and_b32_e32 v3, s11, v19
	v_and_b32_e32 v6, s10, v18
	s_lshl_b64 s[10:11], 2, s76
	v_or_b32_e32 v21, s9, v21
	v_or_b32_e32 v20, s8, v20
	s_wait_alu 0xfffe
	v_or_b32_e32 v19, s11, v3
	v_or_b32_e32 v18, s10, v6
	s_wait_dscnt 0x0
	v_cmp_ne_u32_e32 vcc_lo, 0, v2
	s_cbranch_vccnz .LBB97_182
; %bb.179:                              ;   in Loop: Header=BB97_11 Depth=1
	s_and_saveexec_b32 s10, s2
; %bb.180:                              ;   in Loop: Header=BB97_11 Depth=1
	v_mov_b32_e32 v2, s17
	ds_store_b32 v12, v2 offset:4108
; %bb.181:                              ;   in Loop: Header=BB97_11 Depth=1
	s_wait_alu 0xfffe
	s_or_b32 exec_lo, exec_lo, s10
	s_wait_loadcnt_dscnt 0x0
	s_barrier_signal -1
	s_barrier_wait -1
	global_inv scope:SCOPE_SE
.LBB97_182:                             ;   in Loop: Header=BB97_11 Depth=1
	s_wait_alu 0xfffe
	s_or_saveexec_b32 s10, s24
	v_mov_b32_e32 v6, 8
	s_mov_b32 s11, 0
	s_wait_alu 0xfffe
	s_xor_b32 exec_lo, exec_lo, s10
; %bb.183:                              ;   in Loop: Header=BB97_11 Depth=1
	v_subrev_nc_u32_e32 v8, s17, v8
	v_mov_b32_e32 v6, 0
	s_mov_b32 s11, exec_lo
; %bb.184:                              ;   in Loop: Header=BB97_11 Depth=1
	s_or_b32 exec_lo, exec_lo, s10
	s_delay_alu instid0(VALU_DEP_2)
	v_mov_b32_e32 v7, v8
	s_wait_alu 0xfffe
	s_and_b32 s24, s11, exec_lo
.LBB97_185:                             ;   in Loop: Header=BB97_11 Depth=1
	s_wait_alu 0xfffe
	s_or_b32 exec_lo, exec_lo, s23
	s_mov_b32 s11, -1
                                        ; implicit-def: $sgpr23
                                        ; implicit-def: $sgpr17
	s_and_saveexec_b32 s10, s24
	s_cbranch_execz .LBB97_224
; %bb.186:                              ;   in Loop: Header=BB97_11 Depth=1
	v_cmp_eq_u32_e32 vcc_lo, 1, v7
	s_cmp_eq_u32 s7, 1
	s_mov_b32 s25, -1
	s_cselect_b32 s11, -1, 0
                                        ; implicit-def: $sgpr23
                                        ; implicit-def: $sgpr17
	s_wait_alu 0xfffe
	s_and_b32 s11, s11, vcc_lo
	s_wait_alu 0xfffe
	s_and_saveexec_b32 s24, s11
	s_cbranch_execz .LBB97_212
; %bb.187:                              ;   in Loop: Header=BB97_11 Depth=1
	ds_load_b32 v2, v12 offset:4104
	s_wait_loadcnt_dscnt 0x0
	s_barrier_signal -1
	s_barrier_wait -1
	global_inv scope:SCOPE_SE
	v_readfirstlane_b32 s26, v2
	s_and_saveexec_b32 s17, s3
; %bb.188:                              ;   in Loop: Header=BB97_11 Depth=1
	v_mov_b32_e32 v11, v12
	ds_store_b64 v29, v[11:12]
; %bb.189:                              ;   in Loop: Header=BB97_11 Depth=1
	s_wait_alu 0xfffe
	s_or_b32 exec_lo, exec_lo, s17
	v_or_b32_e32 v19, s9, v19
	v_or_b32_e32 v18, s8, v18
	;; [unrolled: 1-line block ×4, first 2 shown]
	s_mov_b32 s17, -1
	s_mov_b32 s23, 0
	s_cmp_eq_u32 s26, 0
	s_mov_b32 s25, 0
	s_mov_b32 s48, -1
	s_wait_loadcnt_dscnt 0x0
	s_barrier_signal -1
	s_barrier_wait -1
	global_inv scope:SCOPE_SE
                                        ; implicit-def: $vgpr4_vgpr5
	s_cbranch_scc1 .LBB97_200
; %bb.190:                              ;   in Loop: Header=BB97_11 Depth=1
	s_add_co_i32 s48, s26, s35
                                        ; implicit-def: $vgpr4_vgpr5
	s_wait_alu 0xfffe
	s_mul_u64 s[78:79], s[48:49], s[52:53]
	s_wait_alu 0xfffe
	s_mul_i32 s25, s79, s29
	s_wait_alu 0xfffe
	s_sub_co_i32 s25, s48, s25
	s_wait_alu 0xfffe
	s_sub_co_i32 s77, s25, s29
	s_cmp_ge_u32 s25, s29
	s_wait_alu 0xfffe
	s_cselect_b32 s25, s77, s25
	s_wait_alu 0xfffe
	s_sub_co_i32 s77, s25, s29
	s_cmp_ge_u32 s25, s29
	s_wait_alu 0xfffe
	s_cselect_b32 s25, s77, s25
	s_mov_b32 s77, exec_lo
	s_wait_alu 0xfffe
	s_sub_co_i32 s78, s48, s25
	s_mov_b32 s48, 0
	s_mov_b32 s25, 0
	s_wait_alu 0xfffe
	v_cmpx_gt_u32_e64 s78, v0
	s_cbranch_execz .LBB97_199
; %bb.191:                              ;   in Loop: Header=BB97_11 Depth=1
	v_dual_mov_b32 v8, v28 :: v_dual_mov_b32 v9, v0
                                        ; implicit-def: $sgpr79
	s_branch .LBB97_194
.LBB97_192:                             ;   in Loop: Header=BB97_194 Depth=2
	s_wait_alu 0xfffe
	s_or_b32 exec_lo, exec_lo, s80
	s_wait_loadcnt_dscnt 0x0
	s_barrier_signal -1
	s_barrier_wait -1
	global_inv scope:SCOPE_SE
	ds_load_b128 v[2:5], v12 offset:3072
	s_mov_b32 s80, -1
	s_mov_b32 s81, -1
	s_wait_loadcnt_dscnt 0x0
	s_barrier_signal -1
	s_barrier_wait -1
	global_inv scope:SCOPE_SE
	v_cmp_ne_u64_e32 vcc_lo, 0, v[2:3]
	s_cbranch_vccz .LBB97_197
.LBB97_193:                             ;   in Loop: Header=BB97_194 Depth=2
	s_wait_alu 0xfffe
	s_and_b32 s80, exec_lo, s80
	s_wait_alu 0xfffe
	s_or_b32 s25, s80, s25
	s_and_not1_b32 s79, s79, exec_lo
	s_and_b32 s80, s81, exec_lo
	s_wait_alu 0xfffe
	s_or_b32 s79, s79, s80
	s_and_not1_b32 exec_lo, exec_lo, s25
	s_cbranch_execz .LBB97_198
.LBB97_194:                             ;   Parent Loop BB97_11 Depth=1
                                        ; =>  This Inner Loop Header: Depth=2
	s_mov_b32 s80, exec_lo
	s_delay_alu instid0(VALU_DEP_1)
	v_cmpx_gt_u32_e64 s26, v9
	s_cbranch_execz .LBB97_192
; %bb.195:                              ;   in Loop: Header=BB97_194 Depth=2
	ds_load_b64 v[3:4], v8
	s_wait_dscnt 0x0
	v_xor_b32_e32 v2, 0x80000000, v4
	v_and_b32_e32 v22, v3, v20
	s_delay_alu instid0(VALU_DEP_2) | instskip(NEXT) | instid1(VALU_DEP_1)
	v_and_b32_e32 v23, v2, v21
	v_cmp_eq_u64_e32 vcc_lo, v[22:23], v[18:19]
	s_and_b32 exec_lo, exec_lo, vcc_lo
	s_cbranch_execz .LBB97_192
; %bb.196:                              ;   in Loop: Header=BB97_194 Depth=2
	v_mov_b32_e32 v2, v12
	ds_store_b128 v12, v[1:4] offset:3072
	s_branch .LBB97_192
.LBB97_197:                             ;   in Loop: Header=BB97_194 Depth=2
	v_add_nc_u32_e32 v9, s29, v9
	v_add_nc_u32_e32 v8, s68, v8
	s_mov_b32 s81, 0
	s_delay_alu instid0(VALU_DEP_2)
	v_cmp_le_u32_e32 vcc_lo, s78, v9
	s_or_not1_b32 s80, vcc_lo, exec_lo
	s_branch .LBB97_193
.LBB97_198:                             ;   in Loop: Header=BB97_11 Depth=1
	s_or_b32 exec_lo, exec_lo, s25
	s_wait_alu 0xfffe
	s_and_b32 s25, s79, exec_lo
.LBB97_199:                             ;   in Loop: Header=BB97_11 Depth=1
	s_or_b32 exec_lo, exec_lo, s77
.LBB97_200:                             ;   in Loop: Header=BB97_11 Depth=1
	s_wait_alu 0xfffe
	s_and_b32 vcc_lo, exec_lo, s48
	s_wait_alu 0xfffe
	s_cbranch_vccz .LBB97_211
; %bb.201:                              ;   in Loop: Header=BB97_11 Depth=1
                                        ; implicit-def: $vgpr4_vgpr5
	s_and_saveexec_b32 s17, s6
	s_cbranch_execz .LBB97_210
; %bb.202:                              ;   in Loop: Header=BB97_11 Depth=1
	v_dual_mov_b32 v11, v10 :: v_dual_mov_b32 v8, v0
	s_mov_b32 s23, 0
                                        ; implicit-def: $sgpr26
	s_branch .LBB97_205
.LBB97_203:                             ;   in Loop: Header=BB97_205 Depth=2
	s_wait_alu 0xfffe
	s_or_b32 exec_lo, exec_lo, s48
	s_wait_loadcnt_dscnt 0x0
	s_barrier_signal -1
	s_barrier_wait -1
	global_inv scope:SCOPE_SE
	ds_load_b128 v[2:5], v12 offset:3072
	s_mov_b32 s48, -1
	s_mov_b32 s77, -1
	s_wait_loadcnt_dscnt 0x0
	s_barrier_signal -1
	s_barrier_wait -1
	global_inv scope:SCOPE_SE
	v_cmp_eq_u64_e32 vcc_lo, 0, v[2:3]
	s_cbranch_vccnz .LBB97_208
.LBB97_204:                             ;   in Loop: Header=BB97_205 Depth=2
	s_wait_alu 0xfffe
	s_and_b32 s48, exec_lo, s48
	s_wait_alu 0xfffe
	s_or_b32 s23, s48, s23
	s_and_not1_b32 s26, s26, exec_lo
	s_and_b32 s48, s77, exec_lo
	s_wait_alu 0xfffe
	s_or_b32 s26, s26, s48
	s_and_not1_b32 exec_lo, exec_lo, s23
	s_cbranch_execz .LBB97_209
.LBB97_205:                             ;   Parent Loop BB97_11 Depth=1
                                        ; =>  This Inner Loop Header: Depth=2
	s_mov_b32 s48, exec_lo
	s_delay_alu instid0(VALU_DEP_1)
	v_cmpx_gt_u32_e64 s28, v8
	s_cbranch_execz .LBB97_203
; %bb.206:                              ;   in Loop: Header=BB97_205 Depth=2
	v_lshlrev_b64_e32 v[2:3], 3, v[11:12]
	s_delay_alu instid0(VALU_DEP_1) | instskip(SKIP_1) | instid1(VALU_DEP_2)
	v_add_co_u32 v2, vcc_lo, s40, v2
	s_wait_alu 0xfffd
	v_add_co_ci_u32_e64 v3, null, s41, v3, vcc_lo
	global_load_b64 v[3:4], v[2:3], off
	s_wait_loadcnt 0x0
	v_xor_b32_e32 v2, 0x80000000, v4
	v_and_b32_e32 v22, v3, v20
	s_delay_alu instid0(VALU_DEP_2) | instskip(NEXT) | instid1(VALU_DEP_1)
	v_and_b32_e32 v23, v2, v21
	v_cmp_eq_u64_e32 vcc_lo, v[22:23], v[18:19]
	s_and_b32 exec_lo, exec_lo, vcc_lo
	s_cbranch_execz .LBB97_203
; %bb.207:                              ;   in Loop: Header=BB97_205 Depth=2
	v_mov_b32_e32 v2, v12
	ds_store_b128 v12, v[1:4] offset:3072
	s_branch .LBB97_203
.LBB97_208:                             ;   in Loop: Header=BB97_205 Depth=2
	v_add_nc_u32_e32 v8, s29, v8
	v_add_nc_u32_e32 v11, s46, v11
	s_mov_b32 s77, 0
	s_delay_alu instid0(VALU_DEP_2)
	v_cmp_le_u32_e32 vcc_lo, s65, v8
	s_or_not1_b32 s48, vcc_lo, exec_lo
	s_branch .LBB97_204
.LBB97_209:                             ;   in Loop: Header=BB97_11 Depth=1
	s_or_b32 exec_lo, exec_lo, s23
	s_delay_alu instid0(SALU_CYCLE_1)
	s_and_not1_b32 s23, s25, exec_lo
	s_wait_alu 0xfffe
	s_and_b32 s25, s26, exec_lo
	s_wait_alu 0xfffe
	s_or_b32 s25, s23, s25
.LBB97_210:                             ;   in Loop: Header=BB97_11 Depth=1
	s_wait_alu 0xfffe
	s_or_b32 exec_lo, exec_lo, s17
	s_mov_b32 s17, 0
	s_mov_b32 s23, -1
.LBB97_211:                             ;   in Loop: Header=BB97_11 Depth=1
	s_or_not1_b32 s25, s25, exec_lo
.LBB97_212:                             ;   in Loop: Header=BB97_11 Depth=1
	s_wait_alu 0xfffe
	s_or_b32 exec_lo, exec_lo, s24
	s_mov_b32 s26, 0
	s_and_saveexec_b32 s24, s25
	s_cbranch_execz .LBB97_223
; %bb.213:                              ;   in Loop: Header=BB97_11 Depth=1
	v_mov_b32_e32 v6, 1
	v_mov_b32_e32 v2, 1
	s_xor_b32 s25, s11, -1
	s_wait_alu 0xfffe
	s_and_saveexec_b32 s11, s25
	s_cbranch_execz .LBB97_222
; %bb.214:                              ;   in Loop: Header=BB97_11 Depth=1
	s_mov_b32 s25, exec_lo
	v_cmpx_ge_u32_e64 s7, v7
	s_wait_alu 0xfffe
	s_xor_b32 s25, exec_lo, s25
	s_cbranch_execz .LBB97_219
; %bb.215:                              ;   in Loop: Header=BB97_11 Depth=1
	ds_load_b32 v2, v12 offset:4104
	v_or_b32_e32 v19, s9, v19
	v_or_b32_e32 v18, s8, v18
	;; [unrolled: 1-line block ×4, first 2 shown]
	s_wait_dscnt 0x0
	v_cmp_ne_u32_e32 vcc_lo, 0, v2
	s_cbranch_vccnz .LBB97_219
; %bb.216:                              ;   in Loop: Header=BB97_11 Depth=1
	s_and_saveexec_b32 s8, s2
; %bb.217:                              ;   in Loop: Header=BB97_11 Depth=1
	v_mov_b32_e32 v2, s7
	ds_store_b32 v12, v2 offset:4108
; %bb.218:                              ;   in Loop: Header=BB97_11 Depth=1
	s_wait_alu 0xfffe
	s_or_b32 exec_lo, exec_lo, s8
	s_wait_loadcnt_dscnt 0x0
	s_barrier_signal -1
	s_barrier_wait -1
	global_inv scope:SCOPE_SE
.LBB97_219:                             ;   in Loop: Header=BB97_11 Depth=1
	s_wait_alu 0xfffe
	s_and_not1_saveexec_b32 s8, s25
; %bb.220:                              ;   in Loop: Header=BB97_11 Depth=1
	v_subrev_nc_u32_e32 v7, s7, v7
; %bb.221:                              ;   in Loop: Header=BB97_11 Depth=1
	s_wait_alu 0xfffe
	s_or_b32 exec_lo, exec_lo, s8
	v_mov_b32_e32 v6, 8
	s_delay_alu instid0(VALU_DEP_2)
	v_mov_b32_e32 v2, v7
.LBB97_222:                             ;   in Loop: Header=BB97_11 Depth=1
	s_wait_alu 0xfffe
	s_or_b32 exec_lo, exec_lo, s11
	s_delay_alu instid0(VALU_DEP_1)
	v_mov_b32_e32 v7, v2
	s_mov_b32 s26, exec_lo
.LBB97_223:                             ;   in Loop: Header=BB97_11 Depth=1
	s_wait_alu 0xfffe
	s_or_b32 exec_lo, exec_lo, s24
	s_delay_alu instid0(SALU_CYCLE_1)
	s_or_not1_b32 s11, s26, exec_lo
.LBB97_224:                             ;   in Loop: Header=BB97_11 Depth=1
	s_wait_alu 0xfffe
	s_or_b32 exec_lo, exec_lo, s10
	v_mov_b32_e32 v8, v7
	s_and_not1_b32 s7, s21, exec_lo
	s_and_b32 s8, s23, exec_lo
	s_and_not1_b32 s9, s20, exec_lo
	s_and_b32 s10, s17, exec_lo
	s_wait_alu 0xfffe
	s_or_b32 s21, s7, s8
	s_or_b32 s20, s9, s10
	s_and_b32 s25, s11, exec_lo
.LBB97_225:                             ;   in Loop: Header=BB97_11 Depth=1
	s_wait_alu 0xfffe
	s_or_b32 exec_lo, exec_lo, s22
	s_delay_alu instid0(SALU_CYCLE_1)
	s_or_not1_b32 s22, s25, exec_lo
.LBB97_226:                             ;   in Loop: Header=BB97_11 Depth=1
	s_wait_alu 0xfffe
	s_or_b32 exec_lo, exec_lo, s19
	v_mov_b32_e32 v7, v8
	s_and_not1_b32 s7, s16, exec_lo
	s_and_b32 s8, s21, exec_lo
	s_and_not1_b32 s9, s15, exec_lo
	s_and_b32 s10, s20, exec_lo
	s_wait_alu 0xfffe
	s_or_b32 s16, s7, s8
	s_or_b32 s15, s9, s10
	s_and_b32 s22, s22, exec_lo
.LBB97_227:                             ;   in Loop: Header=BB97_11 Depth=1
	s_wait_alu 0xfffe
	s_or_b32 exec_lo, exec_lo, s18
	s_delay_alu instid0(SALU_CYCLE_1)
	s_or_not1_b32 s18, s22, exec_lo
.LBB97_228:                             ;   in Loop: Header=BB97_11 Depth=1
	s_wait_alu 0xfffe
	s_or_b32 exec_lo, exec_lo, s14
	s_mov_b32 s8, 0
                                        ; implicit-def: $sgpr20
	s_and_saveexec_b32 s7, s18
	s_wait_alu 0xfffe
	s_xor_b32 s7, exec_lo, s7
	s_cbranch_execz .LBB97_9
; %bb.229:                              ;   in Loop: Header=BB97_11 Depth=1
	v_and_b32_e32 v2, 7, v6
	s_mov_b32 s9, -1
	s_mov_b32 s8, -1
	s_mov_b32 s10, exec_lo
                                        ; implicit-def: $sgpr20
	s_delay_alu instid0(VALU_DEP_1)
	v_cmpx_eq_u32_e32 0, v2
	s_cbranch_execz .LBB97_8
; %bb.230:                              ;   in Loop: Header=BB97_11 Depth=1
	s_add_co_i32 s20, s76, -2
	s_cmp_eq_u32 s76, 0
	v_xor_b32_e32 v39, 1, v39
	s_cselect_b32 s9, -1, 0
	s_xor_b32 s8, exec_lo, -1
	s_wait_alu 0xfffe
	s_or_not1_b32 s9, s9, exec_lo
	s_branch .LBB97_8
.LBB97_231:
	s_or_b32 exec_lo, exec_lo, s69
	s_xor_b32 s4, s75, -1
	s_xor_b32 s1, s73, -1
	;; [unrolled: 1-line block ×3, first 2 shown]
	s_mov_b32 s2, 0
	s_and_saveexec_b32 s5, s1
	s_wait_alu 0xfffe
	s_xor_b32 s1, exec_lo, s5
	s_cbranch_execnz .LBB97_236
; %bb.232:
	s_and_not1_saveexec_b32 s0, s1
	s_cbranch_execnz .LBB97_249
.LBB97_233:
	s_or_b32 exec_lo, exec_lo, s0
	s_wait_alu 0xfffe
	s_and_saveexec_b32 s0, s2
.LBB97_234:
	; divergent unreachable
.LBB97_235:
	s_endpgm
.LBB97_236:
	s_and_saveexec_b32 s2, s4
	s_wait_alu 0xfffe
	s_xor_b32 s4, exec_lo, s2
	s_cbranch_execz .LBB97_247
; %bb.237:
	s_and_saveexec_b32 s2, s3
	s_wait_alu 0xfffe
	s_xor_b32 s2, exec_lo, s2
; %bb.238:
	v_xor_b32_e32 v19, 0x80000000, v19
	s_delay_alu instid0(VALU_DEP_1)
	v_dual_mov_b32 v4, v18 :: v_dual_mov_b32 v5, v19
; %bb.239:
	s_wait_alu 0xfffe
	s_or_b32 exec_lo, exec_lo, s2
	s_mul_i32 s2, s47, s56
	s_add_co_i32 s3, s47, 1
	s_wait_alu 0xfffe
	s_sub_co_i32 s2, s34, s2
	v_mov_b32_e32 v11, 0
	s_wait_alu 0xfffe
	s_sub_co_i32 s5, s2, s56
	s_cmp_ge_u32 s2, s56
	s_cselect_b32 s3, s3, s47
	s_wait_alu 0xfffe
	s_cselect_b32 s2, s5, s2
	s_add_co_i32 s5, s3, 1
	s_wait_alu 0xfffe
	s_cmp_ge_u32 s2, s56
	s_cselect_b32 s2, s5, s3
	s_wait_alu 0xfffe
	s_mul_i32 s3, s2, s56
	s_mul_i32 s2, s2, s42
	s_wait_alu 0xfffe
	s_sub_co_i32 s3, s34, s3
	s_wait_alu 0xfffe
	s_mul_i32 s3, s3, s43
	s_wait_alu 0xfffe
	s_add_co_i32 s2, s2, s3
	s_mov_b32 s3, 0
	s_wait_alu 0xfffe
	s_lshl_b64 s[6:7], s[2:3], 3
	s_wait_alu 0xfffe
	s_add_nc_u64 s[6:7], s[44:45], s[6:7]
	global_store_b64 v11, v[4:5], s[6:7]
	s_and_saveexec_b32 s2, s0
	s_cbranch_execz .LBB97_246
; %bb.240:
                                        ; implicit-def: $sgpr0
                                        ; implicit-def: $sgpr6
                                        ; implicit-def: $sgpr5
	s_branch .LBB97_242
.LBB97_241:                             ;   in Loop: Header=BB97_242 Depth=1
	s_wait_alu 0xfffe
	s_or_b32 exec_lo, exec_lo, s7
	s_delay_alu instid0(SALU_CYCLE_1)
	s_and_b32 s7, exec_lo, s6
	s_wait_alu 0xfffe
	s_or_b32 s3, s7, s3
	s_and_not1_b32 s0, s0, exec_lo
	s_and_b32 s7, s5, exec_lo
	s_wait_alu 0xfffe
	s_or_b32 s0, s0, s7
	s_and_not1_b32 exec_lo, exec_lo, s3
	s_cbranch_execz .LBB97_244
.LBB97_242:                             ; =>This Inner Loop Header: Depth=1
	v_lshlrev_b64_e32 v[1:2], 3, v[10:11]
	s_or_b32 s5, s5, exec_lo
	s_wait_alu 0xfffe
	s_or_b32 s6, s6, exec_lo
	s_delay_alu instid0(VALU_DEP_1)
	v_add_co_u32 v1, vcc_lo, s40, v1
	s_wait_alu 0xfffd
	v_add_co_ci_u32_e64 v2, null, s41, v2, vcc_lo
	global_load_b64 v[1:2], v[1:2], off
	s_wait_loadcnt 0x0
	v_cmp_ne_u64_e32 vcc_lo, v[1:2], v[4:5]
	v_mov_b32_e32 v1, v0
                                        ; implicit-def: $vgpr0
	s_and_saveexec_b32 s7, vcc_lo
	s_cbranch_execz .LBB97_241
; %bb.243:                              ;   in Loop: Header=BB97_242 Depth=1
	s_delay_alu instid0(VALU_DEP_1)
	v_add_nc_u32_e32 v0, s29, v1
	v_add_nc_u32_e32 v10, s46, v10
	s_wait_alu 0xfffe
	s_and_not1_b32 s6, s6, exec_lo
	s_and_not1_b32 s5, s5, exec_lo
	v_cmp_le_u32_e32 vcc_lo, s28, v0
	s_and_b32 s8, vcc_lo, exec_lo
	s_wait_alu 0xfffe
	s_or_b32 s6, s6, s8
	s_branch .LBB97_241
.LBB97_244:
	s_or_b32 exec_lo, exec_lo, s3
	s_and_saveexec_b32 s3, s0
	s_wait_alu 0xfffe
	s_xor_b32 s3, exec_lo, s3
	s_cbranch_execz .LBB97_246
; %bb.245:
	s_mul_i32 s0, s27, s33
	s_add_co_i32 s3, s27, 1
	s_sub_co_i32 s0, s34, s0
	s_mov_b32 s7, 0
	s_sub_co_i32 s5, s0, s33
	s_cmp_ge_u32 s0, s33
	v_mov_b32_e32 v2, 0
	s_wait_alu 0xfffe
	s_cselect_b32 s3, s3, s27
	s_cselect_b32 s0, s5, s0
	s_wait_alu 0xfffe
	s_add_co_i32 s5, s3, 1
	s_cmp_ge_u32 s0, s33
	s_wait_alu 0xfffe
	s_cselect_b32 s0, s5, s3
	s_delay_alu instid0(SALU_CYCLE_1)
	s_mul_i32 s3, s0, s33
	s_mul_i32 s0, s0, s36
	s_wait_alu 0xfffe
	s_sub_co_i32 s3, s34, s3
	s_wait_alu 0xfffe
	s_mul_i32 s3, s3, s37
	s_wait_alu 0xfffe
	s_add_co_i32 s6, s0, s3
	s_wait_alu 0xfffe
	s_lshl_b64 s[6:7], s[6:7], 3
	s_wait_alu 0xfffe
	s_add_nc_u64 s[6:7], s[38:39], s[6:7]
	global_store_b64 v2, v[1:2], s[6:7]
.LBB97_246:
	s_wait_alu 0xfffe
	s_or_b32 exec_lo, exec_lo, s2
.LBB97_247:
	s_wait_alu 0xfffe
	s_or_saveexec_b32 s0, s4
	s_mov_b32 s2, 0
	s_xor_b32 exec_lo, exec_lo, s0
	s_cbranch_execnz .LBB97_250
.LBB97_248:
	s_or_b32 exec_lo, exec_lo, s0
	s_wait_alu 0xfffe
	s_and_b32 s2, s2, exec_lo
	s_and_not1_saveexec_b32 s0, s1
	s_cbranch_execz .LBB97_233
.LBB97_249:
	s_wait_alu 0xfffe
	s_or_b32 s2, s2, exec_lo
	s_trap 2
	s_or_b32 exec_lo, exec_lo, s0
	s_wait_alu 0xfffe
	s_and_saveexec_b32 s0, s2
	s_cbranch_execnz .LBB97_234
	s_branch .LBB97_235
.LBB97_250:
	s_mov_b32 s2, exec_lo
	s_trap 2
	s_branch .LBB97_248
	.section	.rodata,"a",@progbits
	.p2align	6, 0x0
	.amdhsa_kernel _ZN2at6native12_GLOBAL__N_112gatherMedianIljLi2EEEvNS_4cuda6detail10TensorInfoIT_T0_EENS5_IlS7_EENS5_IKS6_S7_EES7_S7_S7_b
		.amdhsa_group_segment_fixed_size 4120
		.amdhsa_private_segment_fixed_size 0
		.amdhsa_kernarg_size 920
		.amdhsa_user_sgpr_count 2
		.amdhsa_user_sgpr_dispatch_ptr 0
		.amdhsa_user_sgpr_queue_ptr 0
		.amdhsa_user_sgpr_kernarg_segment_ptr 1
		.amdhsa_user_sgpr_dispatch_id 0
		.amdhsa_user_sgpr_private_segment_size 0
		.amdhsa_wavefront_size32 1
		.amdhsa_uses_dynamic_stack 0
		.amdhsa_enable_private_segment 0
		.amdhsa_system_sgpr_workgroup_id_x 1
		.amdhsa_system_sgpr_workgroup_id_y 1
		.amdhsa_system_sgpr_workgroup_id_z 1
		.amdhsa_system_sgpr_workgroup_info 0
		.amdhsa_system_vgpr_workitem_id 0
		.amdhsa_next_free_vgpr 55
		.amdhsa_next_free_sgpr 84
		.amdhsa_reserve_vcc 1
		.amdhsa_float_round_mode_32 0
		.amdhsa_float_round_mode_16_64 0
		.amdhsa_float_denorm_mode_32 3
		.amdhsa_float_denorm_mode_16_64 3
		.amdhsa_fp16_overflow 0
		.amdhsa_workgroup_processor_mode 1
		.amdhsa_memory_ordered 1
		.amdhsa_forward_progress 1
		.amdhsa_inst_pref_size 88
		.amdhsa_round_robin_scheduling 0
		.amdhsa_exception_fp_ieee_invalid_op 0
		.amdhsa_exception_fp_denorm_src 0
		.amdhsa_exception_fp_ieee_div_zero 0
		.amdhsa_exception_fp_ieee_overflow 0
		.amdhsa_exception_fp_ieee_underflow 0
		.amdhsa_exception_fp_ieee_inexact 0
		.amdhsa_exception_int_div_zero 0
	.end_amdhsa_kernel
	.section	.text._ZN2at6native12_GLOBAL__N_112gatherMedianIljLi2EEEvNS_4cuda6detail10TensorInfoIT_T0_EENS5_IlS7_EENS5_IKS6_S7_EES7_S7_S7_b,"axG",@progbits,_ZN2at6native12_GLOBAL__N_112gatherMedianIljLi2EEEvNS_4cuda6detail10TensorInfoIT_T0_EENS5_IlS7_EENS5_IKS6_S7_EES7_S7_S7_b,comdat
.Lfunc_end97:
	.size	_ZN2at6native12_GLOBAL__N_112gatherMedianIljLi2EEEvNS_4cuda6detail10TensorInfoIT_T0_EENS5_IlS7_EENS5_IKS6_S7_EES7_S7_S7_b, .Lfunc_end97-_ZN2at6native12_GLOBAL__N_112gatherMedianIljLi2EEEvNS_4cuda6detail10TensorInfoIT_T0_EENS5_IlS7_EENS5_IKS6_S7_EES7_S7_S7_b
                                        ; -- End function
	.set _ZN2at6native12_GLOBAL__N_112gatherMedianIljLi2EEEvNS_4cuda6detail10TensorInfoIT_T0_EENS5_IlS7_EENS5_IKS6_S7_EES7_S7_S7_b.num_vgpr, 55
	.set _ZN2at6native12_GLOBAL__N_112gatherMedianIljLi2EEEvNS_4cuda6detail10TensorInfoIT_T0_EENS5_IlS7_EENS5_IKS6_S7_EES7_S7_S7_b.num_agpr, 0
	.set _ZN2at6native12_GLOBAL__N_112gatherMedianIljLi2EEEvNS_4cuda6detail10TensorInfoIT_T0_EENS5_IlS7_EENS5_IKS6_S7_EES7_S7_S7_b.numbered_sgpr, 84
	.set _ZN2at6native12_GLOBAL__N_112gatherMedianIljLi2EEEvNS_4cuda6detail10TensorInfoIT_T0_EENS5_IlS7_EENS5_IKS6_S7_EES7_S7_S7_b.num_named_barrier, 0
	.set _ZN2at6native12_GLOBAL__N_112gatherMedianIljLi2EEEvNS_4cuda6detail10TensorInfoIT_T0_EENS5_IlS7_EENS5_IKS6_S7_EES7_S7_S7_b.private_seg_size, 0
	.set _ZN2at6native12_GLOBAL__N_112gatherMedianIljLi2EEEvNS_4cuda6detail10TensorInfoIT_T0_EENS5_IlS7_EENS5_IKS6_S7_EES7_S7_S7_b.uses_vcc, 1
	.set _ZN2at6native12_GLOBAL__N_112gatherMedianIljLi2EEEvNS_4cuda6detail10TensorInfoIT_T0_EENS5_IlS7_EENS5_IKS6_S7_EES7_S7_S7_b.uses_flat_scratch, 0
	.set _ZN2at6native12_GLOBAL__N_112gatherMedianIljLi2EEEvNS_4cuda6detail10TensorInfoIT_T0_EENS5_IlS7_EENS5_IKS6_S7_EES7_S7_S7_b.has_dyn_sized_stack, 0
	.set _ZN2at6native12_GLOBAL__N_112gatherMedianIljLi2EEEvNS_4cuda6detail10TensorInfoIT_T0_EENS5_IlS7_EENS5_IKS6_S7_EES7_S7_S7_b.has_recursion, 0
	.set _ZN2at6native12_GLOBAL__N_112gatherMedianIljLi2EEEvNS_4cuda6detail10TensorInfoIT_T0_EENS5_IlS7_EENS5_IKS6_S7_EES7_S7_S7_b.has_indirect_call, 0
	.section	.AMDGPU.csdata,"",@progbits
; Kernel info:
; codeLenInByte = 11156
; TotalNumSgprs: 86
; NumVgprs: 55
; ScratchSize: 0
; MemoryBound: 0
; FloatMode: 240
; IeeeMode: 1
; LDSByteSize: 4120 bytes/workgroup (compile time only)
; SGPRBlocks: 0
; VGPRBlocks: 6
; NumSGPRsForWavesPerEU: 86
; NumVGPRsForWavesPerEU: 55
; Occupancy: 16
; WaveLimiterHint : 1
; COMPUTE_PGM_RSRC2:SCRATCH_EN: 0
; COMPUTE_PGM_RSRC2:USER_SGPR: 2
; COMPUTE_PGM_RSRC2:TRAP_HANDLER: 0
; COMPUTE_PGM_RSRC2:TGID_X_EN: 1
; COMPUTE_PGM_RSRC2:TGID_Y_EN: 1
; COMPUTE_PGM_RSRC2:TGID_Z_EN: 1
; COMPUTE_PGM_RSRC2:TIDIG_COMP_CNT: 0
	.section	.text._ZN2at6native12_GLOBAL__N_112gatherMedianIljLi3EEEvNS_4cuda6detail10TensorInfoIT_T0_EENS5_IlS7_EENS5_IKS6_S7_EES7_S7_S7_b,"axG",@progbits,_ZN2at6native12_GLOBAL__N_112gatherMedianIljLi3EEEvNS_4cuda6detail10TensorInfoIT_T0_EENS5_IlS7_EENS5_IKS6_S7_EES7_S7_S7_b,comdat
	.globl	_ZN2at6native12_GLOBAL__N_112gatherMedianIljLi3EEEvNS_4cuda6detail10TensorInfoIT_T0_EENS5_IlS7_EENS5_IKS6_S7_EES7_S7_S7_b ; -- Begin function _ZN2at6native12_GLOBAL__N_112gatherMedianIljLi3EEEvNS_4cuda6detail10TensorInfoIT_T0_EENS5_IlS7_EENS5_IKS6_S7_EES7_S7_S7_b
	.p2align	8
	.type	_ZN2at6native12_GLOBAL__N_112gatherMedianIljLi3EEEvNS_4cuda6detail10TensorInfoIT_T0_EENS5_IlS7_EENS5_IKS6_S7_EES7_S7_S7_b,@function
_ZN2at6native12_GLOBAL__N_112gatherMedianIljLi3EEEvNS_4cuda6detail10TensorInfoIT_T0_EENS5_IlS7_EENS5_IKS6_S7_EES7_S7_S7_b: ; @_ZN2at6native12_GLOBAL__N_112gatherMedianIljLi3EEEvNS_4cuda6detail10TensorInfoIT_T0_EENS5_IlS7_EENS5_IKS6_S7_EES7_S7_S7_b
; %bb.0:
	s_clause 0x1
	s_load_b64 s[8:9], s[0:1], 0x298
	s_load_b128 s[28:31], s[0:1], 0x288
	s_lshr_b32 s2, ttmp7, 16
	s_and_b32 s3, ttmp7, 0xffff
	s_wait_kmcnt 0x0
	s_mul_i32 s2, s9, s2
	s_delay_alu instid0(SALU_CYCLE_1) | instskip(NEXT) | instid1(SALU_CYCLE_1)
	s_add_co_i32 s2, s2, s3
	s_mul_i32 s33, s2, s8
	s_delay_alu instid0(SALU_CYCLE_1) | instskip(NEXT) | instid1(SALU_CYCLE_1)
	s_add_co_i32 s33, s33, ttmp9
	s_cmp_ge_u32 s33, s29
	s_cbranch_scc1 .LBB98_235
; %bb.1:
	s_clause 0x2
	s_load_b64 s[44:45], s[0:1], 0xc
	s_load_b64 s[34:35], s[0:1], 0xe4
	;; [unrolled: 1-line block ×3, first 2 shown]
	s_mov_b32 s13, 0
	s_wait_kmcnt 0x0
	s_cvt_f32_u32 s5, s35
	s_cvt_f32_u32 s2, s45
	s_sub_co_i32 s3, 0, s45
	s_cvt_f32_u32 s4, s44
	s_cvt_f32_u32 s6, s34
	v_rcp_iflag_f32_e32 v1, s2
	s_cvt_f32_u32 s7, s11
	v_rcp_iflag_f32_e32 v2, s4
	v_rcp_iflag_f32_e32 v3, s6
	s_cvt_f32_u32 s9, s10
	v_rcp_iflag_f32_e32 v4, s7
	s_delay_alu instid0(SALU_CYCLE_2) | instskip(SKIP_4) | instid1(SALU_CYCLE_2)
	v_rcp_iflag_f32_e32 v5, s9
	v_readfirstlane_b32 s2, v1
	v_rcp_iflag_f32_e32 v1, s5
	s_mul_f32 s2, s2, 0x4f7ffffe
	s_wait_alu 0xfffe
	s_cvt_u32_f32 s2, s2
	s_delay_alu instid0(TRANS32_DEP_1) | instskip(SKIP_1) | instid1(SALU_CYCLE_1)
	v_readfirstlane_b32 s4, v1
	s_wait_alu 0xfffe
	s_mul_i32 s3, s3, s2
	s_wait_alu 0xfffe
	s_mul_hi_u32 s3, s2, s3
	s_mul_f32 s4, s4, 0x4f7ffffe
	s_wait_alu 0xfffe
	s_add_co_i32 s2, s2, s3
	s_wait_alu 0xfffe
	s_mul_hi_u32 s2, s33, s2
	s_wait_alu 0xfffe
	s_mul_i32 s3, s2, s45
	s_add_co_i32 s5, s2, 1
	s_wait_alu 0xfffe
	s_sub_co_i32 s3, s33, s3
	s_wait_alu 0xfffe
	s_sub_co_i32 s6, s3, s45
	s_cmp_ge_u32 s3, s45
	s_cselect_b32 s2, s5, s2
	s_wait_alu 0xfffe
	s_cselect_b32 s3, s6, s3
	s_add_co_i32 s5, s2, 1
	s_wait_alu 0xfffe
	s_cmp_ge_u32 s3, s45
	s_cvt_u32_f32 s3, s4
	s_cselect_b32 s48, s5, s2
	s_sub_co_i32 s2, 0, s35
	v_readfirstlane_b32 s6, v4
	s_wait_alu 0xfffe
	s_mul_i32 s2, s2, s3
	s_sub_co_i32 s9, 0, s44
	s_wait_alu 0xfffe
	s_mul_hi_u32 s2, s3, s2
	v_readfirstlane_b32 s4, v2
	s_wait_alu 0xfffe
	s_add_co_i32 s3, s3, s2
	s_mul_f32 s6, s6, 0x4f7ffffe
	s_wait_alu 0xfffe
	s_mul_hi_u32 s3, s33, s3
	v_readfirstlane_b32 s5, v3
	s_wait_alu 0xfffe
	s_mul_i32 s7, s3, s35
	s_add_co_i32 s12, s3, 1
	s_wait_alu 0xfffe
	s_sub_co_i32 s7, s33, s7
	v_readfirstlane_b32 s2, v5
	s_wait_alu 0xfffe
	s_sub_co_i32 s14, s7, s35
	s_cmp_ge_u32 s7, s35
	s_mul_f32 s4, s4, 0x4f7ffffe
	s_cselect_b32 s3, s12, s3
	s_cselect_b32 s7, s14, s7
	s_wait_alu 0xfffe
	s_add_co_i32 s12, s3, 1
	s_cmp_ge_u32 s7, s35
	s_cvt_u32_f32 s7, s6
	s_cselect_b32 s46, s12, s3
	s_sub_co_i32 s3, 0, s11
	s_mul_f32 s5, s5, 0x4f7ffffe
	s_wait_alu 0xfffe
	s_mul_i32 s3, s3, s7
	s_mul_f32 s2, s2, 0x4f7ffffe
	s_wait_alu 0xfffe
	s_mul_hi_u32 s3, s7, s3
	s_cvt_u32_f32 s6, s4
	s_wait_alu 0xfffe
	s_add_co_i32 s7, s7, s3
	s_cvt_u32_f32 s3, s5
	s_wait_alu 0xfffe
	s_mul_hi_u32 s4, s33, s7
	s_cvt_u32_f32 s5, s2
	s_wait_alu 0xfffe
	s_mul_i32 s2, s4, s11
	s_sub_co_i32 s14, 0, s34
	s_wait_alu 0xfffe
	s_sub_co_i32 s2, s33, s2
	s_add_co_i32 s7, s4, 1
	s_wait_alu 0xfffe
	s_sub_co_i32 s12, s2, s11
	s_cmp_ge_u32 s2, s11
	s_mul_i32 s9, s9, s6
	s_cselect_b32 s4, s7, s4
	s_cselect_b32 s2, s12, s2
	s_wait_alu 0xfffe
	s_add_co_i32 s12, s4, 1
	s_cmp_ge_u32 s2, s11
	s_mul_i32 s14, s14, s3
	s_cselect_b32 s12, s12, s4
	s_sub_co_i32 s2, 0, s10
	s_mul_hi_u32 s7, s6, s9
	s_wait_alu 0xfffe
	s_mul_i32 s4, s2, s5
	v_cmp_eq_u32_e64 s2, 0, v0
	s_wait_alu 0xfffe
	s_mul_hi_u32 s4, s5, s4
	s_mul_hi_u32 s9, s3, s14
	s_wait_alu 0xfffe
	s_add_co_i32 s14, s5, s4
	s_and_saveexec_b32 s4, s2
; %bb.2:
	v_mov_b32_e32 v1, 0
	s_delay_alu instid0(VALU_DEP_1)
	v_mov_b32_e32 v2, v1
	ds_store_b64 v1, v[1:2] offset:4096
; %bb.3:
	s_wait_alu 0xfffe
	s_or_b32 exec_lo, exec_lo, s4
	v_mov_b32_e32 v1, 0
	s_wait_dscnt 0x0
	s_barrier_signal -1
	s_barrier_wait -1
	global_inv scope:SCOPE_SE
	s_wait_loadcnt 0x0
	s_barrier_signal -1
	s_barrier_wait -1
	global_inv scope:SCOPE_SE
	ds_load_b64 v[1:2], v1 offset:4096
	s_add_co_i32 s16, s6, s7
	s_add_co_i32 s18, s3, s9
	s_bitcmp1_b32 s31, 0
	s_mov_b32 s15, s13
	s_cselect_b32 s3, -1, 0
	s_mov_b32 s7, s28
	s_wait_dscnt 0x0
	v_readfirstlane_b32 s4, v1
	v_readfirstlane_b32 s5, v2
	s_wait_alu 0xf1ff
	s_delay_alu instid0(VALU_DEP_1)
	v_cmp_lt_i64_e64 s6, s[4:5], 1
	s_wait_alu 0xfffe
	s_or_b32 s3, s3, s6
	s_wait_alu 0xfffe
	s_and_not1_b32 vcc_lo, exec_lo, s3
	s_cbranch_vccnz .LBB98_5
; %bb.4:
	s_not_b64 s[4:5], s[4:5]
	s_mov_b32 s29, 0
	s_wait_alu 0xfffe
	s_add_nc_u64 s[4:5], s[4:5], s[28:29]
	s_mov_b32 s7, s29
	s_wait_alu 0xfffe
	s_lshr_b32 s6, s5, 31
	s_wait_alu 0xfffe
	s_add_nc_u64 s[4:5], s[4:5], s[6:7]
	s_wait_alu 0xfffe
	s_lshr_b64 s[4:5], s[4:5], 1
	s_wait_alu 0xfffe
	s_add_co_i32 s7, s4, 1
.LBB98_5:
	s_clause 0x1
	s_load_b96 s[4:6], s[0:1], 0x21c
	s_load_b64 s[20:21], s[0:1], 0x1b0
	s_mov_b32 s49, s13
	s_mov_b32 s17, s13
	s_mul_u64 s[22:23], s[12:13], s[14:15]
	s_mov_b32 s47, s13
	s_mov_b32 s19, s13
	s_add_nc_u64 s[14:15], s[0:1], 0x298
	s_and_saveexec_b32 s3, s2
	s_cbranch_execz .LBB98_7
; %bb.6:
	v_dual_mov_b32 v1, 0 :: v_dual_mov_b32 v2, s28
	ds_store_b32 v1, v1 offset:4112
	ds_store_b64 v1, v[1:2] offset:4104
.LBB98_7:
	s_wait_alu 0xfffe
	s_or_b32 exec_lo, exec_lo, s3
	s_mul_i32 s9, s23, s10
	s_mul_i32 s3, s12, s11
	s_wait_alu 0xfffe
	s_sub_co_i32 s9, s12, s9
	s_sub_co_i32 s3, s33, s3
	s_add_co_i32 s11, s23, 1
	s_wait_alu 0xfffe
	s_sub_co_i32 s13, s9, s10
	s_cmp_ge_u32 s9, s10
	s_wait_loadcnt_dscnt 0x0
	s_cselect_b32 s11, s11, s23
	s_cselect_b32 s9, s13, s9
	s_add_co_i32 s13, s11, 1
	s_wait_alu 0xfffe
	s_cmp_ge_u32 s9, s10
	s_barrier_signal -1
	s_cselect_b32 s9, s13, s11
	s_barrier_wait -1
	global_inv scope:SCOPE_SE
	s_load_b32 s11, s[14:15], 0xc
	s_mul_i32 s10, s9, s10
	s_wait_kmcnt 0x0
	s_mul_i32 s3, s3, s6
	s_sub_co_i32 s10, s12, s10
	s_clause 0x1
	s_load_b96 s[36:38], s[0:1], 0x144
	s_load_b64 s[50:51], s[0:1], 0xd8
	s_mul_i32 s5, s10, s5
	s_clause 0x1
	s_load_b96 s[40:42], s[0:1], 0x6c
	s_load_b64 s[54:55], s[0:1], 0x0
	s_add_co_i32 s0, s5, s3
	s_mul_i32 s9, s9, s4
	v_mbcnt_lo_u32_b32 v26, -1, 0
	s_wait_alu 0xfffe
	s_add_co_i32 s58, s0, s9
	s_mov_b32 s59, 0
	v_cmp_gt_u32_e32 vcc_lo, 32, v0
	s_lshl_b64 s[0:1], s[58:59], 3
	s_mul_u64 s[26:27], s[46:47], s[18:19]
	s_add_nc_u64 s[52:53], s[20:21], s[0:1]
	v_cmp_gt_i32_e64 s1, 4, v26
	s_mul_u64 s[56:57], s[48:49], s[16:17]
	v_dual_mov_b32 v12, 0 :: v_dual_lshlrev_b32 v27, 2, v0
	s_and_b32 s29, s11, 0xffff
	s_bfe_u32 s3, s11, 0xb0005
	s_wait_alu 0xfffe
	s_lshl_b32 s31, s29, 2
	s_add_co_i32 s39, s29, -1
	s_cvt_f32_u32 s4, s31
	s_and_b32 s47, vcc_lo, s1
	s_add_co_i32 s6, s39, s28
	s_cmp_gt_u32 s28, 0x180
	s_wait_alu 0xfffe
	v_rcp_iflag_f32_e32 v1, s4
	s_cselect_b32 s49, -1, 0
	s_cmp_gt_u32 s29, 31
	v_mul_lo_u32 v10, s30, v0
	s_cselect_b32 s56, -1, 0
	s_cmp_lt_u32 ttmp9, s8
	v_dual_mov_b32 v11, v12 :: v_dual_lshlrev_b32 v28, 3, v0
	s_cselect_b32 s58, 12, 18
	s_add_co_i32 s4, s3, -1
	s_delay_alu instid0(TRANS32_DEP_1)
	v_readfirstlane_b32 s5, v1
	s_wait_alu 0xfffe
	s_and_b32 s4, s4, 0xffff
	s_bfe_u32 s66, s29, 0x30005
	s_wait_alu 0xfffe
	s_cmp_gt_u32 s4, 6
	v_lshlrev_b64_e32 v[1:2], 3, v[10:11]
	s_mul_f32 s4, s5, 0x4f7ffffe
	s_cselect_b32 s67, -1, 0
	s_and_b32 s68, s3, 0x7f8
	s_cmp_lg_u32 s66, 0
	s_wait_alu 0xfffe
	s_cvt_u32_f32 s3, s4
	s_cselect_b32 s69, -1, 0
	s_sub_co_i32 s4, 0, s31
	s_cvt_f32_u32 s5, s29
	s_wait_alu 0xfffe
	s_mul_i32 s4, s4, s3
	v_add_co_u32 v13, vcc_lo, s52, v1
	s_wait_alu 0xfffe
	s_mul_hi_u32 s4, s3, s4
	v_rcp_iflag_f32_e32 v5, s5
	s_wait_alu 0xfffe
	s_add_co_i32 s60, s3, s4
	v_lshrrev_b32_e32 v1, 1, v0
	s_mul_hi_u32 s4, s28, s60
	v_add_co_ci_u32_e64 v14, null, s53, v2, vcc_lo
	s_wait_alu 0xfffe
	s_mul_i32 s4, s4, s31
	v_lshlrev_b64_e64 v[3:4], v26, -1
	s_wait_alu 0xfffe
	s_sub_co_i32 s4, s28, s4
	v_mad_co_u64_u32 v[17:18], null, s30, v27, s[30:31]
	s_wait_alu 0xfffe
	s_sub_co_i32 s5, s4, s31
	v_readfirstlane_b32 s8, v5
	s_cmp_ge_u32 s4, s31
	v_not_b32_e32 v30, v3
	s_wait_alu 0xfffe
	s_cselect_b32 s4, s5, s4
	v_mov_b32_e32 v40, s7
	s_mul_f32 s5, s8, 0x4f7ffffe
	s_wait_alu 0xfffe
	s_sub_co_i32 s8, s4, s31
	s_cmp_ge_u32 s4, s31
	v_or_b32_e32 v3, 3, v27
	s_wait_alu 0xfffe
	s_cselect_b32 s8, s8, s4
	s_cvt_u32_f32 s5, s5
	s_wait_alu 0xfffe
	s_sub_co_i32 s70, s28, s8
	s_sub_co_i32 s4, 0, s29
	v_add_nc_u32_e32 v31, s70, v0
	s_wait_alu 0xfffe
	s_mul_i32 s4, s4, s5
	v_mul_lo_u32 v34, s30, v3
	s_wait_alu 0xfffe
	s_mul_hi_u32 s4, s5, s4
	v_dual_mov_b32 v4, 0 :: v_dual_add_nc_u32 v29, 0xc00, v28
	v_mul_lo_u32 v11, v31, s30
	s_wait_alu 0xfffe
	s_add_co_i32 s62, s5, s4
	s_movk_i32 s4, 0x1f0
	s_mul_hi_u32 s5, s6, s62
	s_wait_alu 0xfffe
	v_and_or_b32 v32, v1, s4, 0xc00
	s_mul_i32 s5, s5, s29
	v_dual_mov_b32 v18, 0 :: v_dual_lshlrev_b32 v35, 2, v10
	v_lshlrev_b64_e32 v[1:2], 3, v[11:12]
	s_wait_alu 0xfffe
	s_sub_co_i32 s5, s6, s5
	v_dual_mov_b32 v20, 0 :: v_dual_lshlrev_b32 v37, 5, v0
	s_wait_alu 0xfffe
	s_sub_co_i32 s9, s5, s29
	s_cmp_ge_u32 s5, s29
	v_add_co_u32 v15, vcc_lo, s52, v1
	v_add3_u32 v1, s29, s28, v0
	s_wait_alu 0xfffe
	s_cselect_b32 s9, s9, s5
	s_wait_alu 0xfffd
	v_add_co_ci_u32_e64 v16, null, s53, v2, vcc_lo
	v_or_b32_e32 v2, 2, v27
	v_subrev_nc_u32_e32 v1, s8, v1
	s_wait_alu 0xfffe
	s_sub_co_i32 s10, s9, s29
	s_cmp_ge_u32 s9, s29
	v_cmp_gt_u32_e64 s0, s28, v0
	s_cselect_b32 s9, s10, s9
	v_mul_lo_u32 v33, s30, v2
	v_mul_lo_u32 v36, s30, v1
	s_wait_alu 0xfffe
	s_sub_co_i32 s71, s6, s9
	v_cmp_eq_u32_e64 s1, 0, v26
	v_cmp_gt_u32_e64 s3, 2, v0
	v_cmp_gt_u32_e64 s4, s70, v27
	;; [unrolled: 1-line block ×3, first 2 shown]
	s_wait_alu 0xfffe
	v_cmp_gt_u32_e64 s6, s71, v0
	v_lshl_or_b32 v38, v26, 2, 0xc00
	v_mov_b32_e32 v5, 0
	v_mov_b32_e32 v1, 1
	;; [unrolled: 1-line block ×5, first 2 shown]
	s_mul_i32 s43, s30, s29
	s_mov_b32 s61, s59
	s_mov_b32 s63, s59
	s_lshl_b32 s72, s43, 2
	s_lshl_b32 s73, s29, 5
	s_lshl_b32 s74, s29, 3
	s_mov_b32 s82, 62
	s_add_nc_u64 s[64:65], s[14:15], s[58:59]
	s_mov_b32 s75, 0
                                        ; implicit-def: $sgpr79
                                        ; implicit-def: $sgpr81
                                        ; implicit-def: $sgpr76
                                        ; implicit-def: $sgpr78
                                        ; implicit-def: $sgpr80
                                        ; implicit-def: $sgpr77
	s_branch .LBB98_11
.LBB98_8:                               ;   in Loop: Header=BB98_11 Depth=1
	s_wait_alu 0xfffe
	s_or_b32 exec_lo, exec_lo, s10
	s_delay_alu instid0(SALU_CYCLE_1)
	s_and_b32 s8, s8, exec_lo
	s_and_not1_b32 s16, s16, exec_lo
	s_and_not1_b32 s15, s15, exec_lo
	s_or_not1_b32 s13, s9, exec_lo
.LBB98_9:                               ;   in Loop: Header=BB98_11 Depth=1
	s_wait_alu 0xfffe
	s_or_b32 exec_lo, exec_lo, s7
	s_delay_alu instid0(SALU_CYCLE_1)
	s_and_not1_b32 s7, s77, exec_lo
	s_and_b32 s8, s8, exec_lo
	s_and_not1_b32 s9, s78, exec_lo
	s_wait_alu 0xfffe
	s_or_b32 s77, s7, s8
	s_and_not1_b32 s7, s80, exec_lo
	s_and_b32 s8, s16, exec_lo
	s_and_b32 s10, s15, exec_lo
	s_wait_alu 0xfffe
	s_or_b32 s80, s7, s8
	s_or_b32 s78, s9, s10
	s_or_not1_b32 s14, s13, exec_lo
.LBB98_10:                              ;   in Loop: Header=BB98_11 Depth=1
	s_wait_alu 0xfffe
	s_or_b32 exec_lo, exec_lo, s12
	s_delay_alu instid0(SALU_CYCLE_1)
	s_and_b32 s7, exec_lo, s14
	v_mov_b32_e32 v40, v7
	s_wait_alu 0xfffe
	s_or_b32 s75, s7, s75
	s_and_not1_b32 s7, s76, exec_lo
	s_and_b32 s8, s77, exec_lo
	s_and_not1_b32 s9, s81, exec_lo
	s_wait_alu 0xfffe
	s_or_b32 s76, s7, s8
	s_and_b32 s7, s80, exec_lo
	s_and_not1_b32 s8, s79, exec_lo
	s_and_b32 s10, s78, exec_lo
	s_wait_alu 0xfffe
	s_or_b32 s81, s9, s7
	s_or_b32 s79, s8, s10
	s_mov_b32 s82, s20
	s_and_not1_b32 exec_lo, exec_lo, s75
	s_cbranch_execz .LBB98_231
.LBB98_11:                              ; =>This Loop Header: Depth=1
                                        ;     Child Loop BB98_17 Depth 2
                                        ;     Child Loop BB98_30 Depth 2
	;; [unrolled: 1-line block ×16, first 2 shown]
	ds_load_b64 v[2:3], v12 offset:4104
	s_wait_dscnt 0x0
	v_readfirstlane_b32 s58, v2
	s_cmp_lg_u32 s58, 0
	s_cbranch_scc1 .LBB98_38
; %bb.12:                               ;   in Loop: Header=BB98_11 Depth=1
	s_and_b32 vcc_lo, exec_lo, s49
	s_wait_alu 0xfffe
	s_cbranch_vccz .LBB98_25
; %bb.13:                               ;   in Loop: Header=BB98_11 Depth=1
	v_cmp_gt_u32_e32 vcc_lo, 0x181, v3
	s_mov_b32 s9, 0
	s_mov_b32 s7, 0
	s_cbranch_vccz .LBB98_26
; %bb.14:                               ;   in Loop: Header=BB98_11 Depth=1
	s_and_saveexec_b32 s10, s0
	s_cbranch_execz .LBB98_121
; %bb.15:                               ;   in Loop: Header=BB98_11 Depth=1
	global_load_b64 v[2:3], v[13:14], off
	s_load_u16 s11, s[64:65], 0x0
	v_mov_b32_e32 v8, v0
	s_mov_b32 s13, 0
	s_wait_kmcnt 0x0
	v_add_nc_u32_e32 v6, s11, v0
	s_mul_i32 s12, s30, s11
	s_delay_alu instid0(VALU_DEP_1)
	v_mul_lo_u32 v11, s30, v6
	s_branch .LBB98_17
.LBB98_16:                              ;   in Loop: Header=BB98_17 Depth=2
	s_wait_alu 0xfffe
	s_or_b32 exec_lo, exec_lo, s8
	v_dual_mov_b32 v2, v6 :: v_dual_add_nc_u32 v11, s12, v11
	v_mov_b32_e32 v3, v7
	s_and_not1_b32 exec_lo, exec_lo, s13
	s_cbranch_execz .LBB98_121
.LBB98_17:                              ;   Parent Loop BB98_11 Depth=1
                                        ; =>  This Inner Loop Header: Depth=2
	v_mov_b32_e32 v6, 0
	v_dual_mov_b32 v7, 0 :: v_dual_add_nc_u32 v8, s11, v8
	s_mov_b32 s8, exec_lo
	s_delay_alu instid0(VALU_DEP_1)
	v_cmp_le_u32_e32 vcc_lo, s28, v8
	v_cmpx_gt_u32_e64 s28, v8
	s_cbranch_execz .LBB98_19
; %bb.18:                               ;   in Loop: Header=BB98_17 Depth=2
	v_lshlrev_b64_e32 v[6:7], 3, v[11:12]
	s_delay_alu instid0(VALU_DEP_1) | instskip(SKIP_1) | instid1(VALU_DEP_2)
	v_add_co_u32 v6, s7, s52, v6
	s_wait_alu 0xf1ff
	v_add_co_ci_u32_e64 v7, null, s53, v7, s7
	global_load_b64 v[6:7], v[6:7], off
.LBB98_19:                              ;   in Loop: Header=BB98_17 Depth=2
	s_wait_alu 0xfffe
	s_or_b32 exec_lo, exec_lo, s8
	s_wait_loadcnt_dscnt 0x0
	v_xor_b32_e32 v9, 0x80000000, v3
	v_and_b32_e32 v22, v2, v20
	s_delay_alu instid0(VALU_DEP_2) | instskip(SKIP_1) | instid1(VALU_DEP_2)
	v_and_b32_e32 v23, v9, v21
	v_mov_b32_e32 v9, 0
	v_cmp_eq_u64_e64 s7, v[22:23], v[18:19]
	s_cmp_lg_u32 s7, 0
	s_cselect_b32 s8, -1, 0
	s_wait_alu 0xfffe
	s_and_b32 s8, s1, s8
	s_wait_alu 0xfffe
	s_and_saveexec_b32 s14, s8
	s_cbranch_execz .LBB98_23
; %bb.20:                               ;   in Loop: Header=BB98_17 Depth=2
	s_mov_b32 s17, exec_lo
	s_bcnt1_i32_b32 s15, s7
	s_wait_alu 0xfffe
	v_mbcnt_lo_u32_b32 v9, s17, 0
	s_mov_b32 s16, exec_lo
                                        ; implicit-def: $vgpr22
	s_delay_alu instid0(VALU_DEP_1)
	v_cmpx_eq_u32_e32 0, v9
; %bb.21:                               ;   in Loop: Header=BB98_17 Depth=2
	s_bcnt1_i32_b32 s8, s17
	s_wait_alu 0xfffe
	s_mul_i32 s8, s15, s8
	s_wait_alu 0xfffe
	v_mov_b32_e32 v22, s8
	ds_add_rtn_u32 v22, v12, v22 offset:4112
; %bb.22:                               ;   in Loop: Header=BB98_17 Depth=2
	s_or_b32 exec_lo, exec_lo, s16
	s_wait_dscnt 0x0
	v_readfirstlane_b32 s8, v22
	s_wait_alu 0xf1ff
	s_delay_alu instid0(VALU_DEP_1)
	v_mad_u32_u24 v9, s15, v9, s8
.LBB98_23:                              ;   in Loop: Header=BB98_17 Depth=2
	s_wait_alu 0xfffe
	s_or_b32 exec_lo, exec_lo, s14
	ds_bpermute_b32 v9, v12, v9
	s_and_b32 s8, exec_lo, vcc_lo
	s_wait_alu 0xfffe
	s_or_b32 s13, s8, s13
	s_and_saveexec_b32 s8, s7
	s_cbranch_execz .LBB98_16
; %bb.24:                               ;   in Loop: Header=BB98_17 Depth=2
	v_and_b32_e32 v22, s7, v30
	s_delay_alu instid0(VALU_DEP_1) | instskip(NEXT) | instid1(VALU_DEP_1)
	v_bcnt_u32_b32 v22, v22, 0
	v_lshlrev_b32_e32 v22, 3, v22
	s_wait_dscnt 0x0
	s_delay_alu instid0(VALU_DEP_1)
	v_lshl_add_u32 v9, v9, 3, v22
	ds_store_b64 v9, v[2:3]
	s_branch .LBB98_16
.LBB98_25:                              ;   in Loop: Header=BB98_11 Depth=1
	s_mov_b32 s9, -1
	s_mov_b32 s7, 0
.LBB98_26:                              ;   in Loop: Header=BB98_11 Depth=1
	s_wait_alu 0xfffe
	s_and_b32 vcc_lo, exec_lo, s9
	s_wait_alu 0xfffe
	s_cbranch_vccz .LBB98_36
.LBB98_27:                              ;   in Loop: Header=BB98_11 Depth=1
	s_and_saveexec_b32 s7, s0
	s_cbranch_execz .LBB98_33
; %bb.28:                               ;   in Loop: Header=BB98_11 Depth=1
	global_load_b64 v[2:3], v[13:14], off
	s_load_u16 s9, s[64:65], 0x0
	v_mov_b32_e32 v8, v0
	s_mov_b32 s8, exec_lo
	s_wait_kmcnt 0x0
	v_add_nc_u32_e32 v6, s9, v0
	s_delay_alu instid0(VALU_DEP_1)
	v_cmpx_gt_u32_e64 s28, v6
	s_cbranch_execz .LBB98_32
; %bb.29:                               ;   in Loop: Header=BB98_11 Depth=1
	v_mul_lo_u32 v11, s30, v6
	v_dual_mov_b32 v9, v28 :: v_dual_mov_b32 v8, v0
	s_lshl_b32 s10, s9, 3
	s_mul_i32 s12, s30, s9
	s_mov_b32 s11, 0
.LBB98_30:                              ;   Parent Loop BB98_11 Depth=1
                                        ; =>  This Inner Loop Header: Depth=2
	s_delay_alu instid0(VALU_DEP_2)
	v_lshlrev_b64_e32 v[6:7], 3, v[11:12]
	s_wait_loadcnt 0x0
	ds_store_b64 v9, v[2:3]
	s_wait_alu 0xfffe
	v_add_nc_u32_e32 v11, s12, v11
	v_add_co_u32 v6, vcc_lo, s52, v6
	s_wait_alu 0xfffd
	v_add_co_ci_u32_e64 v7, null, s53, v7, vcc_lo
	global_load_b64 v[6:7], v[6:7], off
	v_add_nc_u32_e32 v8, s9, v8
	s_wait_loadcnt 0x0
	v_dual_mov_b32 v2, v6 :: v_dual_add_nc_u32 v9, s10, v9
	s_delay_alu instid0(VALU_DEP_2) | instskip(NEXT) | instid1(VALU_DEP_1)
	v_dual_mov_b32 v3, v7 :: v_dual_add_nc_u32 v22, s9, v8
	v_cmp_le_u32_e32 vcc_lo, s28, v22
	s_or_b32 s11, vcc_lo, s11
	s_wait_alu 0xfffe
	s_and_not1_b32 exec_lo, exec_lo, s11
	s_cbranch_execnz .LBB98_30
; %bb.31:                               ;   in Loop: Header=BB98_11 Depth=1
	s_or_b32 exec_lo, exec_lo, s11
	v_dual_mov_b32 v2, v6 :: v_dual_mov_b32 v3, v7
.LBB98_32:                              ;   in Loop: Header=BB98_11 Depth=1
	s_wait_alu 0xfffe
	s_or_b32 exec_lo, exec_lo, s8
	v_lshlrev_b32_e32 v6, 3, v8
	s_wait_loadcnt 0x0
	ds_store_b64 v6, v[2:3]
.LBB98_33:                              ;   in Loop: Header=BB98_11 Depth=1
	s_wait_alu 0xfffe
	s_or_b32 exec_lo, exec_lo, s7
	s_wait_loadcnt_dscnt 0x0
	s_barrier_signal -1
	s_barrier_wait -1
	global_inv scope:SCOPE_SE
	s_and_saveexec_b32 s7, s2
; %bb.34:                               ;   in Loop: Header=BB98_11 Depth=1
	v_mov_b32_e32 v2, s28
	ds_store_b32 v12, v2 offset:4104
; %bb.35:                               ;   in Loop: Header=BB98_11 Depth=1
	s_wait_alu 0xfffe
	s_or_b32 exec_lo, exec_lo, s7
	s_mov_b32 s7, -1
	s_wait_loadcnt_dscnt 0x0
	s_barrier_signal -1
	s_barrier_wait -1
.LBB98_36:                              ;   in Loop: Header=BB98_11 Depth=1
	s_wait_alu 0xfffe
	s_and_b32 vcc_lo, exec_lo, s7
	s_mov_b32 s58, 0
	s_wait_alu 0xfffe
	s_cbranch_vccz .LBB98_38
; %bb.37:                               ;   in Loop: Header=BB98_11 Depth=1
	s_wait_loadcnt 0x0
	global_inv scope:SCOPE_SE
	ds_load_b32 v2, v12 offset:4104
	s_wait_dscnt 0x0
	v_readfirstlane_b32 s58, v2
.LBB98_38:                              ;   in Loop: Header=BB98_11 Depth=1
	s_delay_alu instid0(VALU_DEP_1)
	s_cmp_lt_i32 s58, 1
	s_mov_b32 s7, -1
                                        ; implicit-def: $vgpr6
	s_cbranch_scc1 .LBB98_48
; %bb.39:                               ;   in Loop: Header=BB98_11 Depth=1
	s_wait_alu 0xfffe
	s_and_b32 vcc_lo, exec_lo, s7
	s_wait_alu 0xfffe
	s_cbranch_vccnz .LBB98_59
.LBB98_40:                              ;   in Loop: Header=BB98_11 Depth=1
	v_lshlrev_b32_e32 v2, 7, v39
	s_and_saveexec_b32 s7, s1
.LBB98_41:                              ;   in Loop: Header=BB98_11 Depth=1
	s_delay_alu instid0(VALU_DEP_1)
	v_lshl_add_u32 v3, v2, 2, v32
	ds_store_b128 v3, v[6:9]
.LBB98_42:                              ;   in Loop: Header=BB98_11 Depth=1
	s_wait_alu 0xfffe
	s_or_b32 exec_lo, exec_lo, s7
	s_wait_loadcnt_dscnt 0x0
	s_barrier_signal -1
	s_barrier_wait -1
	global_inv scope:SCOPE_SE
	s_and_saveexec_b32 s7, s47
	s_cbranch_execz .LBB98_72
; %bb.43:                               ;   in Loop: Header=BB98_11 Depth=1
	v_mov_b32_e32 v3, 0
	s_and_not1_b32 vcc_lo, exec_lo, s56
	s_wait_alu 0xfffe
	s_cbranch_vccnz .LBB98_71
; %bb.44:                               ;   in Loop: Header=BB98_11 Depth=1
	s_and_not1_b32 vcc_lo, exec_lo, s67
	s_wait_alu 0xfffe
	s_cbranch_vccnz .LBB98_68
; %bb.45:                               ;   in Loop: Header=BB98_11 Depth=1
	v_lshl_add_u32 v6, v39, 9, v38
	v_mov_b32_e32 v3, 0
	s_mov_b32 s8, 0
.LBB98_46:                              ;   Parent Loop BB98_11 Depth=1
                                        ; =>  This Inner Loop Header: Depth=2
	ds_load_2addr_b32 v[7:8], v6 offset1:4
	ds_load_2addr_b32 v[22:23], v6 offset0:8 offset1:12
	ds_load_2addr_b32 v[24:25], v6 offset0:16 offset1:20
	;; [unrolled: 1-line block ×3, first 2 shown]
	v_add_nc_u32_e32 v6, 0x80, v6
	s_wait_alu 0xfffe
	s_add_co_i32 s8, s8, 8
	s_wait_alu 0xfffe
	s_cmp_eq_u32 s68, s8
	s_wait_dscnt 0x3
	v_add3_u32 v3, v7, v3, v8
	s_wait_dscnt 0x2
	s_delay_alu instid0(VALU_DEP_1) | instskip(SKIP_1) | instid1(VALU_DEP_1)
	v_add3_u32 v3, v22, v3, v23
	s_wait_dscnt 0x1
	v_add3_u32 v3, v24, v3, v25
	s_wait_dscnt 0x0
	s_delay_alu instid0(VALU_DEP_1)
	v_add3_u32 v3, v41, v3, v42
	s_cbranch_scc0 .LBB98_46
; %bb.47:                               ;   in Loop: Header=BB98_11 Depth=1
	s_mov_b32 s8, s68
	s_and_not1_b32 vcc_lo, exec_lo, s69
	s_wait_alu 0xfffe
	s_cbranch_vccz .LBB98_69
	s_branch .LBB98_71
.LBB98_48:                              ;   in Loop: Header=BB98_11 Depth=1
	v_dual_mov_b32 v6, 0 :: v_dual_mov_b32 v7, 0
	v_dual_mov_b32 v8, 0 :: v_dual_mov_b32 v9, 0
	s_and_saveexec_b32 s21, s4
	s_cbranch_execz .LBB98_52
; %bb.49:                               ;   in Loop: Header=BB98_11 Depth=1
	v_mov_b32_e32 v2, v27
	s_mov_b32 s22, 0
	s_mov_b32 s23, 0
	s_mov_b32 s24, 0
	s_mov_b32 s25, 0
	s_mov_b32 s26, 0
	s_mov_b32 s83, 0
.LBB98_50:                              ;   Parent Loop BB98_11 Depth=1
                                        ; =>  This Inner Loop Header: Depth=2
	s_wait_alu 0xfffe
	v_dual_mov_b32 v42, v12 :: v_dual_add_nc_u32 v11, s23, v35
	v_mov_b32_e32 v44, v12
	v_mov_b32_e32 v46, v12
	s_delay_alu instid0(VALU_DEP_3) | instskip(SKIP_1) | instid1(VALU_DEP_1)
	v_lshlrev_b64_e32 v[6:7], 3, v[11:12]
	v_add_nc_u32_e32 v11, s23, v17
	v_lshlrev_b64_e32 v[8:9], 3, v[11:12]
	v_add_nc_u32_e32 v11, s23, v33
	s_delay_alu instid0(VALU_DEP_4) | instskip(SKIP_2) | instid1(VALU_DEP_3)
	v_add_co_u32 v6, vcc_lo, s52, v6
	s_wait_alu 0xfffd
	v_add_co_ci_u32_e64 v7, null, s53, v7, vcc_lo
	v_lshlrev_b64_e32 v[22:23], 3, v[11:12]
	v_add_co_u32 v8, vcc_lo, s52, v8
	global_load_b64 v[6:7], v[6:7], off
	v_add_nc_u32_e32 v11, s23, v34
	s_wait_alu 0xfffd
	v_add_co_ci_u32_e64 v9, null, s53, v9, vcc_lo
	v_add_co_u32 v22, vcc_lo, s52, v22
	s_wait_alu 0xfffd
	v_add_co_ci_u32_e64 v23, null, s53, v23, vcc_lo
	v_lshlrev_b64_e32 v[24:25], 3, v[11:12]
	s_clause 0x1
	global_load_b64 v[8:9], v[8:9], off
	global_load_b64 v[22:23], v[22:23], off
	s_add_co_i32 s23, s23, s72
	v_add_co_u32 v24, vcc_lo, s52, v24
	s_wait_alu 0xfffd
	v_add_co_ci_u32_e64 v25, null, s53, v25, vcc_lo
	global_load_b64 v[24:25], v[24:25], off
	s_wait_loadcnt 0x3
	v_xor_b32_e32 v7, 0x80000000, v7
	v_and_b32_e32 v47, v6, v20
	s_delay_alu instid0(VALU_DEP_2)
	v_and_b32_e32 v48, v7, v21
	v_lshrrev_b64 v[6:7], s82, v[6:7]
	s_wait_loadcnt 0x2
	v_xor_b32_e32 v9, 0x80000000, v9
	s_wait_loadcnt 0x1
	v_xor_b32_e32 v23, 0x80000000, v23
	v_cmp_eq_u64_e64 s7, v[47:48], v[18:19]
	v_and_b32_e32 v11, 3, v6
	v_and_b32_e32 v49, v8, v20
	v_lshrrev_b64 v[47:48], s82, v[8:9]
	v_and_b32_e32 v7, v22, v20
	v_and_b32_e32 v8, v23, v21
	v_cmp_eq_u64_e64 s9, 0, v[11:12]
	v_lshrrev_b64 v[22:23], s82, v[22:23]
	v_and_b32_e32 v50, v9, v21
	v_and_b32_e32 v41, 3, v47
	v_cmp_eq_u64_e64 s10, 1, v[11:12]
	s_wait_loadcnt 0x0
	v_xor_b32_e32 v25, 0x80000000, v25
	v_cmp_eq_u64_e64 s11, 2, v[11:12]
	v_cmp_eq_u64_e64 s12, 3, v[11:12]
	s_and_b32 s9, s7, s9
	v_cmp_eq_u64_e64 s8, v[49:50], v[18:19]
	v_and_b32_e32 v43, 3, v22
	v_cmp_eq_u64_e64 s14, 0, v[41:42]
	v_cmp_eq_u64_e64 s15, 1, v[41:42]
	;; [unrolled: 1-line block ×3, first 2 shown]
	v_lshrrev_b64 v[8:9], s82, v[24:25]
	s_wait_alu 0xfffe
	v_cndmask_b32_e64 v3, 0, 1, s9
	s_and_b32 s9, s7, s10
	v_and_b32_e32 v6, v24, v20
	v_and_b32_e32 v7, v25, v21
	v_cmp_eq_u64_e64 s16, 2, v[41:42]
	s_wait_alu 0xfffe
	v_cndmask_b32_e64 v9, 0, 1, s9
	s_and_b32 s9, s7, s11
	v_cmp_eq_u64_e64 s17, 3, v[41:42]
	s_and_b32 s7, s7, s12
	s_wait_alu 0xfffe
	v_cndmask_b32_e64 v11, 0, 1, s9
	v_cmp_eq_u64_e64 s9, 0, v[43:44]
	v_cndmask_b32_e64 v22, 0, 1, s7
	s_and_b32 s14, s8, s14
	s_and_b32 s15, s8, s15
	v_and_b32_e32 v45, 3, v8
	v_cmp_eq_u64_e64 s10, 1, v[43:44]
	v_cmp_eq_u64_e64 s7, v[6:7], v[18:19]
	v_cmp_ne_u32_e64 s18, 0, v3
	s_wait_alu 0xfffe
	v_cndmask_b32_e64 v3, 0, 1, s14
	v_cndmask_b32_e64 v6, 0, 1, s15
	s_and_b32 s16, s8, s16
	v_cmp_eq_u64_e64 s11, 2, v[43:44]
	s_and_b32 s8, s8, s17
	s_wait_alu 0xfffe
	v_cndmask_b32_e64 v7, 0, 1, s16
	v_cmp_ne_u32_e64 s16, 0, v22
	s_and_b32 s9, s13, s9
	v_cmp_eq_u64_e64 s12, 3, v[43:44]
	v_cndmask_b32_e64 v8, 0, 1, s8
	v_cmp_eq_u64_e64 s8, 0, v[45:46]
	v_cmp_eq_u64_e64 s17, 1, v[45:46]
	s_bcnt1_i32_b32 s84, s18
	v_cmp_ne_u32_e64 s18, 0, v3
	s_wait_alu 0xfffe
	v_cndmask_b32_e64 v3, 0, 1, s9
	v_cmp_ne_u32_e64 s9, 0, v6
	s_and_b32 s10, s13, s10
	s_and_b32 s11, s13, s11
	s_wait_alu 0xfffe
	v_cndmask_b32_e64 v6, 0, 1, s10
	s_bcnt1_i32_b32 s16, s16
	v_cmp_eq_u64_e64 s19, 2, v[45:46]
	v_cmp_eq_u64_e64 s20, 3, v[45:46]
	v_cmp_ne_u32_e64 s10, 0, v7
	v_cndmask_b32_e64 v7, 0, 1, s11
	v_cmp_ne_u32_e64 s11, 0, v8
	s_and_b32 s12, s13, s12
	s_wait_alu 0xfffe
	s_add_co_i32 s16, s16, s24
	s_and_b32 s8, s7, s8
	s_bcnt1_i32_b32 s24, s9
	s_and_b32 s9, s7, s17
	v_cmp_ne_u32_e64 s14, 0, v9
	v_cndmask_b32_e64 v8, 0, 1, s12
	v_cmp_ne_u32_e64 s12, 0, v3
	s_wait_alu 0xfffe
	v_cndmask_b32_e64 v3, 0, 1, s8
	v_cmp_ne_u32_e64 s8, 0, v6
	v_cndmask_b32_e64 v6, 0, 1, s9
	v_cmp_ne_u32_e64 s15, 0, v11
	s_bcnt1_i32_b32 s17, s10
	s_and_b32 s10, s7, s19
	s_bcnt1_i32_b32 s11, s11
	s_and_b32 s7, s7, s20
	s_bcnt1_i32_b32 s14, s14
	v_cmp_ne_u32_e64 s9, 0, v7
	s_wait_alu 0xfffe
	v_cndmask_b32_e64 v7, 0, 1, s10
	v_cmp_ne_u32_e64 s10, 0, v8
	v_cndmask_b32_e64 v8, 0, 1, s7
	s_add_co_i32 s11, s16, s11
	s_bcnt1_i32_b32 s16, s8
	v_cmp_ne_u32_e64 s8, 0, v6
	s_bcnt1_i32_b32 s15, s15
	s_add_co_i32 s13, s84, s83
	s_add_co_i32 s14, s14, s26
	s_bcnt1_i32_b32 s18, s18
	s_wait_alu 0xfffe
	s_add_co_i32 s15, s15, s25
	s_add_co_i32 s13, s13, s18
	s_add_co_i32 s14, s14, s24
	s_bcnt1_i32_b32 s12, s12
	s_wait_alu 0xfffe
	s_add_co_i32 s15, s15, s17
	v_cmp_ne_u32_e64 s7, 0, v3
	s_bcnt1_i32_b32 s17, s9
	v_cmp_ne_u32_e64 s9, 0, v7
	s_bcnt1_i32_b32 s18, s10
	v_cmp_ne_u32_e64 s10, 0, v8
	s_add_co_i32 s12, s13, s12
	s_add_co_i32 s13, s14, s16
	s_bcnt1_i32_b32 s8, s8
	s_wait_alu 0xfffe
	s_add_co_i32 s14, s15, s17
	s_add_co_i32 s26, s13, s8
	s_wait_alu 0xfffe
	v_dual_mov_b32 v7, s26 :: v_dual_add_nc_u32 v2, s31, v2
	s_add_co_i32 s11, s11, s18
	s_bcnt1_i32_b32 s7, s7
	s_bcnt1_i32_b32 s9, s9
	;; [unrolled: 1-line block ×3, first 2 shown]
	v_cmp_le_u32_e32 vcc_lo, s70, v2
	s_wait_alu 0xfffe
	s_add_co_i32 s83, s12, s7
	s_add_co_i32 s25, s14, s9
	;; [unrolled: 1-line block ×3, first 2 shown]
	s_wait_alu 0xfffe
	v_mov_b32_e32 v6, s83
	v_dual_mov_b32 v8, s25 :: v_dual_mov_b32 v9, s24
	s_or_b32 s22, vcc_lo, s22
	s_wait_alu 0xfffe
	s_and_not1_b32 exec_lo, exec_lo, s22
	s_cbranch_execnz .LBB98_50
; %bb.51:                               ;   in Loop: Header=BB98_11 Depth=1
	s_or_b32 exec_lo, exec_lo, s22
.LBB98_52:                              ;   in Loop: Header=BB98_11 Depth=1
	s_wait_alu 0xfffe
	s_or_b32 exec_lo, exec_lo, s21
	s_and_saveexec_b32 s11, s5
	s_cbranch_execz .LBB98_58
; %bb.53:                               ;   in Loop: Header=BB98_11 Depth=1
	global_load_b64 v[24:25], v[15:16], off
	v_dual_mov_b32 v2, v36 :: v_dual_mov_b32 v41, v31
	s_mov_b32 s12, 0
	s_branch .LBB98_55
.LBB98_54:                              ;   in Loop: Header=BB98_55 Depth=2
	s_wait_alu 0xfffe
	s_or_b32 exec_lo, exec_lo, s8
	s_wait_loadcnt 0x0
	v_xor_b32_e32 v25, 0x80000000, v25
	s_and_b32 s9, exec_lo, vcc_lo
	v_add_nc_u32_e32 v2, s43, v2
	s_wait_alu 0xfffe
	s_or_b32 s12, s9, s12
	v_lshrrev_b64 v[42:43], s82, v[24:25]
	v_and_b32_e32 v24, v24, v20
	v_and_b32_e32 v25, v25, v21
	s_delay_alu instid0(VALU_DEP_3) | instskip(NEXT) | instid1(VALU_DEP_2)
	v_and_b32_e32 v11, 3, v42
	v_cmp_eq_u64_e64 s7, v[24:25], v[18:19]
	s_delay_alu instid0(VALU_DEP_2)
	v_cmp_eq_u64_e64 s8, 0, v[11:12]
	v_cmp_eq_u64_e32 vcc_lo, 1, v[11:12]
	v_cmp_eq_u64_e64 s9, 2, v[11:12]
	v_cmp_eq_u64_e64 s10, 3, v[11:12]
	s_and_b32 s8, s7, s8
	s_wait_alu 0xfffe
	v_cndmask_b32_e64 v3, 0, 1, s8
	s_and_b32 s8, s7, vcc_lo
	s_wait_alu 0xfffe
	v_cndmask_b32_e64 v11, 0, 1, s8
	s_and_b32 s8, s7, s9
	s_and_b32 s7, s7, s10
	s_wait_alu 0xfffe
	v_cndmask_b32_e64 v24, 0, 1, s8
	v_cndmask_b32_e64 v25, 0, 1, s7
	v_cmp_ne_u32_e32 vcc_lo, 0, v3
	v_cmp_ne_u32_e64 s7, 0, v11
	s_delay_alu instid0(VALU_DEP_4) | instskip(NEXT) | instid1(VALU_DEP_4)
	v_cmp_ne_u32_e64 s8, 0, v24
	v_cmp_ne_u32_e64 s9, 0, v25
	s_bcnt1_i32_b32 s10, vcc_lo
	s_bcnt1_i32_b32 s7, s7
	v_mov_b32_e32 v25, v23
	s_bcnt1_i32_b32 s8, s8
	s_bcnt1_i32_b32 s9, s9
	s_wait_alu 0xfffe
	v_add_nc_u32_e32 v6, s10, v6
	v_add_nc_u32_e32 v7, s7, v7
	v_add_nc_u32_e32 v8, s8, v8
	v_dual_mov_b32 v24, v22 :: v_dual_add_nc_u32 v9, s9, v9
	s_and_not1_b32 exec_lo, exec_lo, s12
	s_cbranch_execz .LBB98_57
.LBB98_55:                              ;   Parent Loop BB98_11 Depth=1
                                        ; =>  This Inner Loop Header: Depth=2
	s_delay_alu instid0(VALU_DEP_1) | instskip(SKIP_2) | instid1(VALU_DEP_2)
	v_dual_mov_b32 v22, 0 :: v_dual_add_nc_u32 v41, s29, v41
	v_mov_b32_e32 v23, 0
	s_mov_b32 s8, exec_lo
	v_cmp_le_u32_e32 vcc_lo, s28, v41
	v_cmpx_gt_u32_e64 s28, v41
	s_cbranch_execz .LBB98_54
; %bb.56:                               ;   in Loop: Header=BB98_55 Depth=2
	v_mov_b32_e32 v3, v12
	s_delay_alu instid0(VALU_DEP_1) | instskip(NEXT) | instid1(VALU_DEP_1)
	v_lshlrev_b64_e32 v[22:23], 3, v[2:3]
	v_add_co_u32 v22, s7, s52, v22
	s_wait_alu 0xf1fe
	s_delay_alu instid0(VALU_DEP_2)
	v_add_co_ci_u32_e64 v23, null, s53, v23, s7
	global_load_b64 v[22:23], v[22:23], off
	s_branch .LBB98_54
.LBB98_57:                              ;   in Loop: Header=BB98_11 Depth=1
	s_or_b32 exec_lo, exec_lo, s12
.LBB98_58:                              ;   in Loop: Header=BB98_11 Depth=1
	s_wait_alu 0xfffe
	s_or_b32 exec_lo, exec_lo, s11
	s_branch .LBB98_40
.LBB98_59:                              ;   in Loop: Header=BB98_11 Depth=1
	s_mul_u64 s[8:9], s[58:59], s[60:61]
	v_dual_mov_b32 v6, 0 :: v_dual_mov_b32 v7, 0
	s_wait_alu 0xfffe
	s_mul_i32 s7, s9, s31
	v_dual_mov_b32 v8, 0 :: v_dual_mov_b32 v9, 0
	s_wait_alu 0xfffe
	s_sub_co_i32 s7, s58, s7
	s_mov_b32 s84, exec_lo
	s_wait_alu 0xfffe
	s_sub_co_i32 s8, s7, s31
	s_cmp_ge_u32 s7, s31
	s_wait_alu 0xfffe
	s_cselect_b32 s7, s8, s7
	s_wait_alu 0xfffe
	s_sub_co_i32 s8, s7, s31
	s_cmp_ge_u32 s7, s31
	s_wait_alu 0xfffe
	s_cselect_b32 s7, s8, s7
	s_wait_alu 0xfffe
	s_sub_co_i32 s83, s58, s7
	s_wait_alu 0xfffe
	v_cmpx_gt_u32_e64 s83, v27
	s_cbranch_execz .LBB98_63
; %bb.60:                               ;   in Loop: Header=BB98_11 Depth=1
	v_dual_mov_b32 v2, v37 :: v_dual_mov_b32 v3, v27
	s_mov_b32 s85, 0
	s_mov_b32 s86, 0
	s_mov_b32 s87, 0
	s_mov_b32 s88, 0
	s_mov_b32 s89, 0
.LBB98_61:                              ;   Parent Loop BB98_11 Depth=1
                                        ; =>  This Inner Loop Header: Depth=2
	ds_load_b128 v[6:9], v2
	ds_load_b128 v[22:25], v2 offset:16
	v_mov_b32_e32 v44, v12
	v_dual_mov_b32 v46, v12 :: v_dual_add_nc_u32 v3, s31, v3
	v_mov_b32_e32 v42, v12
	s_delay_alu instid0(VALU_DEP_2)
	v_cmp_le_u32_e32 vcc_lo, s83, v3
	s_wait_dscnt 0x1
	v_xor_b32_e32 v7, 0x80000000, v7
	v_xor_b32_e32 v9, 0x80000000, v9
	s_wait_dscnt 0x0
	v_xor_b32_e32 v23, 0x80000000, v23
	v_and_b32_e32 v47, v6, v20
	v_xor_b32_e32 v25, 0x80000000, v25
	v_and_b32_e32 v48, v7, v21
	v_lshrrev_b64 v[6:7], s82, v[6:7]
	v_and_b32_e32 v49, v8, v20
	v_lshrrev_b64 v[7:8], s82, v[8:9]
	;; [unrolled: 2-line block ×3, first 2 shown]
	v_and_b32_e32 v51, v22, v20
	v_and_b32_e32 v52, v23, v21
	v_lshrrev_b64 v[22:23], s82, v[24:25]
	v_and_b32_e32 v11, 3, v6
	v_and_b32_e32 v41, 3, v7
	;; [unrolled: 1-line block ×3, first 2 shown]
	v_cmp_eq_u64_e64 s7, v[47:48], v[18:19]
	v_and_b32_e32 v53, v24, v20
	v_cmp_eq_u64_e64 s11, 0, v[11:12]
	v_and_b32_e32 v54, v25, v21
	v_and_b32_e32 v45, 3, v22
	v_cmp_eq_u64_e64 s8, v[49:50], v[18:19]
	v_cmp_eq_u64_e64 s12, 0, v[41:42]
	;; [unrolled: 1-line block ×6, first 2 shown]
	s_and_b32 s11, s7, s11
	v_cmp_eq_u64_e64 s15, 1, v[11:12]
	s_wait_alu 0xfffe
	v_cndmask_b32_e64 v6, 0, 1, s11
	s_and_b32 s11, s8, s12
	v_cmp_eq_u64_e64 s16, 1, v[41:42]
	s_wait_alu 0xfffe
	v_cndmask_b32_e64 v7, 0, 1, s11
	;; [unrolled: 4-line block ×4, first 2 shown]
	s_and_b32 s11, s7, s15
	v_cmp_eq_u64_e64 s19, 2, v[11:12]
	v_cmp_eq_u64_e64 s23, 3, v[11:12]
	s_wait_alu 0xfffe
	v_cndmask_b32_e64 v11, 0, 1, s11
	s_and_b32 s11, s8, s16
	v_cmp_eq_u64_e64 s20, 2, v[41:42]
	v_cmp_eq_u64_e64 s24, 3, v[41:42]
	s_wait_alu 0xfffe
	v_cndmask_b32_e64 v22, 0, 1, s11
	;; [unrolled: 5-line block ×4, first 2 shown]
	s_and_b32 s11, s7, s19
	s_and_b32 s7, s7, s23
	s_wait_alu 0xfffe
	v_cndmask_b32_e64 v25, 0, 1, s11
	s_and_b32 s11, s8, s20
	v_cndmask_b32_e64 v44, 0, 1, s7
	s_and_b32 s7, s8, s24
	s_wait_alu 0xfffe
	v_cndmask_b32_e64 v41, 0, 1, s11
	s_and_b32 s11, s9, s21
	v_cndmask_b32_e64 v45, 0, 1, s7
	;; [unrolled: 5-line block ×3, first 2 shown]
	s_and_b32 s7, s10, s26
	s_wait_alu 0xfffe
	v_cndmask_b32_e64 v43, 0, 1, s11
	v_cndmask_b32_e64 v47, 0, 1, s7
	v_cmp_ne_u32_e64 s7, 0, v6
	v_cmp_ne_u32_e64 s11, 0, v11
	;; [unrolled: 1-line block ×12, first 2 shown]
	s_bcnt1_i32_b32 s7, s7
	s_bcnt1_i32_b32 s11, s11
	;; [unrolled: 1-line block ×4, first 2 shown]
	v_cmp_ne_u32_e64 s10, 0, v9
	v_cmp_ne_u32_e64 s14, 0, v24
	;; [unrolled: 1-line block ×4, first 2 shown]
	s_bcnt1_i32_b32 s8, s8
	s_bcnt1_i32_b32 s12, s12
	s_bcnt1_i32_b32 s16, s16
	s_bcnt1_i32_b32 s20, s20
	s_wait_alu 0xfffe
	s_add_co_i32 s7, s7, s89
	s_add_co_i32 s11, s11, s88
	s_add_co_i32 s15, s15, s87
	s_add_co_i32 s19, s19, s86
	s_bcnt1_i32_b32 s9, s9
	s_bcnt1_i32_b32 s13, s13
	s_bcnt1_i32_b32 s17, s17
	s_bcnt1_i32_b32 s21, s21
	s_wait_alu 0xfffe
	s_add_co_i32 s7, s7, s8
	s_add_co_i32 s8, s11, s12
	s_add_co_i32 s11, s15, s16
	s_add_co_i32 s12, s19, s20
	;; [unrolled: 9-line block ×3, first 2 shown]
	s_wait_alu 0xfffe
	s_add_co_i32 s89, s7, s10
	s_add_co_i32 s88, s8, s14
	;; [unrolled: 1-line block ×4, first 2 shown]
	s_wait_alu 0xfffe
	v_dual_mov_b32 v7, s88 :: v_dual_add_nc_u32 v2, s73, v2
	v_mov_b32_e32 v6, s89
	v_dual_mov_b32 v8, s87 :: v_dual_mov_b32 v9, s86
	s_or_b32 s85, vcc_lo, s85
	s_wait_alu 0xfffe
	s_and_not1_b32 exec_lo, exec_lo, s85
	s_cbranch_execnz .LBB98_61
; %bb.62:                               ;   in Loop: Header=BB98_11 Depth=1
	s_or_b32 exec_lo, exec_lo, s85
.LBB98_63:                              ;   in Loop: Header=BB98_11 Depth=1
	s_delay_alu instid0(SALU_CYCLE_1) | instskip(SKIP_2) | instid1(VALU_DEP_1)
	s_or_b32 exec_lo, exec_lo, s84
	v_add_nc_u32_e32 v2, s83, v0
	s_mov_b32 s12, exec_lo
	v_cmpx_gt_u32_e64 s58, v2
	s_cbranch_execz .LBB98_67
; %bb.64:                               ;   in Loop: Header=BB98_11 Depth=1
	v_lshlrev_b32_e32 v3, 3, v2
	s_mov_b32 s13, 0
.LBB98_65:                              ;   Parent Loop BB98_11 Depth=1
                                        ; =>  This Inner Loop Header: Depth=2
	ds_load_b64 v[22:23], v3
	v_add_nc_u32_e32 v2, s29, v2
	v_add_nc_u32_e32 v3, s74, v3
	s_delay_alu instid0(VALU_DEP_2) | instskip(SKIP_3) | instid1(VALU_DEP_2)
	v_cmp_le_u32_e32 vcc_lo, s58, v2
	s_wait_dscnt 0x0
	v_xor_b32_e32 v23, 0x80000000, v23
	v_and_b32_e32 v24, v22, v20
	v_and_b32_e32 v25, v23, v21
	v_lshrrev_b64 v[22:23], s82, v[22:23]
	s_delay_alu instid0(VALU_DEP_2) | instskip(NEXT) | instid1(VALU_DEP_2)
	v_cmp_eq_u64_e64 s7, v[24:25], v[18:19]
	v_and_b32_e32 v11, 3, v22
	s_delay_alu instid0(VALU_DEP_1)
	v_cmp_eq_u64_e64 s8, 0, v[11:12]
	v_cmp_eq_u64_e64 s9, 1, v[11:12]
	;; [unrolled: 1-line block ×4, first 2 shown]
	s_and_b32 s8, s7, s8
	s_wait_alu 0xfffe
	v_cndmask_b32_e64 v11, 0, 1, s8
	s_and_b32 s8, s7, s9
	s_wait_alu 0xfffe
	v_cndmask_b32_e64 v22, 0, 1, s8
	s_and_b32 s8, s7, s10
	s_and_b32 s7, s7, s11
	s_wait_alu 0xfffe
	v_cndmask_b32_e64 v23, 0, 1, s8
	v_cndmask_b32_e64 v24, 0, 1, s7
	v_cmp_ne_u32_e64 s7, 0, v11
	v_cmp_ne_u32_e64 s8, 0, v22
	s_delay_alu instid0(VALU_DEP_4) | instskip(NEXT) | instid1(VALU_DEP_4)
	v_cmp_ne_u32_e64 s9, 0, v23
	v_cmp_ne_u32_e64 s10, 0, v24
	s_bcnt1_i32_b32 s7, s7
	s_bcnt1_i32_b32 s8, s8
	s_wait_alu 0xfffe
	v_add_nc_u32_e32 v6, s7, v6
	s_bcnt1_i32_b32 s9, s9
	s_bcnt1_i32_b32 s10, s10
	v_add_nc_u32_e32 v7, s8, v7
	s_wait_alu 0xfffe
	v_add_nc_u32_e32 v8, s9, v8
	v_add_nc_u32_e32 v9, s10, v9
	s_or_b32 s13, vcc_lo, s13
	s_wait_alu 0xfffe
	s_and_not1_b32 exec_lo, exec_lo, s13
	s_cbranch_execnz .LBB98_65
; %bb.66:                               ;   in Loop: Header=BB98_11 Depth=1
	s_or_b32 exec_lo, exec_lo, s13
.LBB98_67:                              ;   in Loop: Header=BB98_11 Depth=1
	s_wait_alu 0xfffe
	s_or_b32 exec_lo, exec_lo, s12
	v_lshlrev_b32_e32 v2, 7, v39
	s_and_saveexec_b32 s7, s1
	s_cbranch_execnz .LBB98_41
	s_branch .LBB98_42
.LBB98_68:                              ;   in Loop: Header=BB98_11 Depth=1
	v_mov_b32_e32 v3, 0
	s_mov_b32 s8, 0
	s_and_not1_b32 vcc_lo, exec_lo, s69
	s_wait_alu 0xfffe
	s_cbranch_vccnz .LBB98_71
.LBB98_69:                              ;   in Loop: Header=BB98_11 Depth=1
	v_lshlrev_b32_e32 v6, 9, v39
	s_lshl_b32 s8, s8, 4
	s_wait_alu 0xfffe
	s_delay_alu instid0(VALU_DEP_1)
	v_add3_u32 v6, v6, s8, v38
	s_mov_b32 s8, s66
.LBB98_70:                              ;   Parent Loop BB98_11 Depth=1
                                        ; =>  This Inner Loop Header: Depth=2
	ds_load_b32 v7, v6
	v_add_nc_u32_e32 v6, 16, v6
	s_wait_alu 0xfffe
	s_add_co_i32 s8, s8, -1
	s_wait_alu 0xfffe
	s_cmp_lg_u32 s8, 0
	s_wait_dscnt 0x0
	v_add_nc_u32_e32 v3, v7, v3
	s_cbranch_scc1 .LBB98_70
.LBB98_71:                              ;   in Loop: Header=BB98_11 Depth=1
	v_add_lshl_u32 v6, v2, v26, 2
	ds_store_b32 v6, v3 offset:3072
.LBB98_72:                              ;   in Loop: Header=BB98_11 Depth=1
	s_wait_alu 0xfffe
	s_or_b32 exec_lo, exec_lo, s7
	v_lshlrev_b32_e32 v2, 2, v2
	s_wait_loadcnt_dscnt 0x0
	s_barrier_signal -1
	s_barrier_wait -1
	global_inv scope:SCOPE_SE
	ds_load_b128 v[6:9], v2 offset:3072
	s_lshl_b64 s[8:9], 3, s82
	v_cmp_eq_u32_e32 vcc_lo, 1, v40
	s_wait_alu 0xfffe
	s_not_b64 s[10:11], s[8:9]
	s_mov_b32 s14, -1
	s_mov_b32 s21, -1
                                        ; implicit-def: $sgpr18
                                        ; implicit-def: $sgpr16
	s_wait_dscnt 0x0
	v_readfirstlane_b32 s13, v6
	v_readfirstlane_b32 s19, v7
	;; [unrolled: 1-line block ×4, first 2 shown]
	s_cmp_eq_u32 s13, 1
	s_cselect_b32 s12, -1, 0
	s_wait_alu 0xfffe
	s_and_b32 s15, s12, vcc_lo
	s_wait_alu 0xfffe
	s_and_saveexec_b32 s12, s15
	s_cbranch_execz .LBB98_98
; %bb.73:                               ;   in Loop: Header=BB98_11 Depth=1
	ds_load_b32 v2, v12 offset:4104
	s_wait_loadcnt_dscnt 0x0
	s_barrier_signal -1
	s_barrier_wait -1
	global_inv scope:SCOPE_SE
	v_readfirstlane_b32 s21, v2
	s_and_saveexec_b32 s16, s3
; %bb.74:                               ;   in Loop: Header=BB98_11 Depth=1
	v_mov_b32_e32 v11, v12
	ds_store_b64 v29, v[11:12]
; %bb.75:                               ;   in Loop: Header=BB98_11 Depth=1
	s_wait_alu 0xfffe
	s_or_b32 exec_lo, exec_lo, s16
	v_and_b32_e32 v19, s11, v19
	v_and_b32_e32 v18, s10, v18
	v_or_b32_e32 v21, s9, v21
	v_or_b32_e32 v20, s8, v20
	s_mov_b32 s16, -1
	s_mov_b32 s18, 0
	s_cmp_eq_u32 s21, 0
	s_mov_b32 s20, 0
	s_mov_b32 s22, -1
	s_wait_loadcnt_dscnt 0x0
	s_barrier_signal -1
	s_barrier_wait -1
	global_inv scope:SCOPE_SE
                                        ; implicit-def: $vgpr4_vgpr5
	s_cbranch_scc1 .LBB98_86
; %bb.76:                               ;   in Loop: Header=BB98_11 Depth=1
	s_add_co_i32 s58, s21, s39
                                        ; implicit-def: $vgpr4_vgpr5
	s_wait_alu 0xfffe
	s_mul_u64 s[22:23], s[58:59], s[62:63]
	s_wait_alu 0xfffe
	s_mul_i32 s20, s23, s29
	s_mov_b32 s23, exec_lo
	s_wait_alu 0xfffe
	s_sub_co_i32 s20, s58, s20
	s_wait_alu 0xfffe
	s_sub_co_i32 s22, s20, s29
	s_cmp_ge_u32 s20, s29
	s_wait_alu 0xfffe
	s_cselect_b32 s20, s22, s20
	s_wait_alu 0xfffe
	s_sub_co_i32 s22, s20, s29
	s_cmp_ge_u32 s20, s29
	s_wait_alu 0xfffe
	s_cselect_b32 s20, s22, s20
	s_mov_b32 s22, 0
	s_wait_alu 0xfffe
	s_sub_co_i32 s24, s58, s20
	s_mov_b32 s20, 0
	s_wait_alu 0xfffe
	v_cmpx_gt_u32_e64 s24, v0
	s_cbranch_execz .LBB98_85
; %bb.77:                               ;   in Loop: Header=BB98_11 Depth=1
	v_dual_mov_b32 v6, v28 :: v_dual_mov_b32 v7, v0
                                        ; implicit-def: $sgpr25
	s_branch .LBB98_80
.LBB98_78:                              ;   in Loop: Header=BB98_80 Depth=2
	s_wait_alu 0xfffe
	s_or_b32 exec_lo, exec_lo, s26
	s_wait_loadcnt_dscnt 0x0
	s_barrier_signal -1
	s_barrier_wait -1
	global_inv scope:SCOPE_SE
	ds_load_b128 v[2:5], v12 offset:3072
	s_mov_b32 s26, -1
	s_mov_b32 s58, -1
	s_wait_loadcnt_dscnt 0x0
	s_barrier_signal -1
	s_barrier_wait -1
	global_inv scope:SCOPE_SE
	v_cmp_ne_u64_e32 vcc_lo, 0, v[2:3]
	s_cbranch_vccz .LBB98_83
.LBB98_79:                              ;   in Loop: Header=BB98_80 Depth=2
	s_wait_alu 0xfffe
	s_and_b32 s26, exec_lo, s26
	s_wait_alu 0xfffe
	s_or_b32 s20, s26, s20
	s_and_not1_b32 s25, s25, exec_lo
	s_and_b32 s26, s58, exec_lo
	s_wait_alu 0xfffe
	s_or_b32 s25, s25, s26
	s_and_not1_b32 exec_lo, exec_lo, s20
	s_cbranch_execz .LBB98_84
.LBB98_80:                              ;   Parent Loop BB98_11 Depth=1
                                        ; =>  This Inner Loop Header: Depth=2
	s_mov_b32 s26, exec_lo
	s_delay_alu instid0(VALU_DEP_1)
	v_cmpx_gt_u32_e64 s21, v7
	s_cbranch_execz .LBB98_78
; %bb.81:                               ;   in Loop: Header=BB98_80 Depth=2
	ds_load_b64 v[3:4], v6
	s_wait_dscnt 0x0
	v_xor_b32_e32 v2, 0x80000000, v4
	v_and_b32_e32 v8, v3, v20
	s_delay_alu instid0(VALU_DEP_2) | instskip(NEXT) | instid1(VALU_DEP_1)
	v_and_b32_e32 v9, v2, v21
	v_cmp_eq_u64_e32 vcc_lo, v[8:9], v[18:19]
	s_and_b32 exec_lo, exec_lo, vcc_lo
	s_cbranch_execz .LBB98_78
; %bb.82:                               ;   in Loop: Header=BB98_80 Depth=2
	v_mov_b32_e32 v2, v12
	ds_store_b128 v12, v[1:4] offset:3072
	s_branch .LBB98_78
.LBB98_83:                              ;   in Loop: Header=BB98_80 Depth=2
	v_add_nc_u32_e32 v7, s29, v7
	v_add_nc_u32_e32 v6, s74, v6
	s_mov_b32 s58, 0
	s_delay_alu instid0(VALU_DEP_2)
	v_cmp_le_u32_e32 vcc_lo, s24, v7
	s_or_not1_b32 s26, vcc_lo, exec_lo
	s_branch .LBB98_79
.LBB98_84:                              ;   in Loop: Header=BB98_11 Depth=1
	s_or_b32 exec_lo, exec_lo, s20
	s_wait_alu 0xfffe
	s_and_b32 s20, s25, exec_lo
.LBB98_85:                              ;   in Loop: Header=BB98_11 Depth=1
	s_or_b32 exec_lo, exec_lo, s23
.LBB98_86:                              ;   in Loop: Header=BB98_11 Depth=1
	s_wait_alu 0xfffe
	s_and_b32 vcc_lo, exec_lo, s22
	s_wait_alu 0xfffe
	s_cbranch_vccz .LBB98_97
; %bb.87:                               ;   in Loop: Header=BB98_11 Depth=1
                                        ; implicit-def: $vgpr4_vgpr5
	s_and_saveexec_b32 s16, s6
	s_cbranch_execz .LBB98_96
; %bb.88:                               ;   in Loop: Header=BB98_11 Depth=1
	v_dual_mov_b32 v11, v10 :: v_dual_mov_b32 v6, v0
	s_mov_b32 s21, 0
                                        ; implicit-def: $sgpr18
	s_branch .LBB98_91
.LBB98_89:                              ;   in Loop: Header=BB98_91 Depth=2
	s_wait_alu 0xfffe
	s_or_b32 exec_lo, exec_lo, s22
	s_wait_loadcnt_dscnt 0x0
	s_barrier_signal -1
	s_barrier_wait -1
	global_inv scope:SCOPE_SE
	ds_load_b128 v[2:5], v12 offset:3072
	s_mov_b32 s22, -1
	s_mov_b32 s23, -1
	s_wait_loadcnt_dscnt 0x0
	s_barrier_signal -1
	s_barrier_wait -1
	global_inv scope:SCOPE_SE
	v_cmp_ne_u64_e32 vcc_lo, 0, v[2:3]
	s_cbranch_vccz .LBB98_94
.LBB98_90:                              ;   in Loop: Header=BB98_91 Depth=2
	s_wait_alu 0xfffe
	s_and_b32 s22, exec_lo, s22
	s_wait_alu 0xfffe
	s_or_b32 s21, s22, s21
	s_and_not1_b32 s18, s18, exec_lo
	s_and_b32 s22, s23, exec_lo
	s_wait_alu 0xfffe
	s_or_b32 s18, s18, s22
	s_and_not1_b32 exec_lo, exec_lo, s21
	s_cbranch_execz .LBB98_95
.LBB98_91:                              ;   Parent Loop BB98_11 Depth=1
                                        ; =>  This Inner Loop Header: Depth=2
	s_mov_b32 s22, exec_lo
	s_delay_alu instid0(VALU_DEP_1)
	v_cmpx_gt_u32_e64 s28, v6
	s_cbranch_execz .LBB98_89
; %bb.92:                               ;   in Loop: Header=BB98_91 Depth=2
	v_lshlrev_b64_e32 v[2:3], 3, v[11:12]
	s_delay_alu instid0(VALU_DEP_1) | instskip(SKIP_1) | instid1(VALU_DEP_2)
	v_add_co_u32 v2, vcc_lo, s52, v2
	s_wait_alu 0xfffd
	v_add_co_ci_u32_e64 v3, null, s53, v3, vcc_lo
	global_load_b64 v[3:4], v[2:3], off
	s_wait_loadcnt 0x0
	v_xor_b32_e32 v2, 0x80000000, v4
	v_and_b32_e32 v7, v3, v20
	s_delay_alu instid0(VALU_DEP_2) | instskip(NEXT) | instid1(VALU_DEP_1)
	v_and_b32_e32 v8, v2, v21
	v_cmp_eq_u64_e32 vcc_lo, v[7:8], v[18:19]
	s_and_b32 exec_lo, exec_lo, vcc_lo
	s_cbranch_execz .LBB98_89
; %bb.93:                               ;   in Loop: Header=BB98_91 Depth=2
	v_mov_b32_e32 v2, v12
	ds_store_b128 v12, v[1:4] offset:3072
	s_branch .LBB98_89
.LBB98_94:                              ;   in Loop: Header=BB98_91 Depth=2
	v_add_nc_u32_e32 v6, s29, v6
	v_add_nc_u32_e32 v11, s43, v11
	s_mov_b32 s23, 0
	s_delay_alu instid0(VALU_DEP_2)
	v_cmp_le_u32_e32 vcc_lo, s71, v6
	s_or_not1_b32 s22, vcc_lo, exec_lo
	s_branch .LBB98_90
.LBB98_95:                              ;   in Loop: Header=BB98_11 Depth=1
	s_or_b32 exec_lo, exec_lo, s21
	s_delay_alu instid0(SALU_CYCLE_1)
	s_and_not1_b32 s20, s20, exec_lo
	s_wait_alu 0xfffe
	s_and_b32 s18, s18, exec_lo
	s_wait_alu 0xfffe
	s_or_b32 s20, s20, s18
.LBB98_96:                              ;   in Loop: Header=BB98_11 Depth=1
	s_wait_alu 0xfffe
	s_or_b32 exec_lo, exec_lo, s16
	s_mov_b32 s16, 0
	s_mov_b32 s18, -1
.LBB98_97:                              ;   in Loop: Header=BB98_11 Depth=1
	s_or_not1_b32 s21, s20, exec_lo
.LBB98_98:                              ;   in Loop: Header=BB98_11 Depth=1
	s_wait_alu 0xfffe
	s_or_b32 exec_lo, exec_lo, s12
	v_readfirstlane_b32 s20, v0
	s_and_not1_b32 s12, s80, exec_lo
	s_and_b32 s18, s18, exec_lo
	s_and_not1_b32 s22, s78, exec_lo
	s_and_b32 s16, s16, exec_lo
	s_and_not1_b32 s77, s77, exec_lo
	s_wait_alu 0xfffe
	s_or_b32 s80, s12, s18
	s_or_b32 s78, s22, s16
                                        ; implicit-def: $vgpr7
	s_and_saveexec_b32 s12, s21
	s_cbranch_execz .LBB98_10
; %bb.99:                               ;   in Loop: Header=BB98_11 Depth=1
	v_dual_mov_b32 v7, 1 :: v_dual_mov_b32 v6, 1
	s_xor_b32 s15, s15, -1
	s_mov_b32 s20, 0
	s_wait_alu 0xfffe
	s_and_saveexec_b32 s14, s15
	s_cbranch_execz .LBB98_108
; %bb.100:                              ;   in Loop: Header=BB98_11 Depth=1
	s_mov_b32 s15, exec_lo
	v_cmpx_ge_u32_e64 s13, v40
	s_wait_alu 0xfffe
	s_xor_b32 s15, exec_lo, s15
	s_cbranch_execz .LBB98_105
; %bb.101:                              ;   in Loop: Header=BB98_11 Depth=1
	ds_load_b32 v2, v12 offset:4104
	v_and_b32_e32 v19, s11, v19
	v_and_b32_e32 v18, s10, v18
	v_or_b32_e32 v21, s9, v21
	v_or_b32_e32 v20, s8, v20
	s_wait_dscnt 0x0
	v_cmp_ne_u32_e32 vcc_lo, 0, v2
	s_cbranch_vccnz .LBB98_105
; %bb.102:                              ;   in Loop: Header=BB98_11 Depth=1
	s_and_saveexec_b32 s16, s2
; %bb.103:                              ;   in Loop: Header=BB98_11 Depth=1
	v_mov_b32_e32 v2, s13
	ds_store_b32 v12, v2 offset:4108
; %bb.104:                              ;   in Loop: Header=BB98_11 Depth=1
	s_wait_alu 0xfffe
	s_or_b32 exec_lo, exec_lo, s16
	s_wait_loadcnt_dscnt 0x0
	s_barrier_signal -1
	s_barrier_wait -1
	global_inv scope:SCOPE_SE
.LBB98_105:                             ;   in Loop: Header=BB98_11 Depth=1
	s_wait_alu 0xfffe
	s_or_saveexec_b32 s15, s15
	v_mov_b32_e32 v6, 8
	s_mov_b32 s16, 0
	s_wait_alu 0xfffe
	s_xor_b32 exec_lo, exec_lo, s15
; %bb.106:                              ;   in Loop: Header=BB98_11 Depth=1
	v_subrev_nc_u32_e32 v40, s13, v40
	v_mov_b32_e32 v6, 0
	s_mov_b32 s16, exec_lo
; %bb.107:                              ;   in Loop: Header=BB98_11 Depth=1
	s_or_b32 exec_lo, exec_lo, s15
	s_delay_alu instid0(VALU_DEP_2)
	v_mov_b32_e32 v7, v40
	s_wait_alu 0xfffe
	s_and_b32 s20, s16, exec_lo
.LBB98_108:                             ;   in Loop: Header=BB98_11 Depth=1
	s_wait_alu 0xfffe
	s_or_b32 exec_lo, exec_lo, s14
	s_mov_b32 s13, -1
	s_mov_b32 s18, -1
                                        ; implicit-def: $sgpr15
                                        ; implicit-def: $sgpr16
	s_and_saveexec_b32 s14, s20
	s_wait_alu 0xfffe
	s_xor_b32 s14, exec_lo, s14
	s_cbranch_execz .LBB98_228
; %bb.109:                              ;   in Loop: Header=BB98_11 Depth=1
	v_cmp_eq_u32_e32 vcc_lo, 1, v7
	s_cmp_eq_u32 s19, 1
	s_mov_b32 s21, -1
	s_cselect_b32 s15, -1, 0
                                        ; implicit-def: $sgpr16
	s_wait_alu 0xfffe
	s_and_b32 s20, s15, vcc_lo
                                        ; implicit-def: $sgpr15
	s_wait_alu 0xfffe
	s_and_saveexec_b32 s18, s20
	s_cbranch_execz .LBB98_138
; %bb.110:                              ;   in Loop: Header=BB98_11 Depth=1
	ds_load_b32 v2, v12 offset:4104
	s_wait_loadcnt_dscnt 0x0
	s_barrier_signal -1
	s_barrier_wait -1
	global_inv scope:SCOPE_SE
	v_readfirstlane_b32 s22, v2
	s_and_saveexec_b32 s15, s3
; %bb.111:                              ;   in Loop: Header=BB98_11 Depth=1
	v_mov_b32_e32 v11, v12
	ds_store_b64 v29, v[11:12]
; %bb.112:                              ;   in Loop: Header=BB98_11 Depth=1
	s_wait_alu 0xfffe
	s_or_b32 exec_lo, exec_lo, s15
	v_and_b32_e32 v2, s11, v19
	v_and_b32_e32 v3, s10, v18
	s_lshl_b64 s[24:25], 1, s82
	v_or_b32_e32 v21, s9, v21
	v_or_b32_e32 v20, s8, v20
	s_wait_alu 0xfffe
	v_or_b32_e32 v19, s25, v2
	v_or_b32_e32 v18, s24, v3
	s_mov_b32 s15, -1
	s_mov_b32 s16, 0
	s_cmp_eq_u32 s22, 0
	s_mov_b32 s21, 0
	s_mov_b32 s23, -1
	s_wait_loadcnt_dscnt 0x0
	s_barrier_signal -1
	s_barrier_wait -1
	global_inv scope:SCOPE_SE
                                        ; implicit-def: $vgpr4_vgpr5
	s_cbranch_scc1 .LBB98_126
; %bb.113:                              ;   in Loop: Header=BB98_11 Depth=1
	s_add_co_i32 s58, s22, s39
                                        ; implicit-def: $vgpr4_vgpr5
	s_wait_alu 0xfffe
	s_mul_u64 s[24:25], s[58:59], s[62:63]
	s_mov_b32 s24, exec_lo
	s_wait_alu 0xfffe
	s_mul_i32 s21, s25, s29
	s_wait_alu 0xfffe
	s_sub_co_i32 s21, s58, s21
	s_wait_alu 0xfffe
	s_sub_co_i32 s23, s21, s29
	s_cmp_ge_u32 s21, s29
	s_wait_alu 0xfffe
	s_cselect_b32 s21, s23, s21
	s_wait_alu 0xfffe
	s_sub_co_i32 s23, s21, s29
	s_cmp_ge_u32 s21, s29
	s_wait_alu 0xfffe
	s_cselect_b32 s21, s23, s21
	s_mov_b32 s23, 0
	s_wait_alu 0xfffe
	s_sub_co_i32 s25, s58, s21
	s_mov_b32 s21, 0
	s_wait_alu 0xfffe
	v_cmpx_gt_u32_e64 s25, v0
	s_cbranch_execz .LBB98_125
; %bb.114:                              ;   in Loop: Header=BB98_11 Depth=1
	v_dual_mov_b32 v8, v28 :: v_dual_mov_b32 v9, v0
                                        ; implicit-def: $sgpr26
	s_branch .LBB98_117
.LBB98_115:                             ;   in Loop: Header=BB98_117 Depth=2
	s_wait_alu 0xfffe
	s_or_b32 exec_lo, exec_lo, s58
	s_wait_loadcnt_dscnt 0x0
	s_barrier_signal -1
	s_barrier_wait -1
	global_inv scope:SCOPE_SE
	ds_load_b128 v[2:5], v12 offset:3072
	s_mov_b32 s58, -1
	s_mov_b32 s83, -1
	s_wait_loadcnt_dscnt 0x0
	s_barrier_signal -1
	s_barrier_wait -1
	global_inv scope:SCOPE_SE
	v_cmp_ne_u64_e32 vcc_lo, 0, v[2:3]
	s_cbranch_vccz .LBB98_120
.LBB98_116:                             ;   in Loop: Header=BB98_117 Depth=2
	s_wait_alu 0xfffe
	s_and_b32 s58, exec_lo, s58
	s_wait_alu 0xfffe
	s_or_b32 s21, s58, s21
	s_and_not1_b32 s26, s26, exec_lo
	s_and_b32 s58, s83, exec_lo
	s_wait_alu 0xfffe
	s_or_b32 s26, s26, s58
	s_and_not1_b32 exec_lo, exec_lo, s21
	s_cbranch_execz .LBB98_124
.LBB98_117:                             ;   Parent Loop BB98_11 Depth=1
                                        ; =>  This Inner Loop Header: Depth=2
	s_mov_b32 s58, exec_lo
	s_delay_alu instid0(VALU_DEP_1)
	v_cmpx_gt_u32_e64 s22, v9
	s_cbranch_execz .LBB98_115
; %bb.118:                              ;   in Loop: Header=BB98_117 Depth=2
	ds_load_b64 v[3:4], v8
	s_wait_dscnt 0x0
	v_xor_b32_e32 v2, 0x80000000, v4
	v_and_b32_e32 v22, v3, v20
	s_delay_alu instid0(VALU_DEP_2) | instskip(NEXT) | instid1(VALU_DEP_1)
	v_and_b32_e32 v23, v2, v21
	v_cmp_eq_u64_e32 vcc_lo, v[22:23], v[18:19]
	s_and_b32 exec_lo, exec_lo, vcc_lo
	s_cbranch_execz .LBB98_115
; %bb.119:                              ;   in Loop: Header=BB98_117 Depth=2
	v_mov_b32_e32 v2, v12
	ds_store_b128 v12, v[1:4] offset:3072
	s_branch .LBB98_115
.LBB98_120:                             ;   in Loop: Header=BB98_117 Depth=2
	v_add_nc_u32_e32 v9, s29, v9
	v_add_nc_u32_e32 v8, s74, v8
	s_mov_b32 s83, 0
	s_delay_alu instid0(VALU_DEP_2)
	v_cmp_le_u32_e32 vcc_lo, s25, v9
	s_or_not1_b32 s58, vcc_lo, exec_lo
	s_branch .LBB98_116
.LBB98_121:                             ;   in Loop: Header=BB98_11 Depth=1
	s_wait_alu 0xfffe
	s_or_b32 exec_lo, exec_lo, s10
	s_wait_loadcnt_dscnt 0x0
	s_barrier_signal -1
	s_barrier_wait -1
	global_inv scope:SCOPE_SE
	s_and_saveexec_b32 s7, s2
	s_cbranch_execz .LBB98_123
; %bb.122:                              ;   in Loop: Header=BB98_11 Depth=1
	ds_load_b32 v2, v12 offset:4112
	s_wait_dscnt 0x0
	ds_store_b32 v12, v2 offset:4104
.LBB98_123:                             ;   in Loop: Header=BB98_11 Depth=1
	s_wait_alu 0xfffe
	s_or_b32 exec_lo, exec_lo, s7
	s_wait_loadcnt_dscnt 0x0
	s_barrier_signal -1
	s_mov_b32 s7, -1
	s_barrier_wait -1
	s_and_b32 vcc_lo, exec_lo, s9
	s_wait_alu 0xfffe
	s_cbranch_vccnz .LBB98_27
	s_branch .LBB98_36
.LBB98_124:                             ;   in Loop: Header=BB98_11 Depth=1
	s_or_b32 exec_lo, exec_lo, s21
	s_wait_alu 0xfffe
	s_and_b32 s21, s26, exec_lo
.LBB98_125:                             ;   in Loop: Header=BB98_11 Depth=1
	s_or_b32 exec_lo, exec_lo, s24
.LBB98_126:                             ;   in Loop: Header=BB98_11 Depth=1
	s_wait_alu 0xfffe
	s_and_b32 vcc_lo, exec_lo, s23
	s_wait_alu 0xfffe
	s_cbranch_vccz .LBB98_137
; %bb.127:                              ;   in Loop: Header=BB98_11 Depth=1
                                        ; implicit-def: $vgpr4_vgpr5
	s_and_saveexec_b32 s15, s6
	s_cbranch_execz .LBB98_136
; %bb.128:                              ;   in Loop: Header=BB98_11 Depth=1
	v_dual_mov_b32 v11, v10 :: v_dual_mov_b32 v8, v0
	s_mov_b32 s16, 0
                                        ; implicit-def: $sgpr22
	s_branch .LBB98_131
.LBB98_129:                             ;   in Loop: Header=BB98_131 Depth=2
	s_wait_alu 0xfffe
	s_or_b32 exec_lo, exec_lo, s23
	s_wait_loadcnt_dscnt 0x0
	s_barrier_signal -1
	s_barrier_wait -1
	global_inv scope:SCOPE_SE
	ds_load_b128 v[2:5], v12 offset:3072
	s_mov_b32 s23, -1
	s_mov_b32 s24, -1
	s_wait_loadcnt_dscnt 0x0
	s_barrier_signal -1
	s_barrier_wait -1
	global_inv scope:SCOPE_SE
	v_cmp_eq_u64_e32 vcc_lo, 0, v[2:3]
	s_cbranch_vccnz .LBB98_134
.LBB98_130:                             ;   in Loop: Header=BB98_131 Depth=2
	s_wait_alu 0xfffe
	s_and_b32 s23, exec_lo, s23
	s_wait_alu 0xfffe
	s_or_b32 s16, s23, s16
	s_and_not1_b32 s22, s22, exec_lo
	s_and_b32 s23, s24, exec_lo
	s_wait_alu 0xfffe
	s_or_b32 s22, s22, s23
	s_and_not1_b32 exec_lo, exec_lo, s16
	s_cbranch_execz .LBB98_135
.LBB98_131:                             ;   Parent Loop BB98_11 Depth=1
                                        ; =>  This Inner Loop Header: Depth=2
	s_mov_b32 s23, exec_lo
	s_delay_alu instid0(VALU_DEP_1)
	v_cmpx_gt_u32_e64 s28, v8
	s_cbranch_execz .LBB98_129
; %bb.132:                              ;   in Loop: Header=BB98_131 Depth=2
	v_lshlrev_b64_e32 v[2:3], 3, v[11:12]
	s_delay_alu instid0(VALU_DEP_1) | instskip(SKIP_1) | instid1(VALU_DEP_2)
	v_add_co_u32 v2, vcc_lo, s52, v2
	s_wait_alu 0xfffd
	v_add_co_ci_u32_e64 v3, null, s53, v3, vcc_lo
	global_load_b64 v[3:4], v[2:3], off
	s_wait_loadcnt 0x0
	v_xor_b32_e32 v2, 0x80000000, v4
	v_and_b32_e32 v22, v3, v20
	s_delay_alu instid0(VALU_DEP_2) | instskip(NEXT) | instid1(VALU_DEP_1)
	v_and_b32_e32 v23, v2, v21
	v_cmp_eq_u64_e32 vcc_lo, v[22:23], v[18:19]
	s_and_b32 exec_lo, exec_lo, vcc_lo
	s_cbranch_execz .LBB98_129
; %bb.133:                              ;   in Loop: Header=BB98_131 Depth=2
	v_mov_b32_e32 v2, v12
	ds_store_b128 v12, v[1:4] offset:3072
	s_branch .LBB98_129
.LBB98_134:                             ;   in Loop: Header=BB98_131 Depth=2
	v_add_nc_u32_e32 v8, s29, v8
	v_add_nc_u32_e32 v11, s43, v11
	s_mov_b32 s24, 0
	s_delay_alu instid0(VALU_DEP_2)
	v_cmp_le_u32_e32 vcc_lo, s71, v8
	s_or_not1_b32 s23, vcc_lo, exec_lo
	s_branch .LBB98_130
.LBB98_135:                             ;   in Loop: Header=BB98_11 Depth=1
	s_or_b32 exec_lo, exec_lo, s16
	s_delay_alu instid0(SALU_CYCLE_1)
	s_and_not1_b32 s16, s21, exec_lo
	s_wait_alu 0xfffe
	s_and_b32 s21, s22, exec_lo
	s_wait_alu 0xfffe
	s_or_b32 s21, s16, s21
.LBB98_136:                             ;   in Loop: Header=BB98_11 Depth=1
	s_wait_alu 0xfffe
	s_or_b32 exec_lo, exec_lo, s15
	s_mov_b32 s15, 0
	s_mov_b32 s16, -1
.LBB98_137:                             ;   in Loop: Header=BB98_11 Depth=1
	s_or_not1_b32 s21, s21, exec_lo
.LBB98_138:                             ;   in Loop: Header=BB98_11 Depth=1
	s_wait_alu 0xfffe
	s_or_b32 exec_lo, exec_lo, s18
	s_mov_b32 s22, 0
	s_and_saveexec_b32 s18, s21
	s_cbranch_execz .LBB98_227
; %bb.139:                              ;   in Loop: Header=BB98_11 Depth=1
	v_mov_b32_e32 v8, 1
	v_mov_b32_e32 v6, 1
	s_xor_b32 s21, s20, -1
	s_mov_b32 s23, 0
	s_wait_alu 0xfffe
	s_and_saveexec_b32 s20, s21
	s_cbranch_execz .LBB98_148
; %bb.140:                              ;   in Loop: Header=BB98_11 Depth=1
	s_mov_b32 s21, exec_lo
	v_cmpx_ge_u32_e64 s19, v7
	s_wait_alu 0xfffe
	s_xor_b32 s21, exec_lo, s21
	s_cbranch_execz .LBB98_145
; %bb.141:                              ;   in Loop: Header=BB98_11 Depth=1
	ds_load_b32 v2, v12 offset:4104
	v_and_b32_e32 v3, s11, v19
	v_and_b32_e32 v6, s10, v18
	s_lshl_b64 s[22:23], 1, s82
	v_or_b32_e32 v21, s9, v21
	v_or_b32_e32 v20, s8, v20
	s_wait_alu 0xfffe
	v_or_b32_e32 v19, s23, v3
	v_or_b32_e32 v18, s22, v6
	s_wait_dscnt 0x0
	v_cmp_ne_u32_e32 vcc_lo, 0, v2
	s_cbranch_vccnz .LBB98_145
; %bb.142:                              ;   in Loop: Header=BB98_11 Depth=1
	s_and_saveexec_b32 s22, s2
; %bb.143:                              ;   in Loop: Header=BB98_11 Depth=1
	v_mov_b32_e32 v2, s19
	ds_store_b32 v12, v2 offset:4108
; %bb.144:                              ;   in Loop: Header=BB98_11 Depth=1
	s_wait_alu 0xfffe
	s_or_b32 exec_lo, exec_lo, s22
	s_wait_loadcnt_dscnt 0x0
	s_barrier_signal -1
	s_barrier_wait -1
	global_inv scope:SCOPE_SE
.LBB98_145:                             ;   in Loop: Header=BB98_11 Depth=1
	s_wait_alu 0xfffe
	s_or_saveexec_b32 s21, s21
	v_mov_b32_e32 v6, 8
	s_mov_b32 s22, 0
	s_wait_alu 0xfffe
	s_xor_b32 exec_lo, exec_lo, s21
; %bb.146:                              ;   in Loop: Header=BB98_11 Depth=1
	v_subrev_nc_u32_e32 v7, s19, v7
	v_mov_b32_e32 v6, 0
	s_mov_b32 s22, exec_lo
; %bb.147:                              ;   in Loop: Header=BB98_11 Depth=1
	s_or_b32 exec_lo, exec_lo, s21
	s_delay_alu instid0(VALU_DEP_2)
	v_mov_b32_e32 v8, v7
	s_wait_alu 0xfffe
	s_and_b32 s23, s22, exec_lo
.LBB98_148:                             ;   in Loop: Header=BB98_11 Depth=1
	s_wait_alu 0xfffe
	s_or_b32 exec_lo, exec_lo, s20
	s_mov_b32 s22, -1
                                        ; implicit-def: $sgpr20
                                        ; implicit-def: $sgpr21
	s_and_saveexec_b32 s19, s23
	s_cbranch_execz .LBB98_226
; %bb.149:                              ;   in Loop: Header=BB98_11 Depth=1
	v_cmp_eq_u32_e32 vcc_lo, 1, v8
	s_cmp_eq_u32 s17, 1
	s_mov_b32 s24, -1
	s_cselect_b32 s20, -1, 0
                                        ; implicit-def: $sgpr21
	s_wait_alu 0xfffe
	s_and_b32 s23, s20, vcc_lo
                                        ; implicit-def: $sgpr20
	s_wait_alu 0xfffe
	s_and_saveexec_b32 s22, s23
	s_cbranch_execz .LBB98_175
; %bb.150:                              ;   in Loop: Header=BB98_11 Depth=1
	ds_load_b32 v2, v12 offset:4104
	s_wait_loadcnt_dscnt 0x0
	s_barrier_signal -1
	s_barrier_wait -1
	global_inv scope:SCOPE_SE
	v_readfirstlane_b32 s25, v2
	s_and_saveexec_b32 s20, s3
; %bb.151:                              ;   in Loop: Header=BB98_11 Depth=1
	v_mov_b32_e32 v11, v12
	ds_store_b64 v29, v[11:12]
; %bb.152:                              ;   in Loop: Header=BB98_11 Depth=1
	s_wait_alu 0xfffe
	s_or_b32 exec_lo, exec_lo, s20
	v_and_b32_e32 v2, s11, v19
	v_and_b32_e32 v3, s10, v18
	s_lshl_b64 s[20:21], 2, s82
	v_or_b32_e32 v21, s9, v21
	v_or_b32_e32 v20, s8, v20
	s_wait_alu 0xfffe
	v_or_b32_e32 v19, s21, v2
	v_or_b32_e32 v18, s20, v3
	s_mov_b32 s20, -1
	s_mov_b32 s21, 0
	s_cmp_eq_u32 s25, 0
	s_mov_b32 s24, 0
	s_mov_b32 s26, -1
	s_wait_loadcnt_dscnt 0x0
	s_barrier_signal -1
	s_barrier_wait -1
	global_inv scope:SCOPE_SE
                                        ; implicit-def: $vgpr4_vgpr5
	s_cbranch_scc1 .LBB98_163
; %bb.153:                              ;   in Loop: Header=BB98_11 Depth=1
	s_add_co_i32 s58, s25, s39
                                        ; implicit-def: $vgpr4_vgpr5
	s_wait_alu 0xfffe
	s_mul_u64 s[84:85], s[58:59], s[62:63]
	s_wait_alu 0xfffe
	s_mul_i32 s24, s85, s29
	s_wait_alu 0xfffe
	s_sub_co_i32 s24, s58, s24
	s_wait_alu 0xfffe
	s_sub_co_i32 s26, s24, s29
	s_cmp_ge_u32 s24, s29
	s_wait_alu 0xfffe
	s_cselect_b32 s24, s26, s24
	s_wait_alu 0xfffe
	s_sub_co_i32 s26, s24, s29
	s_cmp_ge_u32 s24, s29
	s_wait_alu 0xfffe
	s_cselect_b32 s24, s26, s24
	s_mov_b32 s26, 0
	s_wait_alu 0xfffe
	s_sub_co_i32 s83, s58, s24
	s_mov_b32 s24, 0
	s_mov_b32 s58, exec_lo
	s_wait_alu 0xfffe
	v_cmpx_gt_u32_e64 s83, v0
	s_cbranch_execz .LBB98_162
; %bb.154:                              ;   in Loop: Header=BB98_11 Depth=1
	v_mov_b32_e32 v7, v28
	v_mov_b32_e32 v9, v0
                                        ; implicit-def: $sgpr84
	s_branch .LBB98_157
.LBB98_155:                             ;   in Loop: Header=BB98_157 Depth=2
	s_wait_alu 0xfffe
	s_or_b32 exec_lo, exec_lo, s85
	s_wait_loadcnt_dscnt 0x0
	s_barrier_signal -1
	s_barrier_wait -1
	global_inv scope:SCOPE_SE
	ds_load_b128 v[2:5], v12 offset:3072
	s_mov_b32 s85, -1
	s_mov_b32 s86, -1
	s_wait_loadcnt_dscnt 0x0
	s_barrier_signal -1
	s_barrier_wait -1
	global_inv scope:SCOPE_SE
	v_cmp_ne_u64_e32 vcc_lo, 0, v[2:3]
	s_cbranch_vccz .LBB98_160
.LBB98_156:                             ;   in Loop: Header=BB98_157 Depth=2
	s_wait_alu 0xfffe
	s_and_b32 s85, exec_lo, s85
	s_wait_alu 0xfffe
	s_or_b32 s24, s85, s24
	s_and_not1_b32 s84, s84, exec_lo
	s_and_b32 s85, s86, exec_lo
	s_wait_alu 0xfffe
	s_or_b32 s84, s84, s85
	s_and_not1_b32 exec_lo, exec_lo, s24
	s_cbranch_execz .LBB98_161
.LBB98_157:                             ;   Parent Loop BB98_11 Depth=1
                                        ; =>  This Inner Loop Header: Depth=2
	s_mov_b32 s85, exec_lo
	s_delay_alu instid0(VALU_DEP_1)
	v_cmpx_gt_u32_e64 s25, v9
	s_cbranch_execz .LBB98_155
; %bb.158:                              ;   in Loop: Header=BB98_157 Depth=2
	ds_load_b64 v[3:4], v7
	s_wait_dscnt 0x0
	v_xor_b32_e32 v2, 0x80000000, v4
	v_and_b32_e32 v22, v3, v20
	s_delay_alu instid0(VALU_DEP_2) | instskip(NEXT) | instid1(VALU_DEP_1)
	v_and_b32_e32 v23, v2, v21
	v_cmp_eq_u64_e32 vcc_lo, v[22:23], v[18:19]
	s_and_b32 exec_lo, exec_lo, vcc_lo
	s_cbranch_execz .LBB98_155
; %bb.159:                              ;   in Loop: Header=BB98_157 Depth=2
	v_mov_b32_e32 v2, v12
	ds_store_b128 v12, v[1:4] offset:3072
	s_branch .LBB98_155
.LBB98_160:                             ;   in Loop: Header=BB98_157 Depth=2
	v_add_nc_u32_e32 v9, s29, v9
	v_add_nc_u32_e32 v7, s74, v7
	s_mov_b32 s86, 0
	s_delay_alu instid0(VALU_DEP_2)
	v_cmp_le_u32_e32 vcc_lo, s83, v9
	s_or_not1_b32 s85, vcc_lo, exec_lo
	s_branch .LBB98_156
.LBB98_161:                             ;   in Loop: Header=BB98_11 Depth=1
	s_or_b32 exec_lo, exec_lo, s24
	s_wait_alu 0xfffe
	s_and_b32 s24, s84, exec_lo
.LBB98_162:                             ;   in Loop: Header=BB98_11 Depth=1
	s_or_b32 exec_lo, exec_lo, s58
.LBB98_163:                             ;   in Loop: Header=BB98_11 Depth=1
	s_wait_alu 0xfffe
	s_and_b32 vcc_lo, exec_lo, s26
	s_wait_alu 0xfffe
	s_cbranch_vccz .LBB98_174
; %bb.164:                              ;   in Loop: Header=BB98_11 Depth=1
                                        ; implicit-def: $vgpr4_vgpr5
	s_and_saveexec_b32 s20, s6
	s_cbranch_execz .LBB98_173
; %bb.165:                              ;   in Loop: Header=BB98_11 Depth=1
	v_mov_b32_e32 v11, v10
	v_mov_b32_e32 v7, v0
	s_mov_b32 s21, 0
                                        ; implicit-def: $sgpr25
	s_branch .LBB98_168
.LBB98_166:                             ;   in Loop: Header=BB98_168 Depth=2
	s_wait_alu 0xfffe
	s_or_b32 exec_lo, exec_lo, s26
	s_wait_loadcnt_dscnt 0x0
	s_barrier_signal -1
	s_barrier_wait -1
	global_inv scope:SCOPE_SE
	ds_load_b128 v[2:5], v12 offset:3072
	s_mov_b32 s26, -1
	s_mov_b32 s58, -1
	s_wait_loadcnt_dscnt 0x0
	s_barrier_signal -1
	s_barrier_wait -1
	global_inv scope:SCOPE_SE
	v_cmp_eq_u64_e32 vcc_lo, 0, v[2:3]
	s_cbranch_vccnz .LBB98_171
.LBB98_167:                             ;   in Loop: Header=BB98_168 Depth=2
	s_wait_alu 0xfffe
	s_and_b32 s26, exec_lo, s26
	s_wait_alu 0xfffe
	s_or_b32 s21, s26, s21
	s_and_not1_b32 s25, s25, exec_lo
	s_and_b32 s26, s58, exec_lo
	s_wait_alu 0xfffe
	s_or_b32 s25, s25, s26
	s_and_not1_b32 exec_lo, exec_lo, s21
	s_cbranch_execz .LBB98_172
.LBB98_168:                             ;   Parent Loop BB98_11 Depth=1
                                        ; =>  This Inner Loop Header: Depth=2
	s_mov_b32 s26, exec_lo
	s_delay_alu instid0(VALU_DEP_1)
	v_cmpx_gt_u32_e64 s28, v7
	s_cbranch_execz .LBB98_166
; %bb.169:                              ;   in Loop: Header=BB98_168 Depth=2
	v_lshlrev_b64_e32 v[2:3], 3, v[11:12]
	s_delay_alu instid0(VALU_DEP_1) | instskip(SKIP_1) | instid1(VALU_DEP_2)
	v_add_co_u32 v2, vcc_lo, s52, v2
	s_wait_alu 0xfffd
	v_add_co_ci_u32_e64 v3, null, s53, v3, vcc_lo
	global_load_b64 v[3:4], v[2:3], off
	s_wait_loadcnt 0x0
	v_xor_b32_e32 v2, 0x80000000, v4
	v_and_b32_e32 v22, v3, v20
	s_delay_alu instid0(VALU_DEP_2) | instskip(NEXT) | instid1(VALU_DEP_1)
	v_and_b32_e32 v23, v2, v21
	v_cmp_eq_u64_e32 vcc_lo, v[22:23], v[18:19]
	s_and_b32 exec_lo, exec_lo, vcc_lo
	s_cbranch_execz .LBB98_166
; %bb.170:                              ;   in Loop: Header=BB98_168 Depth=2
	v_mov_b32_e32 v2, v12
	ds_store_b128 v12, v[1:4] offset:3072
	s_branch .LBB98_166
.LBB98_171:                             ;   in Loop: Header=BB98_168 Depth=2
	v_add_nc_u32_e32 v7, s29, v7
	v_add_nc_u32_e32 v11, s43, v11
	s_mov_b32 s58, 0
	s_delay_alu instid0(VALU_DEP_2)
	v_cmp_le_u32_e32 vcc_lo, s71, v7
	s_or_not1_b32 s26, vcc_lo, exec_lo
	s_branch .LBB98_167
.LBB98_172:                             ;   in Loop: Header=BB98_11 Depth=1
	s_or_b32 exec_lo, exec_lo, s21
	s_delay_alu instid0(SALU_CYCLE_1)
	s_and_not1_b32 s21, s24, exec_lo
	s_wait_alu 0xfffe
	s_and_b32 s24, s25, exec_lo
	s_wait_alu 0xfffe
	s_or_b32 s24, s21, s24
.LBB98_173:                             ;   in Loop: Header=BB98_11 Depth=1
	s_wait_alu 0xfffe
	s_or_b32 exec_lo, exec_lo, s20
	s_mov_b32 s20, 0
	s_mov_b32 s21, -1
.LBB98_174:                             ;   in Loop: Header=BB98_11 Depth=1
	s_or_not1_b32 s24, s24, exec_lo
.LBB98_175:                             ;   in Loop: Header=BB98_11 Depth=1
	s_wait_alu 0xfffe
	s_or_b32 exec_lo, exec_lo, s22
	s_mov_b32 s25, 0
	s_and_saveexec_b32 s22, s24
	s_cbranch_execz .LBB98_225
; %bb.176:                              ;   in Loop: Header=BB98_11 Depth=1
	v_dual_mov_b32 v7, 1 :: v_dual_mov_b32 v6, 1
	s_xor_b32 s25, s23, -1
	s_mov_b32 s24, 0
	s_wait_alu 0xfffe
	s_and_saveexec_b32 s23, s25
	s_cbranch_execz .LBB98_185
; %bb.177:                              ;   in Loop: Header=BB98_11 Depth=1
	s_mov_b32 s24, exec_lo
	v_cmpx_ge_u32_e64 s17, v8
	s_wait_alu 0xfffe
	s_xor_b32 s24, exec_lo, s24
	s_cbranch_execz .LBB98_182
; %bb.178:                              ;   in Loop: Header=BB98_11 Depth=1
	ds_load_b32 v2, v12 offset:4104
	v_and_b32_e32 v3, s11, v19
	v_and_b32_e32 v6, s10, v18
	s_lshl_b64 s[10:11], 2, s82
	v_or_b32_e32 v21, s9, v21
	v_or_b32_e32 v20, s8, v20
	s_wait_alu 0xfffe
	v_or_b32_e32 v19, s11, v3
	v_or_b32_e32 v18, s10, v6
	s_wait_dscnt 0x0
	v_cmp_ne_u32_e32 vcc_lo, 0, v2
	s_cbranch_vccnz .LBB98_182
; %bb.179:                              ;   in Loop: Header=BB98_11 Depth=1
	s_and_saveexec_b32 s10, s2
; %bb.180:                              ;   in Loop: Header=BB98_11 Depth=1
	v_mov_b32_e32 v2, s17
	ds_store_b32 v12, v2 offset:4108
; %bb.181:                              ;   in Loop: Header=BB98_11 Depth=1
	s_wait_alu 0xfffe
	s_or_b32 exec_lo, exec_lo, s10
	s_wait_loadcnt_dscnt 0x0
	s_barrier_signal -1
	s_barrier_wait -1
	global_inv scope:SCOPE_SE
.LBB98_182:                             ;   in Loop: Header=BB98_11 Depth=1
	s_wait_alu 0xfffe
	s_or_saveexec_b32 s10, s24
	v_mov_b32_e32 v6, 8
	s_mov_b32 s11, 0
	s_wait_alu 0xfffe
	s_xor_b32 exec_lo, exec_lo, s10
; %bb.183:                              ;   in Loop: Header=BB98_11 Depth=1
	v_subrev_nc_u32_e32 v8, s17, v8
	v_mov_b32_e32 v6, 0
	s_mov_b32 s11, exec_lo
; %bb.184:                              ;   in Loop: Header=BB98_11 Depth=1
	s_or_b32 exec_lo, exec_lo, s10
	s_delay_alu instid0(VALU_DEP_2)
	v_mov_b32_e32 v7, v8
	s_wait_alu 0xfffe
	s_and_b32 s24, s11, exec_lo
.LBB98_185:                             ;   in Loop: Header=BB98_11 Depth=1
	s_wait_alu 0xfffe
	s_or_b32 exec_lo, exec_lo, s23
	s_mov_b32 s11, -1
                                        ; implicit-def: $sgpr23
                                        ; implicit-def: $sgpr17
	s_and_saveexec_b32 s10, s24
	s_cbranch_execz .LBB98_224
; %bb.186:                              ;   in Loop: Header=BB98_11 Depth=1
	v_cmp_eq_u32_e32 vcc_lo, 1, v7
	s_cmp_eq_u32 s7, 1
	s_mov_b32 s25, -1
	s_cselect_b32 s11, -1, 0
                                        ; implicit-def: $sgpr23
                                        ; implicit-def: $sgpr17
	s_wait_alu 0xfffe
	s_and_b32 s11, s11, vcc_lo
	s_wait_alu 0xfffe
	s_and_saveexec_b32 s24, s11
	s_cbranch_execz .LBB98_212
; %bb.187:                              ;   in Loop: Header=BB98_11 Depth=1
	ds_load_b32 v2, v12 offset:4104
	s_wait_loadcnt_dscnt 0x0
	s_barrier_signal -1
	s_barrier_wait -1
	global_inv scope:SCOPE_SE
	v_readfirstlane_b32 s26, v2
	s_and_saveexec_b32 s17, s3
; %bb.188:                              ;   in Loop: Header=BB98_11 Depth=1
	v_mov_b32_e32 v11, v12
	ds_store_b64 v29, v[11:12]
; %bb.189:                              ;   in Loop: Header=BB98_11 Depth=1
	s_wait_alu 0xfffe
	s_or_b32 exec_lo, exec_lo, s17
	v_or_b32_e32 v19, s9, v19
	v_or_b32_e32 v18, s8, v18
	;; [unrolled: 1-line block ×4, first 2 shown]
	s_mov_b32 s17, -1
	s_mov_b32 s23, 0
	s_cmp_eq_u32 s26, 0
	s_mov_b32 s25, 0
	s_mov_b32 s58, -1
	s_wait_loadcnt_dscnt 0x0
	s_barrier_signal -1
	s_barrier_wait -1
	global_inv scope:SCOPE_SE
                                        ; implicit-def: $vgpr4_vgpr5
	s_cbranch_scc1 .LBB98_200
; %bb.190:                              ;   in Loop: Header=BB98_11 Depth=1
	s_add_co_i32 s58, s26, s39
                                        ; implicit-def: $vgpr4_vgpr5
	s_wait_alu 0xfffe
	s_mul_u64 s[84:85], s[58:59], s[62:63]
	s_wait_alu 0xfffe
	s_mul_i32 s25, s85, s29
	s_wait_alu 0xfffe
	s_sub_co_i32 s25, s58, s25
	s_wait_alu 0xfffe
	s_sub_co_i32 s83, s25, s29
	s_cmp_ge_u32 s25, s29
	s_wait_alu 0xfffe
	s_cselect_b32 s25, s83, s25
	s_wait_alu 0xfffe
	s_sub_co_i32 s83, s25, s29
	s_cmp_ge_u32 s25, s29
	s_wait_alu 0xfffe
	s_cselect_b32 s25, s83, s25
	s_mov_b32 s83, exec_lo
	s_wait_alu 0xfffe
	s_sub_co_i32 s84, s58, s25
	s_mov_b32 s58, 0
	s_mov_b32 s25, 0
	s_wait_alu 0xfffe
	v_cmpx_gt_u32_e64 s84, v0
	s_cbranch_execz .LBB98_199
; %bb.191:                              ;   in Loop: Header=BB98_11 Depth=1
	v_dual_mov_b32 v8, v28 :: v_dual_mov_b32 v9, v0
                                        ; implicit-def: $sgpr85
	s_branch .LBB98_194
.LBB98_192:                             ;   in Loop: Header=BB98_194 Depth=2
	s_wait_alu 0xfffe
	s_or_b32 exec_lo, exec_lo, s86
	s_wait_loadcnt_dscnt 0x0
	s_barrier_signal -1
	s_barrier_wait -1
	global_inv scope:SCOPE_SE
	ds_load_b128 v[2:5], v12 offset:3072
	s_mov_b32 s86, -1
	s_mov_b32 s87, -1
	s_wait_loadcnt_dscnt 0x0
	s_barrier_signal -1
	s_barrier_wait -1
	global_inv scope:SCOPE_SE
	v_cmp_ne_u64_e32 vcc_lo, 0, v[2:3]
	s_cbranch_vccz .LBB98_197
.LBB98_193:                             ;   in Loop: Header=BB98_194 Depth=2
	s_wait_alu 0xfffe
	s_and_b32 s86, exec_lo, s86
	s_wait_alu 0xfffe
	s_or_b32 s25, s86, s25
	s_and_not1_b32 s85, s85, exec_lo
	s_and_b32 s86, s87, exec_lo
	s_wait_alu 0xfffe
	s_or_b32 s85, s85, s86
	s_and_not1_b32 exec_lo, exec_lo, s25
	s_cbranch_execz .LBB98_198
.LBB98_194:                             ;   Parent Loop BB98_11 Depth=1
                                        ; =>  This Inner Loop Header: Depth=2
	s_mov_b32 s86, exec_lo
	s_delay_alu instid0(VALU_DEP_1)
	v_cmpx_gt_u32_e64 s26, v9
	s_cbranch_execz .LBB98_192
; %bb.195:                              ;   in Loop: Header=BB98_194 Depth=2
	ds_load_b64 v[3:4], v8
	s_wait_dscnt 0x0
	v_xor_b32_e32 v2, 0x80000000, v4
	v_and_b32_e32 v22, v3, v20
	s_delay_alu instid0(VALU_DEP_2) | instskip(NEXT) | instid1(VALU_DEP_1)
	v_and_b32_e32 v23, v2, v21
	v_cmp_eq_u64_e32 vcc_lo, v[22:23], v[18:19]
	s_and_b32 exec_lo, exec_lo, vcc_lo
	s_cbranch_execz .LBB98_192
; %bb.196:                              ;   in Loop: Header=BB98_194 Depth=2
	v_mov_b32_e32 v2, v12
	ds_store_b128 v12, v[1:4] offset:3072
	s_branch .LBB98_192
.LBB98_197:                             ;   in Loop: Header=BB98_194 Depth=2
	v_add_nc_u32_e32 v9, s29, v9
	v_add_nc_u32_e32 v8, s74, v8
	s_mov_b32 s87, 0
	s_delay_alu instid0(VALU_DEP_2)
	v_cmp_le_u32_e32 vcc_lo, s84, v9
	s_or_not1_b32 s86, vcc_lo, exec_lo
	s_branch .LBB98_193
.LBB98_198:                             ;   in Loop: Header=BB98_11 Depth=1
	s_or_b32 exec_lo, exec_lo, s25
	s_wait_alu 0xfffe
	s_and_b32 s25, s85, exec_lo
.LBB98_199:                             ;   in Loop: Header=BB98_11 Depth=1
	s_or_b32 exec_lo, exec_lo, s83
.LBB98_200:                             ;   in Loop: Header=BB98_11 Depth=1
	s_wait_alu 0xfffe
	s_and_b32 vcc_lo, exec_lo, s58
	s_wait_alu 0xfffe
	s_cbranch_vccz .LBB98_211
; %bb.201:                              ;   in Loop: Header=BB98_11 Depth=1
                                        ; implicit-def: $vgpr4_vgpr5
	s_and_saveexec_b32 s17, s6
	s_cbranch_execz .LBB98_210
; %bb.202:                              ;   in Loop: Header=BB98_11 Depth=1
	v_dual_mov_b32 v11, v10 :: v_dual_mov_b32 v8, v0
	s_mov_b32 s23, 0
                                        ; implicit-def: $sgpr26
	s_branch .LBB98_205
.LBB98_203:                             ;   in Loop: Header=BB98_205 Depth=2
	s_wait_alu 0xfffe
	s_or_b32 exec_lo, exec_lo, s58
	s_wait_loadcnt_dscnt 0x0
	s_barrier_signal -1
	s_barrier_wait -1
	global_inv scope:SCOPE_SE
	ds_load_b128 v[2:5], v12 offset:3072
	s_mov_b32 s58, -1
	s_mov_b32 s83, -1
	s_wait_loadcnt_dscnt 0x0
	s_barrier_signal -1
	s_barrier_wait -1
	global_inv scope:SCOPE_SE
	v_cmp_eq_u64_e32 vcc_lo, 0, v[2:3]
	s_cbranch_vccnz .LBB98_208
.LBB98_204:                             ;   in Loop: Header=BB98_205 Depth=2
	s_wait_alu 0xfffe
	s_and_b32 s58, exec_lo, s58
	s_wait_alu 0xfffe
	s_or_b32 s23, s58, s23
	s_and_not1_b32 s26, s26, exec_lo
	s_and_b32 s58, s83, exec_lo
	s_wait_alu 0xfffe
	s_or_b32 s26, s26, s58
	s_and_not1_b32 exec_lo, exec_lo, s23
	s_cbranch_execz .LBB98_209
.LBB98_205:                             ;   Parent Loop BB98_11 Depth=1
                                        ; =>  This Inner Loop Header: Depth=2
	s_mov_b32 s58, exec_lo
	s_delay_alu instid0(VALU_DEP_1)
	v_cmpx_gt_u32_e64 s28, v8
	s_cbranch_execz .LBB98_203
; %bb.206:                              ;   in Loop: Header=BB98_205 Depth=2
	v_lshlrev_b64_e32 v[2:3], 3, v[11:12]
	s_delay_alu instid0(VALU_DEP_1) | instskip(SKIP_1) | instid1(VALU_DEP_2)
	v_add_co_u32 v2, vcc_lo, s52, v2
	s_wait_alu 0xfffd
	v_add_co_ci_u32_e64 v3, null, s53, v3, vcc_lo
	global_load_b64 v[3:4], v[2:3], off
	s_wait_loadcnt 0x0
	v_xor_b32_e32 v2, 0x80000000, v4
	v_and_b32_e32 v22, v3, v20
	s_delay_alu instid0(VALU_DEP_2) | instskip(NEXT) | instid1(VALU_DEP_1)
	v_and_b32_e32 v23, v2, v21
	v_cmp_eq_u64_e32 vcc_lo, v[22:23], v[18:19]
	s_and_b32 exec_lo, exec_lo, vcc_lo
	s_cbranch_execz .LBB98_203
; %bb.207:                              ;   in Loop: Header=BB98_205 Depth=2
	v_mov_b32_e32 v2, v12
	ds_store_b128 v12, v[1:4] offset:3072
	s_branch .LBB98_203
.LBB98_208:                             ;   in Loop: Header=BB98_205 Depth=2
	v_add_nc_u32_e32 v8, s29, v8
	v_add_nc_u32_e32 v11, s43, v11
	s_mov_b32 s83, 0
	s_delay_alu instid0(VALU_DEP_2)
	v_cmp_le_u32_e32 vcc_lo, s71, v8
	s_or_not1_b32 s58, vcc_lo, exec_lo
	s_branch .LBB98_204
.LBB98_209:                             ;   in Loop: Header=BB98_11 Depth=1
	s_or_b32 exec_lo, exec_lo, s23
	s_delay_alu instid0(SALU_CYCLE_1)
	s_and_not1_b32 s23, s25, exec_lo
	s_wait_alu 0xfffe
	s_and_b32 s25, s26, exec_lo
	s_wait_alu 0xfffe
	s_or_b32 s25, s23, s25
.LBB98_210:                             ;   in Loop: Header=BB98_11 Depth=1
	s_wait_alu 0xfffe
	s_or_b32 exec_lo, exec_lo, s17
	s_mov_b32 s17, 0
	s_mov_b32 s23, -1
.LBB98_211:                             ;   in Loop: Header=BB98_11 Depth=1
	s_or_not1_b32 s25, s25, exec_lo
.LBB98_212:                             ;   in Loop: Header=BB98_11 Depth=1
	s_wait_alu 0xfffe
	s_or_b32 exec_lo, exec_lo, s24
	s_mov_b32 s26, 0
	s_and_saveexec_b32 s24, s25
	s_cbranch_execz .LBB98_223
; %bb.213:                              ;   in Loop: Header=BB98_11 Depth=1
	v_mov_b32_e32 v6, 1
	v_mov_b32_e32 v2, 1
	s_xor_b32 s25, s11, -1
	s_wait_alu 0xfffe
	s_and_saveexec_b32 s11, s25
	s_cbranch_execz .LBB98_222
; %bb.214:                              ;   in Loop: Header=BB98_11 Depth=1
	s_mov_b32 s25, exec_lo
	v_cmpx_ge_u32_e64 s7, v7
	s_wait_alu 0xfffe
	s_xor_b32 s25, exec_lo, s25
	s_cbranch_execz .LBB98_219
; %bb.215:                              ;   in Loop: Header=BB98_11 Depth=1
	ds_load_b32 v2, v12 offset:4104
	v_or_b32_e32 v19, s9, v19
	v_or_b32_e32 v18, s8, v18
	;; [unrolled: 1-line block ×4, first 2 shown]
	s_wait_dscnt 0x0
	v_cmp_ne_u32_e32 vcc_lo, 0, v2
	s_cbranch_vccnz .LBB98_219
; %bb.216:                              ;   in Loop: Header=BB98_11 Depth=1
	s_and_saveexec_b32 s8, s2
; %bb.217:                              ;   in Loop: Header=BB98_11 Depth=1
	v_mov_b32_e32 v2, s7
	ds_store_b32 v12, v2 offset:4108
; %bb.218:                              ;   in Loop: Header=BB98_11 Depth=1
	s_wait_alu 0xfffe
	s_or_b32 exec_lo, exec_lo, s8
	s_wait_loadcnt_dscnt 0x0
	s_barrier_signal -1
	s_barrier_wait -1
	global_inv scope:SCOPE_SE
.LBB98_219:                             ;   in Loop: Header=BB98_11 Depth=1
	s_wait_alu 0xfffe
	s_and_not1_saveexec_b32 s8, s25
; %bb.220:                              ;   in Loop: Header=BB98_11 Depth=1
	v_subrev_nc_u32_e32 v7, s7, v7
; %bb.221:                              ;   in Loop: Header=BB98_11 Depth=1
	s_wait_alu 0xfffe
	s_or_b32 exec_lo, exec_lo, s8
	v_mov_b32_e32 v6, 8
	s_delay_alu instid0(VALU_DEP_2)
	v_mov_b32_e32 v2, v7
.LBB98_222:                             ;   in Loop: Header=BB98_11 Depth=1
	s_wait_alu 0xfffe
	s_or_b32 exec_lo, exec_lo, s11
	s_delay_alu instid0(VALU_DEP_1)
	v_mov_b32_e32 v7, v2
	s_mov_b32 s26, exec_lo
.LBB98_223:                             ;   in Loop: Header=BB98_11 Depth=1
	s_wait_alu 0xfffe
	s_or_b32 exec_lo, exec_lo, s24
	s_delay_alu instid0(SALU_CYCLE_1)
	s_or_not1_b32 s11, s26, exec_lo
.LBB98_224:                             ;   in Loop: Header=BB98_11 Depth=1
	s_wait_alu 0xfffe
	s_or_b32 exec_lo, exec_lo, s10
	v_mov_b32_e32 v8, v7
	s_and_not1_b32 s7, s21, exec_lo
	s_and_b32 s8, s23, exec_lo
	s_and_not1_b32 s9, s20, exec_lo
	s_and_b32 s10, s17, exec_lo
	s_wait_alu 0xfffe
	s_or_b32 s21, s7, s8
	s_or_b32 s20, s9, s10
	s_and_b32 s25, s11, exec_lo
.LBB98_225:                             ;   in Loop: Header=BB98_11 Depth=1
	s_wait_alu 0xfffe
	s_or_b32 exec_lo, exec_lo, s22
	s_delay_alu instid0(SALU_CYCLE_1)
	s_or_not1_b32 s22, s25, exec_lo
.LBB98_226:                             ;   in Loop: Header=BB98_11 Depth=1
	s_wait_alu 0xfffe
	s_or_b32 exec_lo, exec_lo, s19
	v_mov_b32_e32 v7, v8
	s_and_not1_b32 s7, s16, exec_lo
	s_and_b32 s8, s21, exec_lo
	s_and_not1_b32 s9, s15, exec_lo
	s_and_b32 s10, s20, exec_lo
	s_wait_alu 0xfffe
	s_or_b32 s16, s7, s8
	s_or_b32 s15, s9, s10
	s_and_b32 s22, s22, exec_lo
.LBB98_227:                             ;   in Loop: Header=BB98_11 Depth=1
	s_wait_alu 0xfffe
	s_or_b32 exec_lo, exec_lo, s18
	s_delay_alu instid0(SALU_CYCLE_1)
	s_or_not1_b32 s18, s22, exec_lo
.LBB98_228:                             ;   in Loop: Header=BB98_11 Depth=1
	s_wait_alu 0xfffe
	s_or_b32 exec_lo, exec_lo, s14
	s_mov_b32 s8, 0
                                        ; implicit-def: $sgpr20
	s_and_saveexec_b32 s7, s18
	s_wait_alu 0xfffe
	s_xor_b32 s7, exec_lo, s7
	s_cbranch_execz .LBB98_9
; %bb.229:                              ;   in Loop: Header=BB98_11 Depth=1
	v_and_b32_e32 v2, 7, v6
	s_mov_b32 s9, -1
	s_mov_b32 s8, -1
	s_mov_b32 s10, exec_lo
                                        ; implicit-def: $sgpr20
	s_delay_alu instid0(VALU_DEP_1)
	v_cmpx_eq_u32_e32 0, v2
	s_cbranch_execz .LBB98_8
; %bb.230:                              ;   in Loop: Header=BB98_11 Depth=1
	s_add_co_i32 s20, s82, -2
	s_cmp_eq_u32 s82, 0
	v_xor_b32_e32 v39, 1, v39
	s_cselect_b32 s9, -1, 0
	s_xor_b32 s8, exec_lo, -1
	s_wait_alu 0xfffe
	s_or_not1_b32 s9, s9, exec_lo
	s_branch .LBB98_8
.LBB98_231:
	s_or_b32 exec_lo, exec_lo, s75
	s_xor_b32 s4, s81, -1
	s_xor_b32 s1, s79, -1
	;; [unrolled: 1-line block ×3, first 2 shown]
	s_mov_b32 s2, 0
	s_and_saveexec_b32 s5, s1
	s_wait_alu 0xfffe
	s_xor_b32 s1, exec_lo, s5
	s_cbranch_execnz .LBB98_236
; %bb.232:
	s_and_not1_saveexec_b32 s0, s1
	s_cbranch_execnz .LBB98_249
.LBB98_233:
	s_or_b32 exec_lo, exec_lo, s0
	s_wait_alu 0xfffe
	s_and_saveexec_b32 s0, s2
.LBB98_234:
	; divergent unreachable
.LBB98_235:
	s_endpgm
.LBB98_236:
	s_and_saveexec_b32 s2, s4
	s_wait_alu 0xfffe
	s_xor_b32 s4, exec_lo, s2
	s_cbranch_execz .LBB98_247
; %bb.237:
	s_and_saveexec_b32 s2, s3
	s_wait_alu 0xfffe
	s_xor_b32 s2, exec_lo, s2
; %bb.238:
	v_xor_b32_e32 v19, 0x80000000, v19
	s_delay_alu instid0(VALU_DEP_1)
	v_dual_mov_b32 v4, v18 :: v_dual_mov_b32 v5, v19
; %bb.239:
	s_wait_alu 0xfffe
	s_or_b32 exec_lo, exec_lo, s2
	s_mul_i32 s3, s57, s44
	s_mul_i32 s2, s48, s45
	s_wait_alu 0xfffe
	s_sub_co_i32 s3, s48, s3
	s_sub_co_i32 s2, s33, s2
	s_add_co_i32 s5, s57, 1
	s_wait_alu 0xfffe
	s_sub_co_i32 s6, s3, s44
	s_cmp_ge_u32 s3, s44
	s_wait_kmcnt 0x0
	s_mul_i32 s2, s2, s42
	s_cselect_b32 s5, s5, s57
	s_wait_alu 0xfffe
	s_cselect_b32 s3, s6, s3
	s_add_co_i32 s6, s5, 1
	s_wait_alu 0xfffe
	s_cmp_ge_u32 s3, s44
	v_mov_b32_e32 v11, 0
	s_cselect_b32 s3, s6, s5
	s_wait_alu 0xfffe
	s_mul_i32 s5, s3, s44
	s_mul_i32 s3, s3, s40
	s_wait_alu 0xfffe
	s_sub_co_i32 s5, s48, s5
	s_wait_alu 0xfffe
	s_mul_i32 s5, s5, s41
	s_wait_alu 0xfffe
	s_add_co_i32 s2, s5, s2
	s_wait_alu 0xfffe
	s_add_co_i32 s2, s2, s3
	s_mov_b32 s3, 0
	s_wait_alu 0xfffe
	s_lshl_b64 s[6:7], s[2:3], 3
	s_wait_alu 0xfffe
	s_add_nc_u64 s[6:7], s[54:55], s[6:7]
	global_store_b64 v11, v[4:5], s[6:7]
	s_and_saveexec_b32 s2, s0
	s_cbranch_execz .LBB98_246
; %bb.240:
                                        ; implicit-def: $sgpr0
                                        ; implicit-def: $sgpr6
                                        ; implicit-def: $sgpr5
	s_branch .LBB98_242
.LBB98_241:                             ;   in Loop: Header=BB98_242 Depth=1
	s_wait_alu 0xfffe
	s_or_b32 exec_lo, exec_lo, s7
	s_delay_alu instid0(SALU_CYCLE_1)
	s_and_b32 s7, exec_lo, s6
	s_wait_alu 0xfffe
	s_or_b32 s3, s7, s3
	s_and_not1_b32 s0, s0, exec_lo
	s_and_b32 s7, s5, exec_lo
	s_wait_alu 0xfffe
	s_or_b32 s0, s0, s7
	s_and_not1_b32 exec_lo, exec_lo, s3
	s_cbranch_execz .LBB98_244
.LBB98_242:                             ; =>This Inner Loop Header: Depth=1
	v_lshlrev_b64_e32 v[1:2], 3, v[10:11]
	s_or_b32 s5, s5, exec_lo
	s_wait_alu 0xfffe
	s_or_b32 s6, s6, exec_lo
	s_delay_alu instid0(VALU_DEP_1)
	v_add_co_u32 v1, vcc_lo, s52, v1
	s_wait_alu 0xfffd
	v_add_co_ci_u32_e64 v2, null, s53, v2, vcc_lo
	global_load_b64 v[1:2], v[1:2], off
	s_wait_loadcnt 0x0
	v_cmp_ne_u64_e32 vcc_lo, v[1:2], v[4:5]
	v_mov_b32_e32 v1, v0
                                        ; implicit-def: $vgpr0
	s_and_saveexec_b32 s7, vcc_lo
	s_cbranch_execz .LBB98_241
; %bb.243:                              ;   in Loop: Header=BB98_242 Depth=1
	s_delay_alu instid0(VALU_DEP_1)
	v_add_nc_u32_e32 v0, s29, v1
	v_add_nc_u32_e32 v10, s43, v10
	s_wait_alu 0xfffe
	s_and_not1_b32 s6, s6, exec_lo
	s_and_not1_b32 s5, s5, exec_lo
	v_cmp_le_u32_e32 vcc_lo, s28, v0
	s_and_b32 s8, vcc_lo, exec_lo
	s_wait_alu 0xfffe
	s_or_b32 s6, s6, s8
	s_branch .LBB98_241
.LBB98_244:
	s_or_b32 exec_lo, exec_lo, s3
	s_and_saveexec_b32 s3, s0
	s_wait_alu 0xfffe
	s_xor_b32 s3, exec_lo, s3
	s_cbranch_execz .LBB98_246
; %bb.245:
	s_mul_i32 s3, s27, s34
	s_mul_i32 s0, s46, s35
	s_wait_alu 0xfffe
	s_sub_co_i32 s3, s46, s3
	s_sub_co_i32 s0, s33, s0
	s_add_co_i32 s5, s27, 1
	s_wait_alu 0xfffe
	s_sub_co_i32 s6, s3, s34
	s_cmp_ge_u32 s3, s34
	s_mul_i32 s0, s0, s38
	s_cselect_b32 s5, s5, s27
	s_wait_alu 0xfffe
	s_cselect_b32 s3, s6, s3
	s_add_co_i32 s6, s5, 1
	s_wait_alu 0xfffe
	s_cmp_ge_u32 s3, s34
	s_mov_b32 s7, 0
	s_cselect_b32 s3, s6, s5
	v_mov_b32_e32 v2, 0
	s_wait_alu 0xfffe
	s_mul_i32 s5, s3, s34
	s_mul_i32 s3, s3, s36
	s_wait_alu 0xfffe
	s_sub_co_i32 s5, s46, s5
	s_wait_alu 0xfffe
	s_mul_i32 s5, s5, s37
	s_wait_alu 0xfffe
	s_add_co_i32 s0, s5, s0
	s_delay_alu instid0(SALU_CYCLE_1)
	s_add_co_i32 s6, s0, s3
	s_wait_alu 0xfffe
	s_lshl_b64 s[6:7], s[6:7], 3
	s_wait_alu 0xfffe
	s_add_nc_u64 s[6:7], s[50:51], s[6:7]
	global_store_b64 v2, v[1:2], s[6:7]
.LBB98_246:
	s_wait_alu 0xfffe
	s_or_b32 exec_lo, exec_lo, s2
.LBB98_247:
	s_wait_alu 0xfffe
	s_or_saveexec_b32 s0, s4
	s_mov_b32 s2, 0
	s_xor_b32 exec_lo, exec_lo, s0
	s_cbranch_execnz .LBB98_250
.LBB98_248:
	s_or_b32 exec_lo, exec_lo, s0
	s_wait_alu 0xfffe
	s_and_b32 s2, s2, exec_lo
	s_and_not1_saveexec_b32 s0, s1
	s_cbranch_execz .LBB98_233
.LBB98_249:
	s_wait_alu 0xfffe
	s_or_b32 s2, s2, exec_lo
	s_trap 2
	s_or_b32 exec_lo, exec_lo, s0
	s_wait_alu 0xfffe
	s_and_saveexec_b32 s0, s2
	s_cbranch_execnz .LBB98_234
	s_branch .LBB98_235
.LBB98_250:
	s_mov_b32 s2, exec_lo
	s_trap 2
	s_branch .LBB98_248
	.section	.rodata,"a",@progbits
	.p2align	6, 0x0
	.amdhsa_kernel _ZN2at6native12_GLOBAL__N_112gatherMedianIljLi3EEEvNS_4cuda6detail10TensorInfoIT_T0_EENS5_IlS7_EENS5_IKS6_S7_EES7_S7_S7_b
		.amdhsa_group_segment_fixed_size 4120
		.amdhsa_private_segment_fixed_size 0
		.amdhsa_kernarg_size 920
		.amdhsa_user_sgpr_count 2
		.amdhsa_user_sgpr_dispatch_ptr 0
		.amdhsa_user_sgpr_queue_ptr 0
		.amdhsa_user_sgpr_kernarg_segment_ptr 1
		.amdhsa_user_sgpr_dispatch_id 0
		.amdhsa_user_sgpr_private_segment_size 0
		.amdhsa_wavefront_size32 1
		.amdhsa_uses_dynamic_stack 0
		.amdhsa_enable_private_segment 0
		.amdhsa_system_sgpr_workgroup_id_x 1
		.amdhsa_system_sgpr_workgroup_id_y 1
		.amdhsa_system_sgpr_workgroup_id_z 1
		.amdhsa_system_sgpr_workgroup_info 0
		.amdhsa_system_vgpr_workitem_id 0
		.amdhsa_next_free_vgpr 55
		.amdhsa_next_free_sgpr 90
		.amdhsa_reserve_vcc 1
		.amdhsa_float_round_mode_32 0
		.amdhsa_float_round_mode_16_64 0
		.amdhsa_float_denorm_mode_32 3
		.amdhsa_float_denorm_mode_16_64 3
		.amdhsa_fp16_overflow 0
		.amdhsa_workgroup_processor_mode 1
		.amdhsa_memory_ordered 1
		.amdhsa_forward_progress 1
		.amdhsa_inst_pref_size 91
		.amdhsa_round_robin_scheduling 0
		.amdhsa_exception_fp_ieee_invalid_op 0
		.amdhsa_exception_fp_denorm_src 0
		.amdhsa_exception_fp_ieee_div_zero 0
		.amdhsa_exception_fp_ieee_overflow 0
		.amdhsa_exception_fp_ieee_underflow 0
		.amdhsa_exception_fp_ieee_inexact 0
		.amdhsa_exception_int_div_zero 0
	.end_amdhsa_kernel
	.section	.text._ZN2at6native12_GLOBAL__N_112gatherMedianIljLi3EEEvNS_4cuda6detail10TensorInfoIT_T0_EENS5_IlS7_EENS5_IKS6_S7_EES7_S7_S7_b,"axG",@progbits,_ZN2at6native12_GLOBAL__N_112gatherMedianIljLi3EEEvNS_4cuda6detail10TensorInfoIT_T0_EENS5_IlS7_EENS5_IKS6_S7_EES7_S7_S7_b,comdat
.Lfunc_end98:
	.size	_ZN2at6native12_GLOBAL__N_112gatherMedianIljLi3EEEvNS_4cuda6detail10TensorInfoIT_T0_EENS5_IlS7_EENS5_IKS6_S7_EES7_S7_S7_b, .Lfunc_end98-_ZN2at6native12_GLOBAL__N_112gatherMedianIljLi3EEEvNS_4cuda6detail10TensorInfoIT_T0_EENS5_IlS7_EENS5_IKS6_S7_EES7_S7_S7_b
                                        ; -- End function
	.set _ZN2at6native12_GLOBAL__N_112gatherMedianIljLi3EEEvNS_4cuda6detail10TensorInfoIT_T0_EENS5_IlS7_EENS5_IKS6_S7_EES7_S7_S7_b.num_vgpr, 55
	.set _ZN2at6native12_GLOBAL__N_112gatherMedianIljLi3EEEvNS_4cuda6detail10TensorInfoIT_T0_EENS5_IlS7_EENS5_IKS6_S7_EES7_S7_S7_b.num_agpr, 0
	.set _ZN2at6native12_GLOBAL__N_112gatherMedianIljLi3EEEvNS_4cuda6detail10TensorInfoIT_T0_EENS5_IlS7_EENS5_IKS6_S7_EES7_S7_S7_b.numbered_sgpr, 90
	.set _ZN2at6native12_GLOBAL__N_112gatherMedianIljLi3EEEvNS_4cuda6detail10TensorInfoIT_T0_EENS5_IlS7_EENS5_IKS6_S7_EES7_S7_S7_b.num_named_barrier, 0
	.set _ZN2at6native12_GLOBAL__N_112gatherMedianIljLi3EEEvNS_4cuda6detail10TensorInfoIT_T0_EENS5_IlS7_EENS5_IKS6_S7_EES7_S7_S7_b.private_seg_size, 0
	.set _ZN2at6native12_GLOBAL__N_112gatherMedianIljLi3EEEvNS_4cuda6detail10TensorInfoIT_T0_EENS5_IlS7_EENS5_IKS6_S7_EES7_S7_S7_b.uses_vcc, 1
	.set _ZN2at6native12_GLOBAL__N_112gatherMedianIljLi3EEEvNS_4cuda6detail10TensorInfoIT_T0_EENS5_IlS7_EENS5_IKS6_S7_EES7_S7_S7_b.uses_flat_scratch, 0
	.set _ZN2at6native12_GLOBAL__N_112gatherMedianIljLi3EEEvNS_4cuda6detail10TensorInfoIT_T0_EENS5_IlS7_EENS5_IKS6_S7_EES7_S7_S7_b.has_dyn_sized_stack, 0
	.set _ZN2at6native12_GLOBAL__N_112gatherMedianIljLi3EEEvNS_4cuda6detail10TensorInfoIT_T0_EENS5_IlS7_EENS5_IKS6_S7_EES7_S7_S7_b.has_recursion, 0
	.set _ZN2at6native12_GLOBAL__N_112gatherMedianIljLi3EEEvNS_4cuda6detail10TensorInfoIT_T0_EENS5_IlS7_EENS5_IKS6_S7_EES7_S7_S7_b.has_indirect_call, 0
	.section	.AMDGPU.csdata,"",@progbits
; Kernel info:
; codeLenInByte = 11600
; TotalNumSgprs: 92
; NumVgprs: 55
; ScratchSize: 0
; MemoryBound: 0
; FloatMode: 240
; IeeeMode: 1
; LDSByteSize: 4120 bytes/workgroup (compile time only)
; SGPRBlocks: 0
; VGPRBlocks: 6
; NumSGPRsForWavesPerEU: 92
; NumVGPRsForWavesPerEU: 55
; Occupancy: 16
; WaveLimiterHint : 1
; COMPUTE_PGM_RSRC2:SCRATCH_EN: 0
; COMPUTE_PGM_RSRC2:USER_SGPR: 2
; COMPUTE_PGM_RSRC2:TRAP_HANDLER: 0
; COMPUTE_PGM_RSRC2:TGID_X_EN: 1
; COMPUTE_PGM_RSRC2:TGID_Y_EN: 1
; COMPUTE_PGM_RSRC2:TGID_Z_EN: 1
; COMPUTE_PGM_RSRC2:TIDIG_COMP_CNT: 0
	.section	.text._ZN2at6native12_GLOBAL__N_112gatherMedianIljLin1EEEvNS_4cuda6detail10TensorInfoIT_T0_EENS5_IlS7_EENS5_IKS6_S7_EES7_S7_S7_b,"axG",@progbits,_ZN2at6native12_GLOBAL__N_112gatherMedianIljLin1EEEvNS_4cuda6detail10TensorInfoIT_T0_EENS5_IlS7_EENS5_IKS6_S7_EES7_S7_S7_b,comdat
	.globl	_ZN2at6native12_GLOBAL__N_112gatherMedianIljLin1EEEvNS_4cuda6detail10TensorInfoIT_T0_EENS5_IlS7_EENS5_IKS6_S7_EES7_S7_S7_b ; -- Begin function _ZN2at6native12_GLOBAL__N_112gatherMedianIljLin1EEEvNS_4cuda6detail10TensorInfoIT_T0_EENS5_IlS7_EENS5_IKS6_S7_EES7_S7_S7_b
	.p2align	8
	.type	_ZN2at6native12_GLOBAL__N_112gatherMedianIljLin1EEEvNS_4cuda6detail10TensorInfoIT_T0_EENS5_IlS7_EENS5_IKS6_S7_EES7_S7_S7_b,@function
_ZN2at6native12_GLOBAL__N_112gatherMedianIljLin1EEEvNS_4cuda6detail10TensorInfoIT_T0_EENS5_IlS7_EENS5_IKS6_S7_EES7_S7_S7_b: ; @_ZN2at6native12_GLOBAL__N_112gatherMedianIljLin1EEEvNS_4cuda6detail10TensorInfoIT_T0_EENS5_IlS7_EENS5_IKS6_S7_EES7_S7_S7_b
; %bb.0:
	s_clause 0x1
	s_load_b64 s[4:5], s[0:1], 0x298
	s_load_b128 s[28:31], s[0:1], 0x288
	s_lshr_b32 s2, ttmp7, 16
	s_and_b32 s3, ttmp7, 0xffff
	s_wait_kmcnt 0x0
	s_mul_i32 s2, s5, s2
	s_delay_alu instid0(SALU_CYCLE_1) | instskip(NEXT) | instid1(SALU_CYCLE_1)
	s_add_co_i32 s2, s2, s3
	s_mul_i32 s2, s2, s4
	s_delay_alu instid0(SALU_CYCLE_1) | instskip(NEXT) | instid1(SALU_CYCLE_1)
	s_add_co_i32 s5, s2, ttmp9
	s_cmp_ge_u32 s5, s29
	s_cbranch_scc1 .LBB99_244
; %bb.1:
	s_load_b32 s2, s[0:1], 0xd0
	s_mov_b32 s27, 0
	s_mov_b32 s33, s5
	s_wait_kmcnt 0x0
	s_cmp_lt_i32 s2, 2
	s_cbranch_scc1 .LBB99_4
; %bb.2:
	s_add_co_i32 s26, s2, -1
	s_mov_b32 s33, s5
	s_lshl_b64 s[6:7], s[26:27], 2
	s_delay_alu instid0(SALU_CYCLE_1)
	s_add_nc_u64 s[8:9], s[0:1], s[6:7]
	s_add_co_i32 s6, s2, 1
	s_add_nc_u64 s[2:3], s[8:9], 8
.LBB99_3:                               ; =>This Inner Loop Header: Depth=1
	s_clause 0x1
	s_load_b32 s7, s[2:3], 0x0
	s_load_b32 s8, s[2:3], 0x64
	s_mov_b32 s11, s33
	s_add_nc_u64 s[2:3], s[2:3], -4
	s_wait_kmcnt 0x0
	s_cvt_f32_u32 s9, s7
	s_sub_co_i32 s10, 0, s7
	s_wait_alu 0xfffe
	s_delay_alu instid0(SALU_CYCLE_1) | instskip(NEXT) | instid1(TRANS32_DEP_1)
	v_rcp_iflag_f32_e32 v1, s9
	v_readfirstlane_b32 s9, v1
	s_mul_f32 s9, s9, 0x4f7ffffe
	s_wait_alu 0xfffe
	s_delay_alu instid0(SALU_CYCLE_2) | instskip(SKIP_1) | instid1(SALU_CYCLE_2)
	s_cvt_u32_f32 s9, s9
	s_wait_alu 0xfffe
	s_mul_i32 s10, s10, s9
	s_delay_alu instid0(SALU_CYCLE_1) | instskip(NEXT) | instid1(SALU_CYCLE_1)
	s_mul_hi_u32 s10, s9, s10
	s_add_co_i32 s9, s9, s10
	s_wait_alu 0xfffe
	s_mul_hi_u32 s9, s33, s9
	s_wait_alu 0xfffe
	s_mul_i32 s10, s9, s7
	s_add_co_i32 s12, s9, 1
	s_sub_co_i32 s10, s33, s10
	s_delay_alu instid0(SALU_CYCLE_1)
	s_sub_co_i32 s13, s10, s7
	s_cmp_ge_u32 s10, s7
	s_cselect_b32 s9, s12, s9
	s_cselect_b32 s10, s13, s10
	s_wait_alu 0xfffe
	s_add_co_i32 s12, s9, 1
	s_cmp_ge_u32 s10, s7
	s_cselect_b32 s33, s12, s9
	s_add_co_i32 s6, s6, -1
	s_mul_i32 s7, s33, s7
	s_delay_alu instid0(SALU_CYCLE_1) | instskip(NEXT) | instid1(SALU_CYCLE_1)
	s_sub_co_i32 s7, s11, s7
	s_mul_i32 s7, s8, s7
	s_delay_alu instid0(SALU_CYCLE_1)
	s_add_co_i32 s27, s7, s27
	s_cmp_gt_u32 s6, 2
	s_cbranch_scc1 .LBB99_3
.LBB99_4:
	s_load_b32 s6, s[0:1], 0x1a8
	s_add_nc_u64 s[8:9], s[0:1], 0x298
	s_add_nc_u64 s[2:3], s[0:1], 0xd8
	s_mov_b32 s35, 0
	s_mov_b32 s34, s5
	s_wait_kmcnt 0x0
	s_cmp_lt_i32 s6, 2
	s_cbranch_scc1 .LBB99_7
; %bb.5:
	s_add_co_i32 s34, s6, -1
	s_delay_alu instid0(SALU_CYCLE_1)
	s_lshl_b64 s[10:11], s[34:35], 2
	s_mov_b32 s34, s5
	s_add_nc_u64 s[12:13], s[2:3], s[10:11]
	s_add_co_i32 s10, s6, 1
	s_add_nc_u64 s[6:7], s[12:13], 8
.LBB99_6:                               ; =>This Inner Loop Header: Depth=1
	s_clause 0x1
	s_load_b32 s11, s[6:7], 0x0
	s_load_b32 s12, s[6:7], 0x64
	s_mov_b32 s15, s34
	s_add_nc_u64 s[6:7], s[6:7], -4
	s_wait_kmcnt 0x0
	s_cvt_f32_u32 s13, s11
	s_sub_co_i32 s14, 0, s11
	s_wait_alu 0xfffe
	s_delay_alu instid0(SALU_CYCLE_1) | instskip(NEXT) | instid1(TRANS32_DEP_1)
	v_rcp_iflag_f32_e32 v1, s13
	v_readfirstlane_b32 s13, v1
	s_mul_f32 s13, s13, 0x4f7ffffe
	s_wait_alu 0xfffe
	s_delay_alu instid0(SALU_CYCLE_2) | instskip(SKIP_1) | instid1(SALU_CYCLE_2)
	s_cvt_u32_f32 s13, s13
	s_wait_alu 0xfffe
	s_mul_i32 s14, s14, s13
	s_delay_alu instid0(SALU_CYCLE_1) | instskip(NEXT) | instid1(SALU_CYCLE_1)
	s_mul_hi_u32 s14, s13, s14
	s_add_co_i32 s13, s13, s14
	s_wait_alu 0xfffe
	s_mul_hi_u32 s13, s34, s13
	s_wait_alu 0xfffe
	s_mul_i32 s14, s13, s11
	s_add_co_i32 s16, s13, 1
	s_sub_co_i32 s14, s34, s14
	s_delay_alu instid0(SALU_CYCLE_1)
	s_sub_co_i32 s17, s14, s11
	s_cmp_ge_u32 s14, s11
	s_cselect_b32 s13, s16, s13
	s_cselect_b32 s14, s17, s14
	s_wait_alu 0xfffe
	s_add_co_i32 s16, s13, 1
	s_cmp_ge_u32 s14, s11
	s_cselect_b32 s34, s16, s13
	s_add_co_i32 s10, s10, -1
	s_mul_i32 s11, s34, s11
	s_delay_alu instid0(SALU_CYCLE_1) | instskip(NEXT) | instid1(SALU_CYCLE_1)
	s_sub_co_i32 s11, s15, s11
	s_mul_i32 s11, s12, s11
	s_delay_alu instid0(SALU_CYCLE_1)
	s_add_co_i32 s35, s11, s35
	s_cmp_gt_u32 s10, 2
	s_cbranch_scc1 .LBB99_6
.LBB99_7:
	s_clause 0x1
	s_load_b32 s50, s[0:1], 0x6c
	s_load_b32 s10, s[0:1], 0x280
	s_mov_b32 s7, 0
	s_wait_kmcnt 0x0
	s_cmp_lt_i32 s10, 2
	s_cbranch_scc1 .LBB99_10
; %bb.8:
	s_add_co_i32 s6, s10, -1
	s_add_nc_u64 s[12:13], s[0:1], 0x1b0
	s_lshl_b64 s[14:15], s[6:7], 2
	s_add_co_i32 s6, s10, 1
	s_wait_alu 0xfffe
	s_add_nc_u64 s[12:13], s[12:13], s[14:15]
	s_wait_alu 0xfffe
	s_add_nc_u64 s[10:11], s[12:13], 8
.LBB99_9:                               ; =>This Inner Loop Header: Depth=1
	s_clause 0x1
	s_load_b32 s12, s[10:11], 0x0
	s_load_b32 s13, s[10:11], 0x64
	s_mov_b32 s16, s5
	s_add_nc_u64 s[10:11], s[10:11], -4
	s_wait_kmcnt 0x0
	s_cvt_f32_u32 s14, s12
	s_sub_co_i32 s15, 0, s12
	s_wait_alu 0xfffe
	s_delay_alu instid0(SALU_CYCLE_1) | instskip(NEXT) | instid1(TRANS32_DEP_1)
	v_rcp_iflag_f32_e32 v1, s14
	v_readfirstlane_b32 s14, v1
	s_mul_f32 s14, s14, 0x4f7ffffe
	s_wait_alu 0xfffe
	s_delay_alu instid0(SALU_CYCLE_2) | instskip(SKIP_1) | instid1(SALU_CYCLE_2)
	s_cvt_u32_f32 s14, s14
	s_wait_alu 0xfffe
	s_mul_i32 s15, s15, s14
	s_wait_alu 0xfffe
	s_mul_hi_u32 s15, s14, s15
	s_wait_alu 0xfffe
	s_add_co_i32 s14, s14, s15
	s_wait_alu 0xfffe
	s_mul_hi_u32 s5, s5, s14
	s_delay_alu instid0(SALU_CYCLE_1)
	s_mul_i32 s14, s5, s12
	s_add_co_i32 s15, s5, 1
	s_wait_alu 0xfffe
	s_sub_co_i32 s14, s16, s14
	s_wait_alu 0xfffe
	s_sub_co_i32 s17, s14, s12
	s_cmp_ge_u32 s14, s12
	s_cselect_b32 s5, s15, s5
	s_cselect_b32 s14, s17, s14
	s_add_co_i32 s15, s5, 1
	s_wait_alu 0xfffe
	s_cmp_ge_u32 s14, s12
	s_cselect_b32 s5, s15, s5
	s_add_co_i32 s6, s6, -1
	s_mul_i32 s12, s5, s12
	s_wait_alu 0xfffe
	s_sub_co_i32 s12, s16, s12
	s_wait_alu 0xfffe
	s_mul_i32 s12, s13, s12
	s_wait_alu 0xfffe
	s_add_co_i32 s7, s12, s7
	s_cmp_gt_u32 s6, 2
	s_cbranch_scc1 .LBB99_9
.LBB99_10:
	s_load_b32 s51, s[2:3], 0x6c
	v_cmp_eq_u32_e64 s2, 0, v0
	s_and_saveexec_b32 s3, s2
; %bb.11:
	v_mov_b32_e32 v1, 0
	s_delay_alu instid0(VALU_DEP_1)
	v_mov_b32_e32 v2, v1
	ds_store_b64 v1, v[1:2] offset:4096
; %bb.12:
	s_or_b32 exec_lo, exec_lo, s3
	v_mov_b32_e32 v1, 0
	s_wait_dscnt 0x0
	s_barrier_signal -1
	s_barrier_wait -1
	global_inv scope:SCOPE_SE
	s_wait_loadcnt 0x0
	s_barrier_signal -1
	s_barrier_wait -1
	global_inv scope:SCOPE_SE
	ds_load_b64 v[1:2], v1 offset:4096
	s_bitcmp1_b32 s31, 0
	s_mov_b32 s12, s28
	s_cselect_b32 s6, -1, 0
	s_wait_dscnt 0x0
	v_readfirstlane_b32 s10, v1
	v_readfirstlane_b32 s11, v2
	s_delay_alu instid0(VALU_DEP_1) | instskip(SKIP_1) | instid1(SALU_CYCLE_1)
	v_cmp_lt_i64_e64 s3, s[10:11], 1
	s_or_b32 s3, s6, s3
	s_and_not1_b32 vcc_lo, exec_lo, s3
	s_cbranch_vccnz .LBB99_14
; %bb.13:
	s_not_b64 s[10:11], s[10:11]
	s_mov_b32 s29, 0
	s_wait_alu 0xfffe
	s_add_nc_u64 s[10:11], s[10:11], s[28:29]
	s_mov_b32 s13, s29
	s_wait_alu 0xfffe
	s_lshr_b32 s12, s11, 31
	s_wait_alu 0xfffe
	s_add_nc_u64 s[10:11], s[10:11], s[12:13]
	s_wait_alu 0xfffe
	s_lshr_b64 s[10:11], s[10:11], 1
	s_wait_alu 0xfffe
	s_add_co_i32 s12, s10, 1
.LBB99_14:
	s_clause 0x1
	s_load_b32 s3, s[0:1], 0x21c
	s_load_b64 s[10:11], s[0:1], 0x1b0
	s_and_saveexec_b32 s6, s2
	s_cbranch_execz .LBB99_16
; %bb.15:
	v_dual_mov_b32 v1, 0 :: v_dual_mov_b32 v2, s28
	ds_store_b32 v1, v1 offset:4112
	ds_store_b64 v1, v[1:2] offset:4104
.LBB99_16:
	s_or_b32 exec_lo, exec_lo, s6
	s_wait_loadcnt_dscnt 0x0
	s_barrier_signal -1
	s_barrier_wait -1
	global_inv scope:SCOPE_SE
	s_load_b32 s13, s[8:9], 0xc
	s_clause 0x1
	s_load_b64 s[38:39], s[0:1], 0x0
	s_load_b64 s[36:37], s[0:1], 0xd8
	v_mbcnt_lo_u32_b32 v26, -1, 0
	s_wait_kmcnt 0x0
	s_mul_i32 s5, s3, s5
	v_cmp_gt_u32_e32 vcc_lo, 32, v0
	s_mov_b32 s43, 0
	s_add_co_i32 s42, s5, s7
	v_cmp_gt_i32_e64 s3, 4, v26
	s_lshl_b64 s[6:7], s[42:43], 3
	v_dual_mov_b32 v12, 0 :: v_dual_lshlrev_b32 v27, 2, v0
	s_add_nc_u64 s[40:41], s[10:11], s[6:7]
	s_and_b32 s31, vcc_lo, s3
	v_mul_lo_u32 v10, s30, v0
	s_delay_alu instid0(VALU_DEP_2)
	v_dual_mov_b32 v11, v12 :: v_dual_lshlrev_b32 v28, 3, v0
	v_mad_co_u64_u32 v[17:18], null, s30, v27, s[30:31]
	v_dual_mov_b32 v20, 0 :: v_dual_lshlrev_b32 v37, 5, v0
	s_and_b32 s29, s13, 0xffff
	s_bfe_u32 s5, s13, 0xb0005
	s_wait_alu 0xfffe
	s_lshl_b32 s52, s29, 2
	s_add_co_i32 s53, s29, -1
	s_cvt_f32_u32 s3, s52
	s_add_co_i32 s13, s53, s28
	s_cmp_gt_u32 s28, 0x180
	s_cvt_f32_u32 s15, s29
	v_rcp_iflag_f32_e32 v1, s3
	s_cselect_b32 s55, -1, 0
	s_cmp_gt_u32 s29, 31
	s_wait_alu 0xfffe
	v_rcp_iflag_f32_e32 v4, s15
	s_cselect_b32 s56, -1, 0
	s_cmp_lt_u32 ttmp9, s4
	v_add_nc_u32_e32 v29, 0xc00, v28
	s_cselect_b32 s42, 12, 18
	s_add_co_i32 s4, s5, -1
	s_bfe_u32 s57, s29, 0x30005
	v_readfirstlane_b32 s14, v1
	s_and_b32 s4, s4, 0xffff
	v_lshlrev_b64_e64 v[1:2], v26, -1
	s_cmp_gt_u32 s4, 6
	v_lshlrev_b64_e32 v[2:3], 3, v[10:11]
	s_mul_f32 s4, s14, 0x4f7ffffe
	s_cselect_b32 s58, -1, 0
	s_and_b32 s59, s5, 0x7f8
	s_cmp_lg_u32 s57, 0
	s_cvt_u32_f32 s4, s4
	s_cselect_b32 s60, -1, 0
	s_sub_co_i32 s5, 0, s52
	v_not_b32_e32 v30, v1
	s_mul_i32 s5, s5, s4
	v_lshrrev_b32_e32 v1, 1, v0
	s_mul_hi_u32 s5, s4, s5
	v_add_co_u32 v13, vcc_lo, s40, v2
	s_add_co_i32 s44, s4, s5
	v_readfirstlane_b32 s5, v4
	s_mul_hi_u32 s4, s28, s44
	v_add_co_ci_u32_e64 v14, null, s41, v3, vcc_lo
	s_mul_i32 s4, s4, s52
	s_mul_f32 s5, s5, 0x4f7ffffe
	s_sub_co_i32 s4, s28, s4
	v_or_b32_e32 v3, 3, v27
	s_sub_co_i32 s6, s4, s52
	s_cmp_ge_u32 s4, s52
	s_cvt_u32_f32 s5, s5
	s_cselect_b32 s4, s6, s4
	v_mul_lo_u32 v34, s30, v3
	s_sub_co_i32 s6, s4, s52
	s_cmp_ge_u32 s4, s52
	v_mov_b32_e32 v40, s12
	s_cselect_b32 s7, s6, s4
	s_sub_co_i32 s4, 0, s29
	s_sub_co_i32 s61, s28, s7
	s_mul_i32 s4, s4, s5
	v_add_nc_u32_e32 v31, s61, v0
	s_mul_hi_u32 s4, s5, s4
	v_dual_mov_b32 v18, 0 :: v_dual_lshlrev_b32 v35, 2, v10
	s_add_co_i32 s46, s5, s4
	s_delay_alu instid0(VALU_DEP_2)
	v_mul_lo_u32 v11, v31, s30
	s_movk_i32 s4, 0x1f0
	s_mul_hi_u32 s5, s13, s46
	v_and_or_b32 v32, v1, s4, 0xc00
	s_mul_i32 s5, s5, s29
	v_mov_b32_e32 v4, 0
	s_wait_alu 0xfffe
	s_sub_co_i32 s5, s13, s5
	v_cmp_gt_u32_e64 s0, s28, v0
	v_lshlrev_b64_e32 v[1:2], 3, v[11:12]
	s_wait_alu 0xfffe
	s_sub_co_i32 s6, s5, s29
	s_cmp_ge_u32 s5, s29
	v_cmp_gt_u32_e64 s1, 2, v0
	s_cselect_b32 s6, s6, s5
	v_cmp_eq_u32_e64 s3, 0, v26
	v_add_co_u32 v15, vcc_lo, s40, v1
	v_add3_u32 v1, s29, s28, v0
	s_wait_alu 0xfffd
	v_add_co_ci_u32_e64 v16, null, s41, v2, vcc_lo
	v_or_b32_e32 v2, 2, v27
	s_sub_co_i32 s10, s6, s29
	v_subrev_nc_u32_e32 v1, s7, v1
	s_cmp_ge_u32 s6, s29
	v_cmp_gt_u32_e64 s4, s61, v27
	s_wait_alu 0xfffe
	s_cselect_b32 s6, s10, s6
	v_mul_lo_u32 v33, s30, v2
	v_mul_lo_u32 v36, s30, v1
	s_wait_alu 0xfffe
	s_sub_co_i32 s62, s13, s6
	v_cmp_gt_u32_e64 s5, s28, v31
	v_cmp_gt_u32_e64 s6, s62, v0
	v_lshl_or_b32 v38, v26, 2, 0xc00
	v_mov_b32_e32 v5, 0
	v_mov_b32_e32 v1, 1
	;; [unrolled: 1-line block ×5, first 2 shown]
	s_mul_i32 s54, s30, s29
	s_mov_b32 s45, s43
	s_mov_b32 s47, s43
	s_lshl_b32 s63, s54, 2
	s_lshl_b32 s64, s29, 5
	;; [unrolled: 1-line block ×3, first 2 shown]
	s_mov_b32 s73, 62
	s_add_nc_u64 s[48:49], s[8:9], s[42:43]
	s_mov_b32 s66, 0
                                        ; implicit-def: $sgpr70
                                        ; implicit-def: $sgpr72
                                        ; implicit-def: $sgpr67
                                        ; implicit-def: $sgpr69
                                        ; implicit-def: $sgpr71
                                        ; implicit-def: $sgpr68
	s_branch .LBB99_20
.LBB99_17:                              ;   in Loop: Header=BB99_20 Depth=1
	s_wait_alu 0xfffe
	s_or_b32 exec_lo, exec_lo, s10
	s_delay_alu instid0(SALU_CYCLE_1)
	s_and_b32 s8, s8, exec_lo
	s_and_not1_b32 s16, s16, exec_lo
	s_and_not1_b32 s15, s15, exec_lo
	s_or_not1_b32 s13, s9, exec_lo
.LBB99_18:                              ;   in Loop: Header=BB99_20 Depth=1
	s_wait_alu 0xfffe
	s_or_b32 exec_lo, exec_lo, s7
	s_delay_alu instid0(SALU_CYCLE_1)
	s_and_not1_b32 s7, s68, exec_lo
	s_and_b32 s8, s8, exec_lo
	s_and_not1_b32 s9, s69, exec_lo
	s_wait_alu 0xfffe
	s_or_b32 s68, s7, s8
	s_and_not1_b32 s7, s71, exec_lo
	s_and_b32 s8, s16, exec_lo
	s_and_b32 s10, s15, exec_lo
	s_wait_alu 0xfffe
	s_or_b32 s71, s7, s8
	s_or_b32 s69, s9, s10
	s_or_not1_b32 s14, s13, exec_lo
.LBB99_19:                              ;   in Loop: Header=BB99_20 Depth=1
	s_wait_alu 0xfffe
	s_or_b32 exec_lo, exec_lo, s12
	s_delay_alu instid0(SALU_CYCLE_1)
	s_and_b32 s7, exec_lo, s14
	v_mov_b32_e32 v40, v7
	s_wait_alu 0xfffe
	s_or_b32 s66, s7, s66
	s_and_not1_b32 s7, s67, exec_lo
	s_and_b32 s8, s68, exec_lo
	s_and_not1_b32 s9, s72, exec_lo
	s_wait_alu 0xfffe
	s_or_b32 s67, s7, s8
	s_and_b32 s7, s71, exec_lo
	s_and_not1_b32 s8, s70, exec_lo
	s_and_b32 s10, s69, exec_lo
	s_wait_alu 0xfffe
	s_or_b32 s72, s9, s7
	s_or_b32 s70, s8, s10
	s_mov_b32 s73, s20
	s_and_not1_b32 exec_lo, exec_lo, s66
	s_cbranch_execz .LBB99_240
.LBB99_20:                              ; =>This Loop Header: Depth=1
                                        ;     Child Loop BB99_26 Depth 2
                                        ;     Child Loop BB99_39 Depth 2
	;; [unrolled: 1-line block ×16, first 2 shown]
	ds_load_b64 v[2:3], v12 offset:4104
	s_wait_dscnt 0x0
	v_readfirstlane_b32 s42, v2
	s_cmp_lg_u32 s42, 0
	s_cbranch_scc1 .LBB99_47
; %bb.21:                               ;   in Loop: Header=BB99_20 Depth=1
	s_and_b32 vcc_lo, exec_lo, s55
	s_wait_alu 0xfffe
	s_cbranch_vccz .LBB99_34
; %bb.22:                               ;   in Loop: Header=BB99_20 Depth=1
	v_cmp_gt_u32_e32 vcc_lo, 0x181, v3
	s_mov_b32 s9, 0
	s_mov_b32 s7, 0
	s_cbranch_vccz .LBB99_35
; %bb.23:                               ;   in Loop: Header=BB99_20 Depth=1
	s_and_saveexec_b32 s10, s0
	s_cbranch_execz .LBB99_130
; %bb.24:                               ;   in Loop: Header=BB99_20 Depth=1
	global_load_b64 v[2:3], v[13:14], off
	s_load_u16 s11, s[48:49], 0x0
	v_mov_b32_e32 v8, v0
	s_mov_b32 s13, 0
	s_wait_kmcnt 0x0
	v_add_nc_u32_e32 v6, s11, v0
	s_mul_i32 s12, s30, s11
	s_delay_alu instid0(VALU_DEP_1)
	v_mul_lo_u32 v11, s30, v6
	s_branch .LBB99_26
.LBB99_25:                              ;   in Loop: Header=BB99_26 Depth=2
	s_wait_alu 0xfffe
	s_or_b32 exec_lo, exec_lo, s8
	v_dual_mov_b32 v2, v6 :: v_dual_add_nc_u32 v11, s12, v11
	v_mov_b32_e32 v3, v7
	s_and_not1_b32 exec_lo, exec_lo, s13
	s_cbranch_execz .LBB99_130
.LBB99_26:                              ;   Parent Loop BB99_20 Depth=1
                                        ; =>  This Inner Loop Header: Depth=2
	v_mov_b32_e32 v6, 0
	v_dual_mov_b32 v7, 0 :: v_dual_add_nc_u32 v8, s11, v8
	s_mov_b32 s8, exec_lo
	s_delay_alu instid0(VALU_DEP_1)
	v_cmp_le_u32_e32 vcc_lo, s28, v8
	v_cmpx_gt_u32_e64 s28, v8
	s_cbranch_execz .LBB99_28
; %bb.27:                               ;   in Loop: Header=BB99_26 Depth=2
	v_lshlrev_b64_e32 v[6:7], 3, v[11:12]
	s_delay_alu instid0(VALU_DEP_1) | instskip(SKIP_1) | instid1(VALU_DEP_2)
	v_add_co_u32 v6, s7, s40, v6
	s_wait_alu 0xf1ff
	v_add_co_ci_u32_e64 v7, null, s41, v7, s7
	global_load_b64 v[6:7], v[6:7], off
.LBB99_28:                              ;   in Loop: Header=BB99_26 Depth=2
	s_wait_alu 0xfffe
	s_or_b32 exec_lo, exec_lo, s8
	s_wait_loadcnt_dscnt 0x0
	v_xor_b32_e32 v9, 0x80000000, v3
	v_and_b32_e32 v22, v2, v20
	s_delay_alu instid0(VALU_DEP_2) | instskip(SKIP_1) | instid1(VALU_DEP_2)
	v_and_b32_e32 v23, v9, v21
	v_mov_b32_e32 v9, 0
	v_cmp_eq_u64_e64 s7, v[22:23], v[18:19]
	s_cmp_lg_u32 s7, 0
	s_cselect_b32 s8, -1, 0
	s_wait_alu 0xfffe
	s_and_b32 s8, s3, s8
	s_wait_alu 0xfffe
	s_and_saveexec_b32 s14, s8
	s_cbranch_execz .LBB99_32
; %bb.29:                               ;   in Loop: Header=BB99_26 Depth=2
	s_mov_b32 s17, exec_lo
	s_bcnt1_i32_b32 s15, s7
	s_wait_alu 0xfffe
	v_mbcnt_lo_u32_b32 v9, s17, 0
	s_mov_b32 s16, exec_lo
                                        ; implicit-def: $vgpr22
	s_delay_alu instid0(VALU_DEP_1)
	v_cmpx_eq_u32_e32 0, v9
; %bb.30:                               ;   in Loop: Header=BB99_26 Depth=2
	s_bcnt1_i32_b32 s8, s17
	s_wait_alu 0xfffe
	s_mul_i32 s8, s15, s8
	s_wait_alu 0xfffe
	v_mov_b32_e32 v22, s8
	ds_add_rtn_u32 v22, v12, v22 offset:4112
; %bb.31:                               ;   in Loop: Header=BB99_26 Depth=2
	s_or_b32 exec_lo, exec_lo, s16
	s_wait_dscnt 0x0
	v_readfirstlane_b32 s8, v22
	s_wait_alu 0xf1ff
	s_delay_alu instid0(VALU_DEP_1)
	v_mad_u32_u24 v9, s15, v9, s8
.LBB99_32:                              ;   in Loop: Header=BB99_26 Depth=2
	s_wait_alu 0xfffe
	s_or_b32 exec_lo, exec_lo, s14
	ds_bpermute_b32 v9, v12, v9
	s_and_b32 s8, exec_lo, vcc_lo
	s_wait_alu 0xfffe
	s_or_b32 s13, s8, s13
	s_and_saveexec_b32 s8, s7
	s_cbranch_execz .LBB99_25
; %bb.33:                               ;   in Loop: Header=BB99_26 Depth=2
	v_and_b32_e32 v22, s7, v30
	s_delay_alu instid0(VALU_DEP_1) | instskip(NEXT) | instid1(VALU_DEP_1)
	v_bcnt_u32_b32 v22, v22, 0
	v_lshlrev_b32_e32 v22, 3, v22
	s_wait_dscnt 0x0
	s_delay_alu instid0(VALU_DEP_1)
	v_lshl_add_u32 v9, v9, 3, v22
	ds_store_b64 v9, v[2:3]
	s_branch .LBB99_25
.LBB99_34:                              ;   in Loop: Header=BB99_20 Depth=1
	s_mov_b32 s9, -1
	s_mov_b32 s7, 0
.LBB99_35:                              ;   in Loop: Header=BB99_20 Depth=1
	s_wait_alu 0xfffe
	s_and_b32 vcc_lo, exec_lo, s9
	s_wait_alu 0xfffe
	s_cbranch_vccz .LBB99_45
.LBB99_36:                              ;   in Loop: Header=BB99_20 Depth=1
	s_and_saveexec_b32 s7, s0
	s_cbranch_execz .LBB99_42
; %bb.37:                               ;   in Loop: Header=BB99_20 Depth=1
	global_load_b64 v[2:3], v[13:14], off
	s_load_u16 s9, s[48:49], 0x0
	v_mov_b32_e32 v8, v0
	s_mov_b32 s8, exec_lo
	s_wait_kmcnt 0x0
	v_add_nc_u32_e32 v6, s9, v0
	s_delay_alu instid0(VALU_DEP_1)
	v_cmpx_gt_u32_e64 s28, v6
	s_cbranch_execz .LBB99_41
; %bb.38:                               ;   in Loop: Header=BB99_20 Depth=1
	v_mul_lo_u32 v11, s30, v6
	v_dual_mov_b32 v9, v28 :: v_dual_mov_b32 v8, v0
	s_lshl_b32 s10, s9, 3
	s_mul_i32 s12, s30, s9
	s_mov_b32 s11, 0
.LBB99_39:                              ;   Parent Loop BB99_20 Depth=1
                                        ; =>  This Inner Loop Header: Depth=2
	s_delay_alu instid0(VALU_DEP_2)
	v_lshlrev_b64_e32 v[6:7], 3, v[11:12]
	s_wait_loadcnt 0x0
	ds_store_b64 v9, v[2:3]
	s_wait_alu 0xfffe
	v_add_nc_u32_e32 v11, s12, v11
	v_add_co_u32 v6, vcc_lo, s40, v6
	s_wait_alu 0xfffd
	v_add_co_ci_u32_e64 v7, null, s41, v7, vcc_lo
	global_load_b64 v[6:7], v[6:7], off
	v_add_nc_u32_e32 v8, s9, v8
	s_wait_loadcnt 0x0
	v_dual_mov_b32 v2, v6 :: v_dual_add_nc_u32 v9, s10, v9
	s_delay_alu instid0(VALU_DEP_2) | instskip(NEXT) | instid1(VALU_DEP_1)
	v_dual_mov_b32 v3, v7 :: v_dual_add_nc_u32 v22, s9, v8
	v_cmp_le_u32_e32 vcc_lo, s28, v22
	s_or_b32 s11, vcc_lo, s11
	s_wait_alu 0xfffe
	s_and_not1_b32 exec_lo, exec_lo, s11
	s_cbranch_execnz .LBB99_39
; %bb.40:                               ;   in Loop: Header=BB99_20 Depth=1
	s_or_b32 exec_lo, exec_lo, s11
	v_dual_mov_b32 v2, v6 :: v_dual_mov_b32 v3, v7
.LBB99_41:                              ;   in Loop: Header=BB99_20 Depth=1
	s_wait_alu 0xfffe
	s_or_b32 exec_lo, exec_lo, s8
	v_lshlrev_b32_e32 v6, 3, v8
	s_wait_loadcnt 0x0
	ds_store_b64 v6, v[2:3]
.LBB99_42:                              ;   in Loop: Header=BB99_20 Depth=1
	s_wait_alu 0xfffe
	s_or_b32 exec_lo, exec_lo, s7
	s_wait_loadcnt_dscnt 0x0
	s_barrier_signal -1
	s_barrier_wait -1
	global_inv scope:SCOPE_SE
	s_and_saveexec_b32 s7, s2
; %bb.43:                               ;   in Loop: Header=BB99_20 Depth=1
	v_mov_b32_e32 v2, s28
	ds_store_b32 v12, v2 offset:4104
; %bb.44:                               ;   in Loop: Header=BB99_20 Depth=1
	s_wait_alu 0xfffe
	s_or_b32 exec_lo, exec_lo, s7
	s_mov_b32 s7, -1
	s_wait_loadcnt_dscnt 0x0
	s_barrier_signal -1
	s_barrier_wait -1
.LBB99_45:                              ;   in Loop: Header=BB99_20 Depth=1
	s_wait_alu 0xfffe
	s_and_b32 vcc_lo, exec_lo, s7
	s_mov_b32 s42, 0
	s_wait_alu 0xfffe
	s_cbranch_vccz .LBB99_47
; %bb.46:                               ;   in Loop: Header=BB99_20 Depth=1
	s_wait_loadcnt 0x0
	global_inv scope:SCOPE_SE
	ds_load_b32 v2, v12 offset:4104
	s_wait_dscnt 0x0
	v_readfirstlane_b32 s42, v2
.LBB99_47:                              ;   in Loop: Header=BB99_20 Depth=1
	s_delay_alu instid0(VALU_DEP_1)
	s_cmp_lt_i32 s42, 1
	s_mov_b32 s7, -1
                                        ; implicit-def: $vgpr6
	s_cbranch_scc1 .LBB99_57
; %bb.48:                               ;   in Loop: Header=BB99_20 Depth=1
	s_wait_alu 0xfffe
	s_and_b32 vcc_lo, exec_lo, s7
	s_wait_alu 0xfffe
	s_cbranch_vccnz .LBB99_68
.LBB99_49:                              ;   in Loop: Header=BB99_20 Depth=1
	v_lshlrev_b32_e32 v2, 7, v39
	s_and_saveexec_b32 s7, s3
.LBB99_50:                              ;   in Loop: Header=BB99_20 Depth=1
	s_delay_alu instid0(VALU_DEP_1)
	v_lshl_add_u32 v3, v2, 2, v32
	ds_store_b128 v3, v[6:9]
.LBB99_51:                              ;   in Loop: Header=BB99_20 Depth=1
	s_wait_alu 0xfffe
	s_or_b32 exec_lo, exec_lo, s7
	s_wait_loadcnt_dscnt 0x0
	s_barrier_signal -1
	s_barrier_wait -1
	global_inv scope:SCOPE_SE
	s_and_saveexec_b32 s7, s31
	s_cbranch_execz .LBB99_81
; %bb.52:                               ;   in Loop: Header=BB99_20 Depth=1
	v_mov_b32_e32 v3, 0
	s_and_not1_b32 vcc_lo, exec_lo, s56
	s_wait_alu 0xfffe
	s_cbranch_vccnz .LBB99_80
; %bb.53:                               ;   in Loop: Header=BB99_20 Depth=1
	s_and_not1_b32 vcc_lo, exec_lo, s58
	s_wait_alu 0xfffe
	s_cbranch_vccnz .LBB99_77
; %bb.54:                               ;   in Loop: Header=BB99_20 Depth=1
	v_lshl_add_u32 v6, v39, 9, v38
	v_mov_b32_e32 v3, 0
	s_mov_b32 s8, 0
.LBB99_55:                              ;   Parent Loop BB99_20 Depth=1
                                        ; =>  This Inner Loop Header: Depth=2
	ds_load_2addr_b32 v[7:8], v6 offset1:4
	ds_load_2addr_b32 v[22:23], v6 offset0:8 offset1:12
	ds_load_2addr_b32 v[24:25], v6 offset0:16 offset1:20
	;; [unrolled: 1-line block ×3, first 2 shown]
	v_add_nc_u32_e32 v6, 0x80, v6
	s_wait_alu 0xfffe
	s_add_co_i32 s8, s8, 8
	s_wait_alu 0xfffe
	s_cmp_eq_u32 s59, s8
	s_wait_dscnt 0x3
	v_add3_u32 v3, v7, v3, v8
	s_wait_dscnt 0x2
	s_delay_alu instid0(VALU_DEP_1) | instskip(SKIP_1) | instid1(VALU_DEP_1)
	v_add3_u32 v3, v22, v3, v23
	s_wait_dscnt 0x1
	v_add3_u32 v3, v24, v3, v25
	s_wait_dscnt 0x0
	s_delay_alu instid0(VALU_DEP_1)
	v_add3_u32 v3, v41, v3, v42
	s_cbranch_scc0 .LBB99_55
; %bb.56:                               ;   in Loop: Header=BB99_20 Depth=1
	s_mov_b32 s8, s59
	s_and_not1_b32 vcc_lo, exec_lo, s60
	s_wait_alu 0xfffe
	s_cbranch_vccz .LBB99_78
	s_branch .LBB99_80
.LBB99_57:                              ;   in Loop: Header=BB99_20 Depth=1
	v_dual_mov_b32 v6, 0 :: v_dual_mov_b32 v7, 0
	v_dual_mov_b32 v8, 0 :: v_dual_mov_b32 v9, 0
	s_and_saveexec_b32 s21, s4
	s_cbranch_execz .LBB99_61
; %bb.58:                               ;   in Loop: Header=BB99_20 Depth=1
	v_mov_b32_e32 v2, v27
	s_mov_b32 s22, 0
	s_mov_b32 s23, 0
	s_mov_b32 s24, 0
	s_mov_b32 s25, 0
	s_mov_b32 s26, 0
	s_mov_b32 s74, 0
.LBB99_59:                              ;   Parent Loop BB99_20 Depth=1
                                        ; =>  This Inner Loop Header: Depth=2
	s_wait_alu 0xfffe
	v_dual_mov_b32 v42, v12 :: v_dual_add_nc_u32 v11, s23, v35
	v_mov_b32_e32 v44, v12
	v_mov_b32_e32 v46, v12
	s_delay_alu instid0(VALU_DEP_3) | instskip(SKIP_1) | instid1(VALU_DEP_1)
	v_lshlrev_b64_e32 v[6:7], 3, v[11:12]
	v_add_nc_u32_e32 v11, s23, v17
	v_lshlrev_b64_e32 v[8:9], 3, v[11:12]
	v_add_nc_u32_e32 v11, s23, v33
	s_delay_alu instid0(VALU_DEP_4) | instskip(SKIP_2) | instid1(VALU_DEP_3)
	v_add_co_u32 v6, vcc_lo, s40, v6
	s_wait_alu 0xfffd
	v_add_co_ci_u32_e64 v7, null, s41, v7, vcc_lo
	v_lshlrev_b64_e32 v[22:23], 3, v[11:12]
	v_add_co_u32 v8, vcc_lo, s40, v8
	global_load_b64 v[6:7], v[6:7], off
	v_add_nc_u32_e32 v11, s23, v34
	s_wait_alu 0xfffd
	v_add_co_ci_u32_e64 v9, null, s41, v9, vcc_lo
	v_add_co_u32 v22, vcc_lo, s40, v22
	s_wait_alu 0xfffd
	v_add_co_ci_u32_e64 v23, null, s41, v23, vcc_lo
	v_lshlrev_b64_e32 v[24:25], 3, v[11:12]
	s_clause 0x1
	global_load_b64 v[8:9], v[8:9], off
	global_load_b64 v[22:23], v[22:23], off
	s_add_co_i32 s23, s23, s63
	v_add_co_u32 v24, vcc_lo, s40, v24
	s_wait_alu 0xfffd
	v_add_co_ci_u32_e64 v25, null, s41, v25, vcc_lo
	global_load_b64 v[24:25], v[24:25], off
	s_wait_loadcnt 0x3
	v_xor_b32_e32 v7, 0x80000000, v7
	v_and_b32_e32 v47, v6, v20
	s_delay_alu instid0(VALU_DEP_2)
	v_and_b32_e32 v48, v7, v21
	v_lshrrev_b64 v[6:7], s73, v[6:7]
	s_wait_loadcnt 0x2
	v_xor_b32_e32 v9, 0x80000000, v9
	s_wait_loadcnt 0x1
	v_xor_b32_e32 v23, 0x80000000, v23
	v_cmp_eq_u64_e64 s7, v[47:48], v[18:19]
	v_and_b32_e32 v11, 3, v6
	v_and_b32_e32 v49, v8, v20
	v_lshrrev_b64 v[47:48], s73, v[8:9]
	v_and_b32_e32 v7, v22, v20
	v_and_b32_e32 v8, v23, v21
	v_cmp_eq_u64_e64 s9, 0, v[11:12]
	v_lshrrev_b64 v[22:23], s73, v[22:23]
	v_and_b32_e32 v50, v9, v21
	v_and_b32_e32 v41, 3, v47
	v_cmp_eq_u64_e64 s10, 1, v[11:12]
	s_wait_loadcnt 0x0
	v_xor_b32_e32 v25, 0x80000000, v25
	v_cmp_eq_u64_e64 s11, 2, v[11:12]
	v_cmp_eq_u64_e64 s12, 3, v[11:12]
	s_and_b32 s9, s7, s9
	v_cmp_eq_u64_e64 s8, v[49:50], v[18:19]
	v_and_b32_e32 v43, 3, v22
	v_cmp_eq_u64_e64 s14, 0, v[41:42]
	v_cmp_eq_u64_e64 s15, 1, v[41:42]
	v_cmp_eq_u64_e64 s13, v[7:8], v[18:19]
	v_lshrrev_b64 v[8:9], s73, v[24:25]
	s_wait_alu 0xfffe
	v_cndmask_b32_e64 v3, 0, 1, s9
	s_and_b32 s9, s7, s10
	v_and_b32_e32 v6, v24, v20
	v_and_b32_e32 v7, v25, v21
	v_cmp_eq_u64_e64 s16, 2, v[41:42]
	s_wait_alu 0xfffe
	v_cndmask_b32_e64 v9, 0, 1, s9
	s_and_b32 s9, s7, s11
	v_cmp_eq_u64_e64 s17, 3, v[41:42]
	s_and_b32 s7, s7, s12
	s_wait_alu 0xfffe
	v_cndmask_b32_e64 v11, 0, 1, s9
	v_cmp_eq_u64_e64 s9, 0, v[43:44]
	v_cndmask_b32_e64 v22, 0, 1, s7
	s_and_b32 s14, s8, s14
	s_and_b32 s15, s8, s15
	v_and_b32_e32 v45, 3, v8
	v_cmp_eq_u64_e64 s10, 1, v[43:44]
	v_cmp_eq_u64_e64 s7, v[6:7], v[18:19]
	v_cmp_ne_u32_e64 s18, 0, v3
	s_wait_alu 0xfffe
	v_cndmask_b32_e64 v3, 0, 1, s14
	v_cndmask_b32_e64 v6, 0, 1, s15
	s_and_b32 s16, s8, s16
	v_cmp_eq_u64_e64 s11, 2, v[43:44]
	s_and_b32 s8, s8, s17
	s_wait_alu 0xfffe
	v_cndmask_b32_e64 v7, 0, 1, s16
	v_cmp_ne_u32_e64 s16, 0, v22
	s_and_b32 s9, s13, s9
	v_cmp_eq_u64_e64 s12, 3, v[43:44]
	v_cndmask_b32_e64 v8, 0, 1, s8
	v_cmp_eq_u64_e64 s8, 0, v[45:46]
	v_cmp_eq_u64_e64 s17, 1, v[45:46]
	s_bcnt1_i32_b32 s75, s18
	v_cmp_ne_u32_e64 s18, 0, v3
	s_wait_alu 0xfffe
	v_cndmask_b32_e64 v3, 0, 1, s9
	v_cmp_ne_u32_e64 s9, 0, v6
	s_and_b32 s10, s13, s10
	s_and_b32 s11, s13, s11
	s_wait_alu 0xfffe
	v_cndmask_b32_e64 v6, 0, 1, s10
	s_bcnt1_i32_b32 s16, s16
	v_cmp_eq_u64_e64 s19, 2, v[45:46]
	v_cmp_eq_u64_e64 s20, 3, v[45:46]
	v_cmp_ne_u32_e64 s10, 0, v7
	v_cndmask_b32_e64 v7, 0, 1, s11
	v_cmp_ne_u32_e64 s11, 0, v8
	s_and_b32 s12, s13, s12
	s_wait_alu 0xfffe
	s_add_co_i32 s16, s16, s24
	s_and_b32 s8, s7, s8
	s_bcnt1_i32_b32 s24, s9
	s_and_b32 s9, s7, s17
	v_cmp_ne_u32_e64 s14, 0, v9
	v_cndmask_b32_e64 v8, 0, 1, s12
	v_cmp_ne_u32_e64 s12, 0, v3
	s_wait_alu 0xfffe
	v_cndmask_b32_e64 v3, 0, 1, s8
	v_cmp_ne_u32_e64 s8, 0, v6
	v_cndmask_b32_e64 v6, 0, 1, s9
	v_cmp_ne_u32_e64 s15, 0, v11
	s_bcnt1_i32_b32 s17, s10
	s_and_b32 s10, s7, s19
	s_bcnt1_i32_b32 s11, s11
	s_and_b32 s7, s7, s20
	s_bcnt1_i32_b32 s14, s14
	v_cmp_ne_u32_e64 s9, 0, v7
	s_wait_alu 0xfffe
	v_cndmask_b32_e64 v7, 0, 1, s10
	v_cmp_ne_u32_e64 s10, 0, v8
	v_cndmask_b32_e64 v8, 0, 1, s7
	s_add_co_i32 s11, s16, s11
	s_bcnt1_i32_b32 s16, s8
	v_cmp_ne_u32_e64 s8, 0, v6
	s_bcnt1_i32_b32 s15, s15
	s_add_co_i32 s13, s75, s74
	s_add_co_i32 s14, s14, s26
	s_bcnt1_i32_b32 s18, s18
	s_wait_alu 0xfffe
	s_add_co_i32 s15, s15, s25
	s_add_co_i32 s13, s13, s18
	;; [unrolled: 1-line block ×3, first 2 shown]
	s_bcnt1_i32_b32 s12, s12
	s_wait_alu 0xfffe
	s_add_co_i32 s15, s15, s17
	v_cmp_ne_u32_e64 s7, 0, v3
	s_bcnt1_i32_b32 s17, s9
	v_cmp_ne_u32_e64 s9, 0, v7
	s_bcnt1_i32_b32 s18, s10
	v_cmp_ne_u32_e64 s10, 0, v8
	s_add_co_i32 s12, s13, s12
	s_add_co_i32 s13, s14, s16
	s_bcnt1_i32_b32 s8, s8
	s_wait_alu 0xfffe
	s_add_co_i32 s14, s15, s17
	s_add_co_i32 s26, s13, s8
	s_wait_alu 0xfffe
	v_dual_mov_b32 v7, s26 :: v_dual_add_nc_u32 v2, s52, v2
	s_add_co_i32 s11, s11, s18
	s_bcnt1_i32_b32 s7, s7
	s_bcnt1_i32_b32 s9, s9
	;; [unrolled: 1-line block ×3, first 2 shown]
	v_cmp_le_u32_e32 vcc_lo, s61, v2
	s_wait_alu 0xfffe
	s_add_co_i32 s74, s12, s7
	s_add_co_i32 s25, s14, s9
	;; [unrolled: 1-line block ×3, first 2 shown]
	s_wait_alu 0xfffe
	v_mov_b32_e32 v6, s74
	v_dual_mov_b32 v8, s25 :: v_dual_mov_b32 v9, s24
	s_or_b32 s22, vcc_lo, s22
	s_wait_alu 0xfffe
	s_and_not1_b32 exec_lo, exec_lo, s22
	s_cbranch_execnz .LBB99_59
; %bb.60:                               ;   in Loop: Header=BB99_20 Depth=1
	s_or_b32 exec_lo, exec_lo, s22
.LBB99_61:                              ;   in Loop: Header=BB99_20 Depth=1
	s_wait_alu 0xfffe
	s_or_b32 exec_lo, exec_lo, s21
	s_and_saveexec_b32 s11, s5
	s_cbranch_execz .LBB99_67
; %bb.62:                               ;   in Loop: Header=BB99_20 Depth=1
	global_load_b64 v[24:25], v[15:16], off
	v_dual_mov_b32 v2, v36 :: v_dual_mov_b32 v41, v31
	s_mov_b32 s12, 0
	s_branch .LBB99_64
.LBB99_63:                              ;   in Loop: Header=BB99_64 Depth=2
	s_wait_alu 0xfffe
	s_or_b32 exec_lo, exec_lo, s8
	s_wait_loadcnt 0x0
	v_xor_b32_e32 v25, 0x80000000, v25
	s_and_b32 s9, exec_lo, vcc_lo
	v_add_nc_u32_e32 v2, s54, v2
	s_wait_alu 0xfffe
	s_or_b32 s12, s9, s12
	v_lshrrev_b64 v[42:43], s73, v[24:25]
	v_and_b32_e32 v24, v24, v20
	v_and_b32_e32 v25, v25, v21
	s_delay_alu instid0(VALU_DEP_3) | instskip(NEXT) | instid1(VALU_DEP_2)
	v_and_b32_e32 v11, 3, v42
	v_cmp_eq_u64_e64 s7, v[24:25], v[18:19]
	s_delay_alu instid0(VALU_DEP_2)
	v_cmp_eq_u64_e64 s8, 0, v[11:12]
	v_cmp_eq_u64_e32 vcc_lo, 1, v[11:12]
	v_cmp_eq_u64_e64 s9, 2, v[11:12]
	v_cmp_eq_u64_e64 s10, 3, v[11:12]
	s_and_b32 s8, s7, s8
	s_wait_alu 0xfffe
	v_cndmask_b32_e64 v3, 0, 1, s8
	s_and_b32 s8, s7, vcc_lo
	s_wait_alu 0xfffe
	v_cndmask_b32_e64 v11, 0, 1, s8
	s_and_b32 s8, s7, s9
	s_and_b32 s7, s7, s10
	s_wait_alu 0xfffe
	v_cndmask_b32_e64 v24, 0, 1, s8
	v_cndmask_b32_e64 v25, 0, 1, s7
	v_cmp_ne_u32_e32 vcc_lo, 0, v3
	v_cmp_ne_u32_e64 s7, 0, v11
	s_delay_alu instid0(VALU_DEP_4) | instskip(NEXT) | instid1(VALU_DEP_4)
	v_cmp_ne_u32_e64 s8, 0, v24
	v_cmp_ne_u32_e64 s9, 0, v25
	s_bcnt1_i32_b32 s10, vcc_lo
	s_bcnt1_i32_b32 s7, s7
	v_mov_b32_e32 v25, v23
	s_bcnt1_i32_b32 s8, s8
	s_bcnt1_i32_b32 s9, s9
	s_wait_alu 0xfffe
	v_add_nc_u32_e32 v6, s10, v6
	v_add_nc_u32_e32 v7, s7, v7
	v_add_nc_u32_e32 v8, s8, v8
	v_dual_mov_b32 v24, v22 :: v_dual_add_nc_u32 v9, s9, v9
	s_and_not1_b32 exec_lo, exec_lo, s12
	s_cbranch_execz .LBB99_66
.LBB99_64:                              ;   Parent Loop BB99_20 Depth=1
                                        ; =>  This Inner Loop Header: Depth=2
	s_delay_alu instid0(VALU_DEP_1) | instskip(SKIP_2) | instid1(VALU_DEP_2)
	v_dual_mov_b32 v22, 0 :: v_dual_add_nc_u32 v41, s29, v41
	v_mov_b32_e32 v23, 0
	s_mov_b32 s8, exec_lo
	v_cmp_le_u32_e32 vcc_lo, s28, v41
	v_cmpx_gt_u32_e64 s28, v41
	s_cbranch_execz .LBB99_63
; %bb.65:                               ;   in Loop: Header=BB99_64 Depth=2
	v_mov_b32_e32 v3, v12
	s_delay_alu instid0(VALU_DEP_1) | instskip(NEXT) | instid1(VALU_DEP_1)
	v_lshlrev_b64_e32 v[22:23], 3, v[2:3]
	v_add_co_u32 v22, s7, s40, v22
	s_wait_alu 0xf1fe
	s_delay_alu instid0(VALU_DEP_2)
	v_add_co_ci_u32_e64 v23, null, s41, v23, s7
	global_load_b64 v[22:23], v[22:23], off
	s_branch .LBB99_63
.LBB99_66:                              ;   in Loop: Header=BB99_20 Depth=1
	s_or_b32 exec_lo, exec_lo, s12
.LBB99_67:                              ;   in Loop: Header=BB99_20 Depth=1
	s_wait_alu 0xfffe
	s_or_b32 exec_lo, exec_lo, s11
	s_branch .LBB99_49
.LBB99_68:                              ;   in Loop: Header=BB99_20 Depth=1
	s_mul_u64 s[8:9], s[42:43], s[44:45]
	v_dual_mov_b32 v6, 0 :: v_dual_mov_b32 v7, 0
	s_wait_alu 0xfffe
	s_mul_i32 s7, s9, s52
	v_dual_mov_b32 v8, 0 :: v_dual_mov_b32 v9, 0
	s_wait_alu 0xfffe
	s_sub_co_i32 s7, s42, s7
	s_mov_b32 s75, exec_lo
	s_wait_alu 0xfffe
	s_sub_co_i32 s8, s7, s52
	s_cmp_ge_u32 s7, s52
	s_wait_alu 0xfffe
	s_cselect_b32 s7, s8, s7
	s_wait_alu 0xfffe
	s_sub_co_i32 s8, s7, s52
	s_cmp_ge_u32 s7, s52
	s_wait_alu 0xfffe
	s_cselect_b32 s7, s8, s7
	s_wait_alu 0xfffe
	s_sub_co_i32 s74, s42, s7
	s_wait_alu 0xfffe
	v_cmpx_gt_u32_e64 s74, v27
	s_cbranch_execz .LBB99_72
; %bb.69:                               ;   in Loop: Header=BB99_20 Depth=1
	v_dual_mov_b32 v2, v37 :: v_dual_mov_b32 v3, v27
	s_mov_b32 s76, 0
	s_mov_b32 s77, 0
	;; [unrolled: 1-line block ×5, first 2 shown]
.LBB99_70:                              ;   Parent Loop BB99_20 Depth=1
                                        ; =>  This Inner Loop Header: Depth=2
	ds_load_b128 v[6:9], v2
	ds_load_b128 v[22:25], v2 offset:16
	v_mov_b32_e32 v44, v12
	v_dual_mov_b32 v46, v12 :: v_dual_add_nc_u32 v3, s52, v3
	v_mov_b32_e32 v42, v12
	s_delay_alu instid0(VALU_DEP_2)
	v_cmp_le_u32_e32 vcc_lo, s74, v3
	s_wait_dscnt 0x1
	v_xor_b32_e32 v7, 0x80000000, v7
	v_xor_b32_e32 v9, 0x80000000, v9
	s_wait_dscnt 0x0
	v_xor_b32_e32 v23, 0x80000000, v23
	v_and_b32_e32 v47, v6, v20
	v_xor_b32_e32 v25, 0x80000000, v25
	v_and_b32_e32 v48, v7, v21
	v_lshrrev_b64 v[6:7], s73, v[6:7]
	v_and_b32_e32 v49, v8, v20
	v_lshrrev_b64 v[7:8], s73, v[8:9]
	;; [unrolled: 2-line block ×3, first 2 shown]
	v_and_b32_e32 v51, v22, v20
	v_and_b32_e32 v52, v23, v21
	v_lshrrev_b64 v[22:23], s73, v[24:25]
	v_and_b32_e32 v11, 3, v6
	v_and_b32_e32 v41, 3, v7
	;; [unrolled: 1-line block ×3, first 2 shown]
	v_cmp_eq_u64_e64 s7, v[47:48], v[18:19]
	v_and_b32_e32 v53, v24, v20
	v_cmp_eq_u64_e64 s11, 0, v[11:12]
	v_and_b32_e32 v54, v25, v21
	v_and_b32_e32 v45, 3, v22
	v_cmp_eq_u64_e64 s8, v[49:50], v[18:19]
	v_cmp_eq_u64_e64 s12, 0, v[41:42]
	;; [unrolled: 1-line block ×6, first 2 shown]
	s_and_b32 s11, s7, s11
	v_cmp_eq_u64_e64 s15, 1, v[11:12]
	s_wait_alu 0xfffe
	v_cndmask_b32_e64 v6, 0, 1, s11
	s_and_b32 s11, s8, s12
	v_cmp_eq_u64_e64 s16, 1, v[41:42]
	s_wait_alu 0xfffe
	v_cndmask_b32_e64 v7, 0, 1, s11
	;; [unrolled: 4-line block ×4, first 2 shown]
	s_and_b32 s11, s7, s15
	v_cmp_eq_u64_e64 s19, 2, v[11:12]
	v_cmp_eq_u64_e64 s23, 3, v[11:12]
	s_wait_alu 0xfffe
	v_cndmask_b32_e64 v11, 0, 1, s11
	s_and_b32 s11, s8, s16
	v_cmp_eq_u64_e64 s20, 2, v[41:42]
	v_cmp_eq_u64_e64 s24, 3, v[41:42]
	s_wait_alu 0xfffe
	v_cndmask_b32_e64 v22, 0, 1, s11
	;; [unrolled: 5-line block ×4, first 2 shown]
	s_and_b32 s11, s7, s19
	s_and_b32 s7, s7, s23
	s_wait_alu 0xfffe
	v_cndmask_b32_e64 v25, 0, 1, s11
	s_and_b32 s11, s8, s20
	v_cndmask_b32_e64 v44, 0, 1, s7
	s_and_b32 s7, s8, s24
	s_wait_alu 0xfffe
	v_cndmask_b32_e64 v41, 0, 1, s11
	s_and_b32 s11, s9, s21
	v_cndmask_b32_e64 v45, 0, 1, s7
	;; [unrolled: 5-line block ×3, first 2 shown]
	s_and_b32 s7, s10, s26
	s_wait_alu 0xfffe
	v_cndmask_b32_e64 v43, 0, 1, s11
	v_cndmask_b32_e64 v47, 0, 1, s7
	v_cmp_ne_u32_e64 s7, 0, v6
	v_cmp_ne_u32_e64 s11, 0, v11
	;; [unrolled: 1-line block ×12, first 2 shown]
	s_bcnt1_i32_b32 s7, s7
	s_bcnt1_i32_b32 s11, s11
	;; [unrolled: 1-line block ×4, first 2 shown]
	v_cmp_ne_u32_e64 s10, 0, v9
	v_cmp_ne_u32_e64 s14, 0, v24
	;; [unrolled: 1-line block ×4, first 2 shown]
	s_bcnt1_i32_b32 s8, s8
	s_bcnt1_i32_b32 s12, s12
	s_bcnt1_i32_b32 s16, s16
	s_bcnt1_i32_b32 s20, s20
	s_wait_alu 0xfffe
	s_add_co_i32 s7, s7, s80
	s_add_co_i32 s11, s11, s79
	s_add_co_i32 s15, s15, s78
	s_add_co_i32 s19, s19, s77
	s_bcnt1_i32_b32 s9, s9
	s_bcnt1_i32_b32 s13, s13
	s_bcnt1_i32_b32 s17, s17
	s_bcnt1_i32_b32 s21, s21
	s_wait_alu 0xfffe
	s_add_co_i32 s7, s7, s8
	s_add_co_i32 s8, s11, s12
	s_add_co_i32 s11, s15, s16
	s_add_co_i32 s12, s19, s20
	;; [unrolled: 9-line block ×3, first 2 shown]
	s_wait_alu 0xfffe
	s_add_co_i32 s80, s7, s10
	s_add_co_i32 s79, s8, s14
	;; [unrolled: 1-line block ×4, first 2 shown]
	s_wait_alu 0xfffe
	v_dual_mov_b32 v7, s79 :: v_dual_add_nc_u32 v2, s64, v2
	v_mov_b32_e32 v6, s80
	v_dual_mov_b32 v8, s78 :: v_dual_mov_b32 v9, s77
	s_or_b32 s76, vcc_lo, s76
	s_wait_alu 0xfffe
	s_and_not1_b32 exec_lo, exec_lo, s76
	s_cbranch_execnz .LBB99_70
; %bb.71:                               ;   in Loop: Header=BB99_20 Depth=1
	s_or_b32 exec_lo, exec_lo, s76
.LBB99_72:                              ;   in Loop: Header=BB99_20 Depth=1
	s_delay_alu instid0(SALU_CYCLE_1) | instskip(SKIP_2) | instid1(VALU_DEP_1)
	s_or_b32 exec_lo, exec_lo, s75
	v_add_nc_u32_e32 v2, s74, v0
	s_mov_b32 s12, exec_lo
	v_cmpx_gt_u32_e64 s42, v2
	s_cbranch_execz .LBB99_76
; %bb.73:                               ;   in Loop: Header=BB99_20 Depth=1
	v_lshlrev_b32_e32 v3, 3, v2
	s_mov_b32 s13, 0
.LBB99_74:                              ;   Parent Loop BB99_20 Depth=1
                                        ; =>  This Inner Loop Header: Depth=2
	ds_load_b64 v[22:23], v3
	v_add_nc_u32_e32 v2, s29, v2
	v_add_nc_u32_e32 v3, s65, v3
	s_delay_alu instid0(VALU_DEP_2) | instskip(SKIP_3) | instid1(VALU_DEP_2)
	v_cmp_le_u32_e32 vcc_lo, s42, v2
	s_wait_dscnt 0x0
	v_xor_b32_e32 v23, 0x80000000, v23
	v_and_b32_e32 v24, v22, v20
	v_and_b32_e32 v25, v23, v21
	v_lshrrev_b64 v[22:23], s73, v[22:23]
	s_delay_alu instid0(VALU_DEP_2) | instskip(NEXT) | instid1(VALU_DEP_2)
	v_cmp_eq_u64_e64 s7, v[24:25], v[18:19]
	v_and_b32_e32 v11, 3, v22
	s_delay_alu instid0(VALU_DEP_1)
	v_cmp_eq_u64_e64 s8, 0, v[11:12]
	v_cmp_eq_u64_e64 s9, 1, v[11:12]
	v_cmp_eq_u64_e64 s10, 2, v[11:12]
	v_cmp_eq_u64_e64 s11, 3, v[11:12]
	s_and_b32 s8, s7, s8
	s_wait_alu 0xfffe
	v_cndmask_b32_e64 v11, 0, 1, s8
	s_and_b32 s8, s7, s9
	s_wait_alu 0xfffe
	v_cndmask_b32_e64 v22, 0, 1, s8
	s_and_b32 s8, s7, s10
	s_and_b32 s7, s7, s11
	s_wait_alu 0xfffe
	v_cndmask_b32_e64 v23, 0, 1, s8
	v_cndmask_b32_e64 v24, 0, 1, s7
	v_cmp_ne_u32_e64 s7, 0, v11
	v_cmp_ne_u32_e64 s8, 0, v22
	s_delay_alu instid0(VALU_DEP_4) | instskip(NEXT) | instid1(VALU_DEP_4)
	v_cmp_ne_u32_e64 s9, 0, v23
	v_cmp_ne_u32_e64 s10, 0, v24
	s_bcnt1_i32_b32 s7, s7
	s_bcnt1_i32_b32 s8, s8
	s_wait_alu 0xfffe
	v_add_nc_u32_e32 v6, s7, v6
	s_bcnt1_i32_b32 s9, s9
	s_bcnt1_i32_b32 s10, s10
	v_add_nc_u32_e32 v7, s8, v7
	s_wait_alu 0xfffe
	v_add_nc_u32_e32 v8, s9, v8
	v_add_nc_u32_e32 v9, s10, v9
	s_or_b32 s13, vcc_lo, s13
	s_wait_alu 0xfffe
	s_and_not1_b32 exec_lo, exec_lo, s13
	s_cbranch_execnz .LBB99_74
; %bb.75:                               ;   in Loop: Header=BB99_20 Depth=1
	s_or_b32 exec_lo, exec_lo, s13
.LBB99_76:                              ;   in Loop: Header=BB99_20 Depth=1
	s_wait_alu 0xfffe
	s_or_b32 exec_lo, exec_lo, s12
	v_lshlrev_b32_e32 v2, 7, v39
	s_and_saveexec_b32 s7, s3
	s_cbranch_execnz .LBB99_50
	s_branch .LBB99_51
.LBB99_77:                              ;   in Loop: Header=BB99_20 Depth=1
	v_mov_b32_e32 v3, 0
	s_mov_b32 s8, 0
	s_and_not1_b32 vcc_lo, exec_lo, s60
	s_wait_alu 0xfffe
	s_cbranch_vccnz .LBB99_80
.LBB99_78:                              ;   in Loop: Header=BB99_20 Depth=1
	v_lshlrev_b32_e32 v6, 9, v39
	s_lshl_b32 s8, s8, 4
	s_wait_alu 0xfffe
	s_delay_alu instid0(VALU_DEP_1)
	v_add3_u32 v6, v6, s8, v38
	s_mov_b32 s8, s57
.LBB99_79:                              ;   Parent Loop BB99_20 Depth=1
                                        ; =>  This Inner Loop Header: Depth=2
	ds_load_b32 v7, v6
	v_add_nc_u32_e32 v6, 16, v6
	s_wait_alu 0xfffe
	s_add_co_i32 s8, s8, -1
	s_wait_alu 0xfffe
	s_cmp_lg_u32 s8, 0
	s_wait_dscnt 0x0
	v_add_nc_u32_e32 v3, v7, v3
	s_cbranch_scc1 .LBB99_79
.LBB99_80:                              ;   in Loop: Header=BB99_20 Depth=1
	v_add_lshl_u32 v6, v2, v26, 2
	ds_store_b32 v6, v3 offset:3072
.LBB99_81:                              ;   in Loop: Header=BB99_20 Depth=1
	s_wait_alu 0xfffe
	s_or_b32 exec_lo, exec_lo, s7
	v_lshlrev_b32_e32 v2, 2, v2
	s_wait_loadcnt_dscnt 0x0
	s_barrier_signal -1
	s_barrier_wait -1
	global_inv scope:SCOPE_SE
	ds_load_b128 v[6:9], v2 offset:3072
	s_lshl_b64 s[8:9], 3, s73
	v_cmp_eq_u32_e32 vcc_lo, 1, v40
	s_wait_alu 0xfffe
	s_not_b64 s[10:11], s[8:9]
	s_mov_b32 s14, -1
	s_mov_b32 s21, -1
                                        ; implicit-def: $sgpr18
                                        ; implicit-def: $sgpr16
	s_wait_dscnt 0x0
	v_readfirstlane_b32 s13, v6
	v_readfirstlane_b32 s19, v7
	;; [unrolled: 1-line block ×4, first 2 shown]
	s_cmp_eq_u32 s13, 1
	s_cselect_b32 s12, -1, 0
	s_wait_alu 0xfffe
	s_and_b32 s15, s12, vcc_lo
	s_wait_alu 0xfffe
	s_and_saveexec_b32 s12, s15
	s_cbranch_execz .LBB99_107
; %bb.82:                               ;   in Loop: Header=BB99_20 Depth=1
	ds_load_b32 v2, v12 offset:4104
	s_wait_loadcnt_dscnt 0x0
	s_barrier_signal -1
	s_barrier_wait -1
	global_inv scope:SCOPE_SE
	v_readfirstlane_b32 s21, v2
	s_and_saveexec_b32 s16, s1
; %bb.83:                               ;   in Loop: Header=BB99_20 Depth=1
	v_mov_b32_e32 v11, v12
	ds_store_b64 v29, v[11:12]
; %bb.84:                               ;   in Loop: Header=BB99_20 Depth=1
	s_wait_alu 0xfffe
	s_or_b32 exec_lo, exec_lo, s16
	v_and_b32_e32 v19, s11, v19
	v_and_b32_e32 v18, s10, v18
	v_or_b32_e32 v21, s9, v21
	v_or_b32_e32 v20, s8, v20
	s_mov_b32 s16, -1
	s_mov_b32 s18, 0
	s_cmp_eq_u32 s21, 0
	s_mov_b32 s20, 0
	s_mov_b32 s22, -1
	s_wait_loadcnt_dscnt 0x0
	s_barrier_signal -1
	s_barrier_wait -1
	global_inv scope:SCOPE_SE
                                        ; implicit-def: $vgpr4_vgpr5
	s_cbranch_scc1 .LBB99_95
; %bb.85:                               ;   in Loop: Header=BB99_20 Depth=1
	s_add_co_i32 s42, s21, s53
                                        ; implicit-def: $vgpr4_vgpr5
	s_wait_alu 0xfffe
	s_mul_u64 s[22:23], s[42:43], s[46:47]
	s_wait_alu 0xfffe
	s_mul_i32 s20, s23, s29
	s_mov_b32 s23, exec_lo
	s_wait_alu 0xfffe
	s_sub_co_i32 s20, s42, s20
	s_wait_alu 0xfffe
	s_sub_co_i32 s22, s20, s29
	s_cmp_ge_u32 s20, s29
	s_wait_alu 0xfffe
	s_cselect_b32 s20, s22, s20
	s_wait_alu 0xfffe
	s_sub_co_i32 s22, s20, s29
	s_cmp_ge_u32 s20, s29
	s_wait_alu 0xfffe
	s_cselect_b32 s20, s22, s20
	s_mov_b32 s22, 0
	s_wait_alu 0xfffe
	s_sub_co_i32 s24, s42, s20
	s_mov_b32 s20, 0
	s_wait_alu 0xfffe
	v_cmpx_gt_u32_e64 s24, v0
	s_cbranch_execz .LBB99_94
; %bb.86:                               ;   in Loop: Header=BB99_20 Depth=1
	v_dual_mov_b32 v6, v28 :: v_dual_mov_b32 v7, v0
                                        ; implicit-def: $sgpr25
	s_branch .LBB99_89
.LBB99_87:                              ;   in Loop: Header=BB99_89 Depth=2
	s_wait_alu 0xfffe
	s_or_b32 exec_lo, exec_lo, s26
	s_wait_loadcnt_dscnt 0x0
	s_barrier_signal -1
	s_barrier_wait -1
	global_inv scope:SCOPE_SE
	ds_load_b128 v[2:5], v12 offset:3072
	s_mov_b32 s26, -1
	s_mov_b32 s42, -1
	s_wait_loadcnt_dscnt 0x0
	s_barrier_signal -1
	s_barrier_wait -1
	global_inv scope:SCOPE_SE
	v_cmp_ne_u64_e32 vcc_lo, 0, v[2:3]
	s_cbranch_vccz .LBB99_92
.LBB99_88:                              ;   in Loop: Header=BB99_89 Depth=2
	s_wait_alu 0xfffe
	s_and_b32 s26, exec_lo, s26
	s_wait_alu 0xfffe
	s_or_b32 s20, s26, s20
	s_and_not1_b32 s25, s25, exec_lo
	s_and_b32 s26, s42, exec_lo
	s_wait_alu 0xfffe
	s_or_b32 s25, s25, s26
	s_and_not1_b32 exec_lo, exec_lo, s20
	s_cbranch_execz .LBB99_93
.LBB99_89:                              ;   Parent Loop BB99_20 Depth=1
                                        ; =>  This Inner Loop Header: Depth=2
	s_mov_b32 s26, exec_lo
	s_delay_alu instid0(VALU_DEP_1)
	v_cmpx_gt_u32_e64 s21, v7
	s_cbranch_execz .LBB99_87
; %bb.90:                               ;   in Loop: Header=BB99_89 Depth=2
	ds_load_b64 v[3:4], v6
	s_wait_dscnt 0x0
	v_xor_b32_e32 v2, 0x80000000, v4
	v_and_b32_e32 v8, v3, v20
	s_delay_alu instid0(VALU_DEP_2) | instskip(NEXT) | instid1(VALU_DEP_1)
	v_and_b32_e32 v9, v2, v21
	v_cmp_eq_u64_e32 vcc_lo, v[8:9], v[18:19]
	s_and_b32 exec_lo, exec_lo, vcc_lo
	s_cbranch_execz .LBB99_87
; %bb.91:                               ;   in Loop: Header=BB99_89 Depth=2
	v_mov_b32_e32 v2, v12
	ds_store_b128 v12, v[1:4] offset:3072
	s_branch .LBB99_87
.LBB99_92:                              ;   in Loop: Header=BB99_89 Depth=2
	v_add_nc_u32_e32 v7, s29, v7
	v_add_nc_u32_e32 v6, s65, v6
	s_mov_b32 s42, 0
	s_delay_alu instid0(VALU_DEP_2)
	v_cmp_le_u32_e32 vcc_lo, s24, v7
	s_or_not1_b32 s26, vcc_lo, exec_lo
	s_branch .LBB99_88
.LBB99_93:                              ;   in Loop: Header=BB99_20 Depth=1
	s_or_b32 exec_lo, exec_lo, s20
	s_wait_alu 0xfffe
	s_and_b32 s20, s25, exec_lo
.LBB99_94:                              ;   in Loop: Header=BB99_20 Depth=1
	s_or_b32 exec_lo, exec_lo, s23
.LBB99_95:                              ;   in Loop: Header=BB99_20 Depth=1
	s_wait_alu 0xfffe
	s_and_b32 vcc_lo, exec_lo, s22
	s_wait_alu 0xfffe
	s_cbranch_vccz .LBB99_106
; %bb.96:                               ;   in Loop: Header=BB99_20 Depth=1
                                        ; implicit-def: $vgpr4_vgpr5
	s_and_saveexec_b32 s16, s6
	s_cbranch_execz .LBB99_105
; %bb.97:                               ;   in Loop: Header=BB99_20 Depth=1
	v_dual_mov_b32 v11, v10 :: v_dual_mov_b32 v6, v0
	s_mov_b32 s21, 0
                                        ; implicit-def: $sgpr18
	s_branch .LBB99_100
.LBB99_98:                              ;   in Loop: Header=BB99_100 Depth=2
	s_wait_alu 0xfffe
	s_or_b32 exec_lo, exec_lo, s22
	s_wait_loadcnt_dscnt 0x0
	s_barrier_signal -1
	s_barrier_wait -1
	global_inv scope:SCOPE_SE
	ds_load_b128 v[2:5], v12 offset:3072
	s_mov_b32 s22, -1
	s_mov_b32 s23, -1
	s_wait_loadcnt_dscnt 0x0
	s_barrier_signal -1
	s_barrier_wait -1
	global_inv scope:SCOPE_SE
	v_cmp_ne_u64_e32 vcc_lo, 0, v[2:3]
	s_cbranch_vccz .LBB99_103
.LBB99_99:                              ;   in Loop: Header=BB99_100 Depth=2
	s_wait_alu 0xfffe
	s_and_b32 s22, exec_lo, s22
	s_wait_alu 0xfffe
	s_or_b32 s21, s22, s21
	s_and_not1_b32 s18, s18, exec_lo
	s_and_b32 s22, s23, exec_lo
	s_wait_alu 0xfffe
	s_or_b32 s18, s18, s22
	s_and_not1_b32 exec_lo, exec_lo, s21
	s_cbranch_execz .LBB99_104
.LBB99_100:                             ;   Parent Loop BB99_20 Depth=1
                                        ; =>  This Inner Loop Header: Depth=2
	s_mov_b32 s22, exec_lo
	s_delay_alu instid0(VALU_DEP_1)
	v_cmpx_gt_u32_e64 s28, v6
	s_cbranch_execz .LBB99_98
; %bb.101:                              ;   in Loop: Header=BB99_100 Depth=2
	v_lshlrev_b64_e32 v[2:3], 3, v[11:12]
	s_delay_alu instid0(VALU_DEP_1) | instskip(SKIP_1) | instid1(VALU_DEP_2)
	v_add_co_u32 v2, vcc_lo, s40, v2
	s_wait_alu 0xfffd
	v_add_co_ci_u32_e64 v3, null, s41, v3, vcc_lo
	global_load_b64 v[3:4], v[2:3], off
	s_wait_loadcnt 0x0
	v_xor_b32_e32 v2, 0x80000000, v4
	v_and_b32_e32 v7, v3, v20
	s_delay_alu instid0(VALU_DEP_2) | instskip(NEXT) | instid1(VALU_DEP_1)
	v_and_b32_e32 v8, v2, v21
	v_cmp_eq_u64_e32 vcc_lo, v[7:8], v[18:19]
	s_and_b32 exec_lo, exec_lo, vcc_lo
	s_cbranch_execz .LBB99_98
; %bb.102:                              ;   in Loop: Header=BB99_100 Depth=2
	v_mov_b32_e32 v2, v12
	ds_store_b128 v12, v[1:4] offset:3072
	s_branch .LBB99_98
.LBB99_103:                             ;   in Loop: Header=BB99_100 Depth=2
	v_add_nc_u32_e32 v6, s29, v6
	v_add_nc_u32_e32 v11, s54, v11
	s_mov_b32 s23, 0
	s_delay_alu instid0(VALU_DEP_2)
	v_cmp_le_u32_e32 vcc_lo, s62, v6
	s_or_not1_b32 s22, vcc_lo, exec_lo
	s_branch .LBB99_99
.LBB99_104:                             ;   in Loop: Header=BB99_20 Depth=1
	s_or_b32 exec_lo, exec_lo, s21
	s_delay_alu instid0(SALU_CYCLE_1)
	s_and_not1_b32 s20, s20, exec_lo
	s_wait_alu 0xfffe
	s_and_b32 s18, s18, exec_lo
	s_wait_alu 0xfffe
	s_or_b32 s20, s20, s18
.LBB99_105:                             ;   in Loop: Header=BB99_20 Depth=1
	s_wait_alu 0xfffe
	s_or_b32 exec_lo, exec_lo, s16
	s_mov_b32 s16, 0
	s_mov_b32 s18, -1
.LBB99_106:                             ;   in Loop: Header=BB99_20 Depth=1
	s_or_not1_b32 s21, s20, exec_lo
.LBB99_107:                             ;   in Loop: Header=BB99_20 Depth=1
	s_wait_alu 0xfffe
	s_or_b32 exec_lo, exec_lo, s12
	v_readfirstlane_b32 s20, v0
	s_and_not1_b32 s12, s71, exec_lo
	s_and_b32 s18, s18, exec_lo
	s_and_not1_b32 s22, s69, exec_lo
	s_and_b32 s16, s16, exec_lo
	s_and_not1_b32 s68, s68, exec_lo
	s_wait_alu 0xfffe
	s_or_b32 s71, s12, s18
	s_or_b32 s69, s22, s16
                                        ; implicit-def: $vgpr7
	s_and_saveexec_b32 s12, s21
	s_cbranch_execz .LBB99_19
; %bb.108:                              ;   in Loop: Header=BB99_20 Depth=1
	v_dual_mov_b32 v7, 1 :: v_dual_mov_b32 v6, 1
	s_xor_b32 s15, s15, -1
	s_mov_b32 s20, 0
	s_wait_alu 0xfffe
	s_and_saveexec_b32 s14, s15
	s_cbranch_execz .LBB99_117
; %bb.109:                              ;   in Loop: Header=BB99_20 Depth=1
	s_mov_b32 s15, exec_lo
	v_cmpx_ge_u32_e64 s13, v40
	s_wait_alu 0xfffe
	s_xor_b32 s15, exec_lo, s15
	s_cbranch_execz .LBB99_114
; %bb.110:                              ;   in Loop: Header=BB99_20 Depth=1
	ds_load_b32 v2, v12 offset:4104
	v_and_b32_e32 v19, s11, v19
	v_and_b32_e32 v18, s10, v18
	v_or_b32_e32 v21, s9, v21
	v_or_b32_e32 v20, s8, v20
	s_wait_dscnt 0x0
	v_cmp_ne_u32_e32 vcc_lo, 0, v2
	s_cbranch_vccnz .LBB99_114
; %bb.111:                              ;   in Loop: Header=BB99_20 Depth=1
	s_and_saveexec_b32 s16, s2
; %bb.112:                              ;   in Loop: Header=BB99_20 Depth=1
	v_mov_b32_e32 v2, s13
	ds_store_b32 v12, v2 offset:4108
; %bb.113:                              ;   in Loop: Header=BB99_20 Depth=1
	s_wait_alu 0xfffe
	s_or_b32 exec_lo, exec_lo, s16
	s_wait_loadcnt_dscnt 0x0
	s_barrier_signal -1
	s_barrier_wait -1
	global_inv scope:SCOPE_SE
.LBB99_114:                             ;   in Loop: Header=BB99_20 Depth=1
	s_wait_alu 0xfffe
	s_or_saveexec_b32 s15, s15
	v_mov_b32_e32 v6, 8
	s_mov_b32 s16, 0
	s_wait_alu 0xfffe
	s_xor_b32 exec_lo, exec_lo, s15
; %bb.115:                              ;   in Loop: Header=BB99_20 Depth=1
	v_subrev_nc_u32_e32 v40, s13, v40
	v_mov_b32_e32 v6, 0
	s_mov_b32 s16, exec_lo
; %bb.116:                              ;   in Loop: Header=BB99_20 Depth=1
	s_or_b32 exec_lo, exec_lo, s15
	s_delay_alu instid0(VALU_DEP_2)
	v_mov_b32_e32 v7, v40
	s_wait_alu 0xfffe
	s_and_b32 s20, s16, exec_lo
.LBB99_117:                             ;   in Loop: Header=BB99_20 Depth=1
	s_wait_alu 0xfffe
	s_or_b32 exec_lo, exec_lo, s14
	s_mov_b32 s13, -1
	s_mov_b32 s18, -1
                                        ; implicit-def: $sgpr15
                                        ; implicit-def: $sgpr16
	s_and_saveexec_b32 s14, s20
	s_wait_alu 0xfffe
	s_xor_b32 s14, exec_lo, s14
	s_cbranch_execz .LBB99_237
; %bb.118:                              ;   in Loop: Header=BB99_20 Depth=1
	v_cmp_eq_u32_e32 vcc_lo, 1, v7
	s_cmp_eq_u32 s19, 1
	s_mov_b32 s21, -1
	s_cselect_b32 s15, -1, 0
                                        ; implicit-def: $sgpr16
	s_wait_alu 0xfffe
	s_and_b32 s20, s15, vcc_lo
                                        ; implicit-def: $sgpr15
	s_wait_alu 0xfffe
	s_and_saveexec_b32 s18, s20
	s_cbranch_execz .LBB99_147
; %bb.119:                              ;   in Loop: Header=BB99_20 Depth=1
	ds_load_b32 v2, v12 offset:4104
	s_wait_loadcnt_dscnt 0x0
	s_barrier_signal -1
	s_barrier_wait -1
	global_inv scope:SCOPE_SE
	v_readfirstlane_b32 s22, v2
	s_and_saveexec_b32 s15, s1
; %bb.120:                              ;   in Loop: Header=BB99_20 Depth=1
	v_mov_b32_e32 v11, v12
	ds_store_b64 v29, v[11:12]
; %bb.121:                              ;   in Loop: Header=BB99_20 Depth=1
	s_wait_alu 0xfffe
	s_or_b32 exec_lo, exec_lo, s15
	v_and_b32_e32 v2, s11, v19
	v_and_b32_e32 v3, s10, v18
	s_lshl_b64 s[24:25], 1, s73
	v_or_b32_e32 v21, s9, v21
	v_or_b32_e32 v20, s8, v20
	s_wait_alu 0xfffe
	v_or_b32_e32 v19, s25, v2
	v_or_b32_e32 v18, s24, v3
	s_mov_b32 s15, -1
	s_mov_b32 s16, 0
	s_cmp_eq_u32 s22, 0
	s_mov_b32 s21, 0
	s_mov_b32 s23, -1
	s_wait_loadcnt_dscnt 0x0
	s_barrier_signal -1
	s_barrier_wait -1
	global_inv scope:SCOPE_SE
                                        ; implicit-def: $vgpr4_vgpr5
	s_cbranch_scc1 .LBB99_135
; %bb.122:                              ;   in Loop: Header=BB99_20 Depth=1
	s_add_co_i32 s42, s22, s53
                                        ; implicit-def: $vgpr4_vgpr5
	s_wait_alu 0xfffe
	s_mul_u64 s[24:25], s[42:43], s[46:47]
	s_mov_b32 s24, exec_lo
	s_wait_alu 0xfffe
	s_mul_i32 s21, s25, s29
	s_wait_alu 0xfffe
	s_sub_co_i32 s21, s42, s21
	s_wait_alu 0xfffe
	s_sub_co_i32 s23, s21, s29
	s_cmp_ge_u32 s21, s29
	s_wait_alu 0xfffe
	s_cselect_b32 s21, s23, s21
	s_wait_alu 0xfffe
	s_sub_co_i32 s23, s21, s29
	s_cmp_ge_u32 s21, s29
	s_wait_alu 0xfffe
	s_cselect_b32 s21, s23, s21
	s_mov_b32 s23, 0
	s_wait_alu 0xfffe
	s_sub_co_i32 s25, s42, s21
	s_mov_b32 s21, 0
	s_wait_alu 0xfffe
	v_cmpx_gt_u32_e64 s25, v0
	s_cbranch_execz .LBB99_134
; %bb.123:                              ;   in Loop: Header=BB99_20 Depth=1
	v_dual_mov_b32 v8, v28 :: v_dual_mov_b32 v9, v0
                                        ; implicit-def: $sgpr26
	s_branch .LBB99_126
.LBB99_124:                             ;   in Loop: Header=BB99_126 Depth=2
	s_wait_alu 0xfffe
	s_or_b32 exec_lo, exec_lo, s42
	s_wait_loadcnt_dscnt 0x0
	s_barrier_signal -1
	s_barrier_wait -1
	global_inv scope:SCOPE_SE
	ds_load_b128 v[2:5], v12 offset:3072
	s_mov_b32 s42, -1
	s_mov_b32 s74, -1
	s_wait_loadcnt_dscnt 0x0
	s_barrier_signal -1
	s_barrier_wait -1
	global_inv scope:SCOPE_SE
	v_cmp_ne_u64_e32 vcc_lo, 0, v[2:3]
	s_cbranch_vccz .LBB99_129
.LBB99_125:                             ;   in Loop: Header=BB99_126 Depth=2
	s_wait_alu 0xfffe
	s_and_b32 s42, exec_lo, s42
	s_wait_alu 0xfffe
	s_or_b32 s21, s42, s21
	s_and_not1_b32 s26, s26, exec_lo
	s_and_b32 s42, s74, exec_lo
	s_wait_alu 0xfffe
	s_or_b32 s26, s26, s42
	s_and_not1_b32 exec_lo, exec_lo, s21
	s_cbranch_execz .LBB99_133
.LBB99_126:                             ;   Parent Loop BB99_20 Depth=1
                                        ; =>  This Inner Loop Header: Depth=2
	s_mov_b32 s42, exec_lo
	s_delay_alu instid0(VALU_DEP_1)
	v_cmpx_gt_u32_e64 s22, v9
	s_cbranch_execz .LBB99_124
; %bb.127:                              ;   in Loop: Header=BB99_126 Depth=2
	ds_load_b64 v[3:4], v8
	s_wait_dscnt 0x0
	v_xor_b32_e32 v2, 0x80000000, v4
	v_and_b32_e32 v22, v3, v20
	s_delay_alu instid0(VALU_DEP_2) | instskip(NEXT) | instid1(VALU_DEP_1)
	v_and_b32_e32 v23, v2, v21
	v_cmp_eq_u64_e32 vcc_lo, v[22:23], v[18:19]
	s_and_b32 exec_lo, exec_lo, vcc_lo
	s_cbranch_execz .LBB99_124
; %bb.128:                              ;   in Loop: Header=BB99_126 Depth=2
	v_mov_b32_e32 v2, v12
	ds_store_b128 v12, v[1:4] offset:3072
	s_branch .LBB99_124
.LBB99_129:                             ;   in Loop: Header=BB99_126 Depth=2
	v_add_nc_u32_e32 v9, s29, v9
	v_add_nc_u32_e32 v8, s65, v8
	s_mov_b32 s74, 0
	s_delay_alu instid0(VALU_DEP_2)
	v_cmp_le_u32_e32 vcc_lo, s25, v9
	s_or_not1_b32 s42, vcc_lo, exec_lo
	s_branch .LBB99_125
.LBB99_130:                             ;   in Loop: Header=BB99_20 Depth=1
	s_wait_alu 0xfffe
	s_or_b32 exec_lo, exec_lo, s10
	s_wait_loadcnt_dscnt 0x0
	s_barrier_signal -1
	s_barrier_wait -1
	global_inv scope:SCOPE_SE
	s_and_saveexec_b32 s7, s2
	s_cbranch_execz .LBB99_132
; %bb.131:                              ;   in Loop: Header=BB99_20 Depth=1
	ds_load_b32 v2, v12 offset:4112
	s_wait_dscnt 0x0
	ds_store_b32 v12, v2 offset:4104
.LBB99_132:                             ;   in Loop: Header=BB99_20 Depth=1
	s_wait_alu 0xfffe
	s_or_b32 exec_lo, exec_lo, s7
	s_wait_loadcnt_dscnt 0x0
	s_barrier_signal -1
	s_mov_b32 s7, -1
	s_barrier_wait -1
	s_and_b32 vcc_lo, exec_lo, s9
	s_wait_alu 0xfffe
	s_cbranch_vccnz .LBB99_36
	s_branch .LBB99_45
.LBB99_133:                             ;   in Loop: Header=BB99_20 Depth=1
	s_or_b32 exec_lo, exec_lo, s21
	s_wait_alu 0xfffe
	s_and_b32 s21, s26, exec_lo
.LBB99_134:                             ;   in Loop: Header=BB99_20 Depth=1
	s_or_b32 exec_lo, exec_lo, s24
.LBB99_135:                             ;   in Loop: Header=BB99_20 Depth=1
	s_wait_alu 0xfffe
	s_and_b32 vcc_lo, exec_lo, s23
	s_wait_alu 0xfffe
	s_cbranch_vccz .LBB99_146
; %bb.136:                              ;   in Loop: Header=BB99_20 Depth=1
                                        ; implicit-def: $vgpr4_vgpr5
	s_and_saveexec_b32 s15, s6
	s_cbranch_execz .LBB99_145
; %bb.137:                              ;   in Loop: Header=BB99_20 Depth=1
	v_dual_mov_b32 v11, v10 :: v_dual_mov_b32 v8, v0
	s_mov_b32 s16, 0
                                        ; implicit-def: $sgpr22
	s_branch .LBB99_140
.LBB99_138:                             ;   in Loop: Header=BB99_140 Depth=2
	s_wait_alu 0xfffe
	s_or_b32 exec_lo, exec_lo, s23
	s_wait_loadcnt_dscnt 0x0
	s_barrier_signal -1
	s_barrier_wait -1
	global_inv scope:SCOPE_SE
	ds_load_b128 v[2:5], v12 offset:3072
	s_mov_b32 s23, -1
	s_mov_b32 s24, -1
	s_wait_loadcnt_dscnt 0x0
	s_barrier_signal -1
	s_barrier_wait -1
	global_inv scope:SCOPE_SE
	v_cmp_eq_u64_e32 vcc_lo, 0, v[2:3]
	s_cbranch_vccnz .LBB99_143
.LBB99_139:                             ;   in Loop: Header=BB99_140 Depth=2
	s_wait_alu 0xfffe
	s_and_b32 s23, exec_lo, s23
	s_wait_alu 0xfffe
	s_or_b32 s16, s23, s16
	s_and_not1_b32 s22, s22, exec_lo
	s_and_b32 s23, s24, exec_lo
	s_wait_alu 0xfffe
	s_or_b32 s22, s22, s23
	s_and_not1_b32 exec_lo, exec_lo, s16
	s_cbranch_execz .LBB99_144
.LBB99_140:                             ;   Parent Loop BB99_20 Depth=1
                                        ; =>  This Inner Loop Header: Depth=2
	s_mov_b32 s23, exec_lo
	s_delay_alu instid0(VALU_DEP_1)
	v_cmpx_gt_u32_e64 s28, v8
	s_cbranch_execz .LBB99_138
; %bb.141:                              ;   in Loop: Header=BB99_140 Depth=2
	v_lshlrev_b64_e32 v[2:3], 3, v[11:12]
	s_delay_alu instid0(VALU_DEP_1) | instskip(SKIP_1) | instid1(VALU_DEP_2)
	v_add_co_u32 v2, vcc_lo, s40, v2
	s_wait_alu 0xfffd
	v_add_co_ci_u32_e64 v3, null, s41, v3, vcc_lo
	global_load_b64 v[3:4], v[2:3], off
	s_wait_loadcnt 0x0
	v_xor_b32_e32 v2, 0x80000000, v4
	v_and_b32_e32 v22, v3, v20
	s_delay_alu instid0(VALU_DEP_2) | instskip(NEXT) | instid1(VALU_DEP_1)
	v_and_b32_e32 v23, v2, v21
	v_cmp_eq_u64_e32 vcc_lo, v[22:23], v[18:19]
	s_and_b32 exec_lo, exec_lo, vcc_lo
	s_cbranch_execz .LBB99_138
; %bb.142:                              ;   in Loop: Header=BB99_140 Depth=2
	v_mov_b32_e32 v2, v12
	ds_store_b128 v12, v[1:4] offset:3072
	s_branch .LBB99_138
.LBB99_143:                             ;   in Loop: Header=BB99_140 Depth=2
	v_add_nc_u32_e32 v8, s29, v8
	v_add_nc_u32_e32 v11, s54, v11
	s_mov_b32 s24, 0
	s_delay_alu instid0(VALU_DEP_2)
	v_cmp_le_u32_e32 vcc_lo, s62, v8
	s_or_not1_b32 s23, vcc_lo, exec_lo
	s_branch .LBB99_139
.LBB99_144:                             ;   in Loop: Header=BB99_20 Depth=1
	s_or_b32 exec_lo, exec_lo, s16
	s_delay_alu instid0(SALU_CYCLE_1)
	s_and_not1_b32 s16, s21, exec_lo
	s_wait_alu 0xfffe
	s_and_b32 s21, s22, exec_lo
	s_wait_alu 0xfffe
	s_or_b32 s21, s16, s21
.LBB99_145:                             ;   in Loop: Header=BB99_20 Depth=1
	s_wait_alu 0xfffe
	s_or_b32 exec_lo, exec_lo, s15
	s_mov_b32 s15, 0
	s_mov_b32 s16, -1
.LBB99_146:                             ;   in Loop: Header=BB99_20 Depth=1
	s_or_not1_b32 s21, s21, exec_lo
.LBB99_147:                             ;   in Loop: Header=BB99_20 Depth=1
	s_wait_alu 0xfffe
	s_or_b32 exec_lo, exec_lo, s18
	s_mov_b32 s22, 0
	s_and_saveexec_b32 s18, s21
	s_cbranch_execz .LBB99_236
; %bb.148:                              ;   in Loop: Header=BB99_20 Depth=1
	v_mov_b32_e32 v8, 1
	v_mov_b32_e32 v6, 1
	s_xor_b32 s21, s20, -1
	s_mov_b32 s23, 0
	s_wait_alu 0xfffe
	s_and_saveexec_b32 s20, s21
	s_cbranch_execz .LBB99_157
; %bb.149:                              ;   in Loop: Header=BB99_20 Depth=1
	s_mov_b32 s21, exec_lo
	v_cmpx_ge_u32_e64 s19, v7
	s_wait_alu 0xfffe
	s_xor_b32 s21, exec_lo, s21
	s_cbranch_execz .LBB99_154
; %bb.150:                              ;   in Loop: Header=BB99_20 Depth=1
	ds_load_b32 v2, v12 offset:4104
	v_and_b32_e32 v3, s11, v19
	v_and_b32_e32 v6, s10, v18
	s_lshl_b64 s[22:23], 1, s73
	v_or_b32_e32 v21, s9, v21
	v_or_b32_e32 v20, s8, v20
	s_wait_alu 0xfffe
	v_or_b32_e32 v19, s23, v3
	v_or_b32_e32 v18, s22, v6
	s_wait_dscnt 0x0
	v_cmp_ne_u32_e32 vcc_lo, 0, v2
	s_cbranch_vccnz .LBB99_154
; %bb.151:                              ;   in Loop: Header=BB99_20 Depth=1
	s_and_saveexec_b32 s22, s2
; %bb.152:                              ;   in Loop: Header=BB99_20 Depth=1
	v_mov_b32_e32 v2, s19
	ds_store_b32 v12, v2 offset:4108
; %bb.153:                              ;   in Loop: Header=BB99_20 Depth=1
	s_wait_alu 0xfffe
	s_or_b32 exec_lo, exec_lo, s22
	s_wait_loadcnt_dscnt 0x0
	s_barrier_signal -1
	s_barrier_wait -1
	global_inv scope:SCOPE_SE
.LBB99_154:                             ;   in Loop: Header=BB99_20 Depth=1
	s_wait_alu 0xfffe
	s_or_saveexec_b32 s21, s21
	v_mov_b32_e32 v6, 8
	s_mov_b32 s22, 0
	s_wait_alu 0xfffe
	s_xor_b32 exec_lo, exec_lo, s21
; %bb.155:                              ;   in Loop: Header=BB99_20 Depth=1
	v_subrev_nc_u32_e32 v7, s19, v7
	v_mov_b32_e32 v6, 0
	s_mov_b32 s22, exec_lo
; %bb.156:                              ;   in Loop: Header=BB99_20 Depth=1
	s_or_b32 exec_lo, exec_lo, s21
	s_delay_alu instid0(VALU_DEP_2)
	v_mov_b32_e32 v8, v7
	s_wait_alu 0xfffe
	s_and_b32 s23, s22, exec_lo
.LBB99_157:                             ;   in Loop: Header=BB99_20 Depth=1
	s_wait_alu 0xfffe
	s_or_b32 exec_lo, exec_lo, s20
	s_mov_b32 s22, -1
                                        ; implicit-def: $sgpr20
                                        ; implicit-def: $sgpr21
	s_and_saveexec_b32 s19, s23
	s_cbranch_execz .LBB99_235
; %bb.158:                              ;   in Loop: Header=BB99_20 Depth=1
	v_cmp_eq_u32_e32 vcc_lo, 1, v8
	s_cmp_eq_u32 s17, 1
	s_mov_b32 s24, -1
	s_cselect_b32 s20, -1, 0
                                        ; implicit-def: $sgpr21
	s_wait_alu 0xfffe
	s_and_b32 s23, s20, vcc_lo
                                        ; implicit-def: $sgpr20
	s_wait_alu 0xfffe
	s_and_saveexec_b32 s22, s23
	s_cbranch_execz .LBB99_184
; %bb.159:                              ;   in Loop: Header=BB99_20 Depth=1
	ds_load_b32 v2, v12 offset:4104
	s_wait_loadcnt_dscnt 0x0
	s_barrier_signal -1
	s_barrier_wait -1
	global_inv scope:SCOPE_SE
	v_readfirstlane_b32 s25, v2
	s_and_saveexec_b32 s20, s1
; %bb.160:                              ;   in Loop: Header=BB99_20 Depth=1
	v_mov_b32_e32 v11, v12
	ds_store_b64 v29, v[11:12]
; %bb.161:                              ;   in Loop: Header=BB99_20 Depth=1
	s_wait_alu 0xfffe
	s_or_b32 exec_lo, exec_lo, s20
	v_and_b32_e32 v2, s11, v19
	v_and_b32_e32 v3, s10, v18
	s_lshl_b64 s[20:21], 2, s73
	v_or_b32_e32 v21, s9, v21
	v_or_b32_e32 v20, s8, v20
	s_wait_alu 0xfffe
	v_or_b32_e32 v19, s21, v2
	v_or_b32_e32 v18, s20, v3
	s_mov_b32 s20, -1
	s_mov_b32 s21, 0
	s_cmp_eq_u32 s25, 0
	s_mov_b32 s24, 0
	s_mov_b32 s26, -1
	s_wait_loadcnt_dscnt 0x0
	s_barrier_signal -1
	s_barrier_wait -1
	global_inv scope:SCOPE_SE
                                        ; implicit-def: $vgpr4_vgpr5
	s_cbranch_scc1 .LBB99_172
; %bb.162:                              ;   in Loop: Header=BB99_20 Depth=1
	s_add_co_i32 s42, s25, s53
                                        ; implicit-def: $vgpr4_vgpr5
	s_wait_alu 0xfffe
	s_mul_u64 s[74:75], s[42:43], s[46:47]
	s_wait_alu 0xfffe
	s_mul_i32 s24, s75, s29
	s_wait_alu 0xfffe
	s_sub_co_i32 s24, s42, s24
	s_wait_alu 0xfffe
	s_sub_co_i32 s26, s24, s29
	s_cmp_ge_u32 s24, s29
	s_wait_alu 0xfffe
	s_cselect_b32 s24, s26, s24
	s_wait_alu 0xfffe
	s_sub_co_i32 s26, s24, s29
	s_cmp_ge_u32 s24, s29
	s_wait_alu 0xfffe
	s_cselect_b32 s24, s26, s24
	s_mov_b32 s26, 0
	s_wait_alu 0xfffe
	s_sub_co_i32 s74, s42, s24
	s_mov_b32 s24, 0
	s_mov_b32 s42, exec_lo
	s_wait_alu 0xfffe
	v_cmpx_gt_u32_e64 s74, v0
	s_cbranch_execz .LBB99_171
; %bb.163:                              ;   in Loop: Header=BB99_20 Depth=1
	v_mov_b32_e32 v7, v28
	v_mov_b32_e32 v9, v0
                                        ; implicit-def: $sgpr75
	s_branch .LBB99_166
.LBB99_164:                             ;   in Loop: Header=BB99_166 Depth=2
	s_wait_alu 0xfffe
	s_or_b32 exec_lo, exec_lo, s76
	s_wait_loadcnt_dscnt 0x0
	s_barrier_signal -1
	s_barrier_wait -1
	global_inv scope:SCOPE_SE
	ds_load_b128 v[2:5], v12 offset:3072
	s_mov_b32 s76, -1
	s_mov_b32 s77, -1
	s_wait_loadcnt_dscnt 0x0
	s_barrier_signal -1
	s_barrier_wait -1
	global_inv scope:SCOPE_SE
	v_cmp_ne_u64_e32 vcc_lo, 0, v[2:3]
	s_cbranch_vccz .LBB99_169
.LBB99_165:                             ;   in Loop: Header=BB99_166 Depth=2
	s_wait_alu 0xfffe
	s_and_b32 s76, exec_lo, s76
	s_wait_alu 0xfffe
	s_or_b32 s24, s76, s24
	s_and_not1_b32 s75, s75, exec_lo
	s_and_b32 s76, s77, exec_lo
	s_wait_alu 0xfffe
	s_or_b32 s75, s75, s76
	s_and_not1_b32 exec_lo, exec_lo, s24
	s_cbranch_execz .LBB99_170
.LBB99_166:                             ;   Parent Loop BB99_20 Depth=1
                                        ; =>  This Inner Loop Header: Depth=2
	s_mov_b32 s76, exec_lo
	s_delay_alu instid0(VALU_DEP_1)
	v_cmpx_gt_u32_e64 s25, v9
	s_cbranch_execz .LBB99_164
; %bb.167:                              ;   in Loop: Header=BB99_166 Depth=2
	ds_load_b64 v[3:4], v7
	s_wait_dscnt 0x0
	v_xor_b32_e32 v2, 0x80000000, v4
	v_and_b32_e32 v22, v3, v20
	s_delay_alu instid0(VALU_DEP_2) | instskip(NEXT) | instid1(VALU_DEP_1)
	v_and_b32_e32 v23, v2, v21
	v_cmp_eq_u64_e32 vcc_lo, v[22:23], v[18:19]
	s_and_b32 exec_lo, exec_lo, vcc_lo
	s_cbranch_execz .LBB99_164
; %bb.168:                              ;   in Loop: Header=BB99_166 Depth=2
	v_mov_b32_e32 v2, v12
	ds_store_b128 v12, v[1:4] offset:3072
	s_branch .LBB99_164
.LBB99_169:                             ;   in Loop: Header=BB99_166 Depth=2
	v_add_nc_u32_e32 v9, s29, v9
	v_add_nc_u32_e32 v7, s65, v7
	s_mov_b32 s77, 0
	s_delay_alu instid0(VALU_DEP_2)
	v_cmp_le_u32_e32 vcc_lo, s74, v9
	s_or_not1_b32 s76, vcc_lo, exec_lo
	s_branch .LBB99_165
.LBB99_170:                             ;   in Loop: Header=BB99_20 Depth=1
	s_or_b32 exec_lo, exec_lo, s24
	s_wait_alu 0xfffe
	s_and_b32 s24, s75, exec_lo
.LBB99_171:                             ;   in Loop: Header=BB99_20 Depth=1
	s_or_b32 exec_lo, exec_lo, s42
.LBB99_172:                             ;   in Loop: Header=BB99_20 Depth=1
	s_wait_alu 0xfffe
	s_and_b32 vcc_lo, exec_lo, s26
	s_wait_alu 0xfffe
	s_cbranch_vccz .LBB99_183
; %bb.173:                              ;   in Loop: Header=BB99_20 Depth=1
                                        ; implicit-def: $vgpr4_vgpr5
	s_and_saveexec_b32 s20, s6
	s_cbranch_execz .LBB99_182
; %bb.174:                              ;   in Loop: Header=BB99_20 Depth=1
	v_mov_b32_e32 v11, v10
	v_mov_b32_e32 v7, v0
	s_mov_b32 s21, 0
                                        ; implicit-def: $sgpr25
	s_branch .LBB99_177
.LBB99_175:                             ;   in Loop: Header=BB99_177 Depth=2
	s_wait_alu 0xfffe
	s_or_b32 exec_lo, exec_lo, s26
	s_wait_loadcnt_dscnt 0x0
	s_barrier_signal -1
	s_barrier_wait -1
	global_inv scope:SCOPE_SE
	ds_load_b128 v[2:5], v12 offset:3072
	s_mov_b32 s26, -1
	s_mov_b32 s42, -1
	s_wait_loadcnt_dscnt 0x0
	s_barrier_signal -1
	s_barrier_wait -1
	global_inv scope:SCOPE_SE
	v_cmp_eq_u64_e32 vcc_lo, 0, v[2:3]
	s_cbranch_vccnz .LBB99_180
.LBB99_176:                             ;   in Loop: Header=BB99_177 Depth=2
	s_wait_alu 0xfffe
	s_and_b32 s26, exec_lo, s26
	s_wait_alu 0xfffe
	s_or_b32 s21, s26, s21
	s_and_not1_b32 s25, s25, exec_lo
	s_and_b32 s26, s42, exec_lo
	s_wait_alu 0xfffe
	s_or_b32 s25, s25, s26
	s_and_not1_b32 exec_lo, exec_lo, s21
	s_cbranch_execz .LBB99_181
.LBB99_177:                             ;   Parent Loop BB99_20 Depth=1
                                        ; =>  This Inner Loop Header: Depth=2
	s_mov_b32 s26, exec_lo
	s_delay_alu instid0(VALU_DEP_1)
	v_cmpx_gt_u32_e64 s28, v7
	s_cbranch_execz .LBB99_175
; %bb.178:                              ;   in Loop: Header=BB99_177 Depth=2
	v_lshlrev_b64_e32 v[2:3], 3, v[11:12]
	s_delay_alu instid0(VALU_DEP_1) | instskip(SKIP_1) | instid1(VALU_DEP_2)
	v_add_co_u32 v2, vcc_lo, s40, v2
	s_wait_alu 0xfffd
	v_add_co_ci_u32_e64 v3, null, s41, v3, vcc_lo
	global_load_b64 v[3:4], v[2:3], off
	s_wait_loadcnt 0x0
	v_xor_b32_e32 v2, 0x80000000, v4
	v_and_b32_e32 v22, v3, v20
	s_delay_alu instid0(VALU_DEP_2) | instskip(NEXT) | instid1(VALU_DEP_1)
	v_and_b32_e32 v23, v2, v21
	v_cmp_eq_u64_e32 vcc_lo, v[22:23], v[18:19]
	s_and_b32 exec_lo, exec_lo, vcc_lo
	s_cbranch_execz .LBB99_175
; %bb.179:                              ;   in Loop: Header=BB99_177 Depth=2
	v_mov_b32_e32 v2, v12
	ds_store_b128 v12, v[1:4] offset:3072
	s_branch .LBB99_175
.LBB99_180:                             ;   in Loop: Header=BB99_177 Depth=2
	v_add_nc_u32_e32 v7, s29, v7
	v_add_nc_u32_e32 v11, s54, v11
	s_mov_b32 s42, 0
	s_delay_alu instid0(VALU_DEP_2)
	v_cmp_le_u32_e32 vcc_lo, s62, v7
	s_or_not1_b32 s26, vcc_lo, exec_lo
	s_branch .LBB99_176
.LBB99_181:                             ;   in Loop: Header=BB99_20 Depth=1
	s_or_b32 exec_lo, exec_lo, s21
	s_delay_alu instid0(SALU_CYCLE_1)
	s_and_not1_b32 s21, s24, exec_lo
	s_wait_alu 0xfffe
	s_and_b32 s24, s25, exec_lo
	s_wait_alu 0xfffe
	s_or_b32 s24, s21, s24
.LBB99_182:                             ;   in Loop: Header=BB99_20 Depth=1
	s_wait_alu 0xfffe
	s_or_b32 exec_lo, exec_lo, s20
	s_mov_b32 s20, 0
	s_mov_b32 s21, -1
.LBB99_183:                             ;   in Loop: Header=BB99_20 Depth=1
	s_or_not1_b32 s24, s24, exec_lo
.LBB99_184:                             ;   in Loop: Header=BB99_20 Depth=1
	s_wait_alu 0xfffe
	s_or_b32 exec_lo, exec_lo, s22
	s_mov_b32 s25, 0
	s_and_saveexec_b32 s22, s24
	s_cbranch_execz .LBB99_234
; %bb.185:                              ;   in Loop: Header=BB99_20 Depth=1
	v_dual_mov_b32 v7, 1 :: v_dual_mov_b32 v6, 1
	s_xor_b32 s25, s23, -1
	s_mov_b32 s24, 0
	s_wait_alu 0xfffe
	s_and_saveexec_b32 s23, s25
	s_cbranch_execz .LBB99_194
; %bb.186:                              ;   in Loop: Header=BB99_20 Depth=1
	s_mov_b32 s24, exec_lo
	v_cmpx_ge_u32_e64 s17, v8
	s_wait_alu 0xfffe
	s_xor_b32 s24, exec_lo, s24
	s_cbranch_execz .LBB99_191
; %bb.187:                              ;   in Loop: Header=BB99_20 Depth=1
	ds_load_b32 v2, v12 offset:4104
	v_and_b32_e32 v3, s11, v19
	v_and_b32_e32 v6, s10, v18
	s_lshl_b64 s[10:11], 2, s73
	v_or_b32_e32 v21, s9, v21
	v_or_b32_e32 v20, s8, v20
	s_wait_alu 0xfffe
	v_or_b32_e32 v19, s11, v3
	v_or_b32_e32 v18, s10, v6
	s_wait_dscnt 0x0
	v_cmp_ne_u32_e32 vcc_lo, 0, v2
	s_cbranch_vccnz .LBB99_191
; %bb.188:                              ;   in Loop: Header=BB99_20 Depth=1
	s_and_saveexec_b32 s10, s2
; %bb.189:                              ;   in Loop: Header=BB99_20 Depth=1
	v_mov_b32_e32 v2, s17
	ds_store_b32 v12, v2 offset:4108
; %bb.190:                              ;   in Loop: Header=BB99_20 Depth=1
	s_wait_alu 0xfffe
	s_or_b32 exec_lo, exec_lo, s10
	s_wait_loadcnt_dscnt 0x0
	s_barrier_signal -1
	s_barrier_wait -1
	global_inv scope:SCOPE_SE
.LBB99_191:                             ;   in Loop: Header=BB99_20 Depth=1
	s_wait_alu 0xfffe
	s_or_saveexec_b32 s10, s24
	v_mov_b32_e32 v6, 8
	s_mov_b32 s11, 0
	s_wait_alu 0xfffe
	s_xor_b32 exec_lo, exec_lo, s10
; %bb.192:                              ;   in Loop: Header=BB99_20 Depth=1
	v_subrev_nc_u32_e32 v8, s17, v8
	v_mov_b32_e32 v6, 0
	s_mov_b32 s11, exec_lo
; %bb.193:                              ;   in Loop: Header=BB99_20 Depth=1
	s_or_b32 exec_lo, exec_lo, s10
	s_delay_alu instid0(VALU_DEP_2)
	v_mov_b32_e32 v7, v8
	s_wait_alu 0xfffe
	s_and_b32 s24, s11, exec_lo
.LBB99_194:                             ;   in Loop: Header=BB99_20 Depth=1
	s_wait_alu 0xfffe
	s_or_b32 exec_lo, exec_lo, s23
	s_mov_b32 s11, -1
                                        ; implicit-def: $sgpr23
                                        ; implicit-def: $sgpr17
	s_and_saveexec_b32 s10, s24
	s_cbranch_execz .LBB99_233
; %bb.195:                              ;   in Loop: Header=BB99_20 Depth=1
	v_cmp_eq_u32_e32 vcc_lo, 1, v7
	s_cmp_eq_u32 s7, 1
	s_mov_b32 s25, -1
	s_cselect_b32 s11, -1, 0
                                        ; implicit-def: $sgpr23
                                        ; implicit-def: $sgpr17
	s_wait_alu 0xfffe
	s_and_b32 s11, s11, vcc_lo
	s_wait_alu 0xfffe
	s_and_saveexec_b32 s24, s11
	s_cbranch_execz .LBB99_221
; %bb.196:                              ;   in Loop: Header=BB99_20 Depth=1
	ds_load_b32 v2, v12 offset:4104
	s_wait_loadcnt_dscnt 0x0
	s_barrier_signal -1
	s_barrier_wait -1
	global_inv scope:SCOPE_SE
	v_readfirstlane_b32 s26, v2
	s_and_saveexec_b32 s17, s1
; %bb.197:                              ;   in Loop: Header=BB99_20 Depth=1
	v_mov_b32_e32 v11, v12
	ds_store_b64 v29, v[11:12]
; %bb.198:                              ;   in Loop: Header=BB99_20 Depth=1
	s_wait_alu 0xfffe
	s_or_b32 exec_lo, exec_lo, s17
	v_or_b32_e32 v19, s9, v19
	v_or_b32_e32 v18, s8, v18
	;; [unrolled: 1-line block ×4, first 2 shown]
	s_mov_b32 s17, -1
	s_mov_b32 s23, 0
	s_cmp_eq_u32 s26, 0
	s_mov_b32 s25, 0
	s_mov_b32 s42, -1
	s_wait_loadcnt_dscnt 0x0
	s_barrier_signal -1
	s_barrier_wait -1
	global_inv scope:SCOPE_SE
                                        ; implicit-def: $vgpr4_vgpr5
	s_cbranch_scc1 .LBB99_209
; %bb.199:                              ;   in Loop: Header=BB99_20 Depth=1
	s_add_co_i32 s42, s26, s53
                                        ; implicit-def: $vgpr4_vgpr5
	s_wait_alu 0xfffe
	s_mul_u64 s[74:75], s[42:43], s[46:47]
	s_wait_alu 0xfffe
	s_mul_i32 s25, s75, s29
	s_wait_alu 0xfffe
	s_sub_co_i32 s25, s42, s25
	s_wait_alu 0xfffe
	s_sub_co_i32 s74, s25, s29
	s_cmp_ge_u32 s25, s29
	s_wait_alu 0xfffe
	s_cselect_b32 s25, s74, s25
	s_wait_alu 0xfffe
	s_sub_co_i32 s74, s25, s29
	s_cmp_ge_u32 s25, s29
	s_wait_alu 0xfffe
	s_cselect_b32 s25, s74, s25
	s_mov_b32 s74, exec_lo
	s_wait_alu 0xfffe
	s_sub_co_i32 s75, s42, s25
	s_mov_b32 s42, 0
	s_mov_b32 s25, 0
	s_wait_alu 0xfffe
	v_cmpx_gt_u32_e64 s75, v0
	s_cbranch_execz .LBB99_208
; %bb.200:                              ;   in Loop: Header=BB99_20 Depth=1
	v_dual_mov_b32 v8, v28 :: v_dual_mov_b32 v9, v0
                                        ; implicit-def: $sgpr76
	s_branch .LBB99_203
.LBB99_201:                             ;   in Loop: Header=BB99_203 Depth=2
	s_wait_alu 0xfffe
	s_or_b32 exec_lo, exec_lo, s77
	s_wait_loadcnt_dscnt 0x0
	s_barrier_signal -1
	s_barrier_wait -1
	global_inv scope:SCOPE_SE
	ds_load_b128 v[2:5], v12 offset:3072
	s_mov_b32 s77, -1
	s_mov_b32 s78, -1
	s_wait_loadcnt_dscnt 0x0
	s_barrier_signal -1
	s_barrier_wait -1
	global_inv scope:SCOPE_SE
	v_cmp_ne_u64_e32 vcc_lo, 0, v[2:3]
	s_cbranch_vccz .LBB99_206
.LBB99_202:                             ;   in Loop: Header=BB99_203 Depth=2
	s_wait_alu 0xfffe
	s_and_b32 s77, exec_lo, s77
	s_wait_alu 0xfffe
	s_or_b32 s25, s77, s25
	s_and_not1_b32 s76, s76, exec_lo
	s_and_b32 s77, s78, exec_lo
	s_wait_alu 0xfffe
	s_or_b32 s76, s76, s77
	s_and_not1_b32 exec_lo, exec_lo, s25
	s_cbranch_execz .LBB99_207
.LBB99_203:                             ;   Parent Loop BB99_20 Depth=1
                                        ; =>  This Inner Loop Header: Depth=2
	s_mov_b32 s77, exec_lo
	s_delay_alu instid0(VALU_DEP_1)
	v_cmpx_gt_u32_e64 s26, v9
	s_cbranch_execz .LBB99_201
; %bb.204:                              ;   in Loop: Header=BB99_203 Depth=2
	ds_load_b64 v[3:4], v8
	s_wait_dscnt 0x0
	v_xor_b32_e32 v2, 0x80000000, v4
	v_and_b32_e32 v22, v3, v20
	s_delay_alu instid0(VALU_DEP_2) | instskip(NEXT) | instid1(VALU_DEP_1)
	v_and_b32_e32 v23, v2, v21
	v_cmp_eq_u64_e32 vcc_lo, v[22:23], v[18:19]
	s_and_b32 exec_lo, exec_lo, vcc_lo
	s_cbranch_execz .LBB99_201
; %bb.205:                              ;   in Loop: Header=BB99_203 Depth=2
	v_mov_b32_e32 v2, v12
	ds_store_b128 v12, v[1:4] offset:3072
	s_branch .LBB99_201
.LBB99_206:                             ;   in Loop: Header=BB99_203 Depth=2
	v_add_nc_u32_e32 v9, s29, v9
	v_add_nc_u32_e32 v8, s65, v8
	s_mov_b32 s78, 0
	s_delay_alu instid0(VALU_DEP_2)
	v_cmp_le_u32_e32 vcc_lo, s75, v9
	s_or_not1_b32 s77, vcc_lo, exec_lo
	s_branch .LBB99_202
.LBB99_207:                             ;   in Loop: Header=BB99_20 Depth=1
	s_or_b32 exec_lo, exec_lo, s25
	s_wait_alu 0xfffe
	s_and_b32 s25, s76, exec_lo
.LBB99_208:                             ;   in Loop: Header=BB99_20 Depth=1
	s_or_b32 exec_lo, exec_lo, s74
.LBB99_209:                             ;   in Loop: Header=BB99_20 Depth=1
	s_wait_alu 0xfffe
	s_and_b32 vcc_lo, exec_lo, s42
	s_wait_alu 0xfffe
	s_cbranch_vccz .LBB99_220
; %bb.210:                              ;   in Loop: Header=BB99_20 Depth=1
                                        ; implicit-def: $vgpr4_vgpr5
	s_and_saveexec_b32 s17, s6
	s_cbranch_execz .LBB99_219
; %bb.211:                              ;   in Loop: Header=BB99_20 Depth=1
	v_dual_mov_b32 v11, v10 :: v_dual_mov_b32 v8, v0
	s_mov_b32 s23, 0
                                        ; implicit-def: $sgpr26
	s_branch .LBB99_214
.LBB99_212:                             ;   in Loop: Header=BB99_214 Depth=2
	s_wait_alu 0xfffe
	s_or_b32 exec_lo, exec_lo, s42
	s_wait_loadcnt_dscnt 0x0
	s_barrier_signal -1
	s_barrier_wait -1
	global_inv scope:SCOPE_SE
	ds_load_b128 v[2:5], v12 offset:3072
	s_mov_b32 s42, -1
	s_mov_b32 s74, -1
	s_wait_loadcnt_dscnt 0x0
	s_barrier_signal -1
	s_barrier_wait -1
	global_inv scope:SCOPE_SE
	v_cmp_eq_u64_e32 vcc_lo, 0, v[2:3]
	s_cbranch_vccnz .LBB99_217
.LBB99_213:                             ;   in Loop: Header=BB99_214 Depth=2
	s_wait_alu 0xfffe
	s_and_b32 s42, exec_lo, s42
	s_wait_alu 0xfffe
	s_or_b32 s23, s42, s23
	s_and_not1_b32 s26, s26, exec_lo
	s_and_b32 s42, s74, exec_lo
	s_wait_alu 0xfffe
	s_or_b32 s26, s26, s42
	s_and_not1_b32 exec_lo, exec_lo, s23
	s_cbranch_execz .LBB99_218
.LBB99_214:                             ;   Parent Loop BB99_20 Depth=1
                                        ; =>  This Inner Loop Header: Depth=2
	s_mov_b32 s42, exec_lo
	s_delay_alu instid0(VALU_DEP_1)
	v_cmpx_gt_u32_e64 s28, v8
	s_cbranch_execz .LBB99_212
; %bb.215:                              ;   in Loop: Header=BB99_214 Depth=2
	v_lshlrev_b64_e32 v[2:3], 3, v[11:12]
	s_delay_alu instid0(VALU_DEP_1) | instskip(SKIP_1) | instid1(VALU_DEP_2)
	v_add_co_u32 v2, vcc_lo, s40, v2
	s_wait_alu 0xfffd
	v_add_co_ci_u32_e64 v3, null, s41, v3, vcc_lo
	global_load_b64 v[3:4], v[2:3], off
	s_wait_loadcnt 0x0
	v_xor_b32_e32 v2, 0x80000000, v4
	v_and_b32_e32 v22, v3, v20
	s_delay_alu instid0(VALU_DEP_2) | instskip(NEXT) | instid1(VALU_DEP_1)
	v_and_b32_e32 v23, v2, v21
	v_cmp_eq_u64_e32 vcc_lo, v[22:23], v[18:19]
	s_and_b32 exec_lo, exec_lo, vcc_lo
	s_cbranch_execz .LBB99_212
; %bb.216:                              ;   in Loop: Header=BB99_214 Depth=2
	v_mov_b32_e32 v2, v12
	ds_store_b128 v12, v[1:4] offset:3072
	s_branch .LBB99_212
.LBB99_217:                             ;   in Loop: Header=BB99_214 Depth=2
	v_add_nc_u32_e32 v8, s29, v8
	v_add_nc_u32_e32 v11, s54, v11
	s_mov_b32 s74, 0
	s_delay_alu instid0(VALU_DEP_2)
	v_cmp_le_u32_e32 vcc_lo, s62, v8
	s_or_not1_b32 s42, vcc_lo, exec_lo
	s_branch .LBB99_213
.LBB99_218:                             ;   in Loop: Header=BB99_20 Depth=1
	s_or_b32 exec_lo, exec_lo, s23
	s_delay_alu instid0(SALU_CYCLE_1)
	s_and_not1_b32 s23, s25, exec_lo
	s_wait_alu 0xfffe
	s_and_b32 s25, s26, exec_lo
	s_wait_alu 0xfffe
	s_or_b32 s25, s23, s25
.LBB99_219:                             ;   in Loop: Header=BB99_20 Depth=1
	s_wait_alu 0xfffe
	s_or_b32 exec_lo, exec_lo, s17
	s_mov_b32 s17, 0
	s_mov_b32 s23, -1
.LBB99_220:                             ;   in Loop: Header=BB99_20 Depth=1
	s_or_not1_b32 s25, s25, exec_lo
.LBB99_221:                             ;   in Loop: Header=BB99_20 Depth=1
	s_wait_alu 0xfffe
	s_or_b32 exec_lo, exec_lo, s24
	s_mov_b32 s26, 0
	s_and_saveexec_b32 s24, s25
	s_cbranch_execz .LBB99_232
; %bb.222:                              ;   in Loop: Header=BB99_20 Depth=1
	v_mov_b32_e32 v6, 1
	v_mov_b32_e32 v2, 1
	s_xor_b32 s25, s11, -1
	s_wait_alu 0xfffe
	s_and_saveexec_b32 s11, s25
	s_cbranch_execz .LBB99_231
; %bb.223:                              ;   in Loop: Header=BB99_20 Depth=1
	s_mov_b32 s25, exec_lo
	v_cmpx_ge_u32_e64 s7, v7
	s_wait_alu 0xfffe
	s_xor_b32 s25, exec_lo, s25
	s_cbranch_execz .LBB99_228
; %bb.224:                              ;   in Loop: Header=BB99_20 Depth=1
	ds_load_b32 v2, v12 offset:4104
	v_or_b32_e32 v19, s9, v19
	v_or_b32_e32 v18, s8, v18
	;; [unrolled: 1-line block ×4, first 2 shown]
	s_wait_dscnt 0x0
	v_cmp_ne_u32_e32 vcc_lo, 0, v2
	s_cbranch_vccnz .LBB99_228
; %bb.225:                              ;   in Loop: Header=BB99_20 Depth=1
	s_and_saveexec_b32 s8, s2
; %bb.226:                              ;   in Loop: Header=BB99_20 Depth=1
	v_mov_b32_e32 v2, s7
	ds_store_b32 v12, v2 offset:4108
; %bb.227:                              ;   in Loop: Header=BB99_20 Depth=1
	s_wait_alu 0xfffe
	s_or_b32 exec_lo, exec_lo, s8
	s_wait_loadcnt_dscnt 0x0
	s_barrier_signal -1
	s_barrier_wait -1
	global_inv scope:SCOPE_SE
.LBB99_228:                             ;   in Loop: Header=BB99_20 Depth=1
	s_wait_alu 0xfffe
	s_and_not1_saveexec_b32 s8, s25
; %bb.229:                              ;   in Loop: Header=BB99_20 Depth=1
	v_subrev_nc_u32_e32 v7, s7, v7
; %bb.230:                              ;   in Loop: Header=BB99_20 Depth=1
	s_wait_alu 0xfffe
	s_or_b32 exec_lo, exec_lo, s8
	v_mov_b32_e32 v6, 8
	s_delay_alu instid0(VALU_DEP_2)
	v_mov_b32_e32 v2, v7
.LBB99_231:                             ;   in Loop: Header=BB99_20 Depth=1
	s_wait_alu 0xfffe
	s_or_b32 exec_lo, exec_lo, s11
	s_delay_alu instid0(VALU_DEP_1)
	v_mov_b32_e32 v7, v2
	s_mov_b32 s26, exec_lo
.LBB99_232:                             ;   in Loop: Header=BB99_20 Depth=1
	s_wait_alu 0xfffe
	s_or_b32 exec_lo, exec_lo, s24
	s_delay_alu instid0(SALU_CYCLE_1)
	s_or_not1_b32 s11, s26, exec_lo
.LBB99_233:                             ;   in Loop: Header=BB99_20 Depth=1
	s_wait_alu 0xfffe
	s_or_b32 exec_lo, exec_lo, s10
	v_mov_b32_e32 v8, v7
	s_and_not1_b32 s7, s21, exec_lo
	s_and_b32 s8, s23, exec_lo
	s_and_not1_b32 s9, s20, exec_lo
	s_and_b32 s10, s17, exec_lo
	s_wait_alu 0xfffe
	s_or_b32 s21, s7, s8
	s_or_b32 s20, s9, s10
	s_and_b32 s25, s11, exec_lo
.LBB99_234:                             ;   in Loop: Header=BB99_20 Depth=1
	s_wait_alu 0xfffe
	s_or_b32 exec_lo, exec_lo, s22
	s_delay_alu instid0(SALU_CYCLE_1)
	s_or_not1_b32 s22, s25, exec_lo
.LBB99_235:                             ;   in Loop: Header=BB99_20 Depth=1
	s_wait_alu 0xfffe
	s_or_b32 exec_lo, exec_lo, s19
	v_mov_b32_e32 v7, v8
	s_and_not1_b32 s7, s16, exec_lo
	s_and_b32 s8, s21, exec_lo
	s_and_not1_b32 s9, s15, exec_lo
	s_and_b32 s10, s20, exec_lo
	s_wait_alu 0xfffe
	s_or_b32 s16, s7, s8
	s_or_b32 s15, s9, s10
	s_and_b32 s22, s22, exec_lo
.LBB99_236:                             ;   in Loop: Header=BB99_20 Depth=1
	s_wait_alu 0xfffe
	s_or_b32 exec_lo, exec_lo, s18
	s_delay_alu instid0(SALU_CYCLE_1)
	s_or_not1_b32 s18, s22, exec_lo
.LBB99_237:                             ;   in Loop: Header=BB99_20 Depth=1
	s_wait_alu 0xfffe
	s_or_b32 exec_lo, exec_lo, s14
	s_mov_b32 s8, 0
                                        ; implicit-def: $sgpr20
	s_and_saveexec_b32 s7, s18
	s_wait_alu 0xfffe
	s_xor_b32 s7, exec_lo, s7
	s_cbranch_execz .LBB99_18
; %bb.238:                              ;   in Loop: Header=BB99_20 Depth=1
	v_and_b32_e32 v2, 7, v6
	s_mov_b32 s9, -1
	s_mov_b32 s8, -1
	s_mov_b32 s10, exec_lo
                                        ; implicit-def: $sgpr20
	s_delay_alu instid0(VALU_DEP_1)
	v_cmpx_eq_u32_e32 0, v2
	s_cbranch_execz .LBB99_17
; %bb.239:                              ;   in Loop: Header=BB99_20 Depth=1
	s_add_co_i32 s20, s73, -2
	s_cmp_eq_u32 s73, 0
	v_xor_b32_e32 v39, 1, v39
	s_cselect_b32 s9, -1, 0
	s_xor_b32 s8, exec_lo, -1
	s_wait_alu 0xfffe
	s_or_not1_b32 s9, s9, exec_lo
	s_branch .LBB99_17
.LBB99_240:
	s_or_b32 exec_lo, exec_lo, s66
	s_wait_alu 0xfffe
	s_xor_b32 s4, s72, -1
	s_xor_b32 s1, s70, -1
	;; [unrolled: 1-line block ×3, first 2 shown]
	s_mov_b32 s2, 0
	s_and_saveexec_b32 s5, s1
	s_wait_alu 0xfffe
	s_xor_b32 s1, exec_lo, s5
	s_cbranch_execnz .LBB99_245
; %bb.241:
	s_and_not1_saveexec_b32 s0, s1
	s_cbranch_execnz .LBB99_258
.LBB99_242:
	s_or_b32 exec_lo, exec_lo, s0
	s_wait_alu 0xfffe
	s_and_saveexec_b32 s0, s2
.LBB99_243:
	; divergent unreachable
.LBB99_244:
	s_endpgm
.LBB99_245:
	s_and_saveexec_b32 s2, s4
	s_wait_alu 0xfffe
	s_xor_b32 s4, exec_lo, s2
	s_cbranch_execz .LBB99_256
; %bb.246:
	s_and_saveexec_b32 s2, s3
	s_wait_alu 0xfffe
	s_xor_b32 s2, exec_lo, s2
; %bb.247:
	v_xor_b32_e32 v19, 0x80000000, v19
	s_delay_alu instid0(VALU_DEP_1)
	v_dual_mov_b32 v4, v18 :: v_dual_mov_b32 v5, v19
; %bb.248:
	s_wait_alu 0xfffe
	s_or_b32 exec_lo, exec_lo, s2
	s_mul_i32 s2, s50, s33
	s_mov_b32 s3, 0
	s_wait_alu 0xfffe
	s_add_co_i32 s2, s2, s27
	v_mov_b32_e32 v11, 0
	s_wait_alu 0xfffe
	s_lshl_b64 s[6:7], s[2:3], 3
	s_wait_alu 0xfffe
	s_add_nc_u64 s[6:7], s[38:39], s[6:7]
	global_store_b64 v11, v[4:5], s[6:7]
	s_and_saveexec_b32 s2, s0
	s_cbranch_execz .LBB99_255
; %bb.249:
                                        ; implicit-def: $sgpr0
                                        ; implicit-def: $sgpr6
                                        ; implicit-def: $sgpr5
	s_branch .LBB99_251
.LBB99_250:                             ;   in Loop: Header=BB99_251 Depth=1
	s_wait_alu 0xfffe
	s_or_b32 exec_lo, exec_lo, s7
	s_delay_alu instid0(SALU_CYCLE_1)
	s_and_b32 s7, exec_lo, s6
	s_wait_alu 0xfffe
	s_or_b32 s3, s7, s3
	s_and_not1_b32 s0, s0, exec_lo
	s_and_b32 s7, s5, exec_lo
	s_wait_alu 0xfffe
	s_or_b32 s0, s0, s7
	s_and_not1_b32 exec_lo, exec_lo, s3
	s_cbranch_execz .LBB99_253
.LBB99_251:                             ; =>This Inner Loop Header: Depth=1
	v_lshlrev_b64_e32 v[1:2], 3, v[10:11]
	s_or_b32 s5, s5, exec_lo
	s_wait_alu 0xfffe
	s_or_b32 s6, s6, exec_lo
	s_delay_alu instid0(VALU_DEP_1)
	v_add_co_u32 v1, vcc_lo, s40, v1
	s_wait_alu 0xfffd
	v_add_co_ci_u32_e64 v2, null, s41, v2, vcc_lo
	global_load_b64 v[1:2], v[1:2], off
	s_wait_loadcnt 0x0
	v_cmp_ne_u64_e32 vcc_lo, v[1:2], v[4:5]
	v_mov_b32_e32 v1, v0
                                        ; implicit-def: $vgpr0
	s_and_saveexec_b32 s7, vcc_lo
	s_cbranch_execz .LBB99_250
; %bb.252:                              ;   in Loop: Header=BB99_251 Depth=1
	s_delay_alu instid0(VALU_DEP_1)
	v_add_nc_u32_e32 v0, s29, v1
	v_add_nc_u32_e32 v10, s54, v10
	s_wait_alu 0xfffe
	s_and_not1_b32 s6, s6, exec_lo
	s_and_not1_b32 s5, s5, exec_lo
	v_cmp_le_u32_e32 vcc_lo, s28, v0
	s_and_b32 s8, vcc_lo, exec_lo
	s_wait_alu 0xfffe
	s_or_b32 s6, s6, s8
	s_branch .LBB99_250
.LBB99_253:
	s_or_b32 exec_lo, exec_lo, s3
	s_and_saveexec_b32 s3, s0
	s_wait_alu 0xfffe
	s_xor_b32 s3, exec_lo, s3
	s_cbranch_execz .LBB99_255
; %bb.254:
	s_mul_i32 s0, s51, s34
	s_mov_b32 s7, 0
	s_add_co_i32 s6, s0, s35
	v_mov_b32_e32 v2, 0
	s_wait_alu 0xfffe
	s_lshl_b64 s[6:7], s[6:7], 3
	s_wait_alu 0xfffe
	s_add_nc_u64 s[6:7], s[36:37], s[6:7]
	global_store_b64 v2, v[1:2], s[6:7]
.LBB99_255:
	s_wait_alu 0xfffe
	s_or_b32 exec_lo, exec_lo, s2
.LBB99_256:
	s_wait_alu 0xfffe
	s_or_saveexec_b32 s0, s4
	s_mov_b32 s2, 0
	s_xor_b32 exec_lo, exec_lo, s0
	s_cbranch_execnz .LBB99_259
.LBB99_257:
	s_or_b32 exec_lo, exec_lo, s0
	s_wait_alu 0xfffe
	s_and_b32 s2, s2, exec_lo
	s_and_not1_saveexec_b32 s0, s1
	s_cbranch_execz .LBB99_242
.LBB99_258:
	s_wait_alu 0xfffe
	s_or_b32 s2, s2, exec_lo
	s_trap 2
	s_or_b32 exec_lo, exec_lo, s0
	s_wait_alu 0xfffe
	s_and_saveexec_b32 s0, s2
	s_cbranch_execnz .LBB99_243
	s_branch .LBB99_244
.LBB99_259:
	s_mov_b32 s2, exec_lo
	s_trap 2
	s_branch .LBB99_257
	.section	.rodata,"a",@progbits
	.p2align	6, 0x0
	.amdhsa_kernel _ZN2at6native12_GLOBAL__N_112gatherMedianIljLin1EEEvNS_4cuda6detail10TensorInfoIT_T0_EENS5_IlS7_EENS5_IKS6_S7_EES7_S7_S7_b
		.amdhsa_group_segment_fixed_size 4120
		.amdhsa_private_segment_fixed_size 0
		.amdhsa_kernarg_size 920
		.amdhsa_user_sgpr_count 2
		.amdhsa_user_sgpr_dispatch_ptr 0
		.amdhsa_user_sgpr_queue_ptr 0
		.amdhsa_user_sgpr_kernarg_segment_ptr 1
		.amdhsa_user_sgpr_dispatch_id 0
		.amdhsa_user_sgpr_private_segment_size 0
		.amdhsa_wavefront_size32 1
		.amdhsa_uses_dynamic_stack 0
		.amdhsa_enable_private_segment 0
		.amdhsa_system_sgpr_workgroup_id_x 1
		.amdhsa_system_sgpr_workgroup_id_y 1
		.amdhsa_system_sgpr_workgroup_id_z 1
		.amdhsa_system_sgpr_workgroup_info 0
		.amdhsa_system_vgpr_workitem_id 0
		.amdhsa_next_free_vgpr 55
		.amdhsa_next_free_sgpr 81
		.amdhsa_reserve_vcc 1
		.amdhsa_float_round_mode_32 0
		.amdhsa_float_round_mode_16_64 0
		.amdhsa_float_denorm_mode_32 3
		.amdhsa_float_denorm_mode_16_64 3
		.amdhsa_fp16_overflow 0
		.amdhsa_workgroup_processor_mode 1
		.amdhsa_memory_ordered 1
		.amdhsa_forward_progress 1
		.amdhsa_inst_pref_size 90
		.amdhsa_round_robin_scheduling 0
		.amdhsa_exception_fp_ieee_invalid_op 0
		.amdhsa_exception_fp_denorm_src 0
		.amdhsa_exception_fp_ieee_div_zero 0
		.amdhsa_exception_fp_ieee_overflow 0
		.amdhsa_exception_fp_ieee_underflow 0
		.amdhsa_exception_fp_ieee_inexact 0
		.amdhsa_exception_int_div_zero 0
	.end_amdhsa_kernel
	.section	.text._ZN2at6native12_GLOBAL__N_112gatherMedianIljLin1EEEvNS_4cuda6detail10TensorInfoIT_T0_EENS5_IlS7_EENS5_IKS6_S7_EES7_S7_S7_b,"axG",@progbits,_ZN2at6native12_GLOBAL__N_112gatherMedianIljLin1EEEvNS_4cuda6detail10TensorInfoIT_T0_EENS5_IlS7_EENS5_IKS6_S7_EES7_S7_S7_b,comdat
.Lfunc_end99:
	.size	_ZN2at6native12_GLOBAL__N_112gatherMedianIljLin1EEEvNS_4cuda6detail10TensorInfoIT_T0_EENS5_IlS7_EENS5_IKS6_S7_EES7_S7_S7_b, .Lfunc_end99-_ZN2at6native12_GLOBAL__N_112gatherMedianIljLin1EEEvNS_4cuda6detail10TensorInfoIT_T0_EENS5_IlS7_EENS5_IKS6_S7_EES7_S7_S7_b
                                        ; -- End function
	.set _ZN2at6native12_GLOBAL__N_112gatherMedianIljLin1EEEvNS_4cuda6detail10TensorInfoIT_T0_EENS5_IlS7_EENS5_IKS6_S7_EES7_S7_S7_b.num_vgpr, 55
	.set _ZN2at6native12_GLOBAL__N_112gatherMedianIljLin1EEEvNS_4cuda6detail10TensorInfoIT_T0_EENS5_IlS7_EENS5_IKS6_S7_EES7_S7_S7_b.num_agpr, 0
	.set _ZN2at6native12_GLOBAL__N_112gatherMedianIljLin1EEEvNS_4cuda6detail10TensorInfoIT_T0_EENS5_IlS7_EENS5_IKS6_S7_EES7_S7_S7_b.numbered_sgpr, 81
	.set _ZN2at6native12_GLOBAL__N_112gatherMedianIljLin1EEEvNS_4cuda6detail10TensorInfoIT_T0_EENS5_IlS7_EENS5_IKS6_S7_EES7_S7_S7_b.num_named_barrier, 0
	.set _ZN2at6native12_GLOBAL__N_112gatherMedianIljLin1EEEvNS_4cuda6detail10TensorInfoIT_T0_EENS5_IlS7_EENS5_IKS6_S7_EES7_S7_S7_b.private_seg_size, 0
	.set _ZN2at6native12_GLOBAL__N_112gatherMedianIljLin1EEEvNS_4cuda6detail10TensorInfoIT_T0_EENS5_IlS7_EENS5_IKS6_S7_EES7_S7_S7_b.uses_vcc, 1
	.set _ZN2at6native12_GLOBAL__N_112gatherMedianIljLin1EEEvNS_4cuda6detail10TensorInfoIT_T0_EENS5_IlS7_EENS5_IKS6_S7_EES7_S7_S7_b.uses_flat_scratch, 0
	.set _ZN2at6native12_GLOBAL__N_112gatherMedianIljLin1EEEvNS_4cuda6detail10TensorInfoIT_T0_EENS5_IlS7_EENS5_IKS6_S7_EES7_S7_S7_b.has_dyn_sized_stack, 0
	.set _ZN2at6native12_GLOBAL__N_112gatherMedianIljLin1EEEvNS_4cuda6detail10TensorInfoIT_T0_EENS5_IlS7_EENS5_IKS6_S7_EES7_S7_S7_b.has_recursion, 0
	.set _ZN2at6native12_GLOBAL__N_112gatherMedianIljLin1EEEvNS_4cuda6detail10TensorInfoIT_T0_EENS5_IlS7_EENS5_IKS6_S7_EES7_S7_S7_b.has_indirect_call, 0
	.section	.AMDGPU.csdata,"",@progbits
; Kernel info:
; codeLenInByte = 11424
; TotalNumSgprs: 83
; NumVgprs: 55
; ScratchSize: 0
; MemoryBound: 0
; FloatMode: 240
; IeeeMode: 1
; LDSByteSize: 4120 bytes/workgroup (compile time only)
; SGPRBlocks: 0
; VGPRBlocks: 6
; NumSGPRsForWavesPerEU: 83
; NumVGPRsForWavesPerEU: 55
; Occupancy: 16
; WaveLimiterHint : 1
; COMPUTE_PGM_RSRC2:SCRATCH_EN: 0
; COMPUTE_PGM_RSRC2:USER_SGPR: 2
; COMPUTE_PGM_RSRC2:TRAP_HANDLER: 0
; COMPUTE_PGM_RSRC2:TGID_X_EN: 1
; COMPUTE_PGM_RSRC2:TGID_Y_EN: 1
; COMPUTE_PGM_RSRC2:TGID_Z_EN: 1
; COMPUTE_PGM_RSRC2:TIDIG_COMP_CNT: 0
	.section	.text._ZN2at6native12_GLOBAL__N_112gatherMedianIlmLi1EEEvNS_4cuda6detail10TensorInfoIT_T0_EENS5_IlS7_EENS5_IKS6_S7_EES7_S7_S7_b,"axG",@progbits,_ZN2at6native12_GLOBAL__N_112gatherMedianIlmLi1EEEvNS_4cuda6detail10TensorInfoIT_T0_EENS5_IlS7_EENS5_IKS6_S7_EES7_S7_S7_b,comdat
	.globl	_ZN2at6native12_GLOBAL__N_112gatherMedianIlmLi1EEEvNS_4cuda6detail10TensorInfoIT_T0_EENS5_IlS7_EENS5_IKS6_S7_EES7_S7_S7_b ; -- Begin function _ZN2at6native12_GLOBAL__N_112gatherMedianIlmLi1EEEvNS_4cuda6detail10TensorInfoIT_T0_EENS5_IlS7_EENS5_IKS6_S7_EES7_S7_S7_b
	.p2align	8
	.type	_ZN2at6native12_GLOBAL__N_112gatherMedianIlmLi1EEEvNS_4cuda6detail10TensorInfoIT_T0_EENS5_IlS7_EENS5_IKS6_S7_EES7_S7_S7_b,@function
_ZN2at6native12_GLOBAL__N_112gatherMedianIlmLi1EEEvNS_4cuda6detail10TensorInfoIT_T0_EENS5_IlS7_EENS5_IKS6_S7_EES7_S7_S7_b: ; @_ZN2at6native12_GLOBAL__N_112gatherMedianIlmLi1EEEvNS_4cuda6detail10TensorInfoIT_T0_EENS5_IlS7_EENS5_IKS6_S7_EES7_S7_S7_b
; %bb.0:
	s_clause 0x1
	s_load_b64 s[4:5], s[0:1], 0x500
	s_load_b128 s[24:27], s[0:1], 0x4e0
	s_lshr_b32 s2, ttmp7, 16
	s_and_b32 s3, ttmp7, 0xffff
	s_mov_b32 s29, 0
	s_wait_kmcnt 0x0
	s_mul_i32 s2, s5, s2
	s_delay_alu instid0(SALU_CYCLE_1) | instskip(NEXT) | instid1(SALU_CYCLE_1)
	s_add_co_i32 s2, s2, s3
	s_mul_i32 s2, s2, s4
	s_delay_alu instid0(SALU_CYCLE_1) | instskip(NEXT) | instid1(SALU_CYCLE_1)
	s_add_co_i32 s28, s2, ttmp9
	v_cmp_le_u64_e64 s2, s[26:27], s[28:29]
	s_and_b32 vcc_lo, exec_lo, s2
	s_cbranch_vccnz .LBB100_272
; %bb.1:
	s_load_b64 s[34:35], s[0:1], 0x4f0
	v_cmp_eq_u32_e64 s2, 0, v0
	s_and_saveexec_b32 s3, s2
; %bb.2:
	v_mov_b32_e32 v1, 0
	s_delay_alu instid0(VALU_DEP_1)
	v_mov_b32_e32 v2, v1
	ds_store_b64 v1, v[1:2] offset:5136
; %bb.3:
	s_or_b32 exec_lo, exec_lo, s3
	v_mov_b32_e32 v1, 0
	v_mov_b32_e32 v33, s25
	s_wait_dscnt 0x0
	s_barrier_signal -1
	s_barrier_wait -1
	global_inv scope:SCOPE_SE
	s_wait_loadcnt 0x0
	s_barrier_signal -1
	s_barrier_wait -1
	global_inv scope:SCOPE_SE
	v_mov_b32_e32 v32, s24
	ds_load_b64 v[1:2], v1 offset:5136
	s_load_b32 s3, s[0:1], 0x4f8
	s_wait_dscnt 0x0
	v_cmp_gt_i64_e32 vcc_lo, 1, v[1:2]
	s_wait_kmcnt 0x0
	s_bitcmp1_b32 s3, 0
	s_cselect_b32 s3, -1, 0
	s_delay_alu instid0(SALU_CYCLE_1) | instskip(NEXT) | instid1(SALU_CYCLE_1)
	s_or_b32 s3, s3, vcc_lo
	s_and_not1_b32 vcc_lo, exec_lo, s3
	s_cbranch_vccnz .LBB100_5
; %bb.4:
	v_not_b32_e32 v1, v1
	v_not_b32_e32 v2, v2
	s_delay_alu instid0(VALU_DEP_2) | instskip(NEXT) | instid1(VALU_DEP_1)
	v_add_co_u32 v1, vcc_lo, s24, v1
	v_add_co_ci_u32_e64 v2, null, s25, v2, vcc_lo
	s_delay_alu instid0(VALU_DEP_1) | instskip(NEXT) | instid1(VALU_DEP_1)
	v_lshrrev_b64 v[1:2], 1, v[1:2]
	v_add_co_u32 v32, vcc_lo, v1, 1
	s_wait_alu 0xfffd
	s_delay_alu instid0(VALU_DEP_2)
	v_add_co_ci_u32_e64 v33, null, 0, v2, vcc_lo
.LBB100_5:
	s_clause 0x1
	s_load_b64 s[10:11], s[0:1], 0x410
	s_load_b64 s[8:9], s[0:1], 0x340
	s_add_nc_u64 s[6:7], s[0:1], 0x500
	s_and_saveexec_b32 s3, s2
	s_cbranch_execz .LBB100_7
; %bb.6:
	v_dual_mov_b32 v1, 0 :: v_dual_mov_b32 v4, s25
	s_delay_alu instid0(VALU_DEP_1)
	v_dual_mov_b32 v3, s24 :: v_dual_mov_b32 v2, v1
	ds_store_b32 v1, v1 offset:5144
	ds_store_b128 v1, v[1:4] offset:5120
.LBB100_7:
	s_or_b32 exec_lo, exec_lo, s3
	v_mad_co_u64_u32 v[2:3], null, s34, v0, 0
	v_lshlrev_b32_e32 v42, 5, v0
	v_mbcnt_lo_u32_b32 v38, -1, 0
	s_wait_kmcnt 0x0
	s_mul_u64 s[10:11], s[10:11], s[28:29]
	v_cmp_gt_u32_e32 vcc_lo, 32, v0
	s_lshl_b64 s[10:11], s[10:11], 3
	v_or_b32_e32 v9, 16, v42
	v_mad_co_u64_u32 v[3:4], null, s35, v0, v[3:4]
	v_cmp_gt_i32_e64 s3, 4, v38
	s_clause 0x3
	s_load_b64 s[30:31], s[0:1], 0x270
	s_load_b64 s[26:27], s[0:1], 0x1a0
	;; [unrolled: 1-line block ×4, first 2 shown]
	v_mad_co_u64_u32 v[23:24], null, s34, v9, 0
	s_wait_loadcnt_dscnt 0x0
	s_barrier_signal -1
	v_lshlrev_b64_e32 v[4:5], 3, v[2:3]
	s_barrier_wait -1
	global_inv scope:SCOPE_SE
	s_load_b32 s5, s[6:7], 0xc
	s_add_nc_u64 s[44:45], s[8:9], s[10:11]
	s_and_b32 s33, vcc_lo, s3
	v_add_co_u32 v15, vcc_lo, s44, v4
	v_lshlrev_b64_e64 v[6:7], v38, -1
	s_wait_alu 0xfffd
	v_add_co_ci_u32_e64 v16, null, s45, v5, vcc_lo
	v_mov_b32_e32 v5, v24
	v_or_b32_e32 v7, 24, v42
	v_or_b32_e32 v10, 8, v42
	v_not_b32_e32 v41, v6
	v_dual_mov_b32 v18, 0 :: v_dual_lshlrev_b32 v39, 3, v0
	s_delay_alu instid0(VALU_DEP_4) | instskip(NEXT) | instid1(VALU_DEP_4)
	v_mad_co_u64_u32 v[21:22], null, s34, v7, 0
	v_mad_co_u64_u32 v[25:26], null, s34, v10, 0
	s_delay_alu instid0(VALU_DEP_3) | instskip(SKIP_3) | instid1(VALU_DEP_3)
	v_dual_mov_b32 v1, v18 :: v_dual_add_nc_u32 v40, 0xc00, v39
	s_wait_kmcnt 0x0
	s_and_b32 s36, s5, 0xffff
	s_bfe_u32 s5, s5, 0xb0005
	v_mov_b32_e32 v4, v22
	s_cmp_gt_u32 s36, 31
	s_delay_alu instid0(VALU_DEP_3) | instskip(SKIP_3) | instid1(VALU_DEP_2)
	v_mov_b32_e32 v6, v26
	s_cselect_b32 s73, -1, 0
	s_cmp_lt_u32 ttmp9, s4
	v_mad_co_u64_u32 v[7:8], null, s35, v7, v[4:5]
	v_mad_co_u64_u32 v[4:5], null, s35, v9, v[5:6]
	s_cselect_b32 s46, 12, 18
	s_add_co_i32 s4, s5, -1
	s_bfe_u32 s74, s36, 0x30005
	s_and_b32 s4, s4, 0xffff
	s_mov_b32 s47, 0
	s_cmp_gt_u32 s4, 6
	v_mov_b32_e32 v43, v4
	v_mad_co_u64_u32 v[5:6], null, s35, v10, v[6:7]
	s_cselect_b32 s75, -1, 0
	s_and_b32 s76, s5, 0x7f8
	s_cmp_lg_u32 s74, 0
	s_movk_i32 s4, 0x3e0
	s_cselect_b32 s77, -1, 0
	s_lshl_b64 s[52:53], s[34:35], 3
	s_lshl_b64 s[54:55], s[34:35], 5
	v_mul_lo_u32 v46, 0, s52
	v_mul_lo_u32 v47, 0, s54
	v_cmp_gt_u64_e64 s0, s[24:25], v[0:1]
	v_cmp_lt_u64_e64 s72, 0x180, s[24:25]
	s_mov_b32 s37, s47
	v_mov_b32_e32 v44, v5
	v_lshlrev_b64_e32 v[26:27], 5, v[2:3]
	v_dual_mov_b32 v5, 0 :: v_dual_mov_b32 v28, 0
	v_mov_b32_e32 v30, 0
	v_cmp_eq_u32_e64 s1, 0, v38
	v_cmp_gt_u32_e64 s3, 2, v0
	v_dual_mov_b32 v20, v18 :: v_dual_lshlrev_b32 v19, 2, v0
	v_and_or_b32 v22, v0, s4, 0xc00
	v_dual_mov_b32 v24, v7 :: v_dual_mov_b32 v29, 0
	v_lshl_or_b32 v45, v38, 3, 0xc00
	v_dual_mov_b32 v6, 0 :: v_dual_mov_b32 v31, 0
	v_mov_b32_e32 v2, 1
	s_add_nc_u64 s[48:49], s[36:37], -1
	s_mul_u64 s[4:5], s[34:35], s[36:37]
	s_add_nc_u64 s[50:51], s[48:49], s[24:25]
	s_lshl_b32 s78, s36, 3
	s_wait_alu 0xfffe
	s_lshl_b64 s[42:43], s[4:5], 3
	s_mov_b32 s79, 62
	s_add_nc_u64 s[56:57], s[6:7], s[46:47]
	s_mov_b32 s81, 0x4f800000
	s_mov_b32 s80, 0
	;; [unrolled: 1-line block ×3, first 2 shown]
                                        ; implicit-def: $sgpr86
                                        ; implicit-def: $sgpr88
                                        ; implicit-def: $sgpr83
                                        ; implicit-def: $sgpr85
                                        ; implicit-def: $sgpr87
                                        ; implicit-def: $sgpr84
	s_branch .LBB100_11
.LBB100_8:                              ;   in Loop: Header=BB100_11 Depth=1
	s_wait_alu 0xfffe
	s_or_b32 exec_lo, exec_lo, s7
	s_delay_alu instid0(SALU_CYCLE_1)
	s_and_b32 s5, s5, exec_lo
	s_and_not1_b32 s22, s22, exec_lo
	s_and_not1_b32 s21, s21, exec_lo
	s_or_not1_b32 s19, s6, exec_lo
.LBB100_9:                              ;   in Loop: Header=BB100_11 Depth=1
	s_wait_alu 0xfffe
	s_or_b32 exec_lo, exec_lo, s4
	s_delay_alu instid0(SALU_CYCLE_1)
	s_and_not1_b32 s4, s84, exec_lo
	s_and_b32 s5, s5, exec_lo
	s_and_not1_b32 s6, s85, exec_lo
	s_wait_alu 0xfffe
	s_or_b32 s84, s4, s5
	s_and_not1_b32 s4, s87, exec_lo
	s_and_b32 s5, s22, exec_lo
	s_and_b32 s7, s21, exec_lo
	s_wait_alu 0xfffe
	s_or_b32 s87, s4, s5
	s_or_b32 s85, s6, s7
	s_or_not1_b32 s19, s19, exec_lo
.LBB100_10:                             ;   in Loop: Header=BB100_11 Depth=1
	s_or_b32 exec_lo, exec_lo, s18
	s_delay_alu instid0(SALU_CYCLE_1)
	s_and_b32 s4, exec_lo, s19
	v_dual_mov_b32 v33, v12 :: v_dual_mov_b32 v32, v11
	s_wait_alu 0xfffe
	s_or_b32 s80, s4, s80
	s_and_not1_b32 s4, s83, exec_lo
	s_and_b32 s5, s84, exec_lo
	s_and_not1_b32 s6, s88, exec_lo
	s_wait_alu 0xfffe
	s_or_b32 s83, s4, s5
	s_and_b32 s4, s87, exec_lo
	s_and_not1_b32 s5, s86, exec_lo
	s_and_b32 s7, s85, exec_lo
	s_wait_alu 0xfffe
	s_or_b32 s88, s6, s4
	s_or_b32 s86, s5, s7
	s_and_not1_b32 exec_lo, exec_lo, s80
	s_cbranch_execz .LBB100_268
.LBB100_11:                             ; =>This Loop Header: Depth=1
                                        ;     Child Loop BB100_17 Depth 2
                                        ;     Child Loop BB100_30 Depth 2
	;; [unrolled: 1-line block ×16, first 2 shown]
	ds_load_b128 v[7:10], v18 offset:5120
	s_wait_dscnt 0x0
	v_readfirstlane_b32 s59, v8
	v_readfirstlane_b32 s58, v7
	s_cmp_lg_u64 s[58:59], 0
	s_cbranch_scc1 .LBB100_38
; %bb.12:                               ;   in Loop: Header=BB100_11 Depth=1
	s_and_b32 vcc_lo, exec_lo, s72
	s_wait_alu 0xfffe
	s_cbranch_vccz .LBB100_25
; %bb.13:                               ;   in Loop: Header=BB100_11 Depth=1
	v_cmp_gt_u64_e32 vcc_lo, 0x181, v[9:10]
	s_mov_b32 s6, 0
	s_mov_b32 s4, 0
	s_cbranch_vccz .LBB100_26
; %bb.14:                               ;   in Loop: Header=BB100_11 Depth=1
	s_and_saveexec_b32 s7, s0
	s_cbranch_execz .LBB100_135
; %bb.15:                               ;   in Loop: Header=BB100_11 Depth=1
	global_load_u16 v3, v18, s[56:57]
	global_load_b64 v[7:8], v[15:16], off
	s_mov_b32 s8, 0
	s_wait_loadcnt 0x1
	v_and_b32_e32 v13, 0xffff, v3
	s_delay_alu instid0(VALU_DEP_1) | instskip(SKIP_2) | instid1(VALU_DEP_3)
	v_add_nc_u32_e32 v9, v0, v13
	v_mul_lo_u32 v11, v13, s53
	v_mul_hi_u32 v12, v13, s52
	v_mad_co_u64_u32 v[3:4], null, s52, v9, s[44:45]
	s_delay_alu instid0(VALU_DEP_1) | instskip(NEXT) | instid1(VALU_DEP_4)
	v_mad_co_u64_u32 v[9:10], null, s53, v9, v[4:5]
	v_add_nc_u32_e32 v4, v11, v46
	s_delay_alu instid0(VALU_DEP_1)
	v_dual_mov_b32 v4, v9 :: v_dual_add_nc_u32 v17, v4, v12
	v_mul_lo_u32 v14, v13, s52
	v_dual_mov_b32 v10, v1 :: v_dual_mov_b32 v9, v0
	s_branch .LBB100_17
.LBB100_16:                             ;   in Loop: Header=BB100_17 Depth=2
	s_wait_alu 0xfffe
	s_or_b32 exec_lo, exec_lo, s5
	v_add_co_u32 v3, vcc_lo, v3, v14
	s_wait_alu 0xfffd
	v_add_co_ci_u32_e64 v4, null, v4, v17, vcc_lo
	v_dual_mov_b32 v7, v11 :: v_dual_mov_b32 v8, v12
	s_and_not1_b32 exec_lo, exec_lo, s8
	s_cbranch_execz .LBB100_135
.LBB100_17:                             ;   Parent Loop BB100_11 Depth=1
                                        ; =>  This Inner Loop Header: Depth=2
	s_delay_alu instid0(VALU_DEP_1)
	v_add_co_u32 v9, vcc_lo, v9, v13
	v_mov_b32_e32 v11, 0
	s_wait_alu 0xfffd
	v_add_co_ci_u32_e64 v10, null, 0, v10, vcc_lo
	v_mov_b32_e32 v12, 0
	s_mov_b32 s5, exec_lo
	s_delay_alu instid0(VALU_DEP_2)
	v_cmp_le_u64_e32 vcc_lo, s[24:25], v[9:10]
	v_cmpx_gt_u64_e64 s[24:25], v[9:10]
	s_cbranch_execz .LBB100_19
; %bb.18:                               ;   in Loop: Header=BB100_17 Depth=2
	global_load_b64 v[11:12], v[3:4], off
.LBB100_19:                             ;   in Loop: Header=BB100_17 Depth=2
	s_wait_alu 0xfffe
	s_or_b32 exec_lo, exec_lo, s5
	s_wait_loadcnt_dscnt 0x0
	v_xor_b32_e32 v34, 0x80000000, v8
	s_delay_alu instid0(VALU_DEP_1) | instskip(SKIP_1) | instid1(VALU_DEP_1)
	v_and_b32_e32 v35, v34, v31
	v_and_b32_e32 v34, v7, v30
	v_cmp_eq_u64_e64 s4, v[34:35], v[28:29]
	v_mov_b32_e32 v34, 0
	s_cmp_lg_u32 s4, 0
	s_cselect_b32 s5, -1, 0
	s_wait_alu 0xfffe
	s_and_b32 s5, s1, s5
	s_wait_alu 0xfffe
	s_and_saveexec_b32 s9, s5
	s_cbranch_execz .LBB100_23
; %bb.20:                               ;   in Loop: Header=BB100_17 Depth=2
	s_mov_b32 s12, exec_lo
	s_bcnt1_i32_b32 s10, s4
	s_wait_alu 0xfffe
	v_mbcnt_lo_u32_b32 v34, s12, 0
	s_mov_b32 s11, exec_lo
                                        ; implicit-def: $vgpr35
	s_delay_alu instid0(VALU_DEP_1)
	v_cmpx_eq_u32_e32 0, v34
; %bb.21:                               ;   in Loop: Header=BB100_17 Depth=2
	s_bcnt1_i32_b32 s5, s12
	s_wait_alu 0xfffe
	s_mul_i32 s5, s10, s5
	s_wait_alu 0xfffe
	v_mov_b32_e32 v35, s5
	ds_add_rtn_u32 v35, v18, v35 offset:5144
; %bb.22:                               ;   in Loop: Header=BB100_17 Depth=2
	s_or_b32 exec_lo, exec_lo, s11
	s_wait_dscnt 0x0
	v_readfirstlane_b32 s5, v35
	s_wait_alu 0xf1ff
	s_delay_alu instid0(VALU_DEP_1)
	v_mad_u32_u24 v34, s10, v34, s5
.LBB100_23:                             ;   in Loop: Header=BB100_17 Depth=2
	s_wait_alu 0xfffe
	s_or_b32 exec_lo, exec_lo, s9
	ds_bpermute_b32 v34, v18, v34
	s_and_b32 s5, exec_lo, vcc_lo
	s_wait_alu 0xfffe
	s_or_b32 s8, s5, s8
	s_and_saveexec_b32 s5, s4
	s_cbranch_execz .LBB100_16
; %bb.24:                               ;   in Loop: Header=BB100_17 Depth=2
	v_and_b32_e32 v35, s4, v41
	s_delay_alu instid0(VALU_DEP_1) | instskip(NEXT) | instid1(VALU_DEP_1)
	v_bcnt_u32_b32 v35, v35, 0
	v_lshlrev_b32_e32 v35, 3, v35
	s_wait_dscnt 0x0
	s_delay_alu instid0(VALU_DEP_1)
	v_lshl_add_u32 v34, v34, 3, v35
	ds_store_b64 v34, v[7:8]
	s_branch .LBB100_16
.LBB100_25:                             ;   in Loop: Header=BB100_11 Depth=1
	s_mov_b32 s6, -1
	s_mov_b32 s4, 0
.LBB100_26:                             ;   in Loop: Header=BB100_11 Depth=1
	s_wait_alu 0xfffe
	s_and_b32 vcc_lo, exec_lo, s6
	s_wait_alu 0xfffe
	s_cbranch_vccz .LBB100_36
.LBB100_27:                             ;   in Loop: Header=BB100_11 Depth=1
	s_and_saveexec_b32 s5, s0
	s_cbranch_execz .LBB100_33
; %bb.28:                               ;   in Loop: Header=BB100_11 Depth=1
	global_load_u16 v7, v18, s[56:57]
	global_load_b64 v[3:4], v[15:16], off
	s_mov_b32 s6, exec_lo
	s_wait_loadcnt 0x1
	v_dual_mov_b32 v7, v0 :: v_dual_and_b32 v34, 0xffff, v7
	s_delay_alu instid0(VALU_DEP_1) | instskip(NEXT) | instid1(VALU_DEP_1)
	v_add_nc_u32_e32 v17, v34, v0
	v_cmpx_gt_u64_e64 s[24:25], v[17:18]
	s_cbranch_execz .LBB100_32
; %bb.29:                               ;   in Loop: Header=BB100_11 Depth=1
	v_mul_lo_u32 v10, v34, s53
	v_mad_co_u64_u32 v[7:8], null, s52, v17, s[44:45]
	v_mul_hi_u32 v11, v34, s52
	v_mul_lo_u32 v35, v34, s52
	v_dual_mov_b32 v14, v1 :: v_dual_mov_b32 v13, v0
	s_mov_b32 s7, 0
	v_add_nc_u32_e32 v12, v10, v46
	v_mad_co_u64_u32 v[8:9], null, s53, v17, v[8:9]
	v_dual_mov_b32 v9, v17 :: v_dual_mov_b32 v10, v18
	s_delay_alu instid0(VALU_DEP_3)
	v_add_nc_u32_e32 v17, v12, v11
.LBB100_30:                             ;   Parent Loop BB100_11 Depth=1
                                        ; =>  This Inner Loop Header: Depth=2
	global_load_b64 v[11:12], v[7:8], off
	v_dual_mov_b32 v37, v10 :: v_dual_mov_b32 v36, v9
	v_lshlrev_b32_e32 v13, 3, v13
	s_delay_alu instid0(VALU_DEP_2) | instskip(SKIP_1) | instid1(VALU_DEP_3)
	v_add_co_u32 v9, vcc_lo, v36, v34
	s_wait_alu 0xfffd
	v_add_co_ci_u32_e64 v10, null, 0, v37, vcc_lo
	v_add_co_u32 v7, vcc_lo, v7, v35
	s_wait_loadcnt 0x1
	ds_store_b64 v13, v[3:4]
	v_cmp_le_u64_e64 s4, s[24:25], v[9:10]
	s_wait_alu 0xfffd
	v_add_co_ci_u32_e64 v8, null, v8, v17, vcc_lo
	v_dual_mov_b32 v13, v36 :: v_dual_mov_b32 v14, v37
	s_wait_alu 0xfffe
	s_delay_alu instid0(VALU_DEP_3)
	s_or_b32 s7, s4, s7
	s_wait_loadcnt 0x0
	v_dual_mov_b32 v3, v11 :: v_dual_mov_b32 v4, v12
	s_wait_alu 0xfffe
	s_and_not1_b32 exec_lo, exec_lo, s7
	s_cbranch_execnz .LBB100_30
; %bb.31:                               ;   in Loop: Header=BB100_11 Depth=1
	s_or_b32 exec_lo, exec_lo, s7
	v_sub_nc_u32_e32 v7, v9, v34
	v_dual_mov_b32 v3, v11 :: v_dual_mov_b32 v4, v12
.LBB100_32:                             ;   in Loop: Header=BB100_11 Depth=1
	s_wait_alu 0xfffe
	s_or_b32 exec_lo, exec_lo, s6
	s_delay_alu instid0(VALU_DEP_2)
	v_lshlrev_b32_e32 v7, 3, v7
	s_wait_loadcnt 0x0
	ds_store_b64 v7, v[3:4]
.LBB100_33:                             ;   in Loop: Header=BB100_11 Depth=1
	s_wait_alu 0xfffe
	s_or_b32 exec_lo, exec_lo, s5
	s_wait_loadcnt_dscnt 0x0
	s_barrier_signal -1
	s_barrier_wait -1
	global_inv scope:SCOPE_SE
	s_and_saveexec_b32 s4, s2
; %bb.34:                               ;   in Loop: Header=BB100_11 Depth=1
	v_dual_mov_b32 v3, s24 :: v_dual_mov_b32 v4, s25
	ds_store_b64 v18, v[3:4] offset:5120
; %bb.35:                               ;   in Loop: Header=BB100_11 Depth=1
	s_wait_alu 0xfffe
	s_or_b32 exec_lo, exec_lo, s4
	s_mov_b32 s4, -1
	s_wait_loadcnt_dscnt 0x0
	s_barrier_signal -1
	s_barrier_wait -1
.LBB100_36:                             ;   in Loop: Header=BB100_11 Depth=1
	s_wait_alu 0xfffe
	s_and_b32 vcc_lo, exec_lo, s4
	s_mov_b64 s[58:59], 0
	s_wait_alu 0xfffe
	s_cbranch_vccz .LBB100_38
; %bb.37:                               ;   in Loop: Header=BB100_11 Depth=1
	s_wait_loadcnt 0x0
	global_inv scope:SCOPE_SE
	ds_load_b64 v[3:4], v18 offset:5120
	s_wait_dscnt 0x0
	v_readfirstlane_b32 s58, v3
.LBB100_38:                             ;   in Loop: Header=BB100_11 Depth=1
	s_delay_alu instid0(VALU_DEP_1)
	s_cmp_lt_i32 s58, 1
	s_mov_b32 s4, -1
                                        ; implicit-def: $vgpr13_vgpr14
                                        ; implicit-def: $vgpr9_vgpr10
	s_cbranch_scc1 .LBB100_48
; %bb.39:                               ;   in Loop: Header=BB100_11 Depth=1
	s_wait_alu 0xfffe
	s_and_b32 vcc_lo, exec_lo, s4
	s_wait_alu 0xfffe
	s_cbranch_vccnz .LBB100_62
.LBB100_40:                             ;   in Loop: Header=BB100_11 Depth=1
	s_lshl_b32 s4, s82, 7
	s_and_saveexec_b32 s5, s1
	s_cbranch_execz .LBB100_42
.LBB100_41:                             ;   in Loop: Header=BB100_11 Depth=1
	s_wait_alu 0xfffe
	v_lshl_add_u32 v3, s4, 3, v22
	ds_store_b128 v3, v[7:10]
	ds_store_b128 v3, v[11:14] offset:16
.LBB100_42:                             ;   in Loop: Header=BB100_11 Depth=1
	s_wait_alu 0xfffe
	s_or_b32 exec_lo, exec_lo, s5
	s_wait_loadcnt_dscnt 0x0
	s_barrier_signal -1
	s_barrier_wait -1
	global_inv scope:SCOPE_SE
	s_and_saveexec_b32 s5, s33
	s_cbranch_execz .LBB100_76
; %bb.43:                               ;   in Loop: Header=BB100_11 Depth=1
	v_mov_b32_e32 v3, 0
	v_mov_b32_e32 v4, 0
	s_and_not1_b32 vcc_lo, exec_lo, s73
	s_wait_alu 0xfffe
	s_cbranch_vccnz .LBB100_75
; %bb.44:                               ;   in Loop: Header=BB100_11 Depth=1
	v_mov_b32_e32 v3, 0
	v_mov_b32_e32 v4, 0
	s_and_not1_b32 vcc_lo, exec_lo, s75
	s_wait_alu 0xfffe
	s_cbranch_vccnz .LBB100_72
; %bb.45:                               ;   in Loop: Header=BB100_11 Depth=1
	v_lshl_add_u32 v7, s82, 10, v45
	s_mov_b32 s6, 0
.LBB100_46:                             ;   Parent Loop BB100_11 Depth=1
                                        ; =>  This Inner Loop Header: Depth=2
	ds_load_2addr_b64 v[8:11], v7 offset1:4
	ds_load_2addr_b64 v[34:37], v7 offset0:8 offset1:12
	ds_load_2addr_b64 v[48:51], v7 offset0:16 offset1:20
	s_wait_alu 0xfffe
	s_add_co_i32 s6, s6, 8
	s_wait_alu 0xfffe
	s_cmp_eq_u32 s76, s6
	s_wait_dscnt 0x2
	v_add_co_u32 v3, vcc_lo, v8, v3
	s_wait_alu 0xfffd
	v_add_co_ci_u32_e64 v4, null, v9, v4, vcc_lo
	s_delay_alu instid0(VALU_DEP_2) | instskip(SKIP_1) | instid1(VALU_DEP_2)
	v_add_co_u32 v3, vcc_lo, v10, v3
	s_wait_alu 0xfffd
	v_add_co_ci_u32_e64 v4, null, v11, v4, vcc_lo
	ds_load_2addr_b64 v[8:11], v7 offset0:24 offset1:28
	s_wait_dscnt 0x2
	v_add_co_u32 v3, vcc_lo, v34, v3
	s_wait_alu 0xfffd
	v_add_co_ci_u32_e64 v4, null, v35, v4, vcc_lo
	v_add_nc_u32_e32 v7, 0x100, v7
	s_delay_alu instid0(VALU_DEP_3) | instskip(SKIP_1) | instid1(VALU_DEP_3)
	v_add_co_u32 v3, vcc_lo, v36, v3
	s_wait_alu 0xfffd
	v_add_co_ci_u32_e64 v4, null, v37, v4, vcc_lo
	s_wait_dscnt 0x1
	s_delay_alu instid0(VALU_DEP_2) | instskip(SKIP_1) | instid1(VALU_DEP_2)
	v_add_co_u32 v3, vcc_lo, v48, v3
	s_wait_alu 0xfffd
	v_add_co_ci_u32_e64 v4, null, v49, v4, vcc_lo
	s_delay_alu instid0(VALU_DEP_2) | instskip(SKIP_1) | instid1(VALU_DEP_2)
	v_add_co_u32 v3, vcc_lo, v50, v3
	s_wait_alu 0xfffd
	v_add_co_ci_u32_e64 v4, null, v51, v4, vcc_lo
	s_wait_dscnt 0x0
	s_delay_alu instid0(VALU_DEP_2) | instskip(SKIP_1) | instid1(VALU_DEP_2)
	v_add_co_u32 v3, vcc_lo, v8, v3
	s_wait_alu 0xfffd
	v_add_co_ci_u32_e64 v4, null, v9, v4, vcc_lo
	s_delay_alu instid0(VALU_DEP_2) | instskip(SKIP_1) | instid1(VALU_DEP_2)
	v_add_co_u32 v3, vcc_lo, v10, v3
	s_wait_alu 0xfffd
	v_add_co_ci_u32_e64 v4, null, v11, v4, vcc_lo
	s_cbranch_scc0 .LBB100_46
; %bb.47:                               ;   in Loop: Header=BB100_11 Depth=1
	s_mov_b32 s6, s76
	s_and_not1_b32 vcc_lo, exec_lo, s77
	s_wait_alu 0xfffe
	s_cbranch_vccz .LBB100_73
	s_branch .LBB100_75
.LBB100_48:                             ;   in Loop: Header=BB100_11 Depth=1
	global_load_u16 v3, v18, s[56:57]
	s_mov_b32 s5, s25
	s_wait_loadcnt 0x0
	v_readfirstlane_b32 s4, v3
	s_wait_alu 0xfffe
	s_and_b32 s6, 0xffff, s4
	s_mov_b32 s4, s47
	s_wait_alu 0xfffe
	s_lshl_b32 s60, s6, 2
	s_cmp_lg_u64 s[4:5], 0
	s_cbranch_scc0 .LBB100_71
; %bb.49:                               ;   in Loop: Header=BB100_11 Depth=1
	s_wait_alu 0xfffe
	s_cvt_f32_u32 s4, s60
	s_mov_b32 s61, s47
	s_wait_alu 0xfffe
	s_sub_nc_u64 s[6:7], 0, s[60:61]
	s_fmamk_f32 s4, s81, 0x0, s4
	s_wait_alu 0xfffe
	s_delay_alu instid0(SALU_CYCLE_2) | instskip(NEXT) | instid1(TRANS32_DEP_1)
	v_s_rcp_f32 s4, s4
	s_mul_f32 s4, s4, 0x5f7ffffc
	s_wait_alu 0xfffe
	s_delay_alu instid0(SALU_CYCLE_2) | instskip(SKIP_1) | instid1(SALU_CYCLE_2)
	s_mul_f32 s5, s4, 0x2f800000
	s_wait_alu 0xfffe
	s_trunc_f32 s5, s5
	s_wait_alu 0xfffe
	s_delay_alu instid0(SALU_CYCLE_2) | instskip(SKIP_2) | instid1(SALU_CYCLE_1)
	s_fmamk_f32 s4, s5, 0xcf800000, s4
	s_cvt_u32_f32 s5, s5
	s_wait_alu 0xfffe
	s_cvt_u32_f32 s4, s4
	s_wait_alu 0xfffe
	s_delay_alu instid0(SALU_CYCLE_2)
	s_mul_u64 s[8:9], s[6:7], s[4:5]
	s_wait_alu 0xfffe
	s_mul_hi_u32 s11, s4, s9
	s_mul_i32 s10, s4, s9
	s_mul_hi_u32 s46, s4, s8
	s_mul_i32 s13, s5, s8
	s_wait_alu 0xfffe
	s_add_nc_u64 s[10:11], s[46:47], s[10:11]
	s_mul_hi_u32 s12, s5, s8
	s_mul_hi_u32 s14, s5, s9
	s_mul_i32 s8, s5, s9
	s_wait_alu 0xfffe
	s_add_co_u32 s9, s10, s13
	s_add_co_ci_u32 s46, s11, s12
	s_add_co_ci_u32 s9, s14, 0
	s_wait_alu 0xfffe
	s_add_nc_u64 s[8:9], s[46:47], s[8:9]
	s_wait_alu 0xfffe
	s_add_co_u32 s4, s4, s8
	s_cselect_b32 s8, -1, 0
	s_wait_alu 0xfffe
	s_cmp_lg_u32 s8, 0
	s_add_co_ci_u32 s5, s5, s9
	s_wait_alu 0xfffe
	s_mul_u64 s[6:7], s[6:7], s[4:5]
	s_wait_alu 0xfffe
	s_mul_hi_u32 s9, s4, s7
	s_mul_i32 s8, s4, s7
	s_mul_hi_u32 s46, s4, s6
	s_mul_i32 s11, s5, s6
	s_wait_alu 0xfffe
	s_add_nc_u64 s[8:9], s[46:47], s[8:9]
	s_mul_hi_u32 s10, s5, s6
	s_mul_hi_u32 s12, s5, s7
	s_mul_i32 s6, s5, s7
	s_wait_alu 0xfffe
	s_add_co_u32 s7, s8, s11
	s_add_co_ci_u32 s46, s9, s10
	s_add_co_ci_u32 s7, s12, 0
	s_wait_alu 0xfffe
	s_add_nc_u64 s[6:7], s[46:47], s[6:7]
	s_wait_alu 0xfffe
	s_add_co_u32 s4, s4, s6
	s_cselect_b32 s6, -1, 0
	s_wait_alu 0xfffe
	s_mul_hi_u32 s46, s24, s4
	s_cmp_lg_u32 s6, 0
	s_mul_hi_u32 s8, s25, s4
	s_add_co_ci_u32 s6, s5, s7
	s_mul_i32 s7, s25, s4
	s_wait_alu 0xfffe
	s_mul_hi_u32 s5, s24, s6
	s_mul_i32 s4, s24, s6
	s_mul_hi_u32 s9, s25, s6
	s_wait_alu 0xfffe
	s_add_nc_u64 s[4:5], s[46:47], s[4:5]
	s_mul_i32 s6, s25, s6
	s_wait_alu 0xfffe
	s_add_co_u32 s4, s4, s7
	s_add_co_ci_u32 s46, s5, s8
	s_add_co_ci_u32 s7, s9, 0
	s_wait_alu 0xfffe
	s_add_nc_u64 s[4:5], s[46:47], s[6:7]
	s_wait_alu 0xfffe
	s_mul_u64 s[4:5], s[60:61], s[4:5]
	s_wait_alu 0xfffe
	s_sub_co_u32 s4, s24, s4
	s_cselect_b32 s6, -1, 0
	s_wait_alu 0xfffe
	s_cmp_lg_u32 s6, 0
	s_sub_co_ci_u32 s5, s25, s5
	s_sub_co_u32 s6, s4, s60
	s_cselect_b32 s7, -1, 0
	s_wait_alu 0xfffe
	s_cmp_lg_u32 s7, 0
	s_sub_co_ci_u32 s7, s5, 0
	;; [unrolled: 5-line block ×3, first 2 shown]
	s_cmp_ge_u32 s6, s60
	s_cselect_b32 s10, -1, 0
	s_cmp_eq_u32 s7, 0
	s_wait_alu 0xfffe
	s_cselect_b32 s10, s10, -1
	s_wait_alu 0xfffe
	s_cmp_lg_u32 s10, 0
	s_cselect_b32 s7, s9, s7
	s_cselect_b32 s6, s8, s6
	s_cmp_ge_u32 s4, s60
	s_cselect_b32 s8, -1, 0
	s_cmp_eq_u32 s5, 0
	s_wait_alu 0xfffe
	s_cselect_b32 s8, s8, -1
	s_wait_alu 0xfffe
	s_cmp_lg_u32 s8, 0
	s_cselect_b32 s5, s7, s5
	s_cselect_b32 s4, s6, s4
	s_cbranch_execnz .LBB100_51
.LBB100_50:                             ;   in Loop: Header=BB100_11 Depth=1
	s_wait_alu 0xfffe
	v_cvt_f32_u32_e32 v4, s60
	s_sub_co_i32 s5, 0, s60
	s_delay_alu instid0(VALU_DEP_1) | instskip(NEXT) | instid1(TRANS32_DEP_1)
	v_rcp_iflag_f32_e32 v4, v4
	v_mul_f32_e32 v4, 0x4f7ffffe, v4
	s_delay_alu instid0(VALU_DEP_1) | instskip(NEXT) | instid1(VALU_DEP_1)
	v_cvt_u32_f32_e32 v4, v4
	v_readfirstlane_b32 s4, v4
	s_wait_alu 0xfffe
	s_mul_i32 s5, s5, s4
	s_wait_alu 0xfffe
	s_mul_hi_u32 s5, s4, s5
	s_wait_alu 0xfffe
	s_add_co_i32 s4, s4, s5
	s_wait_alu 0xfffe
	s_mul_hi_u32 s4, s24, s4
	s_wait_alu 0xfffe
	s_mul_i32 s4, s4, s60
	s_wait_alu 0xfffe
	s_sub_co_i32 s4, s24, s4
	s_wait_alu 0xfffe
	s_sub_co_i32 s5, s4, s60
	s_cmp_ge_u32 s4, s60
	s_wait_alu 0xfffe
	s_cselect_b32 s4, s5, s4
	s_wait_alu 0xfffe
	s_sub_co_i32 s5, s4, s60
	s_cmp_ge_u32 s4, s60
	s_wait_alu 0xfffe
	s_cselect_b32 s46, s5, s4
	s_wait_alu 0xfffe
	s_mov_b64 s[4:5], s[46:47]
.LBB100_51:                             ;   in Loop: Header=BB100_11 Depth=1
	v_mov_b32_e32 v7, 0
	v_dual_mov_b32 v11, 0 :: v_dual_mov_b32 v8, 0
	v_dual_mov_b32 v9, 0 :: v_dual_mov_b32 v12, 0
	;; [unrolled: 1-line block ×3, first 2 shown]
	v_mov_b32_e32 v14, 0
	v_and_b32_e32 v48, 0xffff, v3
	s_wait_alu 0xfffe
	s_sub_nc_u64 s[62:63], s[24:25], s[4:5]
	s_mov_b32 s59, exec_lo
	s_wait_alu 0xfffe
	v_cmpx_gt_u64_e64 s[62:63], v[19:20]
	s_cbranch_execz .LBB100_55
; %bb.52:                               ;   in Loop: Header=BB100_11 Depth=1
	v_mul_lo_u32 v3, v48, s55
	v_mul_hi_u32 v7, v48, s54
	v_mul_lo_u32 v36, v48, s54
	v_dual_mov_b32 v35, v20 :: v_dual_mov_b32 v34, v19
	s_mov_b64 s[64:65], 0
	s_mov_b32 s61, 0
	s_mov_b64 s[66:67], 0
	s_delay_alu instid0(VALU_DEP_4) | instskip(SKIP_3) | instid1(VALU_DEP_2)
	v_dual_mov_b32 v3, s44 :: v_dual_add_nc_u32 v8, v3, v47
	v_mov_b32_e32 v4, s45
	s_mov_b64 s[68:69], 0
	s_mov_b64 s[70:71], 0
	v_add_nc_u32_e32 v37, v8, v7
.LBB100_53:                             ;   Parent Loop BB100_11 Depth=1
                                        ; =>  This Inner Loop Header: Depth=2
	v_add_co_u32 v7, vcc_lo, v3, v26
	s_wait_alu 0xfffd
	v_add_co_ci_u32_e64 v8, null, v4, v27, vcc_lo
	v_add_co_u32 v9, vcc_lo, v3, v25
	s_wait_alu 0xfffd
	v_add_co_ci_u32_e64 v10, null, v4, v44, vcc_lo
	;; [unrolled: 3-line block ×4, first 2 shown]
	s_clause 0x3
	global_load_b64 v[7:8], v[7:8], off
	global_load_b64 v[9:10], v[9:10], off
	;; [unrolled: 1-line block ×4, first 2 shown]
	v_mov_b32_e32 v50, v18
	v_mov_b32_e32 v52, v18
	;; [unrolled: 1-line block ×3, first 2 shown]
	v_add_co_u32 v34, vcc_lo, v34, s60
	s_wait_alu 0xfffd
	v_add_co_ci_u32_e64 v35, null, 0, v35, vcc_lo
	v_add_co_u32 v3, vcc_lo, v3, v36
	s_wait_alu 0xfffd
	v_add_co_ci_u32_e64 v4, null, v4, v37, vcc_lo
	s_delay_alu instid0(VALU_DEP_3)
	v_cmp_le_u64_e32 vcc_lo, s[62:63], v[34:35]
	s_wait_loadcnt 0x3
	v_xor_b32_e32 v8, 0x80000000, v8
	s_wait_loadcnt 0x2
	v_xor_b32_e32 v10, 0x80000000, v10
	;; [unrolled: 2-line block ×3, first 2 shown]
	v_and_b32_e32 v55, v7, v30
	s_wait_loadcnt 0x0
	v_xor_b32_e32 v14, 0x80000000, v14
	v_and_b32_e32 v56, v8, v31
	v_lshrrev_b64 v[7:8], s79, v[7:8]
	v_and_b32_e32 v57, v9, v30
	v_lshrrev_b64 v[8:9], s79, v[9:10]
	;; [unrolled: 2-line block ×4, first 2 shown]
	v_and_b32_e32 v17, 3, v7
	v_and_b32_e32 v49, 3, v8
	;; [unrolled: 1-line block ×4, first 2 shown]
	v_cmp_eq_u64_e64 s4, v[55:56], v[28:29]
	v_cmp_eq_u64_e64 s8, 0, v[17:18]
	v_and_b32_e32 v61, v13, v30
	v_and_b32_e32 v62, v14, v31
	;; [unrolled: 1-line block ×3, first 2 shown]
	v_cmp_eq_u64_e64 s5, v[57:58], v[28:29]
	v_cmp_eq_u64_e64 s9, 0, v[49:50]
	;; [unrolled: 1-line block ×6, first 2 shown]
	s_and_b32 s8, s4, s8
	v_cmp_eq_u64_e64 s12, 1, v[17:18]
	s_wait_alu 0xfffe
	v_cndmask_b32_e64 v7, 0, 1, s8
	s_and_b32 s8, s5, s9
	v_cmp_eq_u64_e64 s13, 1, v[49:50]
	s_wait_alu 0xfffe
	v_cndmask_b32_e64 v8, 0, 1, s8
	;; [unrolled: 4-line block ×4, first 2 shown]
	s_and_b32 s8, s4, s12
	v_cmp_eq_u64_e64 s16, 2, v[17:18]
	v_cmp_eq_u64_e64 s20, 3, v[17:18]
	s_wait_alu 0xfffe
	v_cndmask_b32_e64 v11, 0, 1, s8
	s_and_b32 s8, s5, s13
	v_cmp_eq_u64_e64 s21, 3, v[49:50]
	s_wait_alu 0xfffe
	v_cndmask_b32_e64 v12, 0, 1, s8
	s_and_b32 s8, s6, s14
	v_cmp_eq_u64_e64 s17, 2, v[49:50]
	v_cmp_eq_u64_e64 s22, 3, v[51:52]
	s_wait_alu 0xfffe
	v_cndmask_b32_e64 v13, 0, 1, s8
	s_and_b32 s8, s7, s15
	v_cmp_eq_u64_e64 s18, 2, v[51:52]
	v_cmp_eq_u64_e64 s23, 3, v[53:54]
	s_wait_alu 0xfffe
	v_cndmask_b32_e64 v14, 0, 1, s8
	s_and_b32 s8, s4, s16
	s_and_b32 s4, s4, s20
	v_cmp_eq_u64_e64 s19, 2, v[53:54]
	s_wait_alu 0xfffe
	v_cndmask_b32_e64 v52, 0, 1, s4
	s_and_b32 s4, s5, s21
	v_cndmask_b32_e64 v17, 0, 1, s8
	s_and_b32 s8, s5, s17
	s_wait_alu 0xfffe
	v_cndmask_b32_e64 v53, 0, 1, s4
	s_and_b32 s4, s6, s22
	v_cndmask_b32_e64 v49, 0, 1, s8
	s_and_b32 s8, s6, s18
	;; [unrolled: 5-line block ×3, first 2 shown]
	s_wait_alu 0xfffe
	v_cndmask_b32_e64 v55, 0, 1, s4
	v_cmp_ne_u32_e64 s4, 0, v7
	v_cmp_ne_u32_e64 s5, 0, v8
	v_cndmask_b32_e64 v51, 0, 1, s8
	v_cmp_ne_u32_e64 s6, 0, v9
	v_cmp_ne_u32_e64 s8, 0, v11
	;; [unrolled: 1-line block ×7, first 2 shown]
	s_bcnt1_i32_b32 s4, s4
	s_bcnt1_i32_b32 s5, s5
	v_cmp_ne_u32_e64 s11, 0, v14
	v_cmp_ne_u32_e64 s14, 0, v50
	;; [unrolled: 1-line block ×4, first 2 shown]
	s_bcnt1_i32_b32 s6, s6
	s_bcnt1_i32_b32 s8, s8
	;; [unrolled: 1-line block ×3, first 2 shown]
	s_wait_alu 0xfffe
	s_add_co_i32 s4, s5, s4
	v_cmp_ne_u32_e64 s15, 0, v51
	v_cmp_ne_u32_e64 s18, 0, v54
	s_bcnt1_i32_b32 s7, s7
	s_bcnt1_i32_b32 s10, s10
	;; [unrolled: 1-line block ×4, first 2 shown]
	s_add_co_i32 s5, s9, s8
	s_wait_alu 0xfffe
	s_add_co_i32 s4, s4, s6
	v_cmp_ne_u32_e64 s19, 0, v55
	s_bcnt1_i32_b32 s11, s11
	s_bcnt1_i32_b32 s14, s14
	;; [unrolled: 1-line block ×4, first 2 shown]
	s_add_co_i32 s8, s13, s12
	s_add_co_i32 s5, s5, s10
	s_wait_alu 0xfffe
	s_add_co_i32 s46, s4, s7
	s_bcnt1_i32_b32 s15, s15
	s_bcnt1_i32_b32 s18, s18
	s_add_co_i32 s9, s17, s16
	s_add_co_i32 s6, s8, s14
	s_wait_alu 0xfffe
	s_add_nc_u64 s[70:71], s[70:71], s[46:47]
	s_add_co_i32 s46, s5, s11
	s_bcnt1_i32_b32 s19, s19
	s_add_co_i32 s8, s9, s18
	s_wait_alu 0xfffe
	s_add_nc_u64 s[68:69], s[68:69], s[46:47]
	s_add_co_i32 s46, s6, s15
	v_mov_b32_e32 v7, s70
	s_wait_alu 0xfffe
	s_add_nc_u64 s[66:67], s[66:67], s[46:47]
	s_add_co_i32 s46, s8, s19
	v_mov_b32_e32 v9, s68
	s_wait_alu 0xfffe
	s_add_nc_u64 s[64:65], s[64:65], s[46:47]
	v_mov_b32_e32 v11, s66
	s_wait_alu 0xfffe
	v_dual_mov_b32 v13, s64 :: v_dual_mov_b32 v8, s71
	v_mov_b32_e32 v10, s69
	v_mov_b32_e32 v12, s67
	;; [unrolled: 1-line block ×3, first 2 shown]
	s_or_b32 s61, vcc_lo, s61
	s_wait_alu 0xfffe
	s_and_not1_b32 exec_lo, exec_lo, s61
	s_cbranch_execnz .LBB100_53
; %bb.54:                               ;   in Loop: Header=BB100_11 Depth=1
	s_or_b32 exec_lo, exec_lo, s61
.LBB100_55:                             ;   in Loop: Header=BB100_11 Depth=1
	s_delay_alu instid0(SALU_CYCLE_1)
	s_or_b32 exec_lo, exec_lo, s59
	v_add_co_u32 v3, s4, s62, v0
	s_wait_alu 0xf1ff
	v_add_co_ci_u32_e64 v4, null, s63, 0, s4
	s_mov_b32 s8, exec_lo
	v_cmpx_gt_u64_e64 s[24:25], v[3:4]
	s_cbranch_execz .LBB100_61
; %bb.56:                               ;   in Loop: Header=BB100_11 Depth=1
	v_mul_lo_u32 v17, v4, s34
	v_mul_lo_u32 v36, v3, s35
	v_mad_co_u64_u32 v[34:35], null, v3, s34, 0
	s_mov_b32 s9, 0
	v_add3_u32 v35, v35, v36, v17
	s_delay_alu instid0(VALU_DEP_1) | instskip(NEXT) | instid1(VALU_DEP_1)
	v_lshlrev_b64_e32 v[34:35], 3, v[34:35]
	v_add_co_u32 v34, vcc_lo, s44, v34
	s_wait_alu 0xfffd
	s_delay_alu instid0(VALU_DEP_2)
	v_add_co_ci_u32_e64 v35, null, s45, v35, vcc_lo
	global_load_b64 v[36:37], v[34:35], off
	s_branch .LBB100_58
.LBB100_57:                             ;   in Loop: Header=BB100_58 Depth=2
	s_wait_alu 0xfffe
	s_or_b32 exec_lo, exec_lo, s5
	s_wait_loadcnt 0x0
	v_xor_b32_e32 v37, 0x80000000, v37
	s_and_b32 s6, exec_lo, vcc_lo
	s_wait_alu 0xfffe
	s_or_b32 s9, s6, s9
	s_delay_alu instid0(VALU_DEP_1) | instskip(SKIP_2) | instid1(VALU_DEP_3)
	v_lshrrev_b64 v[49:50], s79, v[36:37]
	v_and_b32_e32 v36, v36, v30
	v_and_b32_e32 v37, v37, v31
	;; [unrolled: 1-line block ×3, first 2 shown]
	s_delay_alu instid0(VALU_DEP_2) | instskip(NEXT) | instid1(VALU_DEP_2)
	v_cmp_eq_u64_e64 s4, v[36:37], v[28:29]
	v_cmp_eq_u64_e64 s5, 0, v[17:18]
	v_cmp_eq_u64_e32 vcc_lo, 1, v[17:18]
	v_cmp_eq_u64_e64 s6, 2, v[17:18]
	v_cmp_eq_u64_e64 s7, 3, v[17:18]
	s_and_b32 s5, s4, s5
	s_wait_alu 0xfffe
	v_cndmask_b32_e64 v17, 0, 1, s5
	s_and_b32 s5, s4, vcc_lo
	s_wait_alu 0xfffe
	v_cndmask_b32_e64 v36, 0, 1, s5
	s_and_b32 s5, s4, s6
	s_and_b32 s4, s4, s7
	s_wait_alu 0xfffe
	v_cndmask_b32_e64 v37, 0, 1, s5
	v_cmp_ne_u32_e32 vcc_lo, 0, v17
	v_cndmask_b32_e64 v49, 0, 1, s4
	v_cmp_ne_u32_e64 s4, 0, v36
	s_delay_alu instid0(VALU_DEP_4)
	v_cmp_ne_u32_e64 s5, 0, v37
	s_bcnt1_i32_b32 s7, vcc_lo
	v_cmp_ne_u32_e64 s6, 0, v49
	s_bcnt1_i32_b32 s4, s4
	s_wait_alu 0xfffe
	v_add_co_u32 v7, vcc_lo, v7, s7
	s_bcnt1_i32_b32 s5, s5
	s_wait_alu 0xfffd
	v_add_co_ci_u32_e64 v8, null, 0, v8, vcc_lo
	v_add_co_u32 v9, vcc_lo, v9, s4
	s_wait_alu 0xfffd
	v_add_co_ci_u32_e64 v10, null, 0, v10, vcc_lo
	s_wait_alu 0xfffe
	v_add_co_u32 v11, vcc_lo, v11, s5
	s_bcnt1_i32_b32 s4, s6
	s_wait_alu 0xfffd
	v_add_co_ci_u32_e64 v12, null, 0, v12, vcc_lo
	s_wait_alu 0xfffe
	v_add_co_u32 v13, vcc_lo, v13, s4
	v_mov_b32_e32 v37, v35
	s_wait_alu 0xfffd
	v_add_co_ci_u32_e64 v14, null, 0, v14, vcc_lo
	v_mov_b32_e32 v36, v34
	s_and_not1_b32 exec_lo, exec_lo, s9
	s_cbranch_execz .LBB100_60
.LBB100_58:                             ;   Parent Loop BB100_11 Depth=1
                                        ; =>  This Inner Loop Header: Depth=2
	v_add_co_u32 v3, vcc_lo, v3, v48
	v_mov_b32_e32 v34, 0
	s_wait_alu 0xfffd
	v_add_co_ci_u32_e64 v4, null, 0, v4, vcc_lo
	v_mov_b32_e32 v35, 0
	s_mov_b32 s5, exec_lo
	s_delay_alu instid0(VALU_DEP_2)
	v_cmp_le_u64_e32 vcc_lo, s[24:25], v[3:4]
	v_cmpx_gt_u64_e64 s[24:25], v[3:4]
	s_cbranch_execz .LBB100_57
; %bb.59:                               ;   in Loop: Header=BB100_58 Depth=2
	v_mul_lo_u32 v17, v4, s34
	v_mul_lo_u32 v49, v3, s35
	v_mad_co_u64_u32 v[34:35], null, v3, s34, 0
	s_delay_alu instid0(VALU_DEP_1) | instskip(NEXT) | instid1(VALU_DEP_1)
	v_add3_u32 v35, v35, v49, v17
	v_lshlrev_b64_e32 v[34:35], 3, v[34:35]
	s_delay_alu instid0(VALU_DEP_1) | instskip(SKIP_1) | instid1(VALU_DEP_2)
	v_add_co_u32 v34, s4, s44, v34
	s_wait_alu 0xf1ff
	v_add_co_ci_u32_e64 v35, null, s45, v35, s4
	global_load_b64 v[34:35], v[34:35], off
	s_branch .LBB100_57
.LBB100_60:                             ;   in Loop: Header=BB100_11 Depth=1
	s_or_b32 exec_lo, exec_lo, s9
.LBB100_61:                             ;   in Loop: Header=BB100_11 Depth=1
	s_wait_alu 0xfffe
	s_or_b32 exec_lo, exec_lo, s8
	s_branch .LBB100_40
.LBB100_62:                             ;   in Loop: Header=BB100_11 Depth=1
	global_load_u16 v3, v18, s[56:57]
	s_mov_b32 s70, exec_lo
	v_mov_b32_e32 v7, 0
	v_dual_mov_b32 v8, 0 :: v_dual_mov_b32 v9, 0
	v_dual_mov_b32 v10, 0 :: v_dual_mov_b32 v11, 0
	;; [unrolled: 1-line block ×3, first 2 shown]
	v_mov_b32_e32 v14, 0
	s_wait_loadcnt 0x0
	v_readfirstlane_b32 s4, v3
	v_and_b32_e32 v36, 0xffff, v3
	s_and_b32 s59, 0xffff, s4
	s_delay_alu instid0(SALU_CYCLE_1) | instskip(SKIP_4) | instid1(SALU_CYCLE_1)
	s_lshl_b32 s69, s59, 2
	s_wait_alu 0xfffe
	s_cvt_f32_u32 s4, s69
	s_sub_co_i32 s5, 0, s69
	s_wait_alu 0xfffe
	v_rcp_iflag_f32_e32 v4, s4
	s_delay_alu instid0(TRANS32_DEP_1) | instskip(SKIP_2) | instid1(SALU_CYCLE_2)
	v_readfirstlane_b32 s4, v4
	s_mul_f32 s4, s4, 0x4f7ffffe
	s_wait_alu 0xfffe
	s_cvt_u32_f32 s4, s4
	s_wait_alu 0xfffe
	s_delay_alu instid0(SALU_CYCLE_2)
	s_mul_i32 s5, s5, s4
	s_wait_alu 0xfffe
	s_mul_hi_u32 s5, s4, s5
	s_wait_alu 0xfffe
	s_add_co_i32 s4, s4, s5
	s_wait_alu 0xfffe
	s_mul_hi_u32 s4, s58, s4
	s_wait_alu 0xfffe
	s_mul_i32 s5, s4, s69
	s_add_co_i32 s6, s4, 1
	s_wait_alu 0xfffe
	s_sub_co_i32 s5, s58, s5
	s_wait_alu 0xfffe
	s_sub_co_i32 s7, s5, s69
	s_cmp_ge_u32 s5, s69
	s_cselect_b32 s4, s6, s4
	s_wait_alu 0xfffe
	s_cselect_b32 s5, s7, s5
	s_add_co_i32 s6, s4, 1
	s_wait_alu 0xfffe
	s_cmp_ge_u32 s5, s69
	s_cselect_b32 s68, s6, s4
	s_wait_alu 0xfffe
	v_mul_hi_u32 v4, s68, v36
	v_mul_lo_u32 v3, s68, v36
	s_delay_alu instid0(VALU_DEP_1) | instskip(NEXT) | instid1(VALU_DEP_1)
	v_lshlrev_b64_e32 v[3:4], 2, v[3:4]
	v_cmpx_gt_u64_e64 v[3:4], v[19:20]
	s_cbranch_execz .LBB100_66
; %bb.63:                               ;   in Loop: Header=BB100_11 Depth=1
	v_mov_b32_e32 v35, v20
	v_dual_mov_b32 v37, v42 :: v_dual_mov_b32 v34, v19
	s_lshl_b32 s71, s59, 5
	s_mov_b64 s[60:61], 0
	s_mov_b32 s89, 0
	s_mov_b64 s[62:63], 0
	s_mov_b64 s[64:65], 0
	;; [unrolled: 1-line block ×3, first 2 shown]
.LBB100_64:                             ;   Parent Loop BB100_11 Depth=1
                                        ; =>  This Inner Loop Header: Depth=2
	ds_load_b128 v[7:10], v37
	ds_load_b128 v[11:14], v37 offset:16
	v_mov_b32_e32 v49, v18
	v_mov_b32_e32 v51, v18
	v_mov_b32_e32 v53, v18
	v_add_co_u32 v34, vcc_lo, v34, s69
	s_wait_alu 0xfffd
	v_add_co_ci_u32_e64 v35, null, 0, v35, vcc_lo
	s_delay_alu instid0(VALU_DEP_1)
	v_cmp_ge_u64_e32 vcc_lo, v[34:35], v[3:4]
	s_wait_dscnt 0x1
	v_xor_b32_e32 v8, 0x80000000, v8
	v_xor_b32_e32 v10, 0x80000000, v10
	s_wait_dscnt 0x0
	v_xor_b32_e32 v12, 0x80000000, v12
	v_and_b32_e32 v54, v7, v30
	v_xor_b32_e32 v14, 0x80000000, v14
	v_and_b32_e32 v55, v8, v31
	v_lshrrev_b64 v[7:8], s79, v[7:8]
	v_and_b32_e32 v56, v9, v30
	v_lshrrev_b64 v[8:9], s79, v[9:10]
	;; [unrolled: 2-line block ×4, first 2 shown]
	v_and_b32_e32 v17, 3, v7
	v_and_b32_e32 v48, 3, v8
	;; [unrolled: 1-line block ×4, first 2 shown]
	v_cmp_eq_u64_e64 s4, v[54:55], v[28:29]
	v_cmp_eq_u64_e64 s8, 0, v[17:18]
	v_and_b32_e32 v60, v13, v30
	v_and_b32_e32 v61, v14, v31
	;; [unrolled: 1-line block ×3, first 2 shown]
	v_cmp_eq_u64_e64 s5, v[56:57], v[28:29]
	v_cmp_eq_u64_e64 s9, 0, v[48:49]
	;; [unrolled: 1-line block ×6, first 2 shown]
	s_and_b32 s8, s4, s8
	v_cmp_eq_u64_e64 s12, 1, v[17:18]
	s_wait_alu 0xfffe
	v_cndmask_b32_e64 v7, 0, 1, s8
	s_and_b32 s8, s5, s9
	v_cmp_eq_u64_e64 s13, 1, v[48:49]
	s_wait_alu 0xfffe
	v_cndmask_b32_e64 v8, 0, 1, s8
	;; [unrolled: 4-line block ×4, first 2 shown]
	s_and_b32 s8, s4, s12
	v_cmp_eq_u64_e64 s16, 2, v[17:18]
	v_cmp_eq_u64_e64 s20, 3, v[17:18]
	s_wait_alu 0xfffe
	v_cndmask_b32_e64 v11, 0, 1, s8
	s_and_b32 s8, s5, s13
	v_cmp_eq_u64_e64 s21, 3, v[48:49]
	s_wait_alu 0xfffe
	v_cndmask_b32_e64 v12, 0, 1, s8
	s_and_b32 s8, s6, s14
	v_cmp_eq_u64_e64 s17, 2, v[48:49]
	v_cmp_eq_u64_e64 s22, 3, v[50:51]
	s_wait_alu 0xfffe
	v_cndmask_b32_e64 v13, 0, 1, s8
	s_and_b32 s8, s7, s15
	v_cmp_eq_u64_e64 s18, 2, v[50:51]
	v_cmp_eq_u64_e64 s23, 3, v[52:53]
	s_wait_alu 0xfffe
	v_cndmask_b32_e64 v14, 0, 1, s8
	s_and_b32 s8, s4, s16
	s_and_b32 s4, s4, s20
	v_cmp_eq_u64_e64 s19, 2, v[52:53]
	s_wait_alu 0xfffe
	v_cndmask_b32_e64 v51, 0, 1, s4
	s_and_b32 s4, s5, s21
	v_cndmask_b32_e64 v17, 0, 1, s8
	s_and_b32 s8, s5, s17
	s_wait_alu 0xfffe
	v_cndmask_b32_e64 v52, 0, 1, s4
	s_and_b32 s4, s6, s22
	v_cndmask_b32_e64 v48, 0, 1, s8
	s_and_b32 s8, s6, s18
	;; [unrolled: 5-line block ×3, first 2 shown]
	s_wait_alu 0xfffe
	v_cndmask_b32_e64 v54, 0, 1, s4
	v_cmp_ne_u32_e64 s4, 0, v7
	v_cmp_ne_u32_e64 s5, 0, v8
	v_cndmask_b32_e64 v50, 0, 1, s8
	v_cmp_ne_u32_e64 s6, 0, v9
	v_cmp_ne_u32_e64 s8, 0, v11
	v_cmp_ne_u32_e64 s9, 0, v12
	v_cmp_ne_u32_e64 s7, 0, v10
	v_cmp_ne_u32_e64 s10, 0, v13
	v_cmp_ne_u32_e64 s12, 0, v17
	v_cmp_ne_u32_e64 s13, 0, v48
	s_bcnt1_i32_b32 s4, s4
	s_bcnt1_i32_b32 s5, s5
	v_cmp_ne_u32_e64 s11, 0, v14
	v_cmp_ne_u32_e64 s14, 0, v49
	;; [unrolled: 1-line block ×4, first 2 shown]
	s_bcnt1_i32_b32 s6, s6
	s_bcnt1_i32_b32 s8, s8
	;; [unrolled: 1-line block ×3, first 2 shown]
	s_wait_alu 0xfffe
	s_add_co_i32 s4, s5, s4
	v_cmp_ne_u32_e64 s15, 0, v50
	v_cmp_ne_u32_e64 s18, 0, v53
	s_bcnt1_i32_b32 s7, s7
	s_bcnt1_i32_b32 s10, s10
	;; [unrolled: 1-line block ×4, first 2 shown]
	s_add_co_i32 s5, s9, s8
	s_wait_alu 0xfffe
	s_add_co_i32 s4, s4, s6
	v_cmp_ne_u32_e64 s19, 0, v54
	s_bcnt1_i32_b32 s11, s11
	s_bcnt1_i32_b32 s14, s14
	;; [unrolled: 1-line block ×4, first 2 shown]
	s_add_co_i32 s8, s13, s12
	s_add_co_i32 s5, s5, s10
	s_wait_alu 0xfffe
	s_add_co_i32 s46, s4, s7
	s_bcnt1_i32_b32 s15, s15
	s_bcnt1_i32_b32 s18, s18
	s_add_co_i32 s9, s17, s16
	s_add_co_i32 s6, s8, s14
	s_wait_alu 0xfffe
	s_add_nc_u64 s[66:67], s[66:67], s[46:47]
	s_add_co_i32 s46, s5, s11
	s_bcnt1_i32_b32 s19, s19
	s_add_co_i32 s8, s9, s18
	s_wait_alu 0xfffe
	s_add_nc_u64 s[64:65], s[64:65], s[46:47]
	s_add_co_i32 s46, s6, s15
	v_mov_b32_e32 v7, s66
	s_wait_alu 0xfffe
	s_add_nc_u64 s[62:63], s[62:63], s[46:47]
	s_add_co_i32 s46, s8, s19
	v_mov_b32_e32 v9, s64
	s_wait_alu 0xfffe
	s_add_nc_u64 s[60:61], s[60:61], s[46:47]
	v_mov_b32_e32 v11, s62
	s_wait_alu 0xfffe
	v_mov_b32_e32 v13, s60
	v_dual_mov_b32 v8, s67 :: v_dual_add_nc_u32 v37, s71, v37
	v_mov_b32_e32 v10, s65
	v_mov_b32_e32 v12, s63
	;; [unrolled: 1-line block ×3, first 2 shown]
	s_or_b32 s89, vcc_lo, s89
	s_delay_alu instid0(SALU_CYCLE_1)
	s_and_not1_b32 exec_lo, exec_lo, s89
	s_cbranch_execnz .LBB100_64
; %bb.65:                               ;   in Loop: Header=BB100_11 Depth=1
	s_or_b32 exec_lo, exec_lo, s89
.LBB100_66:                             ;   in Loop: Header=BB100_11 Depth=1
	s_delay_alu instid0(SALU_CYCLE_1)
	s_or_b32 exec_lo, exec_lo, s70
	v_add_co_u32 v3, vcc_lo, v3, v0
	s_wait_alu 0xfffd
	v_add_co_ci_u32_e64 v4, null, 0, v4, vcc_lo
	s_and_b32 s46, s58, 0x7fffffff
	s_mov_b32 s9, exec_lo
	s_wait_alu 0xfffe
	v_cmpx_gt_u64_e64 s[46:47], v[3:4]
	s_cbranch_execz .LBB100_70
; %bb.67:                               ;   in Loop: Header=BB100_11 Depth=1
	s_mul_i32 s68, s68, s59
	s_lshl_b32 s11, s59, 3
	s_wait_alu 0xfffe
	v_lshl_add_u32 v34, s68, 5, v39
	s_mov_b32 s10, 0
.LBB100_68:                             ;   Parent Loop BB100_11 Depth=1
                                        ; =>  This Inner Loop Header: Depth=2
	ds_load_b64 v[48:49], v34
	v_add_co_u32 v3, vcc_lo, v3, v36
	s_wait_alu 0xfffd
	v_add_co_ci_u32_e64 v4, null, 0, v4, vcc_lo
	v_add_nc_u32_e32 v34, s11, v34
	s_delay_alu instid0(VALU_DEP_2) | instskip(SKIP_3) | instid1(VALU_DEP_2)
	v_cmp_le_u64_e32 vcc_lo, s[46:47], v[3:4]
	s_wait_dscnt 0x0
	v_xor_b32_e32 v49, 0x80000000, v49
	v_and_b32_e32 v50, v48, v30
	v_and_b32_e32 v51, v49, v31
	v_lshrrev_b64 v[48:49], s79, v[48:49]
	s_delay_alu instid0(VALU_DEP_2) | instskip(NEXT) | instid1(VALU_DEP_2)
	v_cmp_eq_u64_e64 s4, v[50:51], v[28:29]
	v_and_b32_e32 v17, 3, v48
	s_delay_alu instid0(VALU_DEP_1)
	v_cmp_eq_u64_e64 s5, 0, v[17:18]
	v_cmp_eq_u64_e64 s6, 1, v[17:18]
	;; [unrolled: 1-line block ×4, first 2 shown]
	s_and_b32 s5, s4, s5
	s_wait_alu 0xfffe
	v_cndmask_b32_e64 v17, 0, 1, s5
	s_and_b32 s5, s4, s6
	s_wait_alu 0xfffe
	v_cndmask_b32_e64 v35, 0, 1, s5
	s_and_b32 s5, s4, s7
	s_and_b32 s4, s4, s8
	s_wait_alu 0xfffe
	v_cndmask_b32_e64 v37, 0, 1, s5
	v_cndmask_b32_e64 v48, 0, 1, s4
	v_cmp_ne_u32_e64 s4, 0, v17
	v_cmp_ne_u32_e64 s5, 0, v35
	s_delay_alu instid0(VALU_DEP_4) | instskip(NEXT) | instid1(VALU_DEP_4)
	v_cmp_ne_u32_e64 s6, 0, v37
	v_cmp_ne_u32_e64 s7, 0, v48
	s_bcnt1_i32_b32 s4, s4
	s_bcnt1_i32_b32 s5, s5
	s_wait_alu 0xfffe
	v_add_co_u32 v7, s4, v7, s4
	s_bcnt1_i32_b32 s6, s6
	v_add_co_ci_u32_e64 v8, null, 0, v8, s4
	v_add_co_u32 v9, s4, v9, s5
	s_bcnt1_i32_b32 s7, s7
	v_add_co_ci_u32_e64 v10, null, 0, v10, s4
	s_wait_alu 0xfffe
	v_add_co_u32 v11, s4, v11, s6
	s_wait_alu 0xf1ff
	v_add_co_ci_u32_e64 v12, null, 0, v12, s4
	v_add_co_u32 v13, s4, v13, s7
	s_wait_alu 0xf1ff
	v_add_co_ci_u32_e64 v14, null, 0, v14, s4
	s_or_b32 s10, vcc_lo, s10
	s_wait_alu 0xfffe
	s_and_not1_b32 exec_lo, exec_lo, s10
	s_cbranch_execnz .LBB100_68
; %bb.69:                               ;   in Loop: Header=BB100_11 Depth=1
	s_or_b32 exec_lo, exec_lo, s10
.LBB100_70:                             ;   in Loop: Header=BB100_11 Depth=1
	s_wait_alu 0xfffe
	s_or_b32 exec_lo, exec_lo, s9
	s_lshl_b32 s4, s82, 7
	s_and_saveexec_b32 s5, s1
	s_cbranch_execnz .LBB100_41
	s_branch .LBB100_42
.LBB100_71:                             ;   in Loop: Header=BB100_11 Depth=1
                                        ; implicit-def: $sgpr4_sgpr5
	s_branch .LBB100_50
.LBB100_72:                             ;   in Loop: Header=BB100_11 Depth=1
	s_mov_b32 s6, 0
	s_and_not1_b32 vcc_lo, exec_lo, s77
	s_wait_alu 0xfffe
	s_cbranch_vccnz .LBB100_75
.LBB100_73:                             ;   in Loop: Header=BB100_11 Depth=1
	s_lshl_b32 s7, s82, 10
	s_lshl_b32 s6, s6, 5
	s_wait_alu 0xfffe
	v_add3_u32 v7, s7, s6, v45
	s_mov_b32 s6, s74
.LBB100_74:                             ;   Parent Loop BB100_11 Depth=1
                                        ; =>  This Inner Loop Header: Depth=2
	ds_load_b64 v[8:9], v7
	v_add_nc_u32_e32 v7, 32, v7
	s_wait_alu 0xfffe
	s_add_co_i32 s6, s6, -1
	s_wait_alu 0xfffe
	s_cmp_lg_u32 s6, 0
	s_wait_dscnt 0x0
	v_add_co_u32 v3, vcc_lo, v8, v3
	s_wait_alu 0xfffd
	v_add_co_ci_u32_e64 v4, null, v9, v4, vcc_lo
	s_cbranch_scc1 .LBB100_74
.LBB100_75:                             ;   in Loop: Header=BB100_11 Depth=1
	v_add_lshl_u32 v7, s4, v38, 3
	ds_store_b64 v7, v[3:4] offset:3072
.LBB100_76:                             ;   in Loop: Header=BB100_11 Depth=1
	s_wait_alu 0xfffe
	s_or_b32 exec_lo, exec_lo, s5
	s_lshl_b32 s4, s4, 3
	s_wait_loadcnt_dscnt 0x0
	s_wait_alu 0xfffe
	v_mov_b32_e32 v3, s4
	s_barrier_signal -1
	s_barrier_wait -1
	global_inv scope:SCOPE_SE
	v_cmp_eq_u64_e32 vcc_lo, 1, v[32:33]
	ds_load_b128 v[7:10], v3 offset:3072
	ds_load_b128 v[11:14], v3 offset:3088
	s_lshl_b64 s[8:9], 3, s79
	s_mov_b32 s19, -1
	s_wait_alu 0xfffe
	s_not_b64 s[12:13], s[8:9]
                                        ; implicit-def: $sgpr22
                                        ; implicit-def: $sgpr21
	s_wait_dscnt 0x1
	v_cmp_eq_u64_e64 s4, 1, v[7:8]
	s_wait_dscnt 0x0
	v_readfirstlane_b32 s10, v11
	v_readfirstlane_b32 s11, v12
	;; [unrolled: 1-line block ×4, first 2 shown]
	s_and_b32 s20, s4, vcc_lo
	s_mov_b32 s4, -1
	s_and_saveexec_b32 s18, s20
	s_cbranch_execz .LBB100_108
; %bb.77:                               ;   in Loop: Header=BB100_11 Depth=1
	ds_load_b64 v[3:4], v18 offset:5120
	s_wait_loadcnt_dscnt 0x0
	s_barrier_signal -1
	s_barrier_wait -1
	global_inv scope:SCOPE_SE
	v_readfirstlane_b32 s4, v3
	v_readfirstlane_b32 s5, v4
	s_and_saveexec_b32 s14, s3
; %bb.78:                               ;   in Loop: Header=BB100_11 Depth=1
	v_mov_b32_e32 v17, v18
	ds_store_b64 v40, v[17:18]
; %bb.79:                               ;   in Loop: Header=BB100_11 Depth=1
	s_wait_alu 0xfffe
	s_or_b32 exec_lo, exec_lo, s14
	v_and_b32_e32 v29, s13, v29
	v_and_b32_e32 v28, s12, v28
	v_or_b32_e32 v31, s9, v31
	v_or_b32_e32 v30, s8, v30
	s_mov_b32 s21, -1
	s_mov_b32 s22, 0
	s_cmp_eq_u64 s[4:5], 0
	s_mov_b32 s16, 0
	s_mov_b32 s17, -1
	s_wait_loadcnt_dscnt 0x0
	s_barrier_signal -1
	s_barrier_wait -1
	global_inv scope:SCOPE_SE
                                        ; implicit-def: $vgpr5_vgpr6
	s_cbranch_scc1 .LBB100_93
; %bb.80:                               ;   in Loop: Header=BB100_11 Depth=1
	s_add_nc_u64 s[14:15], s[4:5], s[48:49]
	s_mov_b32 s16, s47
	s_wait_alu 0xfffe
	s_mov_b32 s17, s15
	s_wait_alu 0xfffe
	s_cmp_lg_u64 s[16:17], 0
	s_cbranch_scc0 .LBB100_134
; %bb.81:                               ;   in Loop: Header=BB100_11 Depth=1
	s_cvt_f32_u32 s16, s36
	s_sub_nc_u64 s[58:59], 0, s[36:37]
	s_wait_alu 0xfffe
	s_delay_alu instid0(SALU_CYCLE_1) | instskip(SKIP_1) | instid1(SALU_CYCLE_2)
	s_fmamk_f32 s16, s81, 0x0, s16
	s_wait_alu 0xfffe
	v_s_rcp_f32 s16, s16
	s_delay_alu instid0(TRANS32_DEP_1) | instskip(SKIP_1) | instid1(SALU_CYCLE_2)
	s_mul_f32 s16, s16, 0x5f7ffffc
	s_wait_alu 0xfffe
	s_mul_f32 s17, s16, 0x2f800000
	s_wait_alu 0xfffe
	s_delay_alu instid0(SALU_CYCLE_2) | instskip(SKIP_1) | instid1(SALU_CYCLE_2)
	s_trunc_f32 s17, s17
	s_wait_alu 0xfffe
	s_fmamk_f32 s16, s17, 0xcf800000, s16
	s_cvt_u32_f32 s17, s17
	s_wait_alu 0xfffe
	s_delay_alu instid0(SALU_CYCLE_1) | instskip(SKIP_1) | instid1(SALU_CYCLE_2)
	s_cvt_u32_f32 s16, s16
	s_wait_alu 0xfffe
	s_mul_u64 s[60:61], s[58:59], s[16:17]
	s_wait_alu 0xfffe
	s_mul_hi_u32 s63, s16, s61
	s_mul_i32 s62, s16, s61
	s_mul_hi_u32 s46, s16, s60
	s_mul_i32 s64, s17, s60
	s_wait_alu 0xfffe
	s_add_nc_u64 s[62:63], s[46:47], s[62:63]
	s_mul_hi_u32 s23, s17, s60
	s_mul_hi_u32 s65, s17, s61
	s_wait_alu 0xfffe
	s_add_co_u32 s46, s62, s64
	s_add_co_ci_u32 s46, s63, s23
	s_mul_i32 s60, s17, s61
	s_add_co_ci_u32 s61, s65, 0
	s_wait_alu 0xfffe
	s_add_nc_u64 s[60:61], s[46:47], s[60:61]
	s_wait_alu 0xfffe
	s_add_co_u32 s16, s16, s60
	s_cselect_b32 s23, -1, 0
	s_delay_alu instid0(SALU_CYCLE_1) | instskip(SKIP_3) | instid1(SALU_CYCLE_1)
	s_cmp_lg_u32 s23, 0
	s_add_co_ci_u32 s17, s17, s61
	s_wait_alu 0xfffe
	s_mul_u64 s[58:59], s[58:59], s[16:17]
	s_mul_hi_u32 s61, s16, s59
	s_mul_i32 s60, s16, s59
	s_mul_hi_u32 s46, s16, s58
	s_mul_i32 s62, s17, s58
	s_wait_alu 0xfffe
	s_add_nc_u64 s[60:61], s[46:47], s[60:61]
	s_mul_hi_u32 s23, s17, s58
	s_mul_hi_u32 s63, s17, s59
	s_wait_alu 0xfffe
	s_add_co_u32 s46, s60, s62
	s_add_co_ci_u32 s46, s61, s23
	s_mul_i32 s58, s17, s59
	s_add_co_ci_u32 s59, s63, 0
	s_wait_alu 0xfffe
	s_add_nc_u64 s[58:59], s[46:47], s[58:59]
	s_delay_alu instid0(SALU_CYCLE_1)
	s_add_co_u32 s16, s16, s58
	s_cselect_b32 s23, -1, 0
	s_wait_alu 0xfffe
	s_mul_hi_u32 s46, s14, s16
	s_cmp_lg_u32 s23, 0
	s_mul_hi_u32 s23, s15, s16
	s_add_co_ci_u32 s58, s17, s59
	s_mul_i32 s59, s15, s16
	s_mul_hi_u32 s17, s14, s58
	s_mul_i32 s16, s14, s58
	s_mul_hi_u32 s60, s15, s58
	s_wait_alu 0xfffe
	s_add_nc_u64 s[16:17], s[46:47], s[16:17]
	s_mul_i32 s58, s15, s58
	s_wait_alu 0xfffe
	s_add_co_u32 s16, s16, s59
	s_add_co_ci_u32 s46, s17, s23
	s_add_co_ci_u32 s59, s60, 0
	s_wait_alu 0xfffe
	s_add_nc_u64 s[16:17], s[46:47], s[58:59]
	s_wait_alu 0xfffe
	s_mul_u64 s[16:17], s[36:37], s[16:17]
	s_wait_alu 0xfffe
	s_sub_co_u32 s16, s14, s16
	s_cselect_b32 s23, -1, 0
	s_delay_alu instid0(SALU_CYCLE_1)
	s_cmp_lg_u32 s23, 0
	s_sub_co_ci_u32 s17, s15, s17
	s_wait_alu 0xfffe
	s_sub_co_u32 s23, s16, s36
	s_cselect_b32 s46, -1, 0
	s_wait_alu 0xfffe
	s_cmp_lg_u32 s46, 0
	s_sub_co_ci_u32 s46, s17, 0
	s_sub_co_u32 s58, s23, s36
	s_cselect_b32 s59, -1, 0
	s_delay_alu instid0(SALU_CYCLE_1)
	s_cmp_lg_u32 s59, 0
	s_wait_alu 0xfffe
	s_sub_co_ci_u32 s59, s46, 0
	s_cmp_ge_u32 s23, s36
	s_cselect_b32 s60, -1, 0
	s_cmp_eq_u32 s46, 0
	s_wait_alu 0xfffe
	s_cselect_b32 s60, s60, -1
	s_wait_alu 0xfffe
	s_cmp_lg_u32 s60, 0
	s_cselect_b32 s46, s59, s46
	s_cselect_b32 s23, s58, s23
	s_cmp_ge_u32 s16, s36
	s_cselect_b32 s58, -1, 0
	s_cmp_eq_u32 s17, 0
	s_cselect_b32 s58, s58, -1
	s_delay_alu instid0(SALU_CYCLE_1)
	s_cmp_lg_u32 s58, 0
	s_wait_alu 0xfffe
	s_cselect_b32 s17, s46, s17
	s_cselect_b32 s16, s23, s16
	s_cbranch_execnz .LBB100_83
.LBB100_82:                             ;   in Loop: Header=BB100_11 Depth=1
	v_cvt_f32_u32_e32 v3, s36
	s_sub_co_i32 s17, 0, s36
	s_delay_alu instid0(VALU_DEP_1) | instskip(NEXT) | instid1(TRANS32_DEP_1)
	v_rcp_iflag_f32_e32 v3, v3
	v_mul_f32_e32 v3, 0x4f7ffffe, v3
	s_delay_alu instid0(VALU_DEP_1) | instskip(NEXT) | instid1(VALU_DEP_1)
	v_cvt_u32_f32_e32 v3, v3
	v_readfirstlane_b32 s16, v3
	s_wait_alu 0xfffe
	s_mul_i32 s17, s17, s16
	s_wait_alu 0xfffe
	s_mul_hi_u32 s17, s16, s17
	s_wait_alu 0xfffe
	s_add_co_i32 s16, s16, s17
	s_wait_alu 0xfffe
	s_mul_hi_u32 s16, s14, s16
	s_wait_alu 0xfffe
	s_mul_i32 s16, s16, s36
	s_wait_alu 0xfffe
	s_sub_co_i32 s16, s14, s16
	s_wait_alu 0xfffe
	s_sub_co_i32 s17, s16, s36
	s_cmp_ge_u32 s16, s36
	s_wait_alu 0xfffe
	s_cselect_b32 s16, s17, s16
	s_wait_alu 0xfffe
	s_sub_co_i32 s17, s16, s36
	s_cmp_ge_u32 s16, s36
	s_wait_alu 0xfffe
	s_cselect_b32 s46, s17, s16
	s_wait_alu 0xfffe
	s_mov_b64 s[16:17], s[46:47]
.LBB100_83:                             ;   in Loop: Header=BB100_11 Depth=1
	s_wait_alu 0xfffe
	s_sub_nc_u64 s[14:15], s[14:15], s[16:17]
	s_mov_b32 s17, 0
	s_mov_b32 s16, 0
	s_mov_b32 s23, exec_lo
                                        ; implicit-def: $vgpr5_vgpr6
	s_wait_alu 0xfffe
	v_cmpx_gt_u64_e64 s[14:15], v[0:1]
	s_cbranch_execz .LBB100_92
; %bb.84:                               ;   in Loop: Header=BB100_11 Depth=1
	v_dual_mov_b32 v13, v39 :: v_dual_mov_b32 v12, v1
	v_mov_b32_e32 v11, v0
                                        ; implicit-def: $sgpr46
	s_branch .LBB100_87
.LBB100_85:                             ;   in Loop: Header=BB100_87 Depth=2
	s_or_b32 exec_lo, exec_lo, s58
	s_wait_loadcnt_dscnt 0x0
	s_barrier_signal -1
	s_barrier_wait -1
	global_inv scope:SCOPE_SE
	ds_load_b128 v[3:6], v18 offset:3072
	s_mov_b32 s58, -1
	s_mov_b32 s59, -1
	s_wait_loadcnt_dscnt 0x0
	s_barrier_signal -1
	s_barrier_wait -1
	global_inv scope:SCOPE_SE
	v_cmp_ne_u64_e32 vcc_lo, 0, v[3:4]
	s_cbranch_vccz .LBB100_90
.LBB100_86:                             ;   in Loop: Header=BB100_87 Depth=2
	s_and_b32 s58, exec_lo, s58
	s_wait_alu 0xfffe
	s_or_b32 s16, s58, s16
	s_and_not1_b32 s46, s46, exec_lo
	s_and_b32 s58, s59, exec_lo
	s_wait_alu 0xfffe
	s_or_b32 s46, s46, s58
	s_and_not1_b32 exec_lo, exec_lo, s16
	s_cbranch_execz .LBB100_91
.LBB100_87:                             ;   Parent Loop BB100_11 Depth=1
                                        ; =>  This Inner Loop Header: Depth=2
	s_mov_b32 s58, exec_lo
	s_delay_alu instid0(VALU_DEP_1)
	v_cmpx_gt_u64_e64 s[4:5], v[11:12]
	s_cbranch_execz .LBB100_85
; %bb.88:                               ;   in Loop: Header=BB100_87 Depth=2
	ds_load_b64 v[4:5], v13
	s_wait_dscnt 0x0
	v_xor_b32_e32 v3, 0x80000000, v5
	v_and_b32_e32 v34, v4, v30
	s_delay_alu instid0(VALU_DEP_2) | instskip(NEXT) | instid1(VALU_DEP_1)
	v_and_b32_e32 v35, v3, v31
	v_cmp_eq_u64_e32 vcc_lo, v[34:35], v[28:29]
	s_and_b32 exec_lo, exec_lo, vcc_lo
	s_cbranch_execz .LBB100_85
; %bb.89:                               ;   in Loop: Header=BB100_87 Depth=2
	v_mov_b32_e32 v3, v18
	ds_store_b128 v18, v[2:5] offset:3072
	s_branch .LBB100_85
.LBB100_90:                             ;   in Loop: Header=BB100_87 Depth=2
	v_add_co_u32 v11, vcc_lo, v11, s36
	s_wait_alu 0xfffd
	v_add_co_ci_u32_e64 v12, null, 0, v12, vcc_lo
	v_add_nc_u32_e32 v13, s78, v13
	s_mov_b32 s59, 0
	s_delay_alu instid0(VALU_DEP_2)
	v_cmp_le_u64_e32 vcc_lo, s[14:15], v[11:12]
	s_or_not1_b32 s58, vcc_lo, exec_lo
	s_branch .LBB100_86
.LBB100_91:                             ;   in Loop: Header=BB100_11 Depth=1
	s_or_b32 exec_lo, exec_lo, s16
	s_wait_alu 0xfffe
	s_and_b32 s16, s46, exec_lo
.LBB100_92:                             ;   in Loop: Header=BB100_11 Depth=1
	s_or_b32 exec_lo, exec_lo, s23
.LBB100_93:                             ;   in Loop: Header=BB100_11 Depth=1
	s_wait_alu 0xfffe
	s_and_b32 vcc_lo, exec_lo, s17
	s_wait_alu 0xfffe
	s_cbranch_vccz .LBB100_107
; %bb.94:                               ;   in Loop: Header=BB100_11 Depth=1
	s_mov_b32 s4, s47
	s_mov_b32 s5, s51
	s_wait_alu 0xfffe
	s_cmp_lg_u64 s[4:5], 0
	s_cbranch_scc0 .LBB100_138
; %bb.95:                               ;   in Loop: Header=BB100_11 Depth=1
	s_cvt_f32_u32 s4, s36
	s_sub_nc_u64 s[14:15], 0, s[36:37]
	s_wait_alu 0xfffe
	s_delay_alu instid0(SALU_CYCLE_1) | instskip(SKIP_1) | instid1(SALU_CYCLE_2)
	s_fmamk_f32 s4, s81, 0x0, s4
	s_wait_alu 0xfffe
	v_s_rcp_f32 s4, s4
	s_delay_alu instid0(TRANS32_DEP_1) | instskip(SKIP_1) | instid1(SALU_CYCLE_2)
	s_mul_f32 s4, s4, 0x5f7ffffc
	s_wait_alu 0xfffe
	s_mul_f32 s5, s4, 0x2f800000
	s_wait_alu 0xfffe
	s_delay_alu instid0(SALU_CYCLE_2) | instskip(SKIP_1) | instid1(SALU_CYCLE_2)
	s_trunc_f32 s5, s5
	s_wait_alu 0xfffe
	s_fmamk_f32 s4, s5, 0xcf800000, s4
	s_cvt_u32_f32 s5, s5
	s_wait_alu 0xfffe
	s_delay_alu instid0(SALU_CYCLE_1) | instskip(SKIP_1) | instid1(SALU_CYCLE_2)
	s_cvt_u32_f32 s4, s4
	s_wait_alu 0xfffe
	s_mul_u64 s[22:23], s[14:15], s[4:5]
	s_delay_alu instid0(SALU_CYCLE_1)
	s_mul_hi_u32 s59, s4, s23
	s_mul_i32 s58, s4, s23
	s_mul_hi_u32 s46, s4, s22
	s_mul_i32 s21, s5, s22
	s_wait_alu 0xfffe
	s_add_nc_u64 s[58:59], s[46:47], s[58:59]
	s_mul_hi_u32 s17, s5, s22
	s_mul_hi_u32 s60, s5, s23
	s_add_co_u32 s21, s58, s21
	s_wait_alu 0xfffe
	s_add_co_ci_u32 s46, s59, s17
	s_mul_i32 s22, s5, s23
	s_add_co_ci_u32 s23, s60, 0
	s_wait_alu 0xfffe
	s_add_nc_u64 s[22:23], s[46:47], s[22:23]
	s_delay_alu instid0(SALU_CYCLE_1)
	s_add_co_u32 s4, s4, s22
	s_cselect_b32 s17, -1, 0
	s_wait_alu 0xfffe
	s_cmp_lg_u32 s17, 0
	s_add_co_ci_u32 s5, s5, s23
	s_wait_alu 0xfffe
	s_mul_u64 s[14:15], s[14:15], s[4:5]
	s_wait_alu 0xfffe
	s_mul_hi_u32 s23, s4, s15
	s_mul_i32 s22, s4, s15
	s_mul_hi_u32 s46, s4, s14
	s_mul_i32 s21, s5, s14
	s_wait_alu 0xfffe
	s_add_nc_u64 s[22:23], s[46:47], s[22:23]
	s_mul_hi_u32 s17, s5, s14
	s_mul_hi_u32 s58, s5, s15
	s_mul_i32 s14, s5, s15
	s_add_co_u32 s15, s22, s21
	s_wait_alu 0xfffe
	s_add_co_ci_u32 s46, s23, s17
	s_add_co_ci_u32 s15, s58, 0
	s_wait_alu 0xfffe
	s_add_nc_u64 s[14:15], s[46:47], s[14:15]
	s_wait_alu 0xfffe
	s_add_co_u32 s4, s4, s14
	s_cselect_b32 s14, -1, 0
	s_wait_alu 0xfffe
	s_mul_hi_u32 s46, s50, s4
	s_cmp_lg_u32 s14, 0
	s_mul_hi_u32 s17, s51, s4
	s_add_co_ci_u32 s14, s5, s15
	s_mul_i32 s15, s51, s4
	s_wait_alu 0xfffe
	s_mul_hi_u32 s5, s50, s14
	s_mul_i32 s4, s50, s14
	s_mul_hi_u32 s21, s51, s14
	s_wait_alu 0xfffe
	s_add_nc_u64 s[4:5], s[46:47], s[4:5]
	s_mul_i32 s14, s51, s14
	s_wait_alu 0xfffe
	s_add_co_u32 s4, s4, s15
	s_add_co_ci_u32 s46, s5, s17
	s_add_co_ci_u32 s15, s21, 0
	s_wait_alu 0xfffe
	s_add_nc_u64 s[4:5], s[46:47], s[14:15]
	s_wait_alu 0xfffe
	s_mul_u64 s[4:5], s[36:37], s[4:5]
	s_wait_alu 0xfffe
	s_sub_co_u32 s4, s50, s4
	s_cselect_b32 s14, -1, 0
	s_wait_alu 0xfffe
	s_cmp_lg_u32 s14, 0
	s_sub_co_ci_u32 s5, s51, s5
	s_sub_co_u32 s14, s4, s36
	s_cselect_b32 s15, -1, 0
	s_wait_alu 0xfffe
	s_cmp_lg_u32 s15, 0
	s_sub_co_ci_u32 s15, s5, 0
	s_sub_co_u32 s17, s14, s36
	s_cselect_b32 s21, -1, 0
	s_delay_alu instid0(SALU_CYCLE_1)
	s_cmp_lg_u32 s21, 0
	s_wait_alu 0xfffe
	s_sub_co_ci_u32 s21, s15, 0
	s_cmp_ge_u32 s14, s36
	s_cselect_b32 s22, -1, 0
	s_cmp_eq_u32 s15, 0
	s_cselect_b32 s22, s22, -1
	s_delay_alu instid0(SALU_CYCLE_1)
	s_cmp_lg_u32 s22, 0
	s_cselect_b32 s15, s21, s15
	s_cselect_b32 s14, s17, s14
	s_cmp_ge_u32 s4, s36
	s_cselect_b32 s17, -1, 0
	s_cmp_eq_u32 s5, 0
	s_wait_alu 0xfffe
	s_cselect_b32 s17, s17, -1
	s_wait_alu 0xfffe
	s_cmp_lg_u32 s17, 0
	s_cselect_b32 s5, s15, s5
	s_cselect_b32 s4, s14, s4
	s_cbranch_execnz .LBB100_97
.LBB100_96:                             ;   in Loop: Header=BB100_11 Depth=1
	v_cvt_f32_u32_e32 v3, s36
	s_sub_co_i32 s5, 0, s36
	s_delay_alu instid0(VALU_DEP_1) | instskip(NEXT) | instid1(TRANS32_DEP_1)
	v_rcp_iflag_f32_e32 v3, v3
	v_mul_f32_e32 v3, 0x4f7ffffe, v3
	s_delay_alu instid0(VALU_DEP_1) | instskip(NEXT) | instid1(VALU_DEP_1)
	v_cvt_u32_f32_e32 v3, v3
	v_readfirstlane_b32 s4, v3
	s_wait_alu 0xfffe
	s_mul_i32 s5, s5, s4
	s_wait_alu 0xfffe
	s_mul_hi_u32 s5, s4, s5
	s_wait_alu 0xfffe
	s_add_co_i32 s4, s4, s5
	s_wait_alu 0xfffe
	s_mul_hi_u32 s4, s50, s4
	s_wait_alu 0xfffe
	s_mul_i32 s4, s4, s36
	s_wait_alu 0xfffe
	s_sub_co_i32 s4, s50, s4
	s_wait_alu 0xfffe
	s_sub_co_i32 s5, s4, s36
	s_cmp_ge_u32 s4, s36
	s_wait_alu 0xfffe
	s_cselect_b32 s4, s5, s4
	s_wait_alu 0xfffe
	s_sub_co_i32 s5, s4, s36
	s_cmp_ge_u32 s4, s36
	s_wait_alu 0xfffe
	s_cselect_b32 s46, s5, s4
	s_wait_alu 0xfffe
	s_mov_b64 s[4:5], s[46:47]
.LBB100_97:                             ;   in Loop: Header=BB100_11 Depth=1
	s_wait_alu 0xfffe
	s_sub_nc_u64 s[14:15], s[50:51], s[4:5]
	s_mov_b32 s5, exec_lo
                                        ; implicit-def: $vgpr5_vgpr6
	s_wait_alu 0xfffe
	v_cmpx_gt_u64_e64 s[14:15], v[0:1]
	s_cbranch_execz .LBB100_106
; %bb.98:                               ;   in Loop: Header=BB100_11 Depth=1
	v_dual_mov_b32 v11, v15 :: v_dual_mov_b32 v12, v16
	v_dual_mov_b32 v14, v1 :: v_dual_mov_b32 v13, v0
	s_mov_b32 s21, 0
                                        ; implicit-def: $sgpr17
	s_branch .LBB100_101
.LBB100_99:                             ;   in Loop: Header=BB100_101 Depth=2
	s_wait_alu 0xfffe
	s_or_b32 exec_lo, exec_lo, s4
	s_wait_loadcnt_dscnt 0x0
	s_barrier_signal -1
	s_barrier_wait -1
	global_inv scope:SCOPE_SE
	ds_load_b128 v[3:6], v18 offset:3072
	s_mov_b32 s4, -1
	s_mov_b32 s22, -1
	s_wait_loadcnt_dscnt 0x0
	s_barrier_signal -1
	s_barrier_wait -1
	global_inv scope:SCOPE_SE
	v_cmp_ne_u64_e32 vcc_lo, 0, v[3:4]
	s_cbranch_vccz .LBB100_104
.LBB100_100:                            ;   in Loop: Header=BB100_101 Depth=2
	s_wait_alu 0xfffe
	s_and_b32 s4, exec_lo, s4
	s_wait_alu 0xfffe
	s_or_b32 s21, s4, s21
	s_and_not1_b32 s4, s17, exec_lo
	s_and_b32 s17, s22, exec_lo
	s_wait_alu 0xfffe
	s_or_b32 s17, s4, s17
	s_and_not1_b32 exec_lo, exec_lo, s21
	s_cbranch_execz .LBB100_105
.LBB100_101:                            ;   Parent Loop BB100_11 Depth=1
                                        ; =>  This Inner Loop Header: Depth=2
	s_mov_b32 s4, exec_lo
	s_delay_alu instid0(VALU_DEP_1)
	v_cmpx_gt_u64_e64 s[24:25], v[13:14]
	s_cbranch_execz .LBB100_99
; %bb.102:                              ;   in Loop: Header=BB100_101 Depth=2
	global_load_b64 v[4:5], v[11:12], off
	s_wait_loadcnt 0x0
	v_xor_b32_e32 v3, 0x80000000, v5
	v_and_b32_e32 v34, v4, v30
	s_delay_alu instid0(VALU_DEP_2) | instskip(NEXT) | instid1(VALU_DEP_1)
	v_and_b32_e32 v35, v3, v31
	v_cmp_eq_u64_e32 vcc_lo, v[34:35], v[28:29]
	s_and_b32 exec_lo, exec_lo, vcc_lo
	s_cbranch_execz .LBB100_99
; %bb.103:                              ;   in Loop: Header=BB100_101 Depth=2
	v_mov_b32_e32 v3, v18
	ds_store_b128 v18, v[2:5] offset:3072
	s_branch .LBB100_99
.LBB100_104:                            ;   in Loop: Header=BB100_101 Depth=2
	v_add_co_u32 v13, vcc_lo, v13, s36
	s_wait_alu 0xfffd
	v_add_co_ci_u32_e64 v14, null, 0, v14, vcc_lo
	v_add_co_u32 v11, s4, v11, s42
	s_wait_alu 0xf1fe
	v_add_co_ci_u32_e64 v12, null, s43, v12, s4
	s_delay_alu instid0(VALU_DEP_3)
	v_cmp_le_u64_e32 vcc_lo, s[14:15], v[13:14]
	s_mov_b32 s22, 0
	s_or_not1_b32 s4, vcc_lo, exec_lo
	s_branch .LBB100_100
.LBB100_105:                            ;   in Loop: Header=BB100_11 Depth=1
	s_or_b32 exec_lo, exec_lo, s21
	s_delay_alu instid0(SALU_CYCLE_1)
	s_and_not1_b32 s4, s16, exec_lo
	s_wait_alu 0xfffe
	s_and_b32 s14, s17, exec_lo
	s_wait_alu 0xfffe
	s_or_b32 s16, s4, s14
.LBB100_106:                            ;   in Loop: Header=BB100_11 Depth=1
	s_or_b32 exec_lo, exec_lo, s5
	s_mov_b32 s21, 0
	s_mov_b32 s22, -1
.LBB100_107:                            ;   in Loop: Header=BB100_11 Depth=1
	s_wait_alu 0xfffe
	s_or_not1_b32 s4, s16, exec_lo
.LBB100_108:                            ;   in Loop: Header=BB100_11 Depth=1
	s_or_b32 exec_lo, exec_lo, s18
	s_delay_alu instid0(SALU_CYCLE_1)
	s_and_not1_b32 s5, s87, exec_lo
	s_and_b32 s14, s22, exec_lo
	s_and_not1_b32 s15, s85, exec_lo
	s_and_b32 s16, s21, exec_lo
	s_and_not1_b32 s84, s84, exec_lo
	s_wait_alu 0xfffe
	s_or_b32 s87, s5, s14
	s_or_b32 s85, s15, s16
                                        ; implicit-def: $vgpr11_vgpr12
	s_and_saveexec_b32 s18, s4
	s_cbranch_execz .LBB100_10
; %bb.109:                              ;   in Loop: Header=BB100_11 Depth=1
	v_dual_mov_b32 v11, 1 :: v_dual_mov_b32 v34, 1
	v_mov_b32_e32 v12, 0
	s_xor_b32 s14, s20, -1
	s_mov_b32 s5, 0
	s_wait_alu 0xfffe
	s_and_saveexec_b32 s4, s14
	s_cbranch_execz .LBB100_118
; %bb.110:                              ;   in Loop: Header=BB100_11 Depth=1
	s_mov_b32 s5, exec_lo
	v_cmpx_le_u64_e64 v[32:33], v[7:8]
	s_wait_alu 0xfffe
	s_xor_b32 s5, exec_lo, s5
	s_cbranch_execz .LBB100_115
; %bb.111:                              ;   in Loop: Header=BB100_11 Depth=1
	ds_load_b64 v[3:4], v18 offset:5120
	v_and_b32_e32 v29, s13, v29
	v_and_b32_e32 v28, s12, v28
	v_or_b32_e32 v31, s9, v31
	v_or_b32_e32 v30, s8, v30
	s_wait_dscnt 0x0
	v_cmp_ne_u64_e32 vcc_lo, 0, v[3:4]
	s_cbranch_vccnz .LBB100_115
; %bb.112:                              ;   in Loop: Header=BB100_11 Depth=1
	s_and_saveexec_b32 s14, s2
; %bb.113:                              ;   in Loop: Header=BB100_11 Depth=1
	ds_store_b64 v18, v[7:8] offset:5128
; %bb.114:                              ;   in Loop: Header=BB100_11 Depth=1
	s_wait_alu 0xfffe
	s_or_b32 exec_lo, exec_lo, s14
	s_wait_loadcnt_dscnt 0x0
	s_barrier_signal -1
	s_barrier_wait -1
	global_inv scope:SCOPE_SE
.LBB100_115:                            ;   in Loop: Header=BB100_11 Depth=1
	s_wait_alu 0xfffe
	s_or_saveexec_b32 s5, s5
	v_mov_b32_e32 v34, 8
	s_mov_b32 s14, 0
	s_wait_alu 0xfffe
	s_xor_b32 exec_lo, exec_lo, s5
; %bb.116:                              ;   in Loop: Header=BB100_11 Depth=1
	v_sub_co_u32 v32, vcc_lo, v32, v7
	s_wait_alu 0xfffd
	v_sub_co_ci_u32_e64 v33, null, v33, v8, vcc_lo
	v_mov_b32_e32 v34, 0
	s_mov_b32 s14, exec_lo
; %bb.117:                              ;   in Loop: Header=BB100_11 Depth=1
	s_or_b32 exec_lo, exec_lo, s5
	s_delay_alu instid0(VALU_DEP_2)
	v_dual_mov_b32 v11, v32 :: v_dual_mov_b32 v12, v33
	s_wait_alu 0xfffe
	s_and_b32 s5, s14, exec_lo
.LBB100_118:                            ;   in Loop: Header=BB100_11 Depth=1
	s_wait_alu 0xfffe
	s_or_b32 exec_lo, exec_lo, s4
	s_mov_b32 s19, -1
	s_mov_b32 s4, -1
                                        ; implicit-def: $sgpr21
                                        ; implicit-def: $sgpr22
	s_and_saveexec_b32 s14, s5
	s_wait_alu 0xfffe
	s_xor_b32 s20, exec_lo, s14
	s_cbranch_execz .LBB100_263
; %bb.119:                              ;   in Loop: Header=BB100_11 Depth=1
	v_cmp_eq_u64_e32 vcc_lo, 1, v[9:10]
	v_cmp_eq_u64_e64 s4, 1, v[11:12]
                                        ; implicit-def: $sgpr22
                                        ; implicit-def: $sgpr21
	s_and_b32 s58, vcc_lo, s4
	s_mov_b32 s4, -1
	s_and_saveexec_b32 s23, s58
	s_cbranch_execz .LBB100_156
; %bb.120:                              ;   in Loop: Header=BB100_11 Depth=1
	ds_load_b64 v[3:4], v18 offset:5120
	s_wait_loadcnt_dscnt 0x0
	s_barrier_signal -1
	s_barrier_wait -1
	global_inv scope:SCOPE_SE
	v_readfirstlane_b32 s4, v3
	v_readfirstlane_b32 s5, v4
	s_and_saveexec_b32 s14, s3
; %bb.121:                              ;   in Loop: Header=BB100_11 Depth=1
	v_mov_b32_e32 v17, v18
	ds_store_b64 v40, v[17:18]
; %bb.122:                              ;   in Loop: Header=BB100_11 Depth=1
	s_wait_alu 0xfffe
	s_or_b32 exec_lo, exec_lo, s14
	v_and_b32_e32 v3, s13, v29
	v_and_b32_e32 v4, s12, v28
	s_lshl_b64 s[14:15], 1, s79
	v_or_b32_e32 v31, s9, v31
	v_or_b32_e32 v30, s8, v30
	s_wait_alu 0xfffe
	v_or_b32_e32 v29, s15, v3
	v_or_b32_e32 v28, s14, v4
	s_mov_b32 s21, -1
	s_mov_b32 s22, 0
	s_cmp_eq_u64 s[4:5], 0
	s_mov_b32 s16, 0
	s_mov_b32 s17, -1
	s_wait_loadcnt_dscnt 0x0
	s_barrier_signal -1
	s_barrier_wait -1
	global_inv scope:SCOPE_SE
                                        ; implicit-def: $vgpr5_vgpr6
	s_cbranch_scc1 .LBB100_141
; %bb.123:                              ;   in Loop: Header=BB100_11 Depth=1
	s_add_nc_u64 s[14:15], s[4:5], s[48:49]
	s_mov_b32 s16, s47
	s_wait_alu 0xfffe
	s_mov_b32 s17, s15
	s_wait_alu 0xfffe
	s_cmp_lg_u64 s[16:17], 0
	s_cbranch_scc0 .LBB100_183
; %bb.124:                              ;   in Loop: Header=BB100_11 Depth=1
	s_cvt_f32_u32 s16, s36
	s_sub_nc_u64 s[60:61], 0, s[36:37]
	s_wait_alu 0xfffe
	s_delay_alu instid0(SALU_CYCLE_1) | instskip(SKIP_1) | instid1(SALU_CYCLE_2)
	s_fmamk_f32 s16, s81, 0x0, s16
	s_wait_alu 0xfffe
	v_s_rcp_f32 s16, s16
	s_delay_alu instid0(TRANS32_DEP_1) | instskip(SKIP_1) | instid1(SALU_CYCLE_2)
	s_mul_f32 s16, s16, 0x5f7ffffc
	s_wait_alu 0xfffe
	s_mul_f32 s17, s16, 0x2f800000
	s_wait_alu 0xfffe
	s_delay_alu instid0(SALU_CYCLE_2) | instskip(SKIP_1) | instid1(SALU_CYCLE_2)
	s_trunc_f32 s17, s17
	s_wait_alu 0xfffe
	s_fmamk_f32 s16, s17, 0xcf800000, s16
	s_cvt_u32_f32 s17, s17
	s_wait_alu 0xfffe
	s_delay_alu instid0(SALU_CYCLE_1) | instskip(SKIP_1) | instid1(SALU_CYCLE_2)
	s_cvt_u32_f32 s16, s16
	s_wait_alu 0xfffe
	s_mul_u64 s[62:63], s[60:61], s[16:17]
	s_wait_alu 0xfffe
	s_mul_hi_u32 s65, s16, s63
	s_mul_i32 s64, s16, s63
	s_mul_hi_u32 s46, s16, s62
	s_mul_i32 s66, s17, s62
	s_wait_alu 0xfffe
	s_add_nc_u64 s[64:65], s[46:47], s[64:65]
	s_mul_hi_u32 s59, s17, s62
	s_mul_hi_u32 s67, s17, s63
	s_wait_alu 0xfffe
	s_add_co_u32 s46, s64, s66
	s_add_co_ci_u32 s46, s65, s59
	s_mul_i32 s62, s17, s63
	s_add_co_ci_u32 s63, s67, 0
	s_wait_alu 0xfffe
	s_add_nc_u64 s[62:63], s[46:47], s[62:63]
	s_wait_alu 0xfffe
	s_add_co_u32 s16, s16, s62
	s_cselect_b32 s46, -1, 0
	s_wait_alu 0xfffe
	s_cmp_lg_u32 s46, 0
	s_add_co_ci_u32 s17, s17, s63
	s_wait_alu 0xfffe
	s_mul_u64 s[60:61], s[60:61], s[16:17]
	s_wait_alu 0xfffe
	s_mul_hi_u32 s63, s16, s61
	s_mul_i32 s62, s16, s61
	s_mul_hi_u32 s46, s16, s60
	s_mul_i32 s64, s17, s60
	s_wait_alu 0xfffe
	s_add_nc_u64 s[62:63], s[46:47], s[62:63]
	s_mul_hi_u32 s59, s17, s60
	s_mul_hi_u32 s65, s17, s61
	s_wait_alu 0xfffe
	s_add_co_u32 s46, s62, s64
	s_add_co_ci_u32 s46, s63, s59
	s_mul_i32 s60, s17, s61
	s_add_co_ci_u32 s61, s65, 0
	s_wait_alu 0xfffe
	s_add_nc_u64 s[60:61], s[46:47], s[60:61]
	s_wait_alu 0xfffe
	s_add_co_u32 s16, s16, s60
	s_cselect_b32 s59, -1, 0
	s_wait_alu 0xfffe
	s_mul_hi_u32 s46, s14, s16
	s_cmp_lg_u32 s59, 0
	s_mul_hi_u32 s59, s15, s16
	s_add_co_ci_u32 s60, s17, s61
	s_mul_i32 s61, s15, s16
	s_wait_alu 0xfffe
	s_mul_hi_u32 s17, s14, s60
	s_mul_i32 s16, s14, s60
	s_mul_hi_u32 s62, s15, s60
	s_wait_alu 0xfffe
	s_add_nc_u64 s[16:17], s[46:47], s[16:17]
	s_mul_i32 s60, s15, s60
	s_wait_alu 0xfffe
	s_add_co_u32 s16, s16, s61
	s_add_co_ci_u32 s46, s17, s59
	s_add_co_ci_u32 s61, s62, 0
	s_wait_alu 0xfffe
	s_add_nc_u64 s[16:17], s[46:47], s[60:61]
	s_wait_alu 0xfffe
	s_mul_u64 s[16:17], s[36:37], s[16:17]
	s_wait_alu 0xfffe
	s_sub_co_u32 s16, s14, s16
	s_cselect_b32 s46, -1, 0
	s_wait_alu 0xfffe
	s_cmp_lg_u32 s46, 0
	s_sub_co_ci_u32 s17, s15, s17
	s_sub_co_u32 s46, s16, s36
	s_cselect_b32 s59, -1, 0
	s_delay_alu instid0(SALU_CYCLE_1)
	s_cmp_lg_u32 s59, 0
	s_wait_alu 0xfffe
	s_sub_co_ci_u32 s59, s17, 0
	s_sub_co_u32 s60, s46, s36
	s_cselect_b32 s61, -1, 0
	s_wait_alu 0xfffe
	s_cmp_lg_u32 s61, 0
	s_sub_co_ci_u32 s61, s59, 0
	s_cmp_ge_u32 s46, s36
	s_cselect_b32 s62, -1, 0
	s_cmp_eq_u32 s59, 0
	s_wait_alu 0xfffe
	s_cselect_b32 s62, s62, -1
	s_wait_alu 0xfffe
	s_cmp_lg_u32 s62, 0
	s_cselect_b32 s59, s61, s59
	s_cselect_b32 s46, s60, s46
	s_cmp_ge_u32 s16, s36
	s_cselect_b32 s60, -1, 0
	s_cmp_eq_u32 s17, 0
	s_wait_alu 0xfffe
	s_cselect_b32 s60, s60, -1
	s_wait_alu 0xfffe
	s_cmp_lg_u32 s60, 0
	s_cselect_b32 s17, s59, s17
	s_cselect_b32 s16, s46, s16
	s_cbranch_execnz .LBB100_126
.LBB100_125:                            ;   in Loop: Header=BB100_11 Depth=1
	v_cvt_f32_u32_e32 v3, s36
	s_sub_co_i32 s17, 0, s36
	s_delay_alu instid0(VALU_DEP_1) | instskip(NEXT) | instid1(TRANS32_DEP_1)
	v_rcp_iflag_f32_e32 v3, v3
	v_mul_f32_e32 v3, 0x4f7ffffe, v3
	s_delay_alu instid0(VALU_DEP_1) | instskip(NEXT) | instid1(VALU_DEP_1)
	v_cvt_u32_f32_e32 v3, v3
	v_readfirstlane_b32 s16, v3
	s_wait_alu 0xfffe
	s_mul_i32 s17, s17, s16
	s_wait_alu 0xfffe
	s_mul_hi_u32 s17, s16, s17
	s_wait_alu 0xfffe
	s_add_co_i32 s16, s16, s17
	s_wait_alu 0xfffe
	s_mul_hi_u32 s16, s14, s16
	s_wait_alu 0xfffe
	s_mul_i32 s16, s16, s36
	s_wait_alu 0xfffe
	s_sub_co_i32 s16, s14, s16
	s_wait_alu 0xfffe
	s_sub_co_i32 s17, s16, s36
	s_cmp_ge_u32 s16, s36
	s_wait_alu 0xfffe
	s_cselect_b32 s16, s17, s16
	s_wait_alu 0xfffe
	s_sub_co_i32 s17, s16, s36
	s_cmp_ge_u32 s16, s36
	s_wait_alu 0xfffe
	s_cselect_b32 s46, s17, s16
	s_wait_alu 0xfffe
	s_mov_b64 s[16:17], s[46:47]
.LBB100_126:                            ;   in Loop: Header=BB100_11 Depth=1
	s_wait_alu 0xfffe
	s_sub_nc_u64 s[14:15], s[14:15], s[16:17]
	s_mov_b32 s17, 0
	s_mov_b32 s16, 0
	s_mov_b32 s46, exec_lo
                                        ; implicit-def: $vgpr5_vgpr6
	s_wait_alu 0xfffe
	v_cmpx_gt_u64_e64 s[14:15], v[0:1]
	s_cbranch_execz .LBB100_140
; %bb.127:                              ;   in Loop: Header=BB100_11 Depth=1
	v_dual_mov_b32 v13, v39 :: v_dual_mov_b32 v8, v1
	v_mov_b32_e32 v7, v0
                                        ; implicit-def: $sgpr59
	s_branch .LBB100_130
.LBB100_128:                            ;   in Loop: Header=BB100_130 Depth=2
	s_wait_alu 0xfffe
	s_or_b32 exec_lo, exec_lo, s60
	s_wait_loadcnt_dscnt 0x0
	s_barrier_signal -1
	s_barrier_wait -1
	global_inv scope:SCOPE_SE
	ds_load_b128 v[3:6], v18 offset:3072
	s_mov_b32 s60, -1
	s_mov_b32 s61, -1
	s_wait_loadcnt_dscnt 0x0
	s_barrier_signal -1
	s_barrier_wait -1
	global_inv scope:SCOPE_SE
	v_cmp_ne_u64_e32 vcc_lo, 0, v[3:4]
	s_cbranch_vccz .LBB100_133
.LBB100_129:                            ;   in Loop: Header=BB100_130 Depth=2
	s_wait_alu 0xfffe
	s_and_b32 s60, exec_lo, s60
	s_wait_alu 0xfffe
	s_or_b32 s16, s60, s16
	s_and_not1_b32 s59, s59, exec_lo
	s_and_b32 s60, s61, exec_lo
	s_wait_alu 0xfffe
	s_or_b32 s59, s59, s60
	s_and_not1_b32 exec_lo, exec_lo, s16
	s_cbranch_execz .LBB100_139
.LBB100_130:                            ;   Parent Loop BB100_11 Depth=1
                                        ; =>  This Inner Loop Header: Depth=2
	s_mov_b32 s60, exec_lo
	s_delay_alu instid0(VALU_DEP_1)
	v_cmpx_gt_u64_e64 s[4:5], v[7:8]
	s_cbranch_execz .LBB100_128
; %bb.131:                              ;   in Loop: Header=BB100_130 Depth=2
	ds_load_b64 v[4:5], v13
	s_wait_dscnt 0x0
	v_xor_b32_e32 v3, 0x80000000, v5
	v_and_b32_e32 v32, v4, v30
	s_delay_alu instid0(VALU_DEP_2) | instskip(NEXT) | instid1(VALU_DEP_1)
	v_and_b32_e32 v33, v3, v31
	v_cmp_eq_u64_e32 vcc_lo, v[32:33], v[28:29]
	s_and_b32 exec_lo, exec_lo, vcc_lo
	s_cbranch_execz .LBB100_128
; %bb.132:                              ;   in Loop: Header=BB100_130 Depth=2
	v_mov_b32_e32 v3, v18
	ds_store_b128 v18, v[2:5] offset:3072
	s_branch .LBB100_128
.LBB100_133:                            ;   in Loop: Header=BB100_130 Depth=2
	v_add_co_u32 v7, vcc_lo, v7, s36
	s_wait_alu 0xfffd
	v_add_co_ci_u32_e64 v8, null, 0, v8, vcc_lo
	v_add_nc_u32_e32 v13, s78, v13
	s_mov_b32 s61, 0
	s_delay_alu instid0(VALU_DEP_2)
	v_cmp_le_u64_e32 vcc_lo, s[14:15], v[7:8]
	s_or_not1_b32 s60, vcc_lo, exec_lo
	s_branch .LBB100_129
.LBB100_134:                            ;   in Loop: Header=BB100_11 Depth=1
                                        ; implicit-def: $sgpr16_sgpr17
	s_branch .LBB100_82
.LBB100_135:                            ;   in Loop: Header=BB100_11 Depth=1
	s_wait_alu 0xfffe
	s_or_b32 exec_lo, exec_lo, s7
	s_wait_loadcnt_dscnt 0x0
	s_barrier_signal -1
	s_barrier_wait -1
	global_inv scope:SCOPE_SE
	s_and_saveexec_b32 s4, s2
	s_cbranch_execz .LBB100_137
; %bb.136:                              ;   in Loop: Header=BB100_11 Depth=1
	ds_load_b32 v3, v18 offset:5144
	s_wait_dscnt 0x0
	v_ashrrev_i32_e32 v4, 31, v3
	ds_store_b64 v18, v[3:4] offset:5120
.LBB100_137:                            ;   in Loop: Header=BB100_11 Depth=1
	s_wait_alu 0xfffe
	s_or_b32 exec_lo, exec_lo, s4
	s_wait_loadcnt_dscnt 0x0
	s_barrier_signal -1
	s_mov_b32 s4, -1
	s_barrier_wait -1
	s_and_b32 vcc_lo, exec_lo, s6
	s_wait_alu 0xfffe
	s_cbranch_vccnz .LBB100_27
	s_branch .LBB100_36
.LBB100_138:                            ;   in Loop: Header=BB100_11 Depth=1
                                        ; implicit-def: $sgpr4_sgpr5
	s_branch .LBB100_96
.LBB100_139:                            ;   in Loop: Header=BB100_11 Depth=1
	s_or_b32 exec_lo, exec_lo, s16
	s_delay_alu instid0(SALU_CYCLE_1)
	s_and_b32 s16, s59, exec_lo
.LBB100_140:                            ;   in Loop: Header=BB100_11 Depth=1
	s_or_b32 exec_lo, exec_lo, s46
.LBB100_141:                            ;   in Loop: Header=BB100_11 Depth=1
	s_wait_alu 0xfffe
	s_and_b32 vcc_lo, exec_lo, s17
	s_wait_alu 0xfffe
	s_cbranch_vccz .LBB100_155
; %bb.142:                              ;   in Loop: Header=BB100_11 Depth=1
	s_mov_b32 s4, s47
	s_mov_b32 s5, s51
	s_wait_alu 0xfffe
	s_cmp_lg_u64 s[4:5], 0
	s_cbranch_scc0 .LBB100_184
; %bb.143:                              ;   in Loop: Header=BB100_11 Depth=1
	s_cvt_f32_u32 s4, s36
	s_sub_nc_u64 s[14:15], 0, s[36:37]
	s_wait_alu 0xfffe
	s_delay_alu instid0(SALU_CYCLE_1) | instskip(SKIP_1) | instid1(SALU_CYCLE_2)
	s_fmamk_f32 s4, s81, 0x0, s4
	s_wait_alu 0xfffe
	v_s_rcp_f32 s4, s4
	s_delay_alu instid0(TRANS32_DEP_1) | instskip(SKIP_1) | instid1(SALU_CYCLE_2)
	s_mul_f32 s4, s4, 0x5f7ffffc
	s_wait_alu 0xfffe
	s_mul_f32 s5, s4, 0x2f800000
	s_wait_alu 0xfffe
	s_delay_alu instid0(SALU_CYCLE_2) | instskip(SKIP_1) | instid1(SALU_CYCLE_2)
	s_trunc_f32 s5, s5
	s_wait_alu 0xfffe
	s_fmamk_f32 s4, s5, 0xcf800000, s4
	s_cvt_u32_f32 s5, s5
	s_wait_alu 0xfffe
	s_delay_alu instid0(SALU_CYCLE_1) | instskip(SKIP_1) | instid1(SALU_CYCLE_2)
	s_cvt_u32_f32 s4, s4
	s_wait_alu 0xfffe
	s_mul_u64 s[60:61], s[14:15], s[4:5]
	s_wait_alu 0xfffe
	s_mul_hi_u32 s63, s4, s61
	s_mul_i32 s62, s4, s61
	s_mul_hi_u32 s46, s4, s60
	s_mul_i32 s21, s5, s60
	s_wait_alu 0xfffe
	s_add_nc_u64 s[62:63], s[46:47], s[62:63]
	s_mul_hi_u32 s17, s5, s60
	s_mul_hi_u32 s22, s5, s61
	s_wait_alu 0xfffe
	s_add_co_u32 s21, s62, s21
	s_add_co_ci_u32 s46, s63, s17
	s_mul_i32 s60, s5, s61
	s_add_co_ci_u32 s61, s22, 0
	s_wait_alu 0xfffe
	s_add_nc_u64 s[60:61], s[46:47], s[60:61]
	s_wait_alu 0xfffe
	s_add_co_u32 s4, s4, s60
	s_cselect_b32 s17, -1, 0
	s_wait_alu 0xfffe
	s_cmp_lg_u32 s17, 0
	s_add_co_ci_u32 s5, s5, s61
	s_wait_alu 0xfffe
	s_mul_u64 s[14:15], s[14:15], s[4:5]
	s_wait_alu 0xfffe
	s_mul_hi_u32 s61, s4, s15
	s_mul_i32 s60, s4, s15
	s_mul_hi_u32 s46, s4, s14
	s_mul_i32 s21, s5, s14
	s_wait_alu 0xfffe
	s_add_nc_u64 s[60:61], s[46:47], s[60:61]
	s_mul_hi_u32 s17, s5, s14
	s_mul_hi_u32 s22, s5, s15
	s_mul_i32 s14, s5, s15
	s_wait_alu 0xfffe
	s_add_co_u32 s15, s60, s21
	s_add_co_ci_u32 s46, s61, s17
	s_add_co_ci_u32 s15, s22, 0
	s_wait_alu 0xfffe
	s_add_nc_u64 s[14:15], s[46:47], s[14:15]
	s_wait_alu 0xfffe
	s_add_co_u32 s4, s4, s14
	s_cselect_b32 s14, -1, 0
	s_wait_alu 0xfffe
	s_mul_hi_u32 s46, s50, s4
	s_cmp_lg_u32 s14, 0
	s_mul_hi_u32 s17, s51, s4
	s_add_co_ci_u32 s14, s5, s15
	s_mul_i32 s15, s51, s4
	s_wait_alu 0xfffe
	s_mul_hi_u32 s5, s50, s14
	s_mul_i32 s4, s50, s14
	s_mul_hi_u32 s21, s51, s14
	s_wait_alu 0xfffe
	s_add_nc_u64 s[4:5], s[46:47], s[4:5]
	s_mul_i32 s14, s51, s14
	s_wait_alu 0xfffe
	s_add_co_u32 s4, s4, s15
	s_add_co_ci_u32 s46, s5, s17
	s_add_co_ci_u32 s15, s21, 0
	s_wait_alu 0xfffe
	s_add_nc_u64 s[4:5], s[46:47], s[14:15]
	s_wait_alu 0xfffe
	s_mul_u64 s[4:5], s[36:37], s[4:5]
	s_wait_alu 0xfffe
	s_sub_co_u32 s4, s50, s4
	s_cselect_b32 s14, -1, 0
	s_wait_alu 0xfffe
	s_cmp_lg_u32 s14, 0
	s_sub_co_ci_u32 s5, s51, s5
	s_sub_co_u32 s14, s4, s36
	s_cselect_b32 s15, -1, 0
	s_wait_alu 0xfffe
	s_cmp_lg_u32 s15, 0
	s_sub_co_ci_u32 s15, s5, 0
	s_sub_co_u32 s17, s14, s36
	s_cselect_b32 s21, -1, 0
	s_delay_alu instid0(SALU_CYCLE_1)
	s_cmp_lg_u32 s21, 0
	s_wait_alu 0xfffe
	s_sub_co_ci_u32 s21, s15, 0
	s_cmp_ge_u32 s14, s36
	s_cselect_b32 s22, -1, 0
	s_cmp_eq_u32 s15, 0
	s_cselect_b32 s22, s22, -1
	s_delay_alu instid0(SALU_CYCLE_1)
	s_cmp_lg_u32 s22, 0
	s_cselect_b32 s15, s21, s15
	s_cselect_b32 s14, s17, s14
	s_cmp_ge_u32 s4, s36
	s_cselect_b32 s17, -1, 0
	s_cmp_eq_u32 s5, 0
	s_wait_alu 0xfffe
	s_cselect_b32 s17, s17, -1
	s_wait_alu 0xfffe
	s_cmp_lg_u32 s17, 0
	s_cselect_b32 s5, s15, s5
	s_cselect_b32 s4, s14, s4
	s_cbranch_execnz .LBB100_145
.LBB100_144:                            ;   in Loop: Header=BB100_11 Depth=1
	v_cvt_f32_u32_e32 v3, s36
	s_sub_co_i32 s5, 0, s36
	s_delay_alu instid0(VALU_DEP_1) | instskip(NEXT) | instid1(TRANS32_DEP_1)
	v_rcp_iflag_f32_e32 v3, v3
	v_mul_f32_e32 v3, 0x4f7ffffe, v3
	s_delay_alu instid0(VALU_DEP_1) | instskip(NEXT) | instid1(VALU_DEP_1)
	v_cvt_u32_f32_e32 v3, v3
	v_readfirstlane_b32 s4, v3
	s_wait_alu 0xfffe
	s_mul_i32 s5, s5, s4
	s_wait_alu 0xfffe
	s_mul_hi_u32 s5, s4, s5
	s_wait_alu 0xfffe
	s_add_co_i32 s4, s4, s5
	s_wait_alu 0xfffe
	s_mul_hi_u32 s4, s50, s4
	s_wait_alu 0xfffe
	s_mul_i32 s4, s4, s36
	s_wait_alu 0xfffe
	s_sub_co_i32 s4, s50, s4
	s_wait_alu 0xfffe
	s_sub_co_i32 s5, s4, s36
	s_cmp_ge_u32 s4, s36
	s_wait_alu 0xfffe
	s_cselect_b32 s4, s5, s4
	s_wait_alu 0xfffe
	s_sub_co_i32 s5, s4, s36
	s_cmp_ge_u32 s4, s36
	s_wait_alu 0xfffe
	s_cselect_b32 s46, s5, s4
	s_wait_alu 0xfffe
	s_mov_b64 s[4:5], s[46:47]
.LBB100_145:                            ;   in Loop: Header=BB100_11 Depth=1
	s_wait_alu 0xfffe
	s_sub_nc_u64 s[14:15], s[50:51], s[4:5]
	s_mov_b32 s5, exec_lo
                                        ; implicit-def: $vgpr5_vgpr6
	s_wait_alu 0xfffe
	v_cmpx_gt_u64_e64 s[14:15], v[0:1]
	s_cbranch_execz .LBB100_154
; %bb.146:                              ;   in Loop: Header=BB100_11 Depth=1
	v_dual_mov_b32 v7, v15 :: v_dual_mov_b32 v8, v16
	v_dual_mov_b32 v14, v1 :: v_dual_mov_b32 v13, v0
	s_mov_b32 s17, 0
                                        ; implicit-def: $sgpr21
	s_branch .LBB100_149
.LBB100_147:                            ;   in Loop: Header=BB100_149 Depth=2
	s_wait_alu 0xfffe
	s_or_b32 exec_lo, exec_lo, s4
	s_wait_loadcnt_dscnt 0x0
	s_barrier_signal -1
	s_barrier_wait -1
	global_inv scope:SCOPE_SE
	ds_load_b128 v[3:6], v18 offset:3072
	s_mov_b32 s4, -1
	s_mov_b32 s22, -1
	s_wait_loadcnt_dscnt 0x0
	s_barrier_signal -1
	s_barrier_wait -1
	global_inv scope:SCOPE_SE
	v_cmp_eq_u64_e32 vcc_lo, 0, v[3:4]
	s_cbranch_vccnz .LBB100_152
.LBB100_148:                            ;   in Loop: Header=BB100_149 Depth=2
	s_wait_alu 0xfffe
	s_and_b32 s4, exec_lo, s4
	s_wait_alu 0xfffe
	s_or_b32 s17, s4, s17
	s_and_not1_b32 s4, s21, exec_lo
	s_and_b32 s21, s22, exec_lo
	s_wait_alu 0xfffe
	s_or_b32 s21, s4, s21
	s_and_not1_b32 exec_lo, exec_lo, s17
	s_cbranch_execz .LBB100_153
.LBB100_149:                            ;   Parent Loop BB100_11 Depth=1
                                        ; =>  This Inner Loop Header: Depth=2
	s_mov_b32 s4, exec_lo
	s_delay_alu instid0(VALU_DEP_1)
	v_cmpx_gt_u64_e64 s[24:25], v[13:14]
	s_cbranch_execz .LBB100_147
; %bb.150:                              ;   in Loop: Header=BB100_149 Depth=2
	global_load_b64 v[4:5], v[7:8], off
	s_wait_loadcnt 0x0
	v_xor_b32_e32 v3, 0x80000000, v5
	v_and_b32_e32 v32, v4, v30
	s_delay_alu instid0(VALU_DEP_2) | instskip(NEXT) | instid1(VALU_DEP_1)
	v_and_b32_e32 v33, v3, v31
	v_cmp_eq_u64_e32 vcc_lo, v[32:33], v[28:29]
	s_and_b32 exec_lo, exec_lo, vcc_lo
	s_cbranch_execz .LBB100_147
; %bb.151:                              ;   in Loop: Header=BB100_149 Depth=2
	v_mov_b32_e32 v3, v18
	ds_store_b128 v18, v[2:5] offset:3072
	s_branch .LBB100_147
.LBB100_152:                            ;   in Loop: Header=BB100_149 Depth=2
	v_add_co_u32 v13, vcc_lo, v13, s36
	s_wait_alu 0xfffd
	v_add_co_ci_u32_e64 v14, null, 0, v14, vcc_lo
	v_add_co_u32 v7, s4, v7, s42
	s_wait_alu 0xf1fe
	v_add_co_ci_u32_e64 v8, null, s43, v8, s4
	s_delay_alu instid0(VALU_DEP_3)
	v_cmp_le_u64_e32 vcc_lo, s[14:15], v[13:14]
	s_mov_b32 s22, 0
	s_or_not1_b32 s4, vcc_lo, exec_lo
	s_branch .LBB100_148
.LBB100_153:                            ;   in Loop: Header=BB100_11 Depth=1
	s_or_b32 exec_lo, exec_lo, s17
	s_delay_alu instid0(SALU_CYCLE_1)
	s_and_not1_b32 s4, s16, exec_lo
	s_and_b32 s14, s21, exec_lo
	s_wait_alu 0xfffe
	s_or_b32 s16, s4, s14
.LBB100_154:                            ;   in Loop: Header=BB100_11 Depth=1
	s_or_b32 exec_lo, exec_lo, s5
	s_mov_b32 s21, 0
	s_mov_b32 s22, -1
.LBB100_155:                            ;   in Loop: Header=BB100_11 Depth=1
	s_wait_alu 0xfffe
	s_or_not1_b32 s4, s16, exec_lo
.LBB100_156:                            ;   in Loop: Header=BB100_11 Depth=1
	s_or_b32 exec_lo, exec_lo, s23
	s_mov_b32 s5, 0
	s_wait_alu 0xfffe
	s_and_saveexec_b32 s23, s4
	s_cbranch_execz .LBB100_262
; %bb.157:                              ;   in Loop: Header=BB100_11 Depth=1
	v_dual_mov_b32 v7, 1 :: v_dual_mov_b32 v34, 1
	v_mov_b32_e32 v8, 0
	s_xor_b32 s14, s58, -1
	s_wait_alu 0xfffe
	s_and_saveexec_b32 s4, s14
	s_cbranch_execz .LBB100_167
; %bb.158:                              ;   in Loop: Header=BB100_11 Depth=1
	s_mov_b32 s5, exec_lo
	v_cmpx_le_u64_e64 v[11:12], v[9:10]
	s_wait_alu 0xfffe
	s_xor_b32 s5, exec_lo, s5
	s_cbranch_execz .LBB100_164
; %bb.159:                              ;   in Loop: Header=BB100_11 Depth=1
	ds_load_b64 v[3:4], v18 offset:5120
	v_and_b32_e32 v7, s13, v29
	v_and_b32_e32 v8, s12, v28
	s_lshl_b64 s[14:15], 1, s79
	v_or_b32_e32 v31, s9, v31
	v_or_b32_e32 v30, s8, v30
	s_wait_alu 0xfffe
	v_or_b32_e32 v29, s15, v7
	v_or_b32_e32 v28, s14, v8
	s_wait_dscnt 0x0
	v_cmp_ne_u64_e32 vcc_lo, 0, v[3:4]
	s_cbranch_vccnz .LBB100_163
; %bb.160:                              ;   in Loop: Header=BB100_11 Depth=1
	s_and_saveexec_b32 s14, s2
; %bb.161:                              ;   in Loop: Header=BB100_11 Depth=1
	ds_store_b64 v18, v[9:10] offset:5128
; %bb.162:                              ;   in Loop: Header=BB100_11 Depth=1
	s_wait_alu 0xfffe
	s_or_b32 exec_lo, exec_lo, s14
	s_wait_loadcnt_dscnt 0x0
	s_barrier_signal -1
	s_barrier_wait -1
	global_inv scope:SCOPE_SE
.LBB100_163:                            ;   in Loop: Header=BB100_11 Depth=1
                                        ; implicit-def: $vgpr7_vgpr8_vgpr9_vgpr10
.LBB100_164:                            ;   in Loop: Header=BB100_11 Depth=1
	s_wait_alu 0xfffe
	s_or_saveexec_b32 s5, s5
	v_mov_b32_e32 v34, 8
	s_mov_b32 s14, 0
	s_wait_alu 0xfffe
	s_xor_b32 exec_lo, exec_lo, s5
; %bb.165:                              ;   in Loop: Header=BB100_11 Depth=1
	v_sub_co_u32 v11, vcc_lo, v11, v9
	s_wait_alu 0xfffd
	v_sub_co_ci_u32_e64 v12, null, v12, v10, vcc_lo
	v_mov_b32_e32 v34, 0
	s_mov_b32 s14, exec_lo
; %bb.166:                              ;   in Loop: Header=BB100_11 Depth=1
	s_or_b32 exec_lo, exec_lo, s5
	s_delay_alu instid0(VALU_DEP_2)
	v_dual_mov_b32 v7, v11 :: v_dual_mov_b32 v8, v12
	s_wait_alu 0xfffe
	s_and_b32 s5, s14, exec_lo
.LBB100_167:                            ;   in Loop: Header=BB100_11 Depth=1
	s_wait_alu 0xfffe
	s_or_b32 exec_lo, exec_lo, s4
	s_mov_b32 s4, -1
                                        ; implicit-def: $sgpr59
                                        ; implicit-def: $sgpr60
	s_and_saveexec_b32 s58, s5
	s_cbranch_execz .LBB100_261
; %bb.168:                              ;   in Loop: Header=BB100_11 Depth=1
	v_cmp_eq_u64_e32 vcc_lo, 1, v[7:8]
	s_cmp_eq_u64 s[10:11], 1
                                        ; implicit-def: $sgpr60
                                        ; implicit-def: $sgpr59
	s_cselect_b32 s4, -1, 0
	s_wait_alu 0xfffe
	s_and_b32 s61, s4, vcc_lo
	s_mov_b32 s4, -1
	s_wait_alu 0xfffe
	s_and_saveexec_b32 s62, s61
	s_cbranch_execz .LBB100_202
; %bb.169:                              ;   in Loop: Header=BB100_11 Depth=1
	ds_load_b64 v[3:4], v18 offset:5120
	s_wait_loadcnt_dscnt 0x0
	s_barrier_signal -1
	s_barrier_wait -1
	global_inv scope:SCOPE_SE
	v_readfirstlane_b32 s4, v3
	v_readfirstlane_b32 s5, v4
	s_and_saveexec_b32 s14, s3
; %bb.170:                              ;   in Loop: Header=BB100_11 Depth=1
	v_mov_b32_e32 v17, v18
	ds_store_b64 v40, v[17:18]
; %bb.171:                              ;   in Loop: Header=BB100_11 Depth=1
	s_wait_alu 0xfffe
	s_or_b32 exec_lo, exec_lo, s14
	v_and_b32_e32 v3, s13, v29
	v_and_b32_e32 v4, s12, v28
	s_lshl_b64 s[14:15], 2, s79
	v_or_b32_e32 v31, s9, v31
	v_or_b32_e32 v30, s8, v30
	s_wait_alu 0xfffe
	v_or_b32_e32 v29, s15, v3
	v_or_b32_e32 v28, s14, v4
	s_mov_b32 s59, -1
	s_mov_b32 s60, 0
	s_cmp_eq_u64 s[4:5], 0
	s_mov_b32 s16, 0
	s_mov_b32 s17, -1
	s_wait_loadcnt_dscnt 0x0
	s_barrier_signal -1
	s_barrier_wait -1
	global_inv scope:SCOPE_SE
                                        ; implicit-def: $vgpr5_vgpr6
	s_cbranch_scc1 .LBB100_187
; %bb.172:                              ;   in Loop: Header=BB100_11 Depth=1
	s_add_nc_u64 s[14:15], s[4:5], s[48:49]
	s_mov_b32 s16, s47
	s_wait_alu 0xfffe
	s_mov_b32 s17, s15
	s_wait_alu 0xfffe
	s_cmp_lg_u64 s[16:17], 0
	s_cbranch_scc0 .LBB100_228
; %bb.173:                              ;   in Loop: Header=BB100_11 Depth=1
	s_cvt_f32_u32 s16, s36
	s_sub_nc_u64 s[64:65], 0, s[36:37]
	s_wait_alu 0xfffe
	s_delay_alu instid0(SALU_CYCLE_1) | instskip(SKIP_1) | instid1(SALU_CYCLE_2)
	s_fmamk_f32 s16, s81, 0x0, s16
	s_wait_alu 0xfffe
	v_s_rcp_f32 s16, s16
	s_delay_alu instid0(TRANS32_DEP_1) | instskip(SKIP_1) | instid1(SALU_CYCLE_2)
	s_mul_f32 s16, s16, 0x5f7ffffc
	s_wait_alu 0xfffe
	s_mul_f32 s17, s16, 0x2f800000
	s_wait_alu 0xfffe
	s_delay_alu instid0(SALU_CYCLE_2) | instskip(SKIP_1) | instid1(SALU_CYCLE_2)
	s_trunc_f32 s17, s17
	s_wait_alu 0xfffe
	s_fmamk_f32 s16, s17, 0xcf800000, s16
	s_cvt_u32_f32 s17, s17
	s_wait_alu 0xfffe
	s_delay_alu instid0(SALU_CYCLE_1) | instskip(SKIP_1) | instid1(SALU_CYCLE_2)
	s_cvt_u32_f32 s16, s16
	s_wait_alu 0xfffe
	s_mul_u64 s[66:67], s[64:65], s[16:17]
	s_wait_alu 0xfffe
	s_mul_hi_u32 s69, s16, s67
	s_mul_i32 s68, s16, s67
	s_mul_hi_u32 s46, s16, s66
	s_mul_i32 s70, s17, s66
	s_wait_alu 0xfffe
	s_add_nc_u64 s[68:69], s[46:47], s[68:69]
	s_mul_hi_u32 s63, s17, s66
	s_mul_hi_u32 s71, s17, s67
	s_wait_alu 0xfffe
	s_add_co_u32 s46, s68, s70
	s_add_co_ci_u32 s46, s69, s63
	s_mul_i32 s66, s17, s67
	s_add_co_ci_u32 s67, s71, 0
	s_wait_alu 0xfffe
	s_add_nc_u64 s[66:67], s[46:47], s[66:67]
	s_wait_alu 0xfffe
	s_add_co_u32 s16, s16, s66
	s_cselect_b32 s46, -1, 0
	s_wait_alu 0xfffe
	s_cmp_lg_u32 s46, 0
	s_add_co_ci_u32 s17, s17, s67
	s_wait_alu 0xfffe
	s_mul_u64 s[64:65], s[64:65], s[16:17]
	s_wait_alu 0xfffe
	s_mul_hi_u32 s67, s16, s65
	s_mul_i32 s66, s16, s65
	s_mul_hi_u32 s46, s16, s64
	s_mul_i32 s68, s17, s64
	s_wait_alu 0xfffe
	s_add_nc_u64 s[66:67], s[46:47], s[66:67]
	s_mul_hi_u32 s63, s17, s64
	s_mul_hi_u32 s69, s17, s65
	s_wait_alu 0xfffe
	s_add_co_u32 s46, s66, s68
	s_add_co_ci_u32 s46, s67, s63
	s_mul_i32 s64, s17, s65
	s_add_co_ci_u32 s65, s69, 0
	s_wait_alu 0xfffe
	s_add_nc_u64 s[64:65], s[46:47], s[64:65]
	s_wait_alu 0xfffe
	s_add_co_u32 s16, s16, s64
	s_cselect_b32 s63, -1, 0
	s_wait_alu 0xfffe
	s_mul_hi_u32 s46, s14, s16
	s_cmp_lg_u32 s63, 0
	s_mul_hi_u32 s63, s15, s16
	s_add_co_ci_u32 s64, s17, s65
	s_mul_i32 s65, s15, s16
	s_wait_alu 0xfffe
	s_mul_hi_u32 s17, s14, s64
	s_mul_i32 s16, s14, s64
	s_mul_hi_u32 s66, s15, s64
	s_wait_alu 0xfffe
	s_add_nc_u64 s[16:17], s[46:47], s[16:17]
	s_mul_i32 s64, s15, s64
	s_wait_alu 0xfffe
	s_add_co_u32 s16, s16, s65
	s_add_co_ci_u32 s46, s17, s63
	s_add_co_ci_u32 s65, s66, 0
	s_wait_alu 0xfffe
	s_add_nc_u64 s[16:17], s[46:47], s[64:65]
	s_wait_alu 0xfffe
	s_mul_u64 s[16:17], s[36:37], s[16:17]
	s_wait_alu 0xfffe
	s_sub_co_u32 s16, s14, s16
	s_cselect_b32 s46, -1, 0
	s_wait_alu 0xfffe
	s_cmp_lg_u32 s46, 0
	s_sub_co_ci_u32 s17, s15, s17
	s_sub_co_u32 s46, s16, s36
	s_cselect_b32 s63, -1, 0
	s_wait_alu 0xfffe
	s_cmp_lg_u32 s63, 0
	s_sub_co_ci_u32 s63, s17, 0
	;; [unrolled: 5-line block ×3, first 2 shown]
	s_cmp_ge_u32 s46, s36
	s_cselect_b32 s66, -1, 0
	s_cmp_eq_u32 s63, 0
	s_wait_alu 0xfffe
	s_cselect_b32 s66, s66, -1
	s_wait_alu 0xfffe
	s_cmp_lg_u32 s66, 0
	s_cselect_b32 s63, s65, s63
	s_cselect_b32 s46, s64, s46
	s_cmp_ge_u32 s16, s36
	s_cselect_b32 s64, -1, 0
	s_cmp_eq_u32 s17, 0
	s_wait_alu 0xfffe
	s_cselect_b32 s64, s64, -1
	s_wait_alu 0xfffe
	s_cmp_lg_u32 s64, 0
	s_cselect_b32 s17, s63, s17
	s_cselect_b32 s16, s46, s16
	s_cbranch_execnz .LBB100_175
.LBB100_174:                            ;   in Loop: Header=BB100_11 Depth=1
	v_cvt_f32_u32_e32 v3, s36
	s_sub_co_i32 s17, 0, s36
	s_delay_alu instid0(VALU_DEP_1) | instskip(NEXT) | instid1(TRANS32_DEP_1)
	v_rcp_iflag_f32_e32 v3, v3
	v_mul_f32_e32 v3, 0x4f7ffffe, v3
	s_delay_alu instid0(VALU_DEP_1) | instskip(NEXT) | instid1(VALU_DEP_1)
	v_cvt_u32_f32_e32 v3, v3
	v_readfirstlane_b32 s16, v3
	s_wait_alu 0xfffe
	s_mul_i32 s17, s17, s16
	s_wait_alu 0xfffe
	s_mul_hi_u32 s17, s16, s17
	s_wait_alu 0xfffe
	s_add_co_i32 s16, s16, s17
	s_wait_alu 0xfffe
	s_mul_hi_u32 s16, s14, s16
	s_wait_alu 0xfffe
	s_mul_i32 s16, s16, s36
	s_wait_alu 0xfffe
	s_sub_co_i32 s16, s14, s16
	s_wait_alu 0xfffe
	s_sub_co_i32 s17, s16, s36
	s_cmp_ge_u32 s16, s36
	s_wait_alu 0xfffe
	s_cselect_b32 s16, s17, s16
	s_wait_alu 0xfffe
	s_sub_co_i32 s17, s16, s36
	s_cmp_ge_u32 s16, s36
	s_wait_alu 0xfffe
	s_cselect_b32 s46, s17, s16
	s_wait_alu 0xfffe
	s_mov_b64 s[16:17], s[46:47]
.LBB100_175:                            ;   in Loop: Header=BB100_11 Depth=1
	s_wait_alu 0xfffe
	s_sub_nc_u64 s[14:15], s[14:15], s[16:17]
	s_mov_b32 s17, 0
	s_mov_b32 s16, 0
	s_mov_b32 s46, exec_lo
                                        ; implicit-def: $vgpr5_vgpr6
	s_wait_alu 0xfffe
	v_cmpx_gt_u64_e64 s[14:15], v[0:1]
	s_cbranch_execz .LBB100_186
; %bb.176:                              ;   in Loop: Header=BB100_11 Depth=1
	v_dual_mov_b32 v11, v39 :: v_dual_mov_b32 v10, v1
	v_mov_b32_e32 v9, v0
                                        ; implicit-def: $sgpr63
	s_branch .LBB100_179
.LBB100_177:                            ;   in Loop: Header=BB100_179 Depth=2
	s_wait_alu 0xfffe
	s_or_b32 exec_lo, exec_lo, s64
	s_wait_loadcnt_dscnt 0x0
	s_barrier_signal -1
	s_barrier_wait -1
	global_inv scope:SCOPE_SE
	ds_load_b128 v[3:6], v18 offset:3072
	s_mov_b32 s64, -1
	s_mov_b32 s65, -1
	s_wait_loadcnt_dscnt 0x0
	s_barrier_signal -1
	s_barrier_wait -1
	global_inv scope:SCOPE_SE
	v_cmp_ne_u64_e32 vcc_lo, 0, v[3:4]
	s_cbranch_vccz .LBB100_182
.LBB100_178:                            ;   in Loop: Header=BB100_179 Depth=2
	s_wait_alu 0xfffe
	s_and_b32 s64, exec_lo, s64
	s_wait_alu 0xfffe
	s_or_b32 s16, s64, s16
	s_and_not1_b32 s63, s63, exec_lo
	s_and_b32 s64, s65, exec_lo
	s_wait_alu 0xfffe
	s_or_b32 s63, s63, s64
	s_and_not1_b32 exec_lo, exec_lo, s16
	s_cbranch_execz .LBB100_185
.LBB100_179:                            ;   Parent Loop BB100_11 Depth=1
                                        ; =>  This Inner Loop Header: Depth=2
	s_mov_b32 s64, exec_lo
	s_delay_alu instid0(VALU_DEP_1)
	v_cmpx_gt_u64_e64 s[4:5], v[9:10]
	s_cbranch_execz .LBB100_177
; %bb.180:                              ;   in Loop: Header=BB100_179 Depth=2
	ds_load_b64 v[4:5], v11
	s_wait_dscnt 0x0
	v_xor_b32_e32 v3, 0x80000000, v5
	v_and_b32_e32 v12, v4, v30
	s_delay_alu instid0(VALU_DEP_2) | instskip(NEXT) | instid1(VALU_DEP_1)
	v_and_b32_e32 v13, v3, v31
	v_cmp_eq_u64_e32 vcc_lo, v[12:13], v[28:29]
	s_and_b32 exec_lo, exec_lo, vcc_lo
	s_cbranch_execz .LBB100_177
; %bb.181:                              ;   in Loop: Header=BB100_179 Depth=2
	v_mov_b32_e32 v3, v18
	ds_store_b128 v18, v[2:5] offset:3072
	s_branch .LBB100_177
.LBB100_182:                            ;   in Loop: Header=BB100_179 Depth=2
	v_add_co_u32 v9, vcc_lo, v9, s36
	s_wait_alu 0xfffd
	v_add_co_ci_u32_e64 v10, null, 0, v10, vcc_lo
	v_add_nc_u32_e32 v11, s78, v11
	s_mov_b32 s65, 0
	s_delay_alu instid0(VALU_DEP_2)
	v_cmp_le_u64_e32 vcc_lo, s[14:15], v[9:10]
	s_or_not1_b32 s64, vcc_lo, exec_lo
	s_branch .LBB100_178
.LBB100_183:                            ;   in Loop: Header=BB100_11 Depth=1
                                        ; implicit-def: $sgpr16_sgpr17
	s_branch .LBB100_125
.LBB100_184:                            ;   in Loop: Header=BB100_11 Depth=1
                                        ; implicit-def: $sgpr4_sgpr5
	s_branch .LBB100_144
.LBB100_185:                            ;   in Loop: Header=BB100_11 Depth=1
	s_or_b32 exec_lo, exec_lo, s16
	s_wait_alu 0xfffe
	s_and_b32 s16, s63, exec_lo
.LBB100_186:                            ;   in Loop: Header=BB100_11 Depth=1
	s_or_b32 exec_lo, exec_lo, s46
.LBB100_187:                            ;   in Loop: Header=BB100_11 Depth=1
	s_wait_alu 0xfffe
	s_and_b32 vcc_lo, exec_lo, s17
	s_wait_alu 0xfffe
	s_cbranch_vccz .LBB100_201
; %bb.188:                              ;   in Loop: Header=BB100_11 Depth=1
	s_mov_b32 s4, s47
	s_mov_b32 s5, s51
	s_wait_alu 0xfffe
	s_cmp_lg_u64 s[4:5], 0
	s_cbranch_scc0 .LBB100_229
; %bb.189:                              ;   in Loop: Header=BB100_11 Depth=1
	s_cvt_f32_u32 s4, s36
	s_sub_nc_u64 s[14:15], 0, s[36:37]
	s_wait_alu 0xfffe
	s_delay_alu instid0(SALU_CYCLE_1) | instskip(SKIP_1) | instid1(SALU_CYCLE_2)
	s_fmamk_f32 s4, s81, 0x0, s4
	s_wait_alu 0xfffe
	v_s_rcp_f32 s4, s4
	s_delay_alu instid0(TRANS32_DEP_1) | instskip(SKIP_1) | instid1(SALU_CYCLE_2)
	s_mul_f32 s4, s4, 0x5f7ffffc
	s_wait_alu 0xfffe
	s_mul_f32 s5, s4, 0x2f800000
	s_wait_alu 0xfffe
	s_delay_alu instid0(SALU_CYCLE_2) | instskip(SKIP_1) | instid1(SALU_CYCLE_2)
	s_trunc_f32 s5, s5
	s_wait_alu 0xfffe
	s_fmamk_f32 s4, s5, 0xcf800000, s4
	s_cvt_u32_f32 s5, s5
	s_wait_alu 0xfffe
	s_delay_alu instid0(SALU_CYCLE_1) | instskip(SKIP_1) | instid1(SALU_CYCLE_2)
	s_cvt_u32_f32 s4, s4
	s_wait_alu 0xfffe
	s_mul_u64 s[64:65], s[14:15], s[4:5]
	s_wait_alu 0xfffe
	s_mul_hi_u32 s67, s4, s65
	s_mul_i32 s66, s4, s65
	s_mul_hi_u32 s46, s4, s64
	s_mul_i32 s59, s5, s64
	s_wait_alu 0xfffe
	s_add_nc_u64 s[66:67], s[46:47], s[66:67]
	s_mul_hi_u32 s17, s5, s64
	s_mul_hi_u32 s60, s5, s65
	s_wait_alu 0xfffe
	s_add_co_u32 s46, s66, s59
	s_add_co_ci_u32 s46, s67, s17
	s_mul_i32 s64, s5, s65
	s_add_co_ci_u32 s65, s60, 0
	s_wait_alu 0xfffe
	s_add_nc_u64 s[64:65], s[46:47], s[64:65]
	s_wait_alu 0xfffe
	s_add_co_u32 s4, s4, s64
	s_cselect_b32 s17, -1, 0
	s_wait_alu 0xfffe
	s_cmp_lg_u32 s17, 0
	s_add_co_ci_u32 s5, s5, s65
	s_wait_alu 0xfffe
	s_mul_u64 s[14:15], s[14:15], s[4:5]
	s_wait_alu 0xfffe
	s_mul_hi_u32 s65, s4, s15
	s_mul_i32 s64, s4, s15
	s_mul_hi_u32 s46, s4, s14
	s_mul_i32 s59, s5, s14
	s_wait_alu 0xfffe
	s_add_nc_u64 s[64:65], s[46:47], s[64:65]
	s_mul_hi_u32 s17, s5, s14
	s_mul_hi_u32 s60, s5, s15
	s_mul_i32 s14, s5, s15
	s_wait_alu 0xfffe
	s_add_co_u32 s15, s64, s59
	s_add_co_ci_u32 s46, s65, s17
	s_add_co_ci_u32 s15, s60, 0
	s_wait_alu 0xfffe
	s_add_nc_u64 s[14:15], s[46:47], s[14:15]
	s_wait_alu 0xfffe
	s_add_co_u32 s4, s4, s14
	s_cselect_b32 s14, -1, 0
	s_wait_alu 0xfffe
	s_mul_hi_u32 s46, s50, s4
	s_cmp_lg_u32 s14, 0
	s_mul_hi_u32 s17, s51, s4
	s_add_co_ci_u32 s14, s5, s15
	s_mul_i32 s15, s51, s4
	s_wait_alu 0xfffe
	s_mul_hi_u32 s5, s50, s14
	s_mul_i32 s4, s50, s14
	s_mul_hi_u32 s59, s51, s14
	s_wait_alu 0xfffe
	s_add_nc_u64 s[4:5], s[46:47], s[4:5]
	s_mul_i32 s14, s51, s14
	s_wait_alu 0xfffe
	s_add_co_u32 s4, s4, s15
	s_add_co_ci_u32 s46, s5, s17
	s_add_co_ci_u32 s15, s59, 0
	s_wait_alu 0xfffe
	s_add_nc_u64 s[4:5], s[46:47], s[14:15]
	s_wait_alu 0xfffe
	s_mul_u64 s[4:5], s[36:37], s[4:5]
	s_wait_alu 0xfffe
	s_sub_co_u32 s4, s50, s4
	s_cselect_b32 s14, -1, 0
	s_wait_alu 0xfffe
	s_cmp_lg_u32 s14, 0
	s_sub_co_ci_u32 s5, s51, s5
	s_sub_co_u32 s14, s4, s36
	s_cselect_b32 s15, -1, 0
	s_wait_alu 0xfffe
	s_cmp_lg_u32 s15, 0
	s_sub_co_ci_u32 s15, s5, 0
	;; [unrolled: 5-line block ×3, first 2 shown]
	s_cmp_ge_u32 s14, s36
	s_cselect_b32 s59, -1, 0
	s_cmp_eq_u32 s15, 0
	s_cselect_b32 s59, s59, -1
	s_delay_alu instid0(SALU_CYCLE_1)
	s_cmp_lg_u32 s59, 0
	s_wait_alu 0xfffe
	s_cselect_b32 s15, s46, s15
	s_cselect_b32 s14, s17, s14
	s_cmp_ge_u32 s4, s36
	s_cselect_b32 s17, -1, 0
	s_cmp_eq_u32 s5, 0
	s_wait_alu 0xfffe
	s_cselect_b32 s17, s17, -1
	s_wait_alu 0xfffe
	s_cmp_lg_u32 s17, 0
	s_cselect_b32 s5, s15, s5
	s_cselect_b32 s4, s14, s4
	s_cbranch_execnz .LBB100_191
.LBB100_190:                            ;   in Loop: Header=BB100_11 Depth=1
	v_cvt_f32_u32_e32 v3, s36
	s_sub_co_i32 s5, 0, s36
	s_delay_alu instid0(VALU_DEP_1) | instskip(NEXT) | instid1(TRANS32_DEP_1)
	v_rcp_iflag_f32_e32 v3, v3
	v_mul_f32_e32 v3, 0x4f7ffffe, v3
	s_delay_alu instid0(VALU_DEP_1) | instskip(NEXT) | instid1(VALU_DEP_1)
	v_cvt_u32_f32_e32 v3, v3
	v_readfirstlane_b32 s4, v3
	s_wait_alu 0xfffe
	s_mul_i32 s5, s5, s4
	s_wait_alu 0xfffe
	s_mul_hi_u32 s5, s4, s5
	s_wait_alu 0xfffe
	s_add_co_i32 s4, s4, s5
	s_wait_alu 0xfffe
	s_mul_hi_u32 s4, s50, s4
	s_wait_alu 0xfffe
	s_mul_i32 s4, s4, s36
	s_wait_alu 0xfffe
	s_sub_co_i32 s4, s50, s4
	s_wait_alu 0xfffe
	s_sub_co_i32 s5, s4, s36
	s_cmp_ge_u32 s4, s36
	s_wait_alu 0xfffe
	s_cselect_b32 s4, s5, s4
	s_wait_alu 0xfffe
	s_sub_co_i32 s5, s4, s36
	s_cmp_ge_u32 s4, s36
	s_wait_alu 0xfffe
	s_cselect_b32 s46, s5, s4
	s_wait_alu 0xfffe
	s_mov_b64 s[4:5], s[46:47]
.LBB100_191:                            ;   in Loop: Header=BB100_11 Depth=1
	s_wait_alu 0xfffe
	s_sub_nc_u64 s[14:15], s[50:51], s[4:5]
	s_mov_b32 s5, exec_lo
                                        ; implicit-def: $vgpr5_vgpr6
	s_wait_alu 0xfffe
	v_cmpx_gt_u64_e64 s[14:15], v[0:1]
	s_cbranch_execz .LBB100_200
; %bb.192:                              ;   in Loop: Header=BB100_11 Depth=1
	v_dual_mov_b32 v9, v15 :: v_dual_mov_b32 v10, v16
	v_dual_mov_b32 v12, v1 :: v_dual_mov_b32 v11, v0
	s_mov_b32 s17, 0
                                        ; implicit-def: $sgpr46
	s_branch .LBB100_195
.LBB100_193:                            ;   in Loop: Header=BB100_195 Depth=2
	s_wait_alu 0xfffe
	s_or_b32 exec_lo, exec_lo, s4
	s_wait_loadcnt_dscnt 0x0
	s_barrier_signal -1
	s_barrier_wait -1
	global_inv scope:SCOPE_SE
	ds_load_b128 v[3:6], v18 offset:3072
	s_mov_b32 s4, -1
	s_mov_b32 s59, -1
	s_wait_loadcnt_dscnt 0x0
	s_barrier_signal -1
	s_barrier_wait -1
	global_inv scope:SCOPE_SE
	v_cmp_eq_u64_e32 vcc_lo, 0, v[3:4]
	s_cbranch_vccnz .LBB100_198
.LBB100_194:                            ;   in Loop: Header=BB100_195 Depth=2
	s_wait_alu 0xfffe
	s_and_b32 s4, exec_lo, s4
	s_wait_alu 0xfffe
	s_or_b32 s17, s4, s17
	s_and_not1_b32 s4, s46, exec_lo
	s_and_b32 s46, s59, exec_lo
	s_wait_alu 0xfffe
	s_or_b32 s46, s4, s46
	s_and_not1_b32 exec_lo, exec_lo, s17
	s_cbranch_execz .LBB100_199
.LBB100_195:                            ;   Parent Loop BB100_11 Depth=1
                                        ; =>  This Inner Loop Header: Depth=2
	s_mov_b32 s4, exec_lo
	s_delay_alu instid0(VALU_DEP_1)
	v_cmpx_gt_u64_e64 s[24:25], v[11:12]
	s_cbranch_execz .LBB100_193
; %bb.196:                              ;   in Loop: Header=BB100_195 Depth=2
	global_load_b64 v[4:5], v[9:10], off
	s_wait_loadcnt 0x0
	v_xor_b32_e32 v3, 0x80000000, v5
	v_and_b32_e32 v13, v4, v30
	s_delay_alu instid0(VALU_DEP_2) | instskip(NEXT) | instid1(VALU_DEP_1)
	v_and_b32_e32 v14, v3, v31
	v_cmp_eq_u64_e32 vcc_lo, v[13:14], v[28:29]
	s_and_b32 exec_lo, exec_lo, vcc_lo
	s_cbranch_execz .LBB100_193
; %bb.197:                              ;   in Loop: Header=BB100_195 Depth=2
	v_mov_b32_e32 v3, v18
	ds_store_b128 v18, v[2:5] offset:3072
	s_branch .LBB100_193
.LBB100_198:                            ;   in Loop: Header=BB100_195 Depth=2
	v_add_co_u32 v11, vcc_lo, v11, s36
	s_wait_alu 0xfffd
	v_add_co_ci_u32_e64 v12, null, 0, v12, vcc_lo
	v_add_co_u32 v9, s4, v9, s42
	s_wait_alu 0xf1fe
	v_add_co_ci_u32_e64 v10, null, s43, v10, s4
	s_delay_alu instid0(VALU_DEP_3)
	v_cmp_le_u64_e32 vcc_lo, s[14:15], v[11:12]
	s_mov_b32 s59, 0
	s_or_not1_b32 s4, vcc_lo, exec_lo
	s_branch .LBB100_194
.LBB100_199:                            ;   in Loop: Header=BB100_11 Depth=1
	s_or_b32 exec_lo, exec_lo, s17
	s_delay_alu instid0(SALU_CYCLE_1)
	s_and_not1_b32 s4, s16, exec_lo
	s_wait_alu 0xfffe
	s_and_b32 s14, s46, exec_lo
	s_wait_alu 0xfffe
	s_or_b32 s16, s4, s14
.LBB100_200:                            ;   in Loop: Header=BB100_11 Depth=1
	s_or_b32 exec_lo, exec_lo, s5
	s_mov_b32 s59, 0
	s_mov_b32 s60, -1
.LBB100_201:                            ;   in Loop: Header=BB100_11 Depth=1
	s_wait_alu 0xfffe
	s_or_not1_b32 s4, s16, exec_lo
.LBB100_202:                            ;   in Loop: Header=BB100_11 Depth=1
	s_wait_alu 0xfffe
	s_or_b32 exec_lo, exec_lo, s62
	s_mov_b32 s5, 0
	s_and_saveexec_b32 s14, s4
	s_cbranch_execz .LBB100_260
; %bb.203:                              ;   in Loop: Header=BB100_11 Depth=1
	v_dual_mov_b32 v9, 1 :: v_dual_mov_b32 v34, 1
	v_mov_b32_e32 v10, 0
	s_xor_b32 s15, s61, -1
	s_wait_alu 0xfffe
	s_and_saveexec_b32 s4, s15
	s_cbranch_execz .LBB100_212
; %bb.204:                              ;   in Loop: Header=BB100_11 Depth=1
	s_mov_b32 s5, exec_lo
	v_cmpx_ge_u64_e64 s[10:11], v[7:8]
	s_wait_alu 0xfffe
	s_xor_b32 s5, exec_lo, s5
	s_cbranch_execz .LBB100_209
; %bb.205:                              ;   in Loop: Header=BB100_11 Depth=1
	ds_load_b64 v[3:4], v18 offset:5120
	v_and_b32_e32 v9, s13, v29
	v_and_b32_e32 v10, s12, v28
	s_lshl_b64 s[12:13], 2, s79
	v_or_b32_e32 v31, s9, v31
	v_or_b32_e32 v30, s8, v30
	s_wait_alu 0xfffe
	v_or_b32_e32 v29, s13, v9
	v_or_b32_e32 v28, s12, v10
	s_wait_dscnt 0x0
	v_cmp_ne_u64_e32 vcc_lo, 0, v[3:4]
	s_cbranch_vccnz .LBB100_209
; %bb.206:                              ;   in Loop: Header=BB100_11 Depth=1
	s_and_saveexec_b32 s12, s2
; %bb.207:                              ;   in Loop: Header=BB100_11 Depth=1
	v_dual_mov_b32 v3, s10 :: v_dual_mov_b32 v4, s11
	ds_store_b64 v18, v[3:4] offset:5128
; %bb.208:                              ;   in Loop: Header=BB100_11 Depth=1
	s_wait_alu 0xfffe
	s_or_b32 exec_lo, exec_lo, s12
	s_wait_loadcnt_dscnt 0x0
	s_barrier_signal -1
	s_barrier_wait -1
	global_inv scope:SCOPE_SE
.LBB100_209:                            ;   in Loop: Header=BB100_11 Depth=1
	s_wait_alu 0xfffe
	s_or_saveexec_b32 s5, s5
	v_mov_b32_e32 v34, 8
	s_mov_b32 s12, 0
	s_wait_alu 0xfffe
	s_xor_b32 exec_lo, exec_lo, s5
; %bb.210:                              ;   in Loop: Header=BB100_11 Depth=1
	v_sub_co_u32 v7, vcc_lo, v7, s10
	s_wait_alu 0xfffd
	v_subrev_co_ci_u32_e64 v8, null, s11, v8, vcc_lo
	v_mov_b32_e32 v34, 0
	s_mov_b32 s12, exec_lo
; %bb.211:                              ;   in Loop: Header=BB100_11 Depth=1
	s_or_b32 exec_lo, exec_lo, s5
	s_delay_alu instid0(VALU_DEP_2)
	v_dual_mov_b32 v10, v8 :: v_dual_mov_b32 v9, v7
	s_wait_alu 0xfffe
	s_and_b32 s5, s12, exec_lo
.LBB100_212:                            ;   in Loop: Header=BB100_11 Depth=1
	s_wait_alu 0xfffe
	s_or_b32 exec_lo, exec_lo, s4
	s_mov_b32 s4, -1
                                        ; implicit-def: $sgpr62
                                        ; implicit-def: $sgpr61
	s_and_saveexec_b32 s15, s5
	s_cbranch_execz .LBB100_259
; %bb.213:                              ;   in Loop: Header=BB100_11 Depth=1
	v_cmp_eq_u64_e32 vcc_lo, 1, v[9:10]
	s_cmp_eq_u64 s[6:7], 1
	s_mov_b32 s5, -1
	s_cselect_b32 s4, -1, 0
                                        ; implicit-def: $sgpr62
                                        ; implicit-def: $sgpr61
	s_wait_alu 0xfffe
	s_and_b32 s16, s4, vcc_lo
	s_wait_alu 0xfffe
	s_and_saveexec_b32 s17, s16
	s_cbranch_execz .LBB100_247
; %bb.214:                              ;   in Loop: Header=BB100_11 Depth=1
	ds_load_b64 v[3:4], v18 offset:5120
	s_wait_loadcnt_dscnt 0x0
	s_barrier_signal -1
	s_barrier_wait -1
	global_inv scope:SCOPE_SE
	v_readfirstlane_b32 s4, v3
	v_readfirstlane_b32 s5, v4
	s_and_saveexec_b32 s10, s3
; %bb.215:                              ;   in Loop: Header=BB100_11 Depth=1
	v_mov_b32_e32 v17, v18
	ds_store_b64 v40, v[17:18]
; %bb.216:                              ;   in Loop: Header=BB100_11 Depth=1
	s_wait_alu 0xfffe
	s_or_b32 exec_lo, exec_lo, s10
	v_or_b32_e32 v29, s9, v29
	v_or_b32_e32 v28, s8, v28
	;; [unrolled: 1-line block ×4, first 2 shown]
	s_mov_b32 s61, -1
	s_mov_b32 s62, 0
	s_cmp_eq_u64 s[4:5], 0
	s_mov_b32 s12, 0
	s_mov_b32 s13, -1
	s_wait_loadcnt_dscnt 0x0
	s_barrier_signal -1
	s_barrier_wait -1
	global_inv scope:SCOPE_SE
                                        ; implicit-def: $vgpr5_vgpr6
	s_cbranch_scc1 .LBB100_232
; %bb.217:                              ;   in Loop: Header=BB100_11 Depth=1
	s_add_nc_u64 s[10:11], s[4:5], s[48:49]
	s_mov_b32 s12, s47
	s_wait_alu 0xfffe
	s_mov_b32 s13, s11
	s_wait_alu 0xfffe
	s_cmp_lg_u64 s[12:13], 0
	s_cbranch_scc0 .LBB100_266
; %bb.218:                              ;   in Loop: Header=BB100_11 Depth=1
	s_cvt_f32_u32 s12, s36
	s_sub_nc_u64 s[64:65], 0, s[36:37]
	s_wait_alu 0xfffe
	s_delay_alu instid0(SALU_CYCLE_1) | instskip(SKIP_1) | instid1(SALU_CYCLE_2)
	s_fmamk_f32 s12, s81, 0x0, s12
	s_wait_alu 0xfffe
	v_s_rcp_f32 s12, s12
	s_delay_alu instid0(TRANS32_DEP_1) | instskip(SKIP_1) | instid1(SALU_CYCLE_2)
	s_mul_f32 s12, s12, 0x5f7ffffc
	s_wait_alu 0xfffe
	s_mul_f32 s13, s12, 0x2f800000
	s_wait_alu 0xfffe
	s_delay_alu instid0(SALU_CYCLE_2) | instskip(SKIP_1) | instid1(SALU_CYCLE_2)
	s_trunc_f32 s13, s13
	s_wait_alu 0xfffe
	s_fmamk_f32 s12, s13, 0xcf800000, s12
	s_cvt_u32_f32 s13, s13
	s_wait_alu 0xfffe
	s_delay_alu instid0(SALU_CYCLE_1) | instskip(SKIP_1) | instid1(SALU_CYCLE_2)
	s_cvt_u32_f32 s12, s12
	s_wait_alu 0xfffe
	s_mul_u64 s[66:67], s[64:65], s[12:13]
	s_wait_alu 0xfffe
	s_mul_hi_u32 s69, s12, s67
	s_mul_i32 s68, s12, s67
	s_mul_hi_u32 s46, s12, s66
	s_mul_i32 s70, s13, s66
	s_wait_alu 0xfffe
	s_add_nc_u64 s[68:69], s[46:47], s[68:69]
	s_mul_hi_u32 s63, s13, s66
	s_mul_hi_u32 s71, s13, s67
	s_wait_alu 0xfffe
	s_add_co_u32 s46, s68, s70
	s_add_co_ci_u32 s46, s69, s63
	s_mul_i32 s66, s13, s67
	s_add_co_ci_u32 s67, s71, 0
	s_wait_alu 0xfffe
	s_add_nc_u64 s[66:67], s[46:47], s[66:67]
	s_wait_alu 0xfffe
	s_add_co_u32 s12, s12, s66
	s_cselect_b32 s46, -1, 0
	s_wait_alu 0xfffe
	s_cmp_lg_u32 s46, 0
	s_add_co_ci_u32 s13, s13, s67
	s_wait_alu 0xfffe
	s_mul_u64 s[64:65], s[64:65], s[12:13]
	s_wait_alu 0xfffe
	s_mul_hi_u32 s67, s12, s65
	s_mul_i32 s66, s12, s65
	s_mul_hi_u32 s46, s12, s64
	s_mul_i32 s68, s13, s64
	s_wait_alu 0xfffe
	s_add_nc_u64 s[66:67], s[46:47], s[66:67]
	s_mul_hi_u32 s63, s13, s64
	s_mul_hi_u32 s69, s13, s65
	s_wait_alu 0xfffe
	s_add_co_u32 s46, s66, s68
	s_add_co_ci_u32 s46, s67, s63
	s_mul_i32 s64, s13, s65
	s_add_co_ci_u32 s65, s69, 0
	s_wait_alu 0xfffe
	s_add_nc_u64 s[64:65], s[46:47], s[64:65]
	s_wait_alu 0xfffe
	s_add_co_u32 s12, s12, s64
	s_cselect_b32 s63, -1, 0
	s_wait_alu 0xfffe
	s_mul_hi_u32 s46, s10, s12
	s_cmp_lg_u32 s63, 0
	s_mul_hi_u32 s63, s11, s12
	s_add_co_ci_u32 s64, s13, s65
	s_mul_i32 s65, s11, s12
	s_wait_alu 0xfffe
	s_mul_hi_u32 s13, s10, s64
	s_mul_i32 s12, s10, s64
	s_mul_hi_u32 s66, s11, s64
	s_wait_alu 0xfffe
	s_add_nc_u64 s[12:13], s[46:47], s[12:13]
	s_mul_i32 s64, s11, s64
	s_wait_alu 0xfffe
	s_add_co_u32 s12, s12, s65
	s_add_co_ci_u32 s46, s13, s63
	s_add_co_ci_u32 s65, s66, 0
	s_wait_alu 0xfffe
	s_add_nc_u64 s[12:13], s[46:47], s[64:65]
	s_wait_alu 0xfffe
	s_mul_u64 s[12:13], s[36:37], s[12:13]
	s_wait_alu 0xfffe
	s_sub_co_u32 s12, s10, s12
	s_cselect_b32 s46, -1, 0
	s_wait_alu 0xfffe
	s_cmp_lg_u32 s46, 0
	s_sub_co_ci_u32 s13, s11, s13
	s_sub_co_u32 s46, s12, s36
	s_cselect_b32 s63, -1, 0
	s_wait_alu 0xfffe
	s_cmp_lg_u32 s63, 0
	s_sub_co_ci_u32 s63, s13, 0
	;; [unrolled: 5-line block ×3, first 2 shown]
	s_cmp_ge_u32 s46, s36
	s_cselect_b32 s66, -1, 0
	s_cmp_eq_u32 s63, 0
	s_wait_alu 0xfffe
	s_cselect_b32 s66, s66, -1
	s_wait_alu 0xfffe
	s_cmp_lg_u32 s66, 0
	s_cselect_b32 s63, s65, s63
	s_cselect_b32 s46, s64, s46
	s_cmp_ge_u32 s12, s36
	s_cselect_b32 s64, -1, 0
	s_cmp_eq_u32 s13, 0
	s_wait_alu 0xfffe
	s_cselect_b32 s64, s64, -1
	s_wait_alu 0xfffe
	s_cmp_lg_u32 s64, 0
	s_cselect_b32 s13, s63, s13
	s_cselect_b32 s12, s46, s12
	s_cbranch_execnz .LBB100_220
.LBB100_219:                            ;   in Loop: Header=BB100_11 Depth=1
	v_cvt_f32_u32_e32 v3, s36
	s_sub_co_i32 s13, 0, s36
	s_delay_alu instid0(VALU_DEP_1) | instskip(NEXT) | instid1(TRANS32_DEP_1)
	v_rcp_iflag_f32_e32 v3, v3
	v_mul_f32_e32 v3, 0x4f7ffffe, v3
	s_delay_alu instid0(VALU_DEP_1) | instskip(NEXT) | instid1(VALU_DEP_1)
	v_cvt_u32_f32_e32 v3, v3
	v_readfirstlane_b32 s12, v3
	s_wait_alu 0xfffe
	s_mul_i32 s13, s13, s12
	s_wait_alu 0xfffe
	s_mul_hi_u32 s13, s12, s13
	s_wait_alu 0xfffe
	s_add_co_i32 s12, s12, s13
	s_wait_alu 0xfffe
	s_mul_hi_u32 s12, s10, s12
	s_wait_alu 0xfffe
	s_mul_i32 s12, s12, s36
	s_wait_alu 0xfffe
	s_sub_co_i32 s12, s10, s12
	s_wait_alu 0xfffe
	s_sub_co_i32 s13, s12, s36
	s_cmp_ge_u32 s12, s36
	s_wait_alu 0xfffe
	s_cselect_b32 s12, s13, s12
	s_wait_alu 0xfffe
	s_sub_co_i32 s13, s12, s36
	s_cmp_ge_u32 s12, s36
	s_wait_alu 0xfffe
	s_cselect_b32 s46, s13, s12
	s_wait_alu 0xfffe
	s_mov_b64 s[12:13], s[46:47]
.LBB100_220:                            ;   in Loop: Header=BB100_11 Depth=1
	s_wait_alu 0xfffe
	s_sub_nc_u64 s[10:11], s[10:11], s[12:13]
	s_mov_b32 s13, 0
	s_mov_b32 s12, 0
	s_mov_b32 s46, exec_lo
                                        ; implicit-def: $vgpr5_vgpr6
	s_wait_alu 0xfffe
	v_cmpx_gt_u64_e64 s[10:11], v[0:1]
	s_cbranch_execz .LBB100_231
; %bb.221:                              ;   in Loop: Header=BB100_11 Depth=1
	v_dual_mov_b32 v11, v39 :: v_dual_mov_b32 v8, v1
	v_mov_b32_e32 v7, v0
                                        ; implicit-def: $sgpr63
	s_branch .LBB100_224
.LBB100_222:                            ;   in Loop: Header=BB100_224 Depth=2
	s_wait_alu 0xfffe
	s_or_b32 exec_lo, exec_lo, s64
	s_wait_loadcnt_dscnt 0x0
	s_barrier_signal -1
	s_barrier_wait -1
	global_inv scope:SCOPE_SE
	ds_load_b128 v[3:6], v18 offset:3072
	s_mov_b32 s64, -1
	s_mov_b32 s65, -1
	s_wait_loadcnt_dscnt 0x0
	s_barrier_signal -1
	s_barrier_wait -1
	global_inv scope:SCOPE_SE
	v_cmp_ne_u64_e32 vcc_lo, 0, v[3:4]
	s_cbranch_vccz .LBB100_227
.LBB100_223:                            ;   in Loop: Header=BB100_224 Depth=2
	s_wait_alu 0xfffe
	s_and_b32 s64, exec_lo, s64
	s_wait_alu 0xfffe
	s_or_b32 s12, s64, s12
	s_and_not1_b32 s63, s63, exec_lo
	s_and_b32 s64, s65, exec_lo
	s_wait_alu 0xfffe
	s_or_b32 s63, s63, s64
	s_and_not1_b32 exec_lo, exec_lo, s12
	s_cbranch_execz .LBB100_230
.LBB100_224:                            ;   Parent Loop BB100_11 Depth=1
                                        ; =>  This Inner Loop Header: Depth=2
	s_mov_b32 s64, exec_lo
	s_delay_alu instid0(VALU_DEP_1)
	v_cmpx_gt_u64_e64 s[4:5], v[7:8]
	s_cbranch_execz .LBB100_222
; %bb.225:                              ;   in Loop: Header=BB100_224 Depth=2
	ds_load_b64 v[4:5], v11
	s_wait_dscnt 0x0
	v_xor_b32_e32 v3, 0x80000000, v5
	v_and_b32_e32 v12, v4, v30
	s_delay_alu instid0(VALU_DEP_2) | instskip(NEXT) | instid1(VALU_DEP_1)
	v_and_b32_e32 v13, v3, v31
	v_cmp_eq_u64_e32 vcc_lo, v[12:13], v[28:29]
	s_and_b32 exec_lo, exec_lo, vcc_lo
	s_cbranch_execz .LBB100_222
; %bb.226:                              ;   in Loop: Header=BB100_224 Depth=2
	v_mov_b32_e32 v3, v18
	ds_store_b128 v18, v[2:5] offset:3072
	s_branch .LBB100_222
.LBB100_227:                            ;   in Loop: Header=BB100_224 Depth=2
	v_add_co_u32 v7, vcc_lo, v7, s36
	s_wait_alu 0xfffd
	v_add_co_ci_u32_e64 v8, null, 0, v8, vcc_lo
	v_add_nc_u32_e32 v11, s78, v11
	s_mov_b32 s65, 0
	s_delay_alu instid0(VALU_DEP_2)
	v_cmp_le_u64_e32 vcc_lo, s[10:11], v[7:8]
	s_or_not1_b32 s64, vcc_lo, exec_lo
	s_branch .LBB100_223
.LBB100_228:                            ;   in Loop: Header=BB100_11 Depth=1
                                        ; implicit-def: $sgpr16_sgpr17
	s_branch .LBB100_174
.LBB100_229:                            ;   in Loop: Header=BB100_11 Depth=1
                                        ; implicit-def: $sgpr4_sgpr5
	s_branch .LBB100_190
.LBB100_230:                            ;   in Loop: Header=BB100_11 Depth=1
	s_or_b32 exec_lo, exec_lo, s12
	s_wait_alu 0xfffe
	s_and_b32 s12, s63, exec_lo
.LBB100_231:                            ;   in Loop: Header=BB100_11 Depth=1
	s_or_b32 exec_lo, exec_lo, s46
.LBB100_232:                            ;   in Loop: Header=BB100_11 Depth=1
	s_wait_alu 0xfffe
	s_and_b32 vcc_lo, exec_lo, s13
	s_wait_alu 0xfffe
	s_cbranch_vccz .LBB100_246
; %bb.233:                              ;   in Loop: Header=BB100_11 Depth=1
	s_mov_b32 s4, s47
	s_mov_b32 s5, s51
	s_wait_alu 0xfffe
	s_cmp_lg_u64 s[4:5], 0
	s_cbranch_scc0 .LBB100_267
; %bb.234:                              ;   in Loop: Header=BB100_11 Depth=1
	s_cvt_f32_u32 s4, s36
	s_sub_nc_u64 s[10:11], 0, s[36:37]
	s_wait_alu 0xfffe
	s_delay_alu instid0(SALU_CYCLE_1) | instskip(SKIP_1) | instid1(SALU_CYCLE_2)
	s_fmamk_f32 s4, s81, 0x0, s4
	s_wait_alu 0xfffe
	v_s_rcp_f32 s4, s4
	s_delay_alu instid0(TRANS32_DEP_1) | instskip(SKIP_1) | instid1(SALU_CYCLE_2)
	s_mul_f32 s4, s4, 0x5f7ffffc
	s_wait_alu 0xfffe
	s_mul_f32 s5, s4, 0x2f800000
	s_wait_alu 0xfffe
	s_delay_alu instid0(SALU_CYCLE_2) | instskip(SKIP_1) | instid1(SALU_CYCLE_2)
	s_trunc_f32 s5, s5
	s_wait_alu 0xfffe
	s_fmamk_f32 s4, s5, 0xcf800000, s4
	s_cvt_u32_f32 s5, s5
	s_wait_alu 0xfffe
	s_delay_alu instid0(SALU_CYCLE_1) | instskip(SKIP_1) | instid1(SALU_CYCLE_2)
	s_cvt_u32_f32 s4, s4
	s_wait_alu 0xfffe
	s_mul_u64 s[62:63], s[10:11], s[4:5]
	s_wait_alu 0xfffe
	s_mul_hi_u32 s65, s4, s63
	s_mul_i32 s64, s4, s63
	s_mul_hi_u32 s46, s4, s62
	s_mul_i32 s61, s5, s62
	s_wait_alu 0xfffe
	s_add_nc_u64 s[64:65], s[46:47], s[64:65]
	s_mul_hi_u32 s13, s5, s62
	s_mul_hi_u32 s66, s5, s63
	s_wait_alu 0xfffe
	s_add_co_u32 s46, s64, s61
	s_add_co_ci_u32 s46, s65, s13
	s_mul_i32 s62, s5, s63
	s_add_co_ci_u32 s63, s66, 0
	s_wait_alu 0xfffe
	s_add_nc_u64 s[62:63], s[46:47], s[62:63]
	s_wait_alu 0xfffe
	s_add_co_u32 s4, s4, s62
	s_cselect_b32 s13, -1, 0
	s_wait_alu 0xfffe
	s_cmp_lg_u32 s13, 0
	s_add_co_ci_u32 s5, s5, s63
	s_wait_alu 0xfffe
	s_mul_u64 s[10:11], s[10:11], s[4:5]
	s_wait_alu 0xfffe
	s_mul_hi_u32 s63, s4, s11
	s_mul_i32 s62, s4, s11
	s_mul_hi_u32 s46, s4, s10
	s_mul_i32 s61, s5, s10
	s_wait_alu 0xfffe
	s_add_nc_u64 s[62:63], s[46:47], s[62:63]
	s_mul_hi_u32 s13, s5, s10
	s_mul_hi_u32 s64, s5, s11
	s_mul_i32 s10, s5, s11
	s_wait_alu 0xfffe
	s_add_co_u32 s11, s62, s61
	s_add_co_ci_u32 s46, s63, s13
	s_add_co_ci_u32 s11, s64, 0
	s_wait_alu 0xfffe
	s_add_nc_u64 s[10:11], s[46:47], s[10:11]
	s_wait_alu 0xfffe
	s_add_co_u32 s4, s4, s10
	s_cselect_b32 s10, -1, 0
	s_wait_alu 0xfffe
	s_mul_hi_u32 s46, s50, s4
	s_cmp_lg_u32 s10, 0
	s_mul_hi_u32 s13, s51, s4
	s_add_co_ci_u32 s10, s5, s11
	s_mul_i32 s11, s51, s4
	s_wait_alu 0xfffe
	s_mul_hi_u32 s5, s50, s10
	s_mul_i32 s4, s50, s10
	s_mul_hi_u32 s61, s51, s10
	s_wait_alu 0xfffe
	s_add_nc_u64 s[4:5], s[46:47], s[4:5]
	s_mul_i32 s10, s51, s10
	s_wait_alu 0xfffe
	s_add_co_u32 s4, s4, s11
	s_add_co_ci_u32 s46, s5, s13
	s_add_co_ci_u32 s11, s61, 0
	s_wait_alu 0xfffe
	s_add_nc_u64 s[4:5], s[46:47], s[10:11]
	s_wait_alu 0xfffe
	s_mul_u64 s[4:5], s[36:37], s[4:5]
	s_wait_alu 0xfffe
	s_sub_co_u32 s4, s50, s4
	s_cselect_b32 s10, -1, 0
	s_wait_alu 0xfffe
	s_cmp_lg_u32 s10, 0
	s_sub_co_ci_u32 s5, s51, s5
	s_sub_co_u32 s10, s4, s36
	s_cselect_b32 s11, -1, 0
	s_wait_alu 0xfffe
	s_cmp_lg_u32 s11, 0
	s_sub_co_ci_u32 s11, s5, 0
	;; [unrolled: 5-line block ×3, first 2 shown]
	s_cmp_ge_u32 s10, s36
	s_cselect_b32 s61, -1, 0
	s_cmp_eq_u32 s11, 0
	s_wait_alu 0xfffe
	s_cselect_b32 s61, s61, -1
	s_wait_alu 0xfffe
	s_cmp_lg_u32 s61, 0
	s_cselect_b32 s11, s46, s11
	s_cselect_b32 s10, s13, s10
	s_cmp_ge_u32 s4, s36
	s_cselect_b32 s13, -1, 0
	s_cmp_eq_u32 s5, 0
	s_wait_alu 0xfffe
	s_cselect_b32 s13, s13, -1
	s_wait_alu 0xfffe
	s_cmp_lg_u32 s13, 0
	s_cselect_b32 s5, s11, s5
	s_cselect_b32 s4, s10, s4
	s_cbranch_execnz .LBB100_236
.LBB100_235:                            ;   in Loop: Header=BB100_11 Depth=1
	v_cvt_f32_u32_e32 v3, s36
	s_sub_co_i32 s5, 0, s36
	s_delay_alu instid0(VALU_DEP_1) | instskip(NEXT) | instid1(TRANS32_DEP_1)
	v_rcp_iflag_f32_e32 v3, v3
	v_mul_f32_e32 v3, 0x4f7ffffe, v3
	s_delay_alu instid0(VALU_DEP_1) | instskip(NEXT) | instid1(VALU_DEP_1)
	v_cvt_u32_f32_e32 v3, v3
	v_readfirstlane_b32 s4, v3
	s_wait_alu 0xfffe
	s_mul_i32 s5, s5, s4
	s_wait_alu 0xfffe
	s_mul_hi_u32 s5, s4, s5
	s_wait_alu 0xfffe
	s_add_co_i32 s4, s4, s5
	s_wait_alu 0xfffe
	s_mul_hi_u32 s4, s50, s4
	s_wait_alu 0xfffe
	s_mul_i32 s4, s4, s36
	s_wait_alu 0xfffe
	s_sub_co_i32 s4, s50, s4
	s_wait_alu 0xfffe
	s_sub_co_i32 s5, s4, s36
	s_cmp_ge_u32 s4, s36
	s_wait_alu 0xfffe
	s_cselect_b32 s4, s5, s4
	s_wait_alu 0xfffe
	s_sub_co_i32 s5, s4, s36
	s_cmp_ge_u32 s4, s36
	s_wait_alu 0xfffe
	s_cselect_b32 s46, s5, s4
	s_wait_alu 0xfffe
	s_mov_b64 s[4:5], s[46:47]
.LBB100_236:                            ;   in Loop: Header=BB100_11 Depth=1
	s_wait_alu 0xfffe
	s_sub_nc_u64 s[10:11], s[50:51], s[4:5]
	s_mov_b32 s5, exec_lo
                                        ; implicit-def: $vgpr5_vgpr6
	s_wait_alu 0xfffe
	v_cmpx_gt_u64_e64 s[10:11], v[0:1]
	s_cbranch_execz .LBB100_245
; %bb.237:                              ;   in Loop: Header=BB100_11 Depth=1
	v_dual_mov_b32 v7, v15 :: v_dual_mov_b32 v8, v16
	v_dual_mov_b32 v12, v1 :: v_dual_mov_b32 v11, v0
	s_mov_b32 s13, 0
                                        ; implicit-def: $sgpr46
	s_branch .LBB100_240
.LBB100_238:                            ;   in Loop: Header=BB100_240 Depth=2
	s_wait_alu 0xfffe
	s_or_b32 exec_lo, exec_lo, s4
	s_wait_loadcnt_dscnt 0x0
	s_barrier_signal -1
	s_barrier_wait -1
	global_inv scope:SCOPE_SE
	ds_load_b128 v[3:6], v18 offset:3072
	s_mov_b32 s4, -1
	s_mov_b32 s61, -1
	s_wait_loadcnt_dscnt 0x0
	s_barrier_signal -1
	s_barrier_wait -1
	global_inv scope:SCOPE_SE
	v_cmp_eq_u64_e32 vcc_lo, 0, v[3:4]
	s_cbranch_vccnz .LBB100_243
.LBB100_239:                            ;   in Loop: Header=BB100_240 Depth=2
	s_wait_alu 0xfffe
	s_and_b32 s4, exec_lo, s4
	s_wait_alu 0xfffe
	s_or_b32 s13, s4, s13
	s_and_not1_b32 s4, s46, exec_lo
	s_and_b32 s46, s61, exec_lo
	s_wait_alu 0xfffe
	s_or_b32 s46, s4, s46
	s_and_not1_b32 exec_lo, exec_lo, s13
	s_cbranch_execz .LBB100_244
.LBB100_240:                            ;   Parent Loop BB100_11 Depth=1
                                        ; =>  This Inner Loop Header: Depth=2
	s_mov_b32 s4, exec_lo
	s_delay_alu instid0(VALU_DEP_1)
	v_cmpx_gt_u64_e64 s[24:25], v[11:12]
	s_cbranch_execz .LBB100_238
; %bb.241:                              ;   in Loop: Header=BB100_240 Depth=2
	global_load_b64 v[4:5], v[7:8], off
	s_wait_loadcnt 0x0
	v_xor_b32_e32 v3, 0x80000000, v5
	v_and_b32_e32 v13, v4, v30
	s_delay_alu instid0(VALU_DEP_2) | instskip(NEXT) | instid1(VALU_DEP_1)
	v_and_b32_e32 v14, v3, v31
	v_cmp_eq_u64_e32 vcc_lo, v[13:14], v[28:29]
	s_and_b32 exec_lo, exec_lo, vcc_lo
	s_cbranch_execz .LBB100_238
; %bb.242:                              ;   in Loop: Header=BB100_240 Depth=2
	v_mov_b32_e32 v3, v18
	ds_store_b128 v18, v[2:5] offset:3072
	s_branch .LBB100_238
.LBB100_243:                            ;   in Loop: Header=BB100_240 Depth=2
	v_add_co_u32 v11, vcc_lo, v11, s36
	s_wait_alu 0xfffd
	v_add_co_ci_u32_e64 v12, null, 0, v12, vcc_lo
	v_add_co_u32 v7, s4, v7, s42
	s_wait_alu 0xf1fe
	v_add_co_ci_u32_e64 v8, null, s43, v8, s4
	s_delay_alu instid0(VALU_DEP_3)
	v_cmp_le_u64_e32 vcc_lo, s[10:11], v[11:12]
	s_mov_b32 s61, 0
	s_or_not1_b32 s4, vcc_lo, exec_lo
	s_branch .LBB100_239
.LBB100_244:                            ;   in Loop: Header=BB100_11 Depth=1
	s_or_b32 exec_lo, exec_lo, s13
	s_delay_alu instid0(SALU_CYCLE_1)
	s_and_not1_b32 s4, s12, exec_lo
	s_wait_alu 0xfffe
	s_and_b32 s10, s46, exec_lo
	s_wait_alu 0xfffe
	s_or_b32 s12, s4, s10
.LBB100_245:                            ;   in Loop: Header=BB100_11 Depth=1
	s_or_b32 exec_lo, exec_lo, s5
	s_mov_b32 s61, 0
	s_mov_b32 s62, -1
.LBB100_246:                            ;   in Loop: Header=BB100_11 Depth=1
	s_wait_alu 0xfffe
	s_or_not1_b32 s5, s12, exec_lo
.LBB100_247:                            ;   in Loop: Header=BB100_11 Depth=1
	s_wait_alu 0xfffe
	s_or_b32 exec_lo, exec_lo, s17
	s_mov_b32 s10, 0
	s_and_saveexec_b32 s4, s5
	s_cbranch_execz .LBB100_258
; %bb.248:                              ;   in Loop: Header=BB100_11 Depth=1
	v_dual_mov_b32 v3, 1 :: v_dual_mov_b32 v34, 1
	v_mov_b32_e32 v4, 0
	s_xor_b32 s10, s16, -1
	s_wait_alu 0xfffe
	s_and_saveexec_b32 s5, s10
	s_cbranch_execz .LBB100_257
; %bb.249:                              ;   in Loop: Header=BB100_11 Depth=1
	s_mov_b32 s10, exec_lo
	v_cmpx_ge_u64_e64 s[6:7], v[9:10]
	s_wait_alu 0xfffe
	s_xor_b32 s10, exec_lo, s10
	s_cbranch_execz .LBB100_254
; %bb.250:                              ;   in Loop: Header=BB100_11 Depth=1
	ds_load_b64 v[3:4], v18 offset:5120
	v_or_b32_e32 v29, s9, v29
	v_or_b32_e32 v28, s8, v28
	;; [unrolled: 1-line block ×4, first 2 shown]
	s_wait_dscnt 0x0
	v_cmp_ne_u64_e32 vcc_lo, 0, v[3:4]
	s_cbranch_vccnz .LBB100_254
; %bb.251:                              ;   in Loop: Header=BB100_11 Depth=1
	s_and_saveexec_b32 s8, s2
; %bb.252:                              ;   in Loop: Header=BB100_11 Depth=1
	v_dual_mov_b32 v3, s6 :: v_dual_mov_b32 v4, s7
	ds_store_b64 v18, v[3:4] offset:5128
; %bb.253:                              ;   in Loop: Header=BB100_11 Depth=1
	s_wait_alu 0xfffe
	s_or_b32 exec_lo, exec_lo, s8
	s_wait_loadcnt_dscnt 0x0
	s_barrier_signal -1
	s_barrier_wait -1
	global_inv scope:SCOPE_SE
.LBB100_254:                            ;   in Loop: Header=BB100_11 Depth=1
	s_wait_alu 0xfffe
	s_and_not1_saveexec_b32 s8, s10
; %bb.255:                              ;   in Loop: Header=BB100_11 Depth=1
	v_sub_co_u32 v9, vcc_lo, v9, s6
	s_wait_alu 0xfffd
	v_subrev_co_ci_u32_e64 v10, null, s7, v10, vcc_lo
; %bb.256:                              ;   in Loop: Header=BB100_11 Depth=1
	s_wait_alu 0xfffe
	s_or_b32 exec_lo, exec_lo, s8
	v_dual_mov_b32 v34, 8 :: v_dual_mov_b32 v3, v9
	s_delay_alu instid0(VALU_DEP_2)
	v_mov_b32_e32 v4, v10
.LBB100_257:                            ;   in Loop: Header=BB100_11 Depth=1
	s_wait_alu 0xfffe
	s_or_b32 exec_lo, exec_lo, s5
	s_delay_alu instid0(VALU_DEP_1)
	v_dual_mov_b32 v10, v4 :: v_dual_mov_b32 v9, v3
	s_mov_b32 s10, exec_lo
.LBB100_258:                            ;   in Loop: Header=BB100_11 Depth=1
	s_wait_alu 0xfffe
	s_or_b32 exec_lo, exec_lo, s4
	s_delay_alu instid0(SALU_CYCLE_1)
	s_or_not1_b32 s4, s10, exec_lo
.LBB100_259:                            ;   in Loop: Header=BB100_11 Depth=1
	s_wait_alu 0xfffe
	s_or_b32 exec_lo, exec_lo, s15
	v_dual_mov_b32 v7, v9 :: v_dual_mov_b32 v8, v10
	s_and_not1_b32 s5, s60, exec_lo
	s_and_b32 s6, s62, exec_lo
	s_and_not1_b32 s7, s59, exec_lo
	s_and_b32 s8, s61, exec_lo
	s_wait_alu 0xfffe
	s_or_b32 s60, s5, s6
	s_or_b32 s59, s7, s8
	s_and_b32 s5, s4, exec_lo
.LBB100_260:                            ;   in Loop: Header=BB100_11 Depth=1
	s_wait_alu 0xfffe
	s_or_b32 exec_lo, exec_lo, s14
	s_delay_alu instid0(SALU_CYCLE_1)
	s_or_not1_b32 s4, s5, exec_lo
.LBB100_261:                            ;   in Loop: Header=BB100_11 Depth=1
	s_or_b32 exec_lo, exec_lo, s58
	v_dual_mov_b32 v12, v8 :: v_dual_mov_b32 v11, v7
	s_and_not1_b32 s5, s22, exec_lo
	s_and_b32 s6, s60, exec_lo
	s_and_not1_b32 s7, s21, exec_lo
	s_and_b32 s8, s59, exec_lo
	s_wait_alu 0xfffe
	s_or_b32 s22, s5, s6
	s_or_b32 s21, s7, s8
	s_and_b32 s5, s4, exec_lo
.LBB100_262:                            ;   in Loop: Header=BB100_11 Depth=1
	s_or_b32 exec_lo, exec_lo, s23
	s_wait_alu 0xfffe
	s_or_not1_b32 s4, s5, exec_lo
.LBB100_263:                            ;   in Loop: Header=BB100_11 Depth=1
	s_or_b32 exec_lo, exec_lo, s20
	s_mov_b32 s5, 0
	s_wait_alu 0xfffe
	s_and_saveexec_b32 s6, s4
	s_wait_alu 0xfffe
	s_xor_b32 s4, exec_lo, s6
	s_cbranch_execz .LBB100_9
; %bb.264:                              ;   in Loop: Header=BB100_11 Depth=1
	v_and_b32_e32 v3, 7, v34
	s_mov_b32 s6, -1
	s_mov_b32 s5, -1
	s_mov_b32 s7, exec_lo
	s_delay_alu instid0(VALU_DEP_1)
	v_cmpx_eq_u32_e32 0, v3
	s_cbranch_execz .LBB100_8
; %bb.265:                              ;   in Loop: Header=BB100_11 Depth=1
	s_xor_b32 s82, s82, 1
	s_add_co_i32 s8, s79, -2
	s_cmp_eq_u32 s79, 0
	s_wait_alu 0xfffe
	s_mov_b32 s79, s8
	s_cselect_b32 s6, -1, 0
	s_xor_b32 s5, exec_lo, -1
	s_wait_alu 0xfffe
	s_or_not1_b32 s6, s6, exec_lo
	s_branch .LBB100_8
.LBB100_266:                            ;   in Loop: Header=BB100_11 Depth=1
                                        ; implicit-def: $sgpr12_sgpr13
	s_branch .LBB100_219
.LBB100_267:                            ;   in Loop: Header=BB100_11 Depth=1
                                        ; implicit-def: $sgpr4_sgpr5
	s_branch .LBB100_235
.LBB100_268:
	s_or_b32 exec_lo, exec_lo, s80
	s_xor_b32 s4, s88, -1
	s_xor_b32 s1, s86, -1
	;; [unrolled: 1-line block ×3, first 2 shown]
	s_mov_b32 s2, 0
	s_and_saveexec_b32 s5, s1
	s_wait_alu 0xfffe
	s_xor_b32 s1, exec_lo, s5
	s_cbranch_execnz .LBB100_273
; %bb.269:
	s_and_not1_saveexec_b32 s0, s1
	s_cbranch_execnz .LBB100_286
.LBB100_270:
	s_wait_alu 0xfffe
	s_or_b32 exec_lo, exec_lo, s0
	s_and_saveexec_b32 s0, s2
.LBB100_271:
	; divergent unreachable
.LBB100_272:
	s_endpgm
.LBB100_273:
	s_and_saveexec_b32 s2, s4
	s_delay_alu instid0(SALU_CYCLE_1)
	s_xor_b32 s2, exec_lo, s2
	s_cbranch_execz .LBB100_284
; %bb.274:
	s_and_saveexec_b32 s4, s3
	s_wait_alu 0xfffe
	s_xor_b32 s3, exec_lo, s4
; %bb.275:
	v_xor_b32_e32 v29, 0x80000000, v29
	s_delay_alu instid0(VALU_DEP_1)
	v_dual_mov_b32 v5, v28 :: v_dual_mov_b32 v6, v29
; %bb.276:
	s_or_b32 exec_lo, exec_lo, s3
	s_mul_u64 s[4:5], s[40:41], s[28:29]
	v_mov_b32_e32 v2, 0
	s_wait_alu 0xfffe
	s_lshl_b64 s[4:5], s[4:5], 3
	s_wait_alu 0xfffe
	s_add_nc_u64 s[4:5], s[38:39], s[4:5]
	global_store_b64 v2, v[5:6], s[4:5]
	s_and_saveexec_b32 s3, s0
	s_cbranch_execz .LBB100_283
; %bb.277:
	s_mov_b32 s4, 0
                                        ; implicit-def: $sgpr5
                                        ; implicit-def: $sgpr7
                                        ; implicit-def: $sgpr6
	s_branch .LBB100_279
.LBB100_278:                            ;   in Loop: Header=BB100_279 Depth=1
	s_wait_alu 0xfffe
	s_or_b32 exec_lo, exec_lo, s8
	s_delay_alu instid0(SALU_CYCLE_1)
	s_and_b32 s0, exec_lo, s7
	s_wait_alu 0xfffe
	s_or_b32 s4, s0, s4
	s_and_not1_b32 s0, s5, exec_lo
	s_and_b32 s5, s6, exec_lo
	s_wait_alu 0xfffe
	s_or_b32 s5, s0, s5
	s_and_not1_b32 exec_lo, exec_lo, s4
	s_cbranch_execz .LBB100_281
.LBB100_279:                            ; =>This Inner Loop Header: Depth=1
	global_load_b64 v[2:3], v[15:16], off
	s_or_b32 s6, s6, exec_lo
	s_or_b32 s7, s7, exec_lo
	s_wait_loadcnt 0x0
	v_cmp_ne_u64_e32 vcc_lo, v[2:3], v[5:6]
	v_dual_mov_b32 v3, v1 :: v_dual_mov_b32 v2, v0
                                        ; implicit-def: $vgpr0_vgpr1
	s_and_saveexec_b32 s8, vcc_lo
	s_cbranch_execz .LBB100_278
; %bb.280:                              ;   in Loop: Header=BB100_279 Depth=1
	s_delay_alu instid0(VALU_DEP_1)
	v_add_co_u32 v0, vcc_lo, v2, s36
	s_wait_alu 0xfffd
	v_add_co_ci_u32_e64 v1, null, 0, v3, vcc_lo
	v_add_co_u32 v15, s0, v15, s42
	s_wait_alu 0xf1ff
	v_add_co_ci_u32_e64 v16, null, s43, v16, s0
	s_delay_alu instid0(VALU_DEP_3)
	v_cmp_le_u64_e32 vcc_lo, s[24:25], v[0:1]
	s_wait_alu 0xfffe
	s_and_not1_b32 s0, s7, exec_lo
	s_and_not1_b32 s6, s6, exec_lo
	s_and_b32 s7, vcc_lo, exec_lo
	s_wait_alu 0xfffe
	s_or_b32 s7, s0, s7
	s_branch .LBB100_278
.LBB100_281:
	s_or_b32 exec_lo, exec_lo, s4
	s_wait_alu 0xfffe
	s_and_saveexec_b32 s0, s5
	s_wait_alu 0xfffe
	s_xor_b32 s0, exec_lo, s0
	s_cbranch_execz .LBB100_283
; %bb.282:
	s_mul_u64 s[4:5], s[30:31], s[28:29]
	v_mov_b32_e32 v0, 0
	s_wait_alu 0xfffe
	s_lshl_b64 s[4:5], s[4:5], 3
	s_wait_alu 0xfffe
	s_add_nc_u64 s[4:5], s[26:27], s[4:5]
	global_store_b64 v0, v[2:3], s[4:5]
.LBB100_283:
	s_or_b32 exec_lo, exec_lo, s3
.LBB100_284:
	s_or_saveexec_b32 s0, s2
	s_mov_b32 s2, 0
	s_wait_alu 0xfffe
	s_xor_b32 exec_lo, exec_lo, s0
	s_cbranch_execnz .LBB100_287
.LBB100_285:
	s_or_b32 exec_lo, exec_lo, s0
	s_delay_alu instid0(SALU_CYCLE_1)
	s_and_b32 s2, s2, exec_lo
	s_and_not1_saveexec_b32 s0, s1
	s_cbranch_execz .LBB100_270
.LBB100_286:
	s_or_b32 s2, s2, exec_lo
	s_trap 2
	s_wait_alu 0xfffe
	s_or_b32 exec_lo, exec_lo, s0
	s_and_saveexec_b32 s0, s2
	s_cbranch_execnz .LBB100_271
	s_branch .LBB100_272
.LBB100_287:
	s_mov_b32 s2, exec_lo
	s_trap 2
	s_branch .LBB100_285
	.section	.rodata,"a",@progbits
	.p2align	6, 0x0
	.amdhsa_kernel _ZN2at6native12_GLOBAL__N_112gatherMedianIlmLi1EEEvNS_4cuda6detail10TensorInfoIT_T0_EENS5_IlS7_EENS5_IKS6_S7_EES7_S7_S7_b
		.amdhsa_group_segment_fixed_size 5152
		.amdhsa_private_segment_fixed_size 0
		.amdhsa_kernarg_size 1536
		.amdhsa_user_sgpr_count 2
		.amdhsa_user_sgpr_dispatch_ptr 0
		.amdhsa_user_sgpr_queue_ptr 0
		.amdhsa_user_sgpr_kernarg_segment_ptr 1
		.amdhsa_user_sgpr_dispatch_id 0
		.amdhsa_user_sgpr_private_segment_size 0
		.amdhsa_wavefront_size32 1
		.amdhsa_uses_dynamic_stack 0
		.amdhsa_enable_private_segment 0
		.amdhsa_system_sgpr_workgroup_id_x 1
		.amdhsa_system_sgpr_workgroup_id_y 1
		.amdhsa_system_sgpr_workgroup_id_z 1
		.amdhsa_system_sgpr_workgroup_info 0
		.amdhsa_system_vgpr_workitem_id 0
		.amdhsa_next_free_vgpr 63
		.amdhsa_next_free_sgpr 90
		.amdhsa_reserve_vcc 1
		.amdhsa_float_round_mode_32 0
		.amdhsa_float_round_mode_16_64 0
		.amdhsa_float_denorm_mode_32 3
		.amdhsa_float_denorm_mode_16_64 3
		.amdhsa_fp16_overflow 0
		.amdhsa_workgroup_processor_mode 1
		.amdhsa_memory_ordered 1
		.amdhsa_forward_progress 1
		.amdhsa_inst_pref_size 137
		.amdhsa_round_robin_scheduling 0
		.amdhsa_exception_fp_ieee_invalid_op 0
		.amdhsa_exception_fp_denorm_src 0
		.amdhsa_exception_fp_ieee_div_zero 0
		.amdhsa_exception_fp_ieee_overflow 0
		.amdhsa_exception_fp_ieee_underflow 0
		.amdhsa_exception_fp_ieee_inexact 0
		.amdhsa_exception_int_div_zero 0
	.end_amdhsa_kernel
	.section	.text._ZN2at6native12_GLOBAL__N_112gatherMedianIlmLi1EEEvNS_4cuda6detail10TensorInfoIT_T0_EENS5_IlS7_EENS5_IKS6_S7_EES7_S7_S7_b,"axG",@progbits,_ZN2at6native12_GLOBAL__N_112gatherMedianIlmLi1EEEvNS_4cuda6detail10TensorInfoIT_T0_EENS5_IlS7_EENS5_IKS6_S7_EES7_S7_S7_b,comdat
.Lfunc_end100:
	.size	_ZN2at6native12_GLOBAL__N_112gatherMedianIlmLi1EEEvNS_4cuda6detail10TensorInfoIT_T0_EENS5_IlS7_EENS5_IKS6_S7_EES7_S7_S7_b, .Lfunc_end100-_ZN2at6native12_GLOBAL__N_112gatherMedianIlmLi1EEEvNS_4cuda6detail10TensorInfoIT_T0_EENS5_IlS7_EENS5_IKS6_S7_EES7_S7_S7_b
                                        ; -- End function
	.set _ZN2at6native12_GLOBAL__N_112gatherMedianIlmLi1EEEvNS_4cuda6detail10TensorInfoIT_T0_EENS5_IlS7_EENS5_IKS6_S7_EES7_S7_S7_b.num_vgpr, 63
	.set _ZN2at6native12_GLOBAL__N_112gatherMedianIlmLi1EEEvNS_4cuda6detail10TensorInfoIT_T0_EENS5_IlS7_EENS5_IKS6_S7_EES7_S7_S7_b.num_agpr, 0
	.set _ZN2at6native12_GLOBAL__N_112gatherMedianIlmLi1EEEvNS_4cuda6detail10TensorInfoIT_T0_EENS5_IlS7_EENS5_IKS6_S7_EES7_S7_S7_b.numbered_sgpr, 90
	.set _ZN2at6native12_GLOBAL__N_112gatherMedianIlmLi1EEEvNS_4cuda6detail10TensorInfoIT_T0_EENS5_IlS7_EENS5_IKS6_S7_EES7_S7_S7_b.num_named_barrier, 0
	.set _ZN2at6native12_GLOBAL__N_112gatherMedianIlmLi1EEEvNS_4cuda6detail10TensorInfoIT_T0_EENS5_IlS7_EENS5_IKS6_S7_EES7_S7_S7_b.private_seg_size, 0
	.set _ZN2at6native12_GLOBAL__N_112gatherMedianIlmLi1EEEvNS_4cuda6detail10TensorInfoIT_T0_EENS5_IlS7_EENS5_IKS6_S7_EES7_S7_S7_b.uses_vcc, 1
	.set _ZN2at6native12_GLOBAL__N_112gatherMedianIlmLi1EEEvNS_4cuda6detail10TensorInfoIT_T0_EENS5_IlS7_EENS5_IKS6_S7_EES7_S7_S7_b.uses_flat_scratch, 0
	.set _ZN2at6native12_GLOBAL__N_112gatherMedianIlmLi1EEEvNS_4cuda6detail10TensorInfoIT_T0_EENS5_IlS7_EENS5_IKS6_S7_EES7_S7_S7_b.has_dyn_sized_stack, 0
	.set _ZN2at6native12_GLOBAL__N_112gatherMedianIlmLi1EEEvNS_4cuda6detail10TensorInfoIT_T0_EENS5_IlS7_EENS5_IKS6_S7_EES7_S7_S7_b.has_recursion, 0
	.set _ZN2at6native12_GLOBAL__N_112gatherMedianIlmLi1EEEvNS_4cuda6detail10TensorInfoIT_T0_EENS5_IlS7_EENS5_IKS6_S7_EES7_S7_S7_b.has_indirect_call, 0
	.section	.AMDGPU.csdata,"",@progbits
; Kernel info:
; codeLenInByte = 17536
; TotalNumSgprs: 92
; NumVgprs: 63
; ScratchSize: 0
; MemoryBound: 0
; FloatMode: 240
; IeeeMode: 1
; LDSByteSize: 5152 bytes/workgroup (compile time only)
; SGPRBlocks: 0
; VGPRBlocks: 7
; NumSGPRsForWavesPerEU: 92
; NumVGPRsForWavesPerEU: 63
; Occupancy: 16
; WaveLimiterHint : 1
; COMPUTE_PGM_RSRC2:SCRATCH_EN: 0
; COMPUTE_PGM_RSRC2:USER_SGPR: 2
; COMPUTE_PGM_RSRC2:TRAP_HANDLER: 0
; COMPUTE_PGM_RSRC2:TGID_X_EN: 1
; COMPUTE_PGM_RSRC2:TGID_Y_EN: 1
; COMPUTE_PGM_RSRC2:TGID_Z_EN: 1
; COMPUTE_PGM_RSRC2:TIDIG_COMP_CNT: 0
	.section	.text._ZN2at6native12_GLOBAL__N_112gatherMedianIlmLi2EEEvNS_4cuda6detail10TensorInfoIT_T0_EENS5_IlS7_EENS5_IKS6_S7_EES7_S7_S7_b,"axG",@progbits,_ZN2at6native12_GLOBAL__N_112gatherMedianIlmLi2EEEvNS_4cuda6detail10TensorInfoIT_T0_EENS5_IlS7_EENS5_IKS6_S7_EES7_S7_S7_b,comdat
	.globl	_ZN2at6native12_GLOBAL__N_112gatherMedianIlmLi2EEEvNS_4cuda6detail10TensorInfoIT_T0_EENS5_IlS7_EENS5_IKS6_S7_EES7_S7_S7_b ; -- Begin function _ZN2at6native12_GLOBAL__N_112gatherMedianIlmLi2EEEvNS_4cuda6detail10TensorInfoIT_T0_EENS5_IlS7_EENS5_IKS6_S7_EES7_S7_S7_b
	.p2align	8
	.type	_ZN2at6native12_GLOBAL__N_112gatherMedianIlmLi2EEEvNS_4cuda6detail10TensorInfoIT_T0_EENS5_IlS7_EENS5_IKS6_S7_EES7_S7_S7_b,@function
_ZN2at6native12_GLOBAL__N_112gatherMedianIlmLi2EEEvNS_4cuda6detail10TensorInfoIT_T0_EENS5_IlS7_EENS5_IKS6_S7_EES7_S7_S7_b: ; @_ZN2at6native12_GLOBAL__N_112gatherMedianIlmLi2EEEvNS_4cuda6detail10TensorInfoIT_T0_EENS5_IlS7_EENS5_IKS6_S7_EES7_S7_S7_b
; %bb.0:
	s_clause 0x1
	s_load_b64 s[8:9], s[0:1], 0x500
	s_load_b128 s[24:27], s[0:1], 0x4e0
	s_lshr_b32 s2, ttmp7, 16
	s_and_b32 s3, ttmp7, 0xffff
	s_mov_b32 s35, 0
	s_wait_kmcnt 0x0
	s_mul_i32 s2, s9, s2
	s_delay_alu instid0(SALU_CYCLE_1) | instskip(NEXT) | instid1(SALU_CYCLE_1)
	s_add_co_i32 s2, s2, s3
	s_mul_i32 s2, s2, s8
	s_delay_alu instid0(SALU_CYCLE_1) | instskip(NEXT) | instid1(SALU_CYCLE_1)
	s_add_co_i32 s34, s2, ttmp9
	v_cmp_le_u64_e64 s2, s[26:27], s[34:35]
	s_and_b32 vcc_lo, exec_lo, s2
	s_cbranch_vccnz .LBB101_276
; %bb.1:
	s_clause 0x1
	s_load_b64 s[44:45], s[0:1], 0x10
	s_load_b64 s[26:27], s[0:1], 0x1b0
	s_mov_b64 s[40:41], 0
	s_mov_b64 s[46:47], 0
	s_wait_kmcnt 0x0
	v_cmp_lt_u64_e64 s2, s[34:35], s[44:45]
	s_and_b32 vcc_lo, exec_lo, s2
	s_cbranch_vccnz .LBB101_3
; %bb.2:
	v_cvt_f32_u32_e32 v1, s44
	s_sub_co_i32 s3, 0, s44
	s_mov_b32 s47, 0
	s_delay_alu instid0(VALU_DEP_1) | instskip(NEXT) | instid1(TRANS32_DEP_1)
	v_rcp_iflag_f32_e32 v1, v1
	v_mul_f32_e32 v1, 0x4f7ffffe, v1
	s_delay_alu instid0(VALU_DEP_1) | instskip(NEXT) | instid1(VALU_DEP_1)
	v_cvt_u32_f32_e32 v1, v1
	v_readfirstlane_b32 s2, v1
	s_mul_i32 s3, s3, s2
	s_delay_alu instid0(SALU_CYCLE_1) | instskip(NEXT) | instid1(SALU_CYCLE_1)
	s_mul_hi_u32 s3, s2, s3
	s_add_co_i32 s2, s2, s3
	s_delay_alu instid0(SALU_CYCLE_1) | instskip(NEXT) | instid1(SALU_CYCLE_1)
	s_mul_hi_u32 s2, s34, s2
	s_mul_i32 s3, s2, s44
	s_add_co_i32 s4, s2, 1
	s_sub_co_i32 s3, s34, s3
	s_delay_alu instid0(SALU_CYCLE_1)
	s_sub_co_i32 s5, s3, s44
	s_cmp_ge_u32 s3, s44
	s_cselect_b32 s2, s4, s2
	s_cselect_b32 s3, s5, s3
	s_add_co_i32 s4, s2, 1
	s_cmp_ge_u32 s3, s44
	s_cselect_b32 s46, s4, s2
.LBB101_3:
	s_clause 0x1
	s_load_b64 s[42:43], s[0:1], 0x4f0
	s_load_b64 s[10:11], s[0:1], 0x350
	v_cmp_lt_u64_e64 s2, s[34:35], s[26:27]
	s_and_b32 vcc_lo, exec_lo, s2
	s_cbranch_vccz .LBB101_277
; %bb.4:
	s_wait_kmcnt 0x0
	v_cmp_lt_u64_e64 s2, s[34:35], s[10:11]
	s_mov_b64 s[14:15], 0
	s_and_b32 vcc_lo, exec_lo, s2
	s_cbranch_vccz .LBB101_278
.LBB101_5:
	v_cmp_eq_u32_e64 s2, 0, v0
	s_and_saveexec_b32 s3, s2
.LBB101_6:
	v_mov_b32_e32 v1, 0
	s_delay_alu instid0(VALU_DEP_1)
	v_mov_b32_e32 v2, v1
	ds_store_b64 v1, v[1:2] offset:5136
.LBB101_7:
	s_or_b32 exec_lo, exec_lo, s3
	v_dual_mov_b32 v1, 0 :: v_dual_mov_b32 v26, s25
	s_wait_dscnt 0x0
	s_barrier_signal -1
	s_barrier_wait -1
	global_inv scope:SCOPE_SE
	s_wait_loadcnt 0x0
	s_barrier_signal -1
	s_barrier_wait -1
	global_inv scope:SCOPE_SE
	ds_load_b64 v[1:2], v1 offset:5136
	s_load_b32 s3, s[0:1], 0x4f8
	v_mov_b32_e32 v25, s24
	s_wait_dscnt 0x0
	v_cmp_gt_i64_e32 vcc_lo, 1, v[1:2]
	s_wait_kmcnt 0x0
	s_bitcmp1_b32 s3, 0
	s_cselect_b32 s3, -1, 0
	s_delay_alu instid0(SALU_CYCLE_1) | instskip(NEXT) | instid1(SALU_CYCLE_1)
	s_or_b32 s3, s3, vcc_lo
	s_and_not1_b32 vcc_lo, exec_lo, s3
	s_cbranch_vccnz .LBB101_9
; %bb.8:
	v_not_b32_e32 v1, v1
	v_not_b32_e32 v2, v2
	s_delay_alu instid0(VALU_DEP_2) | instskip(NEXT) | instid1(VALU_DEP_1)
	v_add_co_u32 v1, vcc_lo, s24, v1
	v_add_co_ci_u32_e64 v2, null, s25, v2, vcc_lo
	s_delay_alu instid0(VALU_DEP_1) | instskip(NEXT) | instid1(VALU_DEP_1)
	v_lshrrev_b64 v[1:2], 1, v[1:2]
	v_add_co_u32 v25, vcc_lo, v1, 1
	s_wait_alu 0xfffd
	s_delay_alu instid0(VALU_DEP_2)
	v_add_co_ci_u32_e64 v26, null, 0, v2, vcc_lo
.LBB101_9:
	s_clause 0x1
	s_load_b128 s[4:7], s[0:1], 0x410
	s_load_b64 s[16:17], s[0:1], 0x340
	s_add_nc_u64 s[12:13], s[0:1], 0x500
	s_and_saveexec_b32 s3, s2
	s_cbranch_execz .LBB101_11
; %bb.10:
	v_dual_mov_b32 v1, 0 :: v_dual_mov_b32 v4, s25
	s_delay_alu instid0(VALU_DEP_1)
	v_dual_mov_b32 v3, s24 :: v_dual_mov_b32 v2, v1
	ds_store_b32 v1, v1 offset:5144
	ds_store_b128 v1, v[1:4] offset:5120
.LBB101_11:
	s_or_b32 exec_lo, exec_lo, s3
	s_clause 0x3
	s_load_b128 s[28:31], s[0:1], 0x270
	s_load_b64 s[48:49], s[0:1], 0x1a0
	s_load_b128 s[36:39], s[0:1], 0xd0
	s_load_b64 s[52:53], s[0:1], 0x0
	s_mul_u64 s[0:1], s[14:15], s[10:11]
	s_wait_kmcnt 0x0
	s_mul_u64 s[4:5], s[14:15], s[4:5]
	s_sub_nc_u64 s[0:1], s[34:35], s[0:1]
	s_lshl_b64 s[4:5], s[4:5], 3
	s_mul_u64 s[0:1], s[0:1], s[6:7]
	s_add_nc_u64 s[4:5], s[16:17], s[4:5]
	s_lshl_b64 s[0:1], s[0:1], 3
	s_wait_loadcnt_dscnt 0x0
	s_add_nc_u64 s[50:51], s[4:5], s[0:1]
	s_barrier_signal -1
	s_barrier_wait -1
	global_inv scope:SCOPE_SE
	s_load_b32 s4, s[12:13], 0xc
	v_mad_co_u64_u32 v[2:3], null, s42, v0, 0
	v_mbcnt_lo_u32_b32 v31, -1, 0
	v_cmp_gt_u32_e32 vcc_lo, 32, v0
	v_dual_mov_b32 v5, 0 :: v_dual_lshlrev_b32 v32, 3, v0
	v_mov_b32_e32 v16, 0
	s_delay_alu instid0(VALU_DEP_4) | instskip(SKIP_1) | instid1(VALU_DEP_4)
	v_cmp_gt_i32_e64 s3, 4, v31
	v_mad_co_u64_u32 v[3:4], null, s43, v0, v[3:4]
	v_add_nc_u32_e32 v33, 0xc00, v32
	s_delay_alu instid0(VALU_DEP_4) | instskip(NEXT) | instid1(VALU_DEP_4)
	v_dual_mov_b32 v1, v16 :: v_dual_mov_b32 v20, v16
	s_and_b32 s33, vcc_lo, s3
	s_mov_b32 s57, 0
	v_dual_mov_b32 v21, 0 :: v_dual_lshlrev_b32 v36, 5, v0
	s_delay_alu instid0(VALU_DEP_4)
	v_lshlrev_b64_e32 v[2:3], 3, v[2:3]
	v_cmp_gt_u64_e64 s0, s[24:25], v[0:1]
	s_wait_kmcnt 0x0
	s_and_b32 s54, s4, 0xffff
	s_bfe_u32 s4, s4, 0xb0005
	s_cmp_gt_u32 s54, 31
	v_cmp_lt_u64_e64 s74, 0x180, s[24:25]
	v_add_co_u32 v17, vcc_lo, s50, v2
	s_cselect_b32 s75, -1, 0
	s_cmp_lt_u32 ttmp9, s8
	s_wait_alu 0xfffd
	v_add_co_ci_u32_e64 v18, null, s51, v3, vcc_lo
	v_lshlrev_b64_e64 v[2:3], v31, -1
	s_cselect_b32 s56, 12, 18
	s_add_co_i32 s5, s4, -1
	s_bfe_u32 s76, s54, 0x30005
	s_and_b32 s5, s5, 0xffff
	s_mov_b32 s55, s57
	s_cmp_gt_u32 s5, 6
	s_movk_i32 s5, 0x3e0
	v_dual_mov_b32 v22, 0 :: v_dual_mov_b32 v23, 0
	v_cmp_eq_u32_e64 s1, 0, v31
	v_cmp_gt_u32_e64 s3, 2, v0
	v_dual_mov_b32 v6, 0 :: v_dual_lshlrev_b32 v19, 2, v0
	v_not_b32_e32 v34, v2
	s_cselect_b32 s77, -1, 0
	s_and_b32 s78, s4, 0x7f8
	v_and_or_b32 v35, v0, s5, 0xc00
	v_lshl_or_b32 v37, v31, 3, 0xc00
	v_mov_b32_e32 v24, 0
	v_mov_b32_e32 v2, 1
	s_add_nc_u64 s[58:59], s[54:55], -1
	s_cmp_lg_u32 s76, 0
	s_add_nc_u64 s[60:61], s[58:59], s[24:25]
	s_cselect_b32 s79, -1, 0
	s_lshl_b32 s80, s54, 3
	s_mov_b32 s81, 62
	s_add_nc_u64 s[62:63], s[12:13], s[56:57]
	s_mov_b32 s83, 0x4f800000
	s_mov_b32 s82, 0
	;; [unrolled: 1-line block ×3, first 2 shown]
                                        ; implicit-def: $sgpr88
                                        ; implicit-def: $sgpr90
                                        ; implicit-def: $sgpr85
                                        ; implicit-def: $sgpr87
                                        ; implicit-def: $sgpr89
                                        ; implicit-def: $sgpr86
	s_branch .LBB101_15
.LBB101_12:                             ;   in Loop: Header=BB101_15 Depth=1
	s_wait_alu 0xfffe
	s_or_b32 exec_lo, exec_lo, s7
	s_delay_alu instid0(SALU_CYCLE_1)
	s_and_b32 s5, s5, exec_lo
	s_and_not1_b32 s22, s22, exec_lo
	s_and_not1_b32 s21, s21, exec_lo
	s_or_not1_b32 s19, s6, exec_lo
.LBB101_13:                             ;   in Loop: Header=BB101_15 Depth=1
	s_wait_alu 0xfffe
	s_or_b32 exec_lo, exec_lo, s4
	s_delay_alu instid0(SALU_CYCLE_1)
	s_and_not1_b32 s4, s86, exec_lo
	s_and_b32 s5, s5, exec_lo
	s_and_not1_b32 s6, s87, exec_lo
	s_wait_alu 0xfffe
	s_or_b32 s86, s4, s5
	s_and_not1_b32 s4, s89, exec_lo
	s_and_b32 s5, s22, exec_lo
	s_and_b32 s7, s21, exec_lo
	s_wait_alu 0xfffe
	s_or_b32 s89, s4, s5
	s_or_b32 s87, s6, s7
	s_or_not1_b32 s19, s19, exec_lo
.LBB101_14:                             ;   in Loop: Header=BB101_15 Depth=1
	s_wait_alu 0xfffe
	s_or_b32 exec_lo, exec_lo, s18
	s_delay_alu instid0(SALU_CYCLE_1)
	s_and_b32 s4, exec_lo, s19
	v_dual_mov_b32 v26, v12 :: v_dual_mov_b32 v25, v11
	s_wait_alu 0xfffe
	s_or_b32 s82, s4, s82
	s_and_not1_b32 s4, s85, exec_lo
	s_and_b32 s5, s86, exec_lo
	s_and_not1_b32 s6, s90, exec_lo
	s_wait_alu 0xfffe
	s_or_b32 s85, s4, s5
	s_and_b32 s4, s89, exec_lo
	s_and_not1_b32 s5, s88, exec_lo
	s_and_b32 s7, s87, exec_lo
	s_wait_alu 0xfffe
	s_or_b32 s90, s6, s4
	s_or_b32 s88, s5, s7
	s_and_not1_b32 exec_lo, exec_lo, s82
	s_cbranch_execz .LBB101_272
.LBB101_15:                             ; =>This Loop Header: Depth=1
                                        ;     Child Loop BB101_21 Depth 2
                                        ;     Child Loop BB101_34 Depth 2
	;; [unrolled: 1-line block ×16, first 2 shown]
	ds_load_b128 v[7:10], v16 offset:5120
	s_wait_dscnt 0x0
	v_readfirstlane_b32 s65, v8
	v_readfirstlane_b32 s64, v7
	s_cmp_lg_u64 s[64:65], 0
	s_cbranch_scc1 .LBB101_42
; %bb.16:                               ;   in Loop: Header=BB101_15 Depth=1
	s_and_b32 vcc_lo, exec_lo, s74
	s_wait_alu 0xfffe
	s_cbranch_vccz .LBB101_29
; %bb.17:                               ;   in Loop: Header=BB101_15 Depth=1
	v_cmp_gt_u64_e32 vcc_lo, 0x181, v[9:10]
	s_mov_b32 s6, 0
	s_mov_b32 s4, 0
	s_cbranch_vccz .LBB101_30
; %bb.18:                               ;   in Loop: Header=BB101_15 Depth=1
	s_and_saveexec_b32 s7, s0
	s_cbranch_execz .LBB101_139
; %bb.19:                               ;   in Loop: Header=BB101_15 Depth=1
	global_load_u16 v7, v16, s[62:63]
	global_load_b64 v[3:4], v[17:18], off
	s_mov_b32 s8, 0
	s_wait_loadcnt 0x1
	v_dual_mov_b32 v8, v1 :: v_dual_and_b32 v11, 0xffff, v7
	v_mov_b32_e32 v7, v0
	s_branch .LBB101_21
.LBB101_20:                             ;   in Loop: Header=BB101_21 Depth=2
	s_wait_alu 0xfffe
	s_or_b32 exec_lo, exec_lo, s5
	v_dual_mov_b32 v3, v9 :: v_dual_mov_b32 v4, v10
	s_and_not1_b32 exec_lo, exec_lo, s8
	s_cbranch_execz .LBB101_139
.LBB101_21:                             ;   Parent Loop BB101_15 Depth=1
                                        ; =>  This Inner Loop Header: Depth=2
	s_delay_alu instid0(VALU_DEP_1)
	v_add_co_u32 v7, vcc_lo, v7, v11
	v_mov_b32_e32 v9, 0
	s_wait_alu 0xfffd
	v_add_co_ci_u32_e64 v8, null, 0, v8, vcc_lo
	v_mov_b32_e32 v10, 0
	s_mov_b32 s5, exec_lo
	s_delay_alu instid0(VALU_DEP_2)
	v_cmp_le_u64_e32 vcc_lo, s[24:25], v[7:8]
	v_cmpx_gt_u64_e64 s[24:25], v[7:8]
	s_cbranch_execz .LBB101_23
; %bb.22:                               ;   in Loop: Header=BB101_21 Depth=2
	s_wait_dscnt 0x0
	v_mul_lo_u32 v12, v8, s42
	v_mul_lo_u32 v13, v7, s43
	v_mad_co_u64_u32 v[9:10], null, v7, s42, 0
	s_delay_alu instid0(VALU_DEP_1) | instskip(NEXT) | instid1(VALU_DEP_1)
	v_add3_u32 v10, v10, v13, v12
	v_lshlrev_b64_e32 v[9:10], 3, v[9:10]
	s_delay_alu instid0(VALU_DEP_1) | instskip(SKIP_1) | instid1(VALU_DEP_2)
	v_add_co_u32 v9, s4, s50, v9
	s_wait_alu 0xf1fe
	v_add_co_ci_u32_e64 v10, null, s51, v10, s4
	global_load_b64 v[9:10], v[9:10], off
.LBB101_23:                             ;   in Loop: Header=BB101_21 Depth=2
	s_wait_alu 0xfffe
	s_or_b32 exec_lo, exec_lo, s5
	s_wait_loadcnt_dscnt 0x0
	v_xor_b32_e32 v12, 0x80000000, v4
	s_delay_alu instid0(VALU_DEP_1) | instskip(SKIP_1) | instid1(VALU_DEP_1)
	v_and_b32_e32 v13, v12, v24
	v_and_b32_e32 v12, v3, v23
	v_cmp_eq_u64_e64 s4, v[12:13], v[21:22]
	v_mov_b32_e32 v12, 0
	s_cmp_lg_u32 s4, 0
	s_cselect_b32 s5, -1, 0
	s_wait_alu 0xfffe
	s_and_b32 s5, s1, s5
	s_wait_alu 0xfffe
	s_and_saveexec_b32 s9, s5
	s_cbranch_execz .LBB101_27
; %bb.24:                               ;   in Loop: Header=BB101_21 Depth=2
	s_mov_b32 s12, exec_lo
	s_bcnt1_i32_b32 s10, s4
	s_wait_alu 0xfffe
	v_mbcnt_lo_u32_b32 v12, s12, 0
	s_mov_b32 s11, exec_lo
                                        ; implicit-def: $vgpr13
	s_delay_alu instid0(VALU_DEP_1)
	v_cmpx_eq_u32_e32 0, v12
; %bb.25:                               ;   in Loop: Header=BB101_21 Depth=2
	s_bcnt1_i32_b32 s5, s12
	s_wait_alu 0xfffe
	s_mul_i32 s5, s10, s5
	s_wait_alu 0xfffe
	v_mov_b32_e32 v13, s5
	ds_add_rtn_u32 v13, v16, v13 offset:5144
; %bb.26:                               ;   in Loop: Header=BB101_21 Depth=2
	s_or_b32 exec_lo, exec_lo, s11
	s_wait_dscnt 0x0
	v_readfirstlane_b32 s5, v13
	s_wait_alu 0xf1ff
	s_delay_alu instid0(VALU_DEP_1)
	v_mad_u32_u24 v12, s10, v12, s5
.LBB101_27:                             ;   in Loop: Header=BB101_21 Depth=2
	s_wait_alu 0xfffe
	s_or_b32 exec_lo, exec_lo, s9
	ds_bpermute_b32 v12, v16, v12
	s_and_b32 s5, exec_lo, vcc_lo
	s_wait_alu 0xfffe
	s_or_b32 s8, s5, s8
	s_and_saveexec_b32 s5, s4
	s_cbranch_execz .LBB101_20
; %bb.28:                               ;   in Loop: Header=BB101_21 Depth=2
	v_and_b32_e32 v13, s4, v34
	s_delay_alu instid0(VALU_DEP_1) | instskip(NEXT) | instid1(VALU_DEP_1)
	v_bcnt_u32_b32 v13, v13, 0
	v_lshlrev_b32_e32 v13, 3, v13
	s_wait_dscnt 0x0
	s_delay_alu instid0(VALU_DEP_1)
	v_lshl_add_u32 v12, v12, 3, v13
	ds_store_b64 v12, v[3:4]
	s_branch .LBB101_20
.LBB101_29:                             ;   in Loop: Header=BB101_15 Depth=1
	s_mov_b32 s6, -1
	s_mov_b32 s4, 0
.LBB101_30:                             ;   in Loop: Header=BB101_15 Depth=1
	s_wait_alu 0xfffe
	s_and_b32 vcc_lo, exec_lo, s6
	s_wait_alu 0xfffe
	s_cbranch_vccz .LBB101_40
.LBB101_31:                             ;   in Loop: Header=BB101_15 Depth=1
	s_and_saveexec_b32 s4, s0
	s_cbranch_execz .LBB101_37
; %bb.32:                               ;   in Loop: Header=BB101_15 Depth=1
	global_load_u16 v7, v16, s[62:63]
	global_load_b64 v[3:4], v[17:18], off
	s_mov_b32 s5, exec_lo
	s_wait_loadcnt 0x1
	v_and_b32_e32 v13, 0xffff, v7
	v_mov_b32_e32 v7, v0
	s_delay_alu instid0(VALU_DEP_2) | instskip(NEXT) | instid1(VALU_DEP_1)
	v_add_nc_u32_e32 v15, v13, v0
	v_cmpx_gt_u64_e64 s[24:25], v[15:16]
	s_cbranch_execz .LBB101_36
; %bb.33:                               ;   in Loop: Header=BB101_15 Depth=1
	v_dual_mov_b32 v9, v15 :: v_dual_mov_b32 v10, v16
	v_dual_mov_b32 v8, v1 :: v_dual_mov_b32 v7, v0
	s_mov_b32 s6, 0
.LBB101_34:                             ;   Parent Loop BB101_15 Depth=1
                                        ; =>  This Inner Loop Header: Depth=2
	s_delay_alu instid0(VALU_DEP_2) | instskip(NEXT) | instid1(VALU_DEP_2)
	v_dual_mov_b32 v15, v10 :: v_dual_mov_b32 v14, v9
	v_lshlrev_b32_e32 v7, 3, v7
	s_delay_alu instid0(VALU_DEP_2) | instskip(NEXT) | instid1(VALU_DEP_3)
	v_mul_lo_u32 v10, v15, s42
	v_mul_lo_u32 v11, v14, s43
	v_mad_co_u64_u32 v[8:9], null, v14, s42, 0
	s_wait_loadcnt 0x0
	ds_store_b64 v7, v[3:4]
	v_add3_u32 v9, v9, v11, v10
	s_delay_alu instid0(VALU_DEP_1) | instskip(NEXT) | instid1(VALU_DEP_1)
	v_lshlrev_b64_e32 v[8:9], 3, v[8:9]
	v_add_co_u32 v8, vcc_lo, s50, v8
	s_wait_alu 0xfffd
	s_delay_alu instid0(VALU_DEP_2)
	v_add_co_ci_u32_e64 v9, null, s51, v9, vcc_lo
	global_load_b64 v[11:12], v[8:9], off
	v_add_co_u32 v9, vcc_lo, v14, v13
	s_wait_alu 0xfffd
	v_add_co_ci_u32_e64 v10, null, 0, v15, vcc_lo
	v_dual_mov_b32 v7, v14 :: v_dual_mov_b32 v8, v15
	s_delay_alu instid0(VALU_DEP_2)
	v_cmp_le_u64_e32 vcc_lo, s[24:25], v[9:10]
	s_wait_alu 0xfffe
	s_or_b32 s6, vcc_lo, s6
	s_wait_loadcnt 0x0
	v_dual_mov_b32 v3, v11 :: v_dual_mov_b32 v4, v12
	s_wait_alu 0xfffe
	s_and_not1_b32 exec_lo, exec_lo, s6
	s_cbranch_execnz .LBB101_34
; %bb.35:                               ;   in Loop: Header=BB101_15 Depth=1
	s_or_b32 exec_lo, exec_lo, s6
	v_sub_nc_u32_e32 v7, v9, v13
	v_dual_mov_b32 v3, v11 :: v_dual_mov_b32 v4, v12
.LBB101_36:                             ;   in Loop: Header=BB101_15 Depth=1
	s_wait_alu 0xfffe
	s_or_b32 exec_lo, exec_lo, s5
	s_delay_alu instid0(VALU_DEP_2)
	v_lshlrev_b32_e32 v7, 3, v7
	s_wait_loadcnt 0x0
	ds_store_b64 v7, v[3:4]
.LBB101_37:                             ;   in Loop: Header=BB101_15 Depth=1
	s_wait_alu 0xfffe
	s_or_b32 exec_lo, exec_lo, s4
	s_wait_loadcnt_dscnt 0x0
	s_barrier_signal -1
	s_barrier_wait -1
	global_inv scope:SCOPE_SE
	s_and_saveexec_b32 s4, s2
; %bb.38:                               ;   in Loop: Header=BB101_15 Depth=1
	v_dual_mov_b32 v3, s24 :: v_dual_mov_b32 v4, s25
	ds_store_b64 v16, v[3:4] offset:5120
; %bb.39:                               ;   in Loop: Header=BB101_15 Depth=1
	s_wait_alu 0xfffe
	s_or_b32 exec_lo, exec_lo, s4
	s_mov_b32 s4, -1
	s_wait_loadcnt_dscnt 0x0
	s_barrier_signal -1
	s_barrier_wait -1
.LBB101_40:                             ;   in Loop: Header=BB101_15 Depth=1
	s_wait_alu 0xfffe
	s_and_b32 vcc_lo, exec_lo, s4
	s_mov_b64 s[64:65], 0
	s_wait_alu 0xfffe
	s_cbranch_vccz .LBB101_42
; %bb.41:                               ;   in Loop: Header=BB101_15 Depth=1
	s_wait_loadcnt 0x0
	global_inv scope:SCOPE_SE
	ds_load_b64 v[3:4], v16 offset:5120
	s_wait_dscnt 0x0
	v_readfirstlane_b32 s64, v3
.LBB101_42:                             ;   in Loop: Header=BB101_15 Depth=1
	s_delay_alu instid0(VALU_DEP_1)
	s_cmp_lt_i32 s64, 1
	s_mov_b32 s4, -1
                                        ; implicit-def: $vgpr13_vgpr14
                                        ; implicit-def: $vgpr9_vgpr10
	s_cbranch_scc1 .LBB101_52
; %bb.43:                               ;   in Loop: Header=BB101_15 Depth=1
	s_wait_alu 0xfffe
	s_and_b32 vcc_lo, exec_lo, s4
	s_wait_alu 0xfffe
	s_cbranch_vccnz .LBB101_66
.LBB101_44:                             ;   in Loop: Header=BB101_15 Depth=1
	s_lshl_b32 s4, s84, 7
	s_and_saveexec_b32 s5, s1
	s_cbranch_execz .LBB101_46
.LBB101_45:                             ;   in Loop: Header=BB101_15 Depth=1
	s_wait_alu 0xfffe
	v_lshl_add_u32 v3, s4, 3, v35
	ds_store_b128 v3, v[7:10]
	ds_store_b128 v3, v[11:14] offset:16
.LBB101_46:                             ;   in Loop: Header=BB101_15 Depth=1
	s_wait_alu 0xfffe
	s_or_b32 exec_lo, exec_lo, s5
	s_wait_loadcnt_dscnt 0x0
	s_barrier_signal -1
	s_barrier_wait -1
	global_inv scope:SCOPE_SE
	s_and_saveexec_b32 s5, s33
	s_cbranch_execz .LBB101_80
; %bb.47:                               ;   in Loop: Header=BB101_15 Depth=1
	v_mov_b32_e32 v3, 0
	v_mov_b32_e32 v4, 0
	s_and_not1_b32 vcc_lo, exec_lo, s75
	s_wait_alu 0xfffe
	s_cbranch_vccnz .LBB101_79
; %bb.48:                               ;   in Loop: Header=BB101_15 Depth=1
	v_mov_b32_e32 v3, 0
	v_mov_b32_e32 v4, 0
	s_and_not1_b32 vcc_lo, exec_lo, s77
	s_wait_alu 0xfffe
	s_cbranch_vccnz .LBB101_76
; %bb.49:                               ;   in Loop: Header=BB101_15 Depth=1
	v_lshl_add_u32 v7, s84, 10, v37
	s_mov_b32 s6, 0
.LBB101_50:                             ;   Parent Loop BB101_15 Depth=1
                                        ; =>  This Inner Loop Header: Depth=2
	ds_load_2addr_b64 v[8:11], v7 offset1:4
	ds_load_2addr_b64 v[12:15], v7 offset0:8 offset1:12
	ds_load_2addr_b64 v[27:30], v7 offset0:16 offset1:20
	s_wait_alu 0xfffe
	s_add_co_i32 s6, s6, 8
	s_wait_alu 0xfffe
	s_cmp_eq_u32 s78, s6
	s_wait_dscnt 0x2
	v_add_co_u32 v3, vcc_lo, v8, v3
	s_wait_alu 0xfffd
	v_add_co_ci_u32_e64 v4, null, v9, v4, vcc_lo
	s_delay_alu instid0(VALU_DEP_2) | instskip(SKIP_1) | instid1(VALU_DEP_2)
	v_add_co_u32 v3, vcc_lo, v10, v3
	s_wait_alu 0xfffd
	v_add_co_ci_u32_e64 v4, null, v11, v4, vcc_lo
	ds_load_2addr_b64 v[8:11], v7 offset0:24 offset1:28
	s_wait_dscnt 0x2
	v_add_co_u32 v3, vcc_lo, v12, v3
	s_wait_alu 0xfffd
	v_add_co_ci_u32_e64 v4, null, v13, v4, vcc_lo
	v_add_nc_u32_e32 v7, 0x100, v7
	s_delay_alu instid0(VALU_DEP_3) | instskip(SKIP_1) | instid1(VALU_DEP_3)
	v_add_co_u32 v3, vcc_lo, v14, v3
	s_wait_alu 0xfffd
	v_add_co_ci_u32_e64 v4, null, v15, v4, vcc_lo
	s_wait_dscnt 0x1
	s_delay_alu instid0(VALU_DEP_2) | instskip(SKIP_1) | instid1(VALU_DEP_2)
	v_add_co_u32 v3, vcc_lo, v27, v3
	s_wait_alu 0xfffd
	v_add_co_ci_u32_e64 v4, null, v28, v4, vcc_lo
	s_delay_alu instid0(VALU_DEP_2) | instskip(SKIP_1) | instid1(VALU_DEP_2)
	v_add_co_u32 v3, vcc_lo, v29, v3
	s_wait_alu 0xfffd
	v_add_co_ci_u32_e64 v4, null, v30, v4, vcc_lo
	s_wait_dscnt 0x0
	s_delay_alu instid0(VALU_DEP_2) | instskip(SKIP_1) | instid1(VALU_DEP_2)
	v_add_co_u32 v3, vcc_lo, v8, v3
	s_wait_alu 0xfffd
	v_add_co_ci_u32_e64 v4, null, v9, v4, vcc_lo
	s_delay_alu instid0(VALU_DEP_2) | instskip(SKIP_1) | instid1(VALU_DEP_2)
	v_add_co_u32 v3, vcc_lo, v10, v3
	s_wait_alu 0xfffd
	v_add_co_ci_u32_e64 v4, null, v11, v4, vcc_lo
	s_cbranch_scc0 .LBB101_50
; %bb.51:                               ;   in Loop: Header=BB101_15 Depth=1
	s_mov_b32 s6, s78
	s_and_not1_b32 vcc_lo, exec_lo, s79
	s_wait_alu 0xfffe
	s_cbranch_vccz .LBB101_77
	s_branch .LBB101_79
.LBB101_52:                             ;   in Loop: Header=BB101_15 Depth=1
	global_load_u16 v27, v16, s[62:63]
	s_mov_b32 s5, s25
	s_wait_loadcnt 0x0
	v_readfirstlane_b32 s4, v27
	s_wait_alu 0xfffe
	s_and_b32 s6, 0xffff, s4
	s_mov_b32 s4, s57
	s_wait_alu 0xfffe
	s_lshl_b32 s18, s6, 2
	s_cmp_lg_u64 s[4:5], 0
	s_cbranch_scc0 .LBB101_75
; %bb.53:                               ;   in Loop: Header=BB101_15 Depth=1
	s_wait_alu 0xfffe
	s_cvt_f32_u32 s4, s18
	s_mov_b32 s19, s57
	s_wait_alu 0xfffe
	s_sub_nc_u64 s[6:7], 0, s[18:19]
	s_fmamk_f32 s4, s83, 0x0, s4
	s_wait_alu 0xfffe
	s_delay_alu instid0(SALU_CYCLE_2) | instskip(NEXT) | instid1(TRANS32_DEP_1)
	v_s_rcp_f32 s4, s4
	s_mul_f32 s4, s4, 0x5f7ffffc
	s_wait_alu 0xfffe
	s_delay_alu instid0(SALU_CYCLE_2) | instskip(SKIP_1) | instid1(SALU_CYCLE_2)
	s_mul_f32 s5, s4, 0x2f800000
	s_wait_alu 0xfffe
	s_trunc_f32 s5, s5
	s_wait_alu 0xfffe
	s_delay_alu instid0(SALU_CYCLE_2) | instskip(SKIP_2) | instid1(SALU_CYCLE_1)
	s_fmamk_f32 s4, s5, 0xcf800000, s4
	s_cvt_u32_f32 s5, s5
	s_wait_alu 0xfffe
	s_cvt_u32_f32 s4, s4
	s_wait_alu 0xfffe
	s_delay_alu instid0(SALU_CYCLE_2)
	s_mul_u64 s[8:9], s[6:7], s[4:5]
	s_wait_alu 0xfffe
	s_mul_hi_u32 s11, s4, s9
	s_mul_i32 s10, s4, s9
	s_mul_hi_u32 s56, s4, s8
	s_mul_i32 s13, s5, s8
	s_wait_alu 0xfffe
	s_add_nc_u64 s[10:11], s[56:57], s[10:11]
	s_mul_hi_u32 s12, s5, s8
	s_mul_hi_u32 s14, s5, s9
	s_mul_i32 s8, s5, s9
	s_wait_alu 0xfffe
	s_add_co_u32 s9, s10, s13
	s_add_co_ci_u32 s56, s11, s12
	s_add_co_ci_u32 s9, s14, 0
	s_wait_alu 0xfffe
	s_add_nc_u64 s[8:9], s[56:57], s[8:9]
	s_wait_alu 0xfffe
	s_add_co_u32 s4, s4, s8
	s_cselect_b32 s8, -1, 0
	s_wait_alu 0xfffe
	s_cmp_lg_u32 s8, 0
	s_add_co_ci_u32 s5, s5, s9
	s_wait_alu 0xfffe
	s_mul_u64 s[6:7], s[6:7], s[4:5]
	s_wait_alu 0xfffe
	s_mul_hi_u32 s9, s4, s7
	s_mul_i32 s8, s4, s7
	s_mul_hi_u32 s56, s4, s6
	s_mul_i32 s11, s5, s6
	s_wait_alu 0xfffe
	s_add_nc_u64 s[8:9], s[56:57], s[8:9]
	s_mul_hi_u32 s10, s5, s6
	s_mul_hi_u32 s12, s5, s7
	s_mul_i32 s6, s5, s7
	s_wait_alu 0xfffe
	s_add_co_u32 s7, s8, s11
	s_add_co_ci_u32 s56, s9, s10
	s_add_co_ci_u32 s7, s12, 0
	s_wait_alu 0xfffe
	s_add_nc_u64 s[6:7], s[56:57], s[6:7]
	s_wait_alu 0xfffe
	s_add_co_u32 s4, s4, s6
	s_cselect_b32 s6, -1, 0
	s_wait_alu 0xfffe
	s_mul_hi_u32 s56, s24, s4
	s_cmp_lg_u32 s6, 0
	s_mul_hi_u32 s8, s25, s4
	s_add_co_ci_u32 s6, s5, s7
	s_mul_i32 s7, s25, s4
	s_wait_alu 0xfffe
	s_mul_hi_u32 s5, s24, s6
	s_mul_i32 s4, s24, s6
	s_mul_hi_u32 s9, s25, s6
	s_wait_alu 0xfffe
	s_add_nc_u64 s[4:5], s[56:57], s[4:5]
	s_mul_i32 s6, s25, s6
	s_wait_alu 0xfffe
	s_add_co_u32 s4, s4, s7
	s_add_co_ci_u32 s56, s5, s8
	s_add_co_ci_u32 s7, s9, 0
	s_wait_alu 0xfffe
	s_add_nc_u64 s[4:5], s[56:57], s[6:7]
	s_wait_alu 0xfffe
	s_mul_u64 s[4:5], s[18:19], s[4:5]
	s_wait_alu 0xfffe
	s_sub_co_u32 s4, s24, s4
	s_cselect_b32 s6, -1, 0
	s_wait_alu 0xfffe
	s_cmp_lg_u32 s6, 0
	s_sub_co_ci_u32 s5, s25, s5
	s_sub_co_u32 s6, s4, s18
	s_cselect_b32 s7, -1, 0
	s_wait_alu 0xfffe
	s_cmp_lg_u32 s7, 0
	s_sub_co_ci_u32 s7, s5, 0
	;; [unrolled: 5-line block ×3, first 2 shown]
	s_cmp_ge_u32 s6, s18
	s_cselect_b32 s10, -1, 0
	s_cmp_eq_u32 s7, 0
	s_wait_alu 0xfffe
	s_cselect_b32 s10, s10, -1
	s_wait_alu 0xfffe
	s_cmp_lg_u32 s10, 0
	s_cselect_b32 s7, s9, s7
	s_cselect_b32 s6, s8, s6
	s_cmp_ge_u32 s4, s18
	s_cselect_b32 s8, -1, 0
	s_cmp_eq_u32 s5, 0
	s_wait_alu 0xfffe
	s_cselect_b32 s8, s8, -1
	s_wait_alu 0xfffe
	s_cmp_lg_u32 s8, 0
	s_cselect_b32 s5, s7, s5
	s_cselect_b32 s4, s6, s4
	s_cbranch_execnz .LBB101_55
.LBB101_54:                             ;   in Loop: Header=BB101_15 Depth=1
	s_wait_alu 0xfffe
	v_cvt_f32_u32_e32 v3, s18
	s_sub_co_i32 s5, 0, s18
	s_delay_alu instid0(VALU_DEP_1) | instskip(NEXT) | instid1(TRANS32_DEP_1)
	v_rcp_iflag_f32_e32 v3, v3
	v_mul_f32_e32 v3, 0x4f7ffffe, v3
	s_delay_alu instid0(VALU_DEP_1) | instskip(NEXT) | instid1(VALU_DEP_1)
	v_cvt_u32_f32_e32 v3, v3
	v_readfirstlane_b32 s4, v3
	s_wait_alu 0xfffe
	s_mul_i32 s5, s5, s4
	s_wait_alu 0xfffe
	s_mul_hi_u32 s5, s4, s5
	s_wait_alu 0xfffe
	s_add_co_i32 s4, s4, s5
	s_wait_alu 0xfffe
	s_mul_hi_u32 s4, s24, s4
	s_wait_alu 0xfffe
	s_mul_i32 s4, s4, s18
	s_wait_alu 0xfffe
	s_sub_co_i32 s4, s24, s4
	s_wait_alu 0xfffe
	s_sub_co_i32 s5, s4, s18
	s_cmp_ge_u32 s4, s18
	s_wait_alu 0xfffe
	s_cselect_b32 s4, s5, s4
	s_wait_alu 0xfffe
	s_sub_co_i32 s5, s4, s18
	s_cmp_ge_u32 s4, s18
	s_wait_alu 0xfffe
	s_cselect_b32 s56, s5, s4
	s_wait_alu 0xfffe
	s_mov_b64 s[4:5], s[56:57]
.LBB101_55:                             ;   in Loop: Header=BB101_15 Depth=1
	v_mov_b32_e32 v7, 0
	v_dual_mov_b32 v11, 0 :: v_dual_mov_b32 v8, 0
	v_dual_mov_b32 v9, 0 :: v_dual_mov_b32 v12, 0
	;; [unrolled: 1-line block ×3, first 2 shown]
	v_mov_b32_e32 v14, 0
	s_wait_alu 0xfffe
	s_sub_nc_u64 s[20:21], s[24:25], s[4:5]
	s_mov_b32 s19, exec_lo
	s_wait_alu 0xfffe
	v_cmpx_gt_u64_e64 s[20:21], v[19:20]
	s_cbranch_execz .LBB101_59
; %bb.56:                               ;   in Loop: Header=BB101_15 Depth=1
	v_dual_mov_b32 v3, v19 :: v_dual_mov_b32 v4, v20
	s_mov_b64 s[22:23], 0
	s_mov_b32 s65, 0
	s_mov_b64 s[66:67], 0
	s_mov_b64 s[68:69], 0
	;; [unrolled: 1-line block ×3, first 2 shown]
.LBB101_57:                             ;   Parent Loop BB101_15 Depth=1
                                        ; =>  This Inner Loop Header: Depth=2
	v_mul_lo_u32 v9, v4, s42
	v_mul_lo_u32 v10, v3, s43
	v_mad_co_u64_u32 v[7:8], null, v3, s42, 0
	s_lshl_b64 s[4:5], s[42:43], 3
	v_dual_mov_b32 v29, v16 :: v_dual_mov_b32 v30, v16
	v_add3_u32 v8, v8, v10, v9
	s_delay_alu instid0(VALU_DEP_1) | instskip(NEXT) | instid1(VALU_DEP_1)
	v_lshlrev_b64_e32 v[7:8], 3, v[7:8]
	v_add_co_u32 v7, vcc_lo, s50, v7
	s_wait_alu 0xfffd
	s_delay_alu instid0(VALU_DEP_2) | instskip(SKIP_1) | instid1(VALU_DEP_2)
	v_add_co_ci_u32_e64 v8, null, s51, v8, vcc_lo
	s_wait_alu 0xfffe
	v_add_co_u32 v9, vcc_lo, v7, s4
	s_wait_alu 0xfffd
	s_delay_alu instid0(VALU_DEP_2)
	v_add_co_ci_u32_e64 v10, null, s5, v8, vcc_lo
	global_load_b64 v[7:8], v[7:8], off
	v_add_co_u32 v11, vcc_lo, v9, s4
	s_wait_alu 0xfffd
	v_add_co_ci_u32_e64 v12, null, s5, v10, vcc_lo
	s_clause 0x1
	global_load_b64 v[9:10], v[9:10], off
	global_load_b64 v[13:14], v[11:12], off
	v_add_co_u32 v11, vcc_lo, v11, s4
	s_wait_alu 0xfffd
	v_add_co_ci_u32_e64 v12, null, s5, v12, vcc_lo
	v_mov_b32_e32 v39, v16
	v_add_co_u32 v3, vcc_lo, v3, s18
	global_load_b64 v[11:12], v[11:12], off
	s_wait_alu 0xfffd
	v_add_co_ci_u32_e64 v4, null, 0, v4, vcc_lo
	s_delay_alu instid0(VALU_DEP_1) | instskip(SKIP_3) | instid1(VALU_DEP_2)
	v_cmp_le_u64_e32 vcc_lo, s[20:21], v[3:4]
	s_wait_loadcnt 0x3
	v_xor_b32_e32 v8, 0x80000000, v8
	v_and_b32_e32 v40, v7, v23
	v_and_b32_e32 v41, v8, v24
	v_lshrrev_b64 v[7:8], s81, v[7:8]
	s_wait_loadcnt 0x2
	v_xor_b32_e32 v10, 0x80000000, v10
	s_wait_loadcnt 0x1
	v_xor_b32_e32 v14, 0x80000000, v14
	v_and_b32_e32 v42, v9, v23
	v_cmp_eq_u64_e64 s4, v[40:41], v[21:22]
	v_and_b32_e32 v8, v13, v23
	v_and_b32_e32 v15, 3, v7
	v_lshrrev_b64 v[40:41], s81, v[9:10]
	v_and_b32_e32 v9, v14, v24
	s_wait_loadcnt 0x0
	v_xor_b32_e32 v12, 0x80000000, v12
	v_lshrrev_b64 v[13:14], s81, v[13:14]
	v_cmp_eq_u64_e64 s6, 0, v[15:16]
	v_and_b32_e32 v43, v10, v24
	v_and_b32_e32 v28, 3, v40
	v_cmp_eq_u64_e64 s7, 1, v[15:16]
	v_cmp_eq_u64_e64 s8, 2, v[15:16]
	;; [unrolled: 1-line block ×3, first 2 shown]
	v_lshrrev_b64 v[9:10], s81, v[11:12]
	s_and_b32 s6, s4, s6
	v_cmp_eq_u64_e64 s5, v[42:43], v[21:22]
	v_cmp_eq_u64_e64 s9, 3, v[15:16]
	v_and_b32_e32 v38, 3, v13
	v_cmp_eq_u64_e64 s11, 0, v[28:29]
	v_cmp_eq_u64_e64 s12, 1, v[28:29]
	s_wait_alu 0xfffe
	v_cndmask_b32_e64 v10, 0, 1, s6
	s_and_b32 s6, s4, s7
	v_cmp_eq_u64_e64 s13, 2, v[28:29]
	v_cmp_eq_u64_e64 s14, 3, v[28:29]
	v_and_b32_e32 v7, v11, v23
	v_and_b32_e32 v8, v12, v24
	s_wait_alu 0xfffe
	v_cndmask_b32_e64 v11, 0, 1, s6
	s_and_b32 s6, s4, s8
	v_and_b32_e32 v29, 3, v9
	s_wait_alu 0xfffe
	v_cndmask_b32_e64 v12, 0, 1, s6
	v_cmp_eq_u64_e64 s6, 0, v[38:39]
	s_and_b32 s4, s4, s9
	s_and_b32 s11, s5, s11
	;; [unrolled: 1-line block ×3, first 2 shown]
	v_cmp_eq_u64_e64 s7, 1, v[38:39]
	s_wait_alu 0xfffe
	v_cndmask_b32_e64 v13, 0, 1, s4
	v_cmp_eq_u64_e64 s4, v[7:8], v[21:22]
	v_cmp_ne_u32_e64 s15, 0, v10
	v_cndmask_b32_e64 v7, 0, 1, s11
	v_cndmask_b32_e64 v8, 0, 1, s12
	s_and_b32 s13, s5, s13
	s_and_b32 s5, s5, s14
	v_cmp_eq_u64_e64 s8, 2, v[38:39]
	v_cmp_eq_u64_e64 s9, 3, v[38:39]
	s_wait_alu 0xfffe
	v_cndmask_b32_e64 v9, 0, 1, s13
	v_cndmask_b32_e64 v10, 0, 1, s5
	v_cmp_eq_u64_e64 s5, 0, v[29:30]
	s_and_b32 s6, s10, s6
	v_cmp_eq_u64_e64 s14, 1, v[29:30]
	s_bcnt1_i32_b32 s56, s15
	v_cmp_ne_u32_e64 s15, 0, v7
	s_wait_alu 0xfffe
	v_cndmask_b32_e64 v7, 0, 1, s6
	v_cmp_ne_u32_e64 s6, 0, v8
	s_and_b32 s7, s10, s7
	v_cmp_eq_u64_e64 s16, 2, v[29:30]
	v_cmp_eq_u64_e64 s17, 3, v[29:30]
	s_wait_alu 0xfffe
	v_cndmask_b32_e64 v8, 0, 1, s7
	v_cmp_ne_u32_e64 s7, 0, v9
	s_and_b32 s8, s10, s8
	s_and_b32 s9, s10, s9
	;; [unrolled: 1-line block ×3, first 2 shown]
	s_wait_alu 0xfffe
	v_cndmask_b32_e64 v9, 0, 1, s8
	v_cmp_ne_u32_e64 s13, 0, v13
	v_cmp_ne_u32_e64 s8, 0, v10
	v_cndmask_b32_e64 v10, 0, 1, s9
	s_bcnt1_i32_b32 s10, s15
	v_cmp_ne_u32_e64 s9, 0, v7
	v_cndmask_b32_e64 v7, 0, 1, s5
	s_bcnt1_i32_b32 s15, s6
	s_and_b32 s6, s4, s14
	v_cmp_ne_u32_e64 s12, 0, v12
	v_cmp_ne_u32_e64 s5, 0, v8
	s_wait_alu 0xfffe
	v_cndmask_b32_e64 v8, 0, 1, s6
	s_bcnt1_i32_b32 s14, s7
	s_and_b32 s7, s4, s16
	v_cmp_ne_u32_e64 s11, 0, v11
	s_and_b32 s4, s4, s17
	v_cmp_ne_u32_e64 s6, 0, v9
	s_wait_alu 0xfffe
	v_cndmask_b32_e64 v9, 0, 1, s7
	s_bcnt1_i32_b32 s13, s13
	s_bcnt1_i32_b32 s8, s8
	v_cmp_ne_u32_e64 s7, 0, v10
	v_cndmask_b32_e64 v10, 0, 1, s4
	v_cmp_ne_u32_e64 s4, 0, v7
	s_bcnt1_i32_b32 s12, s12
	s_wait_alu 0xfffe
	s_add_co_i32 s8, s8, s13
	s_bcnt1_i32_b32 s13, s5
	v_cmp_ne_u32_e64 s5, 0, v8
	s_bcnt1_i32_b32 s11, s11
	s_add_co_i32 s10, s10, s56
	s_bcnt1_i32_b32 s9, s9
	s_add_co_i32 s12, s14, s12
	s_bcnt1_i32_b32 s14, s6
	v_cmp_ne_u32_e64 s6, 0, v9
	s_wait_alu 0xfffe
	s_add_co_i32 s11, s15, s11
	s_add_co_i32 s9, s10, s9
	s_bcnt1_i32_b32 s4, s4
	s_bcnt1_i32_b32 s15, s7
	v_cmp_ne_u32_e64 s7, 0, v10
	s_wait_alu 0xfffe
	s_add_co_i32 s10, s11, s13
	s_bcnt1_i32_b32 s5, s5
	s_add_co_i32 s56, s9, s4
	s_add_co_i32 s11, s12, s14
	s_bcnt1_i32_b32 s6, s6
	s_wait_alu 0xfffe
	s_add_nc_u64 s[70:71], s[70:71], s[56:57]
	s_add_co_i32 s56, s10, s5
	s_add_co_i32 s8, s8, s15
	s_bcnt1_i32_b32 s7, s7
	s_wait_alu 0xfffe
	s_add_nc_u64 s[68:69], s[68:69], s[56:57]
	s_add_co_i32 s56, s11, s6
	v_mov_b32_e32 v7, s70
	s_wait_alu 0xfffe
	s_add_nc_u64 s[66:67], s[66:67], s[56:57]
	s_add_co_i32 s56, s8, s7
	v_mov_b32_e32 v9, s68
	s_wait_alu 0xfffe
	s_add_nc_u64 s[22:23], s[22:23], s[56:57]
	v_mov_b32_e32 v11, s66
	s_wait_alu 0xfffe
	v_dual_mov_b32 v13, s22 :: v_dual_mov_b32 v8, s71
	v_mov_b32_e32 v10, s69
	v_mov_b32_e32 v12, s67
	;; [unrolled: 1-line block ×3, first 2 shown]
	s_or_b32 s65, vcc_lo, s65
	s_delay_alu instid0(SALU_CYCLE_1)
	s_and_not1_b32 exec_lo, exec_lo, s65
	s_cbranch_execnz .LBB101_57
; %bb.58:                               ;   in Loop: Header=BB101_15 Depth=1
	s_or_b32 exec_lo, exec_lo, s65
.LBB101_59:                             ;   in Loop: Header=BB101_15 Depth=1
	s_wait_alu 0xfffe
	s_or_b32 exec_lo, exec_lo, s19
	v_add_co_u32 v3, s4, s20, v0
	v_and_b32_e32 v38, 0xffff, v27
	s_wait_alu 0xf1ff
	v_add_co_ci_u32_e64 v4, null, s21, 0, s4
	s_mov_b32 s8, exec_lo
	v_cmpx_gt_u64_e64 s[24:25], v[3:4]
	s_cbranch_execz .LBB101_65
; %bb.60:                               ;   in Loop: Header=BB101_15 Depth=1
	v_mul_lo_u32 v15, v4, s42
	v_mul_lo_u32 v29, v3, s43
	v_mad_co_u64_u32 v[27:28], null, v3, s42, 0
	s_mov_b32 s9, 0
	v_add3_u32 v28, v28, v29, v15
	s_delay_alu instid0(VALU_DEP_1) | instskip(NEXT) | instid1(VALU_DEP_1)
	v_lshlrev_b64_e32 v[27:28], 3, v[27:28]
	v_add_co_u32 v27, vcc_lo, s50, v27
	s_wait_alu 0xfffd
	s_delay_alu instid0(VALU_DEP_2)
	v_add_co_ci_u32_e64 v28, null, s51, v28, vcc_lo
	global_load_b64 v[29:30], v[27:28], off
	s_branch .LBB101_62
.LBB101_61:                             ;   in Loop: Header=BB101_62 Depth=2
	s_wait_alu 0xfffe
	s_or_b32 exec_lo, exec_lo, s5
	s_wait_loadcnt 0x0
	v_xor_b32_e32 v30, 0x80000000, v30
	s_and_b32 s6, exec_lo, vcc_lo
	s_wait_alu 0xfffe
	s_or_b32 s9, s6, s9
	s_delay_alu instid0(VALU_DEP_1) | instskip(SKIP_2) | instid1(VALU_DEP_3)
	v_lshrrev_b64 v[39:40], s81, v[29:30]
	v_and_b32_e32 v29, v29, v23
	v_and_b32_e32 v30, v30, v24
	;; [unrolled: 1-line block ×3, first 2 shown]
	s_delay_alu instid0(VALU_DEP_2) | instskip(NEXT) | instid1(VALU_DEP_2)
	v_cmp_eq_u64_e64 s4, v[29:30], v[21:22]
	v_cmp_eq_u64_e64 s5, 0, v[15:16]
	v_cmp_eq_u64_e32 vcc_lo, 1, v[15:16]
	v_cmp_eq_u64_e64 s6, 2, v[15:16]
	v_cmp_eq_u64_e64 s7, 3, v[15:16]
	s_and_b32 s5, s4, s5
	s_wait_alu 0xfffe
	v_cndmask_b32_e64 v15, 0, 1, s5
	s_and_b32 s5, s4, vcc_lo
	s_wait_alu 0xfffe
	v_cndmask_b32_e64 v29, 0, 1, s5
	s_and_b32 s5, s4, s6
	s_and_b32 s4, s4, s7
	s_wait_alu 0xfffe
	v_cndmask_b32_e64 v30, 0, 1, s5
	v_cmp_ne_u32_e32 vcc_lo, 0, v15
	v_cndmask_b32_e64 v39, 0, 1, s4
	v_cmp_ne_u32_e64 s4, 0, v29
	s_delay_alu instid0(VALU_DEP_4)
	v_cmp_ne_u32_e64 s5, 0, v30
	s_bcnt1_i32_b32 s7, vcc_lo
	v_cmp_ne_u32_e64 s6, 0, v39
	s_bcnt1_i32_b32 s4, s4
	s_wait_alu 0xfffe
	v_add_co_u32 v7, vcc_lo, v7, s7
	s_bcnt1_i32_b32 s5, s5
	s_wait_alu 0xfffd
	v_add_co_ci_u32_e64 v8, null, 0, v8, vcc_lo
	v_add_co_u32 v9, vcc_lo, v9, s4
	s_wait_alu 0xfffd
	v_add_co_ci_u32_e64 v10, null, 0, v10, vcc_lo
	s_wait_alu 0xfffe
	v_add_co_u32 v11, vcc_lo, v11, s5
	s_bcnt1_i32_b32 s4, s6
	s_wait_alu 0xfffd
	v_add_co_ci_u32_e64 v12, null, 0, v12, vcc_lo
	s_wait_alu 0xfffe
	v_add_co_u32 v13, vcc_lo, v13, s4
	v_mov_b32_e32 v30, v28
	s_wait_alu 0xfffd
	v_add_co_ci_u32_e64 v14, null, 0, v14, vcc_lo
	v_mov_b32_e32 v29, v27
	s_and_not1_b32 exec_lo, exec_lo, s9
	s_cbranch_execz .LBB101_64
.LBB101_62:                             ;   Parent Loop BB101_15 Depth=1
                                        ; =>  This Inner Loop Header: Depth=2
	v_add_co_u32 v3, vcc_lo, v3, v38
	v_mov_b32_e32 v27, 0
	s_wait_alu 0xfffd
	v_add_co_ci_u32_e64 v4, null, 0, v4, vcc_lo
	v_mov_b32_e32 v28, 0
	s_mov_b32 s5, exec_lo
	s_delay_alu instid0(VALU_DEP_2)
	v_cmp_le_u64_e32 vcc_lo, s[24:25], v[3:4]
	v_cmpx_gt_u64_e64 s[24:25], v[3:4]
	s_cbranch_execz .LBB101_61
; %bb.63:                               ;   in Loop: Header=BB101_62 Depth=2
	v_mul_lo_u32 v15, v4, s42
	v_mul_lo_u32 v39, v3, s43
	v_mad_co_u64_u32 v[27:28], null, v3, s42, 0
	s_delay_alu instid0(VALU_DEP_1) | instskip(NEXT) | instid1(VALU_DEP_1)
	v_add3_u32 v28, v28, v39, v15
	v_lshlrev_b64_e32 v[27:28], 3, v[27:28]
	s_delay_alu instid0(VALU_DEP_1) | instskip(SKIP_1) | instid1(VALU_DEP_2)
	v_add_co_u32 v27, s4, s50, v27
	s_wait_alu 0xf1ff
	v_add_co_ci_u32_e64 v28, null, s51, v28, s4
	global_load_b64 v[27:28], v[27:28], off
	s_branch .LBB101_61
.LBB101_64:                             ;   in Loop: Header=BB101_15 Depth=1
	s_or_b32 exec_lo, exec_lo, s9
.LBB101_65:                             ;   in Loop: Header=BB101_15 Depth=1
	s_wait_alu 0xfffe
	s_or_b32 exec_lo, exec_lo, s8
	s_branch .LBB101_44
.LBB101_66:                             ;   in Loop: Header=BB101_15 Depth=1
	global_load_u16 v3, v16, s[62:63]
	v_mov_b32_e32 v7, 0
	v_mov_b32_e32 v9, 0
	;; [unrolled: 1-line block ×3, first 2 shown]
	v_dual_mov_b32 v13, 0 :: v_dual_mov_b32 v10, 0
	v_mov_b32_e32 v12, 0
	v_mov_b32_e32 v14, 0
	s_mov_b32 s93, exec_lo
	s_wait_loadcnt 0x0
	v_dual_mov_b32 v8, 0 :: v_dual_and_b32 v29, 0xffff, v3
	v_readfirstlane_b32 s4, v3
	s_and_b32 s65, 0xffff, s4
	s_delay_alu instid0(SALU_CYCLE_1) | instskip(SKIP_4) | instid1(SALU_CYCLE_1)
	s_lshl_b32 s92, s65, 2
	s_wait_alu 0xfffe
	s_cvt_f32_u32 s4, s92
	s_sub_co_i32 s5, 0, s92
	s_wait_alu 0xfffe
	v_rcp_iflag_f32_e32 v4, s4
	s_delay_alu instid0(TRANS32_DEP_1) | instskip(SKIP_2) | instid1(SALU_CYCLE_2)
	v_readfirstlane_b32 s4, v4
	s_mul_f32 s4, s4, 0x4f7ffffe
	s_wait_alu 0xfffe
	s_cvt_u32_f32 s4, s4
	s_wait_alu 0xfffe
	s_delay_alu instid0(SALU_CYCLE_2)
	s_mul_i32 s5, s5, s4
	s_wait_alu 0xfffe
	s_mul_hi_u32 s5, s4, s5
	s_wait_alu 0xfffe
	s_add_co_i32 s4, s4, s5
	s_wait_alu 0xfffe
	s_mul_hi_u32 s4, s64, s4
	s_wait_alu 0xfffe
	s_mul_i32 s5, s4, s92
	s_add_co_i32 s6, s4, 1
	s_wait_alu 0xfffe
	s_sub_co_i32 s5, s64, s5
	s_wait_alu 0xfffe
	s_sub_co_i32 s7, s5, s92
	s_cmp_ge_u32 s5, s92
	s_cselect_b32 s4, s6, s4
	s_wait_alu 0xfffe
	s_cselect_b32 s5, s7, s5
	s_add_co_i32 s6, s4, 1
	s_wait_alu 0xfffe
	s_cmp_ge_u32 s5, s92
	s_cselect_b32 s91, s6, s4
	s_wait_alu 0xfffe
	v_mul_hi_u32 v4, s91, v29
	v_mul_lo_u32 v3, s91, v29
	s_delay_alu instid0(VALU_DEP_1) | instskip(NEXT) | instid1(VALU_DEP_1)
	v_lshlrev_b64_e32 v[3:4], 2, v[3:4]
	v_cmpx_gt_u64_e64 v[3:4], v[19:20]
	s_cbranch_execz .LBB101_70
; %bb.67:                               ;   in Loop: Header=BB101_15 Depth=1
	v_mov_b32_e32 v28, v20
	v_dual_mov_b32 v30, v36 :: v_dual_mov_b32 v27, v19
	s_lshl_b32 s94, s65, 5
	s_mov_b64 s[66:67], 0
	s_mov_b32 s95, 0
	s_mov_b64 s[68:69], 0
	s_mov_b64 s[70:71], 0
	;; [unrolled: 1-line block ×3, first 2 shown]
.LBB101_68:                             ;   Parent Loop BB101_15 Depth=1
                                        ; =>  This Inner Loop Header: Depth=2
	ds_load_b128 v[7:10], v30
	ds_load_b128 v[11:14], v30 offset:16
	v_mov_b32_e32 v41, v16
	v_mov_b32_e32 v43, v16
	s_wait_alu 0xfffe
	v_dual_mov_b32 v39, v16 :: v_dual_add_nc_u32 v30, s94, v30
	v_add_co_u32 v27, vcc_lo, v27, s92
	s_wait_alu 0xfffd
	v_add_co_ci_u32_e64 v28, null, 0, v28, vcc_lo
	s_delay_alu instid0(VALU_DEP_1)
	v_cmp_ge_u64_e32 vcc_lo, v[27:28], v[3:4]
	s_wait_dscnt 0x1
	v_xor_b32_e32 v8, 0x80000000, v8
	v_xor_b32_e32 v10, 0x80000000, v10
	s_wait_dscnt 0x0
	v_xor_b32_e32 v12, 0x80000000, v12
	v_and_b32_e32 v44, v7, v23
	v_xor_b32_e32 v14, 0x80000000, v14
	v_and_b32_e32 v45, v8, v24
	v_lshrrev_b64 v[7:8], s81, v[7:8]
	v_and_b32_e32 v46, v9, v23
	v_lshrrev_b64 v[8:9], s81, v[9:10]
	;; [unrolled: 2-line block ×4, first 2 shown]
	v_and_b32_e32 v15, 3, v7
	v_and_b32_e32 v38, 3, v8
	;; [unrolled: 1-line block ×4, first 2 shown]
	v_cmp_eq_u64_e64 s4, v[44:45], v[21:22]
	v_cmp_eq_u64_e64 s8, 0, v[15:16]
	v_and_b32_e32 v50, v13, v23
	v_and_b32_e32 v51, v14, v24
	;; [unrolled: 1-line block ×3, first 2 shown]
	v_cmp_eq_u64_e64 s5, v[46:47], v[21:22]
	v_cmp_eq_u64_e64 s9, 0, v[38:39]
	;; [unrolled: 1-line block ×6, first 2 shown]
	s_and_b32 s8, s4, s8
	v_cmp_eq_u64_e64 s12, 1, v[15:16]
	s_wait_alu 0xfffe
	v_cndmask_b32_e64 v7, 0, 1, s8
	s_and_b32 s8, s5, s9
	v_cmp_eq_u64_e64 s13, 1, v[38:39]
	s_wait_alu 0xfffe
	v_cndmask_b32_e64 v8, 0, 1, s8
	;; [unrolled: 4-line block ×4, first 2 shown]
	s_and_b32 s8, s4, s12
	v_cmp_eq_u64_e64 s16, 2, v[15:16]
	v_cmp_eq_u64_e64 s20, 3, v[15:16]
	s_wait_alu 0xfffe
	v_cndmask_b32_e64 v11, 0, 1, s8
	s_and_b32 s8, s5, s13
	v_cmp_eq_u64_e64 s21, 3, v[38:39]
	s_wait_alu 0xfffe
	v_cndmask_b32_e64 v12, 0, 1, s8
	s_and_b32 s8, s6, s14
	v_cmp_eq_u64_e64 s17, 2, v[38:39]
	v_cmp_eq_u64_e64 s22, 3, v[40:41]
	s_wait_alu 0xfffe
	v_cndmask_b32_e64 v13, 0, 1, s8
	s_and_b32 s8, s7, s15
	v_cmp_eq_u64_e64 s18, 2, v[40:41]
	v_cmp_eq_u64_e64 s23, 3, v[42:43]
	s_wait_alu 0xfffe
	v_cndmask_b32_e64 v14, 0, 1, s8
	s_and_b32 s8, s4, s16
	s_and_b32 s4, s4, s20
	v_cmp_eq_u64_e64 s19, 2, v[42:43]
	s_wait_alu 0xfffe
	v_cndmask_b32_e64 v41, 0, 1, s4
	s_and_b32 s4, s5, s21
	v_cndmask_b32_e64 v15, 0, 1, s8
	s_and_b32 s8, s5, s17
	s_wait_alu 0xfffe
	v_cndmask_b32_e64 v42, 0, 1, s4
	s_and_b32 s4, s6, s22
	v_cndmask_b32_e64 v38, 0, 1, s8
	s_and_b32 s8, s6, s18
	;; [unrolled: 5-line block ×3, first 2 shown]
	s_wait_alu 0xfffe
	v_cndmask_b32_e64 v44, 0, 1, s4
	v_cmp_ne_u32_e64 s4, 0, v7
	v_cmp_ne_u32_e64 s5, 0, v8
	v_cndmask_b32_e64 v40, 0, 1, s8
	v_cmp_ne_u32_e64 s6, 0, v9
	v_cmp_ne_u32_e64 s8, 0, v11
	;; [unrolled: 1-line block ×7, first 2 shown]
	s_bcnt1_i32_b32 s4, s4
	s_bcnt1_i32_b32 s5, s5
	v_cmp_ne_u32_e64 s11, 0, v14
	v_cmp_ne_u32_e64 s14, 0, v39
	;; [unrolled: 1-line block ×4, first 2 shown]
	s_bcnt1_i32_b32 s6, s6
	s_bcnt1_i32_b32 s8, s8
	;; [unrolled: 1-line block ×3, first 2 shown]
	s_wait_alu 0xfffe
	s_add_co_i32 s4, s5, s4
	v_cmp_ne_u32_e64 s15, 0, v40
	v_cmp_ne_u32_e64 s18, 0, v43
	s_bcnt1_i32_b32 s7, s7
	s_bcnt1_i32_b32 s10, s10
	;; [unrolled: 1-line block ×4, first 2 shown]
	s_add_co_i32 s5, s9, s8
	s_wait_alu 0xfffe
	s_add_co_i32 s4, s4, s6
	v_cmp_ne_u32_e64 s19, 0, v44
	s_bcnt1_i32_b32 s11, s11
	s_bcnt1_i32_b32 s14, s14
	;; [unrolled: 1-line block ×4, first 2 shown]
	s_add_co_i32 s8, s13, s12
	s_add_co_i32 s5, s5, s10
	s_wait_alu 0xfffe
	s_add_co_i32 s56, s4, s7
	s_bcnt1_i32_b32 s15, s15
	s_bcnt1_i32_b32 s18, s18
	s_add_co_i32 s9, s17, s16
	s_add_co_i32 s6, s8, s14
	s_wait_alu 0xfffe
	s_add_nc_u64 s[72:73], s[72:73], s[56:57]
	s_add_co_i32 s56, s5, s11
	s_bcnt1_i32_b32 s19, s19
	s_add_co_i32 s8, s9, s18
	s_wait_alu 0xfffe
	s_add_nc_u64 s[70:71], s[70:71], s[56:57]
	s_add_co_i32 s56, s6, s15
	v_mov_b32_e32 v7, s72
	s_wait_alu 0xfffe
	s_add_nc_u64 s[68:69], s[68:69], s[56:57]
	s_add_co_i32 s56, s8, s19
	v_mov_b32_e32 v9, s70
	s_wait_alu 0xfffe
	s_add_nc_u64 s[66:67], s[66:67], s[56:57]
	v_mov_b32_e32 v11, s68
	s_wait_alu 0xfffe
	v_dual_mov_b32 v13, s66 :: v_dual_mov_b32 v8, s73
	v_mov_b32_e32 v10, s71
	v_mov_b32_e32 v12, s69
	;; [unrolled: 1-line block ×3, first 2 shown]
	s_or_b32 s95, vcc_lo, s95
	s_wait_alu 0xfffe
	s_and_not1_b32 exec_lo, exec_lo, s95
	s_cbranch_execnz .LBB101_68
; %bb.69:                               ;   in Loop: Header=BB101_15 Depth=1
	s_or_b32 exec_lo, exec_lo, s95
.LBB101_70:                             ;   in Loop: Header=BB101_15 Depth=1
	s_delay_alu instid0(SALU_CYCLE_1)
	s_or_b32 exec_lo, exec_lo, s93
	v_add_co_u32 v3, vcc_lo, v3, v0
	s_wait_alu 0xfffd
	v_add_co_ci_u32_e64 v4, null, 0, v4, vcc_lo
	s_and_b32 s56, s64, 0x7fffffff
	s_mov_b32 s9, exec_lo
	s_wait_alu 0xfffe
	v_cmpx_gt_u64_e64 s[56:57], v[3:4]
	s_cbranch_execz .LBB101_74
; %bb.71:                               ;   in Loop: Header=BB101_15 Depth=1
	s_mul_i32 s91, s91, s65
	s_lshl_b32 s11, s65, 3
	s_wait_alu 0xfffe
	v_lshl_add_u32 v27, s91, 5, v32
	s_mov_b32 s10, 0
.LBB101_72:                             ;   Parent Loop BB101_15 Depth=1
                                        ; =>  This Inner Loop Header: Depth=2
	ds_load_b64 v[38:39], v27
	v_add_co_u32 v3, vcc_lo, v3, v29
	s_wait_alu 0xfffd
	v_add_co_ci_u32_e64 v4, null, 0, v4, vcc_lo
	v_add_nc_u32_e32 v27, s11, v27
	s_delay_alu instid0(VALU_DEP_2) | instskip(SKIP_3) | instid1(VALU_DEP_2)
	v_cmp_le_u64_e32 vcc_lo, s[56:57], v[3:4]
	s_wait_dscnt 0x0
	v_xor_b32_e32 v39, 0x80000000, v39
	v_and_b32_e32 v40, v38, v23
	v_and_b32_e32 v41, v39, v24
	v_lshrrev_b64 v[38:39], s81, v[38:39]
	s_delay_alu instid0(VALU_DEP_2) | instskip(NEXT) | instid1(VALU_DEP_2)
	v_cmp_eq_u64_e64 s4, v[40:41], v[21:22]
	v_and_b32_e32 v15, 3, v38
	s_delay_alu instid0(VALU_DEP_1)
	v_cmp_eq_u64_e64 s5, 0, v[15:16]
	v_cmp_eq_u64_e64 s6, 1, v[15:16]
	;; [unrolled: 1-line block ×4, first 2 shown]
	s_and_b32 s5, s4, s5
	s_wait_alu 0xfffe
	v_cndmask_b32_e64 v15, 0, 1, s5
	s_and_b32 s5, s4, s6
	s_wait_alu 0xfffe
	v_cndmask_b32_e64 v28, 0, 1, s5
	s_and_b32 s5, s4, s7
	s_and_b32 s4, s4, s8
	s_wait_alu 0xfffe
	v_cndmask_b32_e64 v30, 0, 1, s5
	v_cndmask_b32_e64 v38, 0, 1, s4
	v_cmp_ne_u32_e64 s4, 0, v15
	v_cmp_ne_u32_e64 s5, 0, v28
	s_delay_alu instid0(VALU_DEP_4) | instskip(NEXT) | instid1(VALU_DEP_4)
	v_cmp_ne_u32_e64 s6, 0, v30
	v_cmp_ne_u32_e64 s7, 0, v38
	s_bcnt1_i32_b32 s4, s4
	s_bcnt1_i32_b32 s5, s5
	s_wait_alu 0xfffe
	v_add_co_u32 v7, s4, v7, s4
	s_bcnt1_i32_b32 s6, s6
	v_add_co_ci_u32_e64 v8, null, 0, v8, s4
	v_add_co_u32 v9, s4, v9, s5
	s_bcnt1_i32_b32 s7, s7
	v_add_co_ci_u32_e64 v10, null, 0, v10, s4
	s_wait_alu 0xfffe
	v_add_co_u32 v11, s4, v11, s6
	s_wait_alu 0xf1ff
	v_add_co_ci_u32_e64 v12, null, 0, v12, s4
	v_add_co_u32 v13, s4, v13, s7
	s_wait_alu 0xf1ff
	v_add_co_ci_u32_e64 v14, null, 0, v14, s4
	s_or_b32 s10, vcc_lo, s10
	s_wait_alu 0xfffe
	s_and_not1_b32 exec_lo, exec_lo, s10
	s_cbranch_execnz .LBB101_72
; %bb.73:                               ;   in Loop: Header=BB101_15 Depth=1
	s_or_b32 exec_lo, exec_lo, s10
.LBB101_74:                             ;   in Loop: Header=BB101_15 Depth=1
	s_wait_alu 0xfffe
	s_or_b32 exec_lo, exec_lo, s9
	s_lshl_b32 s4, s84, 7
	s_and_saveexec_b32 s5, s1
	s_cbranch_execnz .LBB101_45
	s_branch .LBB101_46
.LBB101_75:                             ;   in Loop: Header=BB101_15 Depth=1
                                        ; implicit-def: $sgpr4_sgpr5
	s_branch .LBB101_54
.LBB101_76:                             ;   in Loop: Header=BB101_15 Depth=1
	s_mov_b32 s6, 0
	s_and_not1_b32 vcc_lo, exec_lo, s79
	s_wait_alu 0xfffe
	s_cbranch_vccnz .LBB101_79
.LBB101_77:                             ;   in Loop: Header=BB101_15 Depth=1
	s_lshl_b32 s7, s84, 10
	s_lshl_b32 s6, s6, 5
	s_wait_alu 0xfffe
	v_add3_u32 v7, s7, s6, v37
	s_mov_b32 s6, s76
.LBB101_78:                             ;   Parent Loop BB101_15 Depth=1
                                        ; =>  This Inner Loop Header: Depth=2
	ds_load_b64 v[8:9], v7
	v_add_nc_u32_e32 v7, 32, v7
	s_wait_alu 0xfffe
	s_add_co_i32 s6, s6, -1
	s_wait_alu 0xfffe
	s_cmp_lg_u32 s6, 0
	s_wait_dscnt 0x0
	v_add_co_u32 v3, vcc_lo, v8, v3
	s_wait_alu 0xfffd
	v_add_co_ci_u32_e64 v4, null, v9, v4, vcc_lo
	s_cbranch_scc1 .LBB101_78
.LBB101_79:                             ;   in Loop: Header=BB101_15 Depth=1
	v_add_lshl_u32 v7, s4, v31, 3
	ds_store_b64 v7, v[3:4] offset:3072
.LBB101_80:                             ;   in Loop: Header=BB101_15 Depth=1
	s_wait_alu 0xfffe
	s_or_b32 exec_lo, exec_lo, s5
	s_lshl_b32 s4, s4, 3
	s_wait_loadcnt_dscnt 0x0
	s_wait_alu 0xfffe
	v_mov_b32_e32 v3, s4
	s_barrier_signal -1
	s_barrier_wait -1
	global_inv scope:SCOPE_SE
	v_cmp_eq_u64_e32 vcc_lo, 1, v[25:26]
	ds_load_b128 v[7:10], v3 offset:3072
	ds_load_b128 v[11:14], v3 offset:3088
	s_lshl_b64 s[8:9], 3, s81
	s_mov_b32 s19, -1
	s_wait_alu 0xfffe
	s_not_b64 s[12:13], s[8:9]
                                        ; implicit-def: $sgpr22
                                        ; implicit-def: $sgpr21
	s_wait_dscnt 0x1
	v_cmp_eq_u64_e64 s4, 1, v[7:8]
	s_wait_dscnt 0x0
	v_readfirstlane_b32 s10, v11
	v_readfirstlane_b32 s11, v12
	;; [unrolled: 1-line block ×4, first 2 shown]
	s_and_b32 s20, s4, vcc_lo
	s_mov_b32 s4, -1
	s_wait_alu 0xfffe
	s_and_saveexec_b32 s18, s20
	s_cbranch_execz .LBB101_112
; %bb.81:                               ;   in Loop: Header=BB101_15 Depth=1
	ds_load_b64 v[3:4], v16 offset:5120
	s_wait_loadcnt_dscnt 0x0
	s_barrier_signal -1
	s_barrier_wait -1
	global_inv scope:SCOPE_SE
	v_readfirstlane_b32 s4, v3
	v_readfirstlane_b32 s5, v4
	s_and_saveexec_b32 s14, s3
; %bb.82:                               ;   in Loop: Header=BB101_15 Depth=1
	v_mov_b32_e32 v15, v16
	ds_store_b64 v33, v[15:16]
; %bb.83:                               ;   in Loop: Header=BB101_15 Depth=1
	s_wait_alu 0xfffe
	s_or_b32 exec_lo, exec_lo, s14
	v_and_b32_e32 v22, s13, v22
	v_and_b32_e32 v21, s12, v21
	v_or_b32_e32 v24, s9, v24
	v_or_b32_e32 v23, s8, v23
	s_mov_b32 s21, -1
	s_mov_b32 s22, 0
	s_cmp_eq_u64 s[4:5], 0
	s_mov_b32 s16, 0
	s_mov_b32 s17, -1
	s_wait_loadcnt_dscnt 0x0
	s_barrier_signal -1
	s_barrier_wait -1
	global_inv scope:SCOPE_SE
                                        ; implicit-def: $vgpr5_vgpr6
	s_cbranch_scc1 .LBB101_97
; %bb.84:                               ;   in Loop: Header=BB101_15 Depth=1
	s_add_nc_u64 s[14:15], s[4:5], s[58:59]
	s_mov_b32 s16, s57
	s_wait_alu 0xfffe
	s_mov_b32 s17, s15
	s_wait_alu 0xfffe
	s_cmp_lg_u64 s[16:17], 0
	s_cbranch_scc0 .LBB101_138
; %bb.85:                               ;   in Loop: Header=BB101_15 Depth=1
	s_cvt_f32_u32 s16, s54
	s_sub_nc_u64 s[64:65], 0, s[54:55]
	s_wait_alu 0xfffe
	s_delay_alu instid0(SALU_CYCLE_1) | instskip(SKIP_1) | instid1(SALU_CYCLE_2)
	s_fmamk_f32 s16, s83, 0x0, s16
	s_wait_alu 0xfffe
	v_s_rcp_f32 s16, s16
	s_delay_alu instid0(TRANS32_DEP_1) | instskip(SKIP_1) | instid1(SALU_CYCLE_2)
	s_mul_f32 s16, s16, 0x5f7ffffc
	s_wait_alu 0xfffe
	s_mul_f32 s17, s16, 0x2f800000
	s_wait_alu 0xfffe
	s_delay_alu instid0(SALU_CYCLE_2) | instskip(SKIP_1) | instid1(SALU_CYCLE_2)
	s_trunc_f32 s17, s17
	s_wait_alu 0xfffe
	s_fmamk_f32 s16, s17, 0xcf800000, s16
	s_cvt_u32_f32 s17, s17
	s_wait_alu 0xfffe
	s_delay_alu instid0(SALU_CYCLE_1) | instskip(SKIP_1) | instid1(SALU_CYCLE_2)
	s_cvt_u32_f32 s16, s16
	s_wait_alu 0xfffe
	s_mul_u64 s[66:67], s[64:65], s[16:17]
	s_wait_alu 0xfffe
	s_mul_hi_u32 s69, s16, s67
	s_mul_i32 s68, s16, s67
	s_mul_hi_u32 s56, s16, s66
	s_mul_i32 s70, s17, s66
	s_wait_alu 0xfffe
	s_add_nc_u64 s[68:69], s[56:57], s[68:69]
	s_mul_hi_u32 s23, s17, s66
	s_mul_hi_u32 s71, s17, s67
	s_wait_alu 0xfffe
	s_add_co_u32 s56, s68, s70
	s_add_co_ci_u32 s56, s69, s23
	s_mul_i32 s66, s17, s67
	s_add_co_ci_u32 s67, s71, 0
	s_wait_alu 0xfffe
	s_add_nc_u64 s[66:67], s[56:57], s[66:67]
	s_wait_alu 0xfffe
	s_add_co_u32 s16, s16, s66
	s_cselect_b32 s23, -1, 0
	s_wait_alu 0xfffe
	s_cmp_lg_u32 s23, 0
	s_add_co_ci_u32 s17, s17, s67
	s_wait_alu 0xfffe
	s_mul_u64 s[64:65], s[64:65], s[16:17]
	s_delay_alu instid0(SALU_CYCLE_1)
	s_mul_hi_u32 s67, s16, s65
	s_mul_i32 s66, s16, s65
	s_mul_hi_u32 s56, s16, s64
	s_mul_i32 s68, s17, s64
	s_wait_alu 0xfffe
	s_add_nc_u64 s[66:67], s[56:57], s[66:67]
	s_mul_hi_u32 s23, s17, s64
	s_mul_hi_u32 s69, s17, s65
	s_wait_alu 0xfffe
	s_add_co_u32 s56, s66, s68
	s_add_co_ci_u32 s56, s67, s23
	s_mul_i32 s64, s17, s65
	s_add_co_ci_u32 s65, s69, 0
	s_wait_alu 0xfffe
	s_add_nc_u64 s[64:65], s[56:57], s[64:65]
	s_delay_alu instid0(SALU_CYCLE_1)
	s_add_co_u32 s16, s16, s64
	s_cselect_b32 s23, -1, 0
	s_wait_alu 0xfffe
	s_mul_hi_u32 s56, s14, s16
	s_cmp_lg_u32 s23, 0
	s_mul_hi_u32 s23, s15, s16
	s_add_co_ci_u32 s64, s17, s65
	s_mul_i32 s65, s15, s16
	s_mul_hi_u32 s17, s14, s64
	s_mul_i32 s16, s14, s64
	s_mul_hi_u32 s66, s15, s64
	s_wait_alu 0xfffe
	s_add_nc_u64 s[16:17], s[56:57], s[16:17]
	s_mul_i32 s64, s15, s64
	s_wait_alu 0xfffe
	s_add_co_u32 s16, s16, s65
	s_add_co_ci_u32 s56, s17, s23
	s_add_co_ci_u32 s65, s66, 0
	s_wait_alu 0xfffe
	s_add_nc_u64 s[16:17], s[56:57], s[64:65]
	s_wait_alu 0xfffe
	s_mul_u64 s[16:17], s[54:55], s[16:17]
	s_wait_alu 0xfffe
	s_sub_co_u32 s16, s14, s16
	s_cselect_b32 s23, -1, 0
	s_wait_alu 0xfffe
	s_cmp_lg_u32 s23, 0
	s_sub_co_ci_u32 s17, s15, s17
	s_sub_co_u32 s23, s16, s54
	s_cselect_b32 s56, -1, 0
	s_wait_alu 0xfffe
	s_cmp_lg_u32 s56, 0
	s_sub_co_ci_u32 s56, s17, 0
	s_sub_co_u32 s64, s23, s54
	s_cselect_b32 s65, -1, 0
	s_delay_alu instid0(SALU_CYCLE_1)
	s_cmp_lg_u32 s65, 0
	s_wait_alu 0xfffe
	s_sub_co_ci_u32 s65, s56, 0
	s_cmp_ge_u32 s23, s54
	s_cselect_b32 s66, -1, 0
	s_cmp_eq_u32 s56, 0
	s_wait_alu 0xfffe
	s_cselect_b32 s66, s66, -1
	s_wait_alu 0xfffe
	s_cmp_lg_u32 s66, 0
	s_cselect_b32 s56, s65, s56
	s_cselect_b32 s23, s64, s23
	s_cmp_ge_u32 s16, s54
	s_cselect_b32 s64, -1, 0
	s_cmp_eq_u32 s17, 0
	s_cselect_b32 s64, s64, -1
	s_delay_alu instid0(SALU_CYCLE_1)
	s_cmp_lg_u32 s64, 0
	s_wait_alu 0xfffe
	s_cselect_b32 s17, s56, s17
	s_cselect_b32 s16, s23, s16
	s_cbranch_execnz .LBB101_87
.LBB101_86:                             ;   in Loop: Header=BB101_15 Depth=1
	v_cvt_f32_u32_e32 v3, s54
	s_sub_co_i32 s17, 0, s54
	s_delay_alu instid0(VALU_DEP_1) | instskip(NEXT) | instid1(TRANS32_DEP_1)
	v_rcp_iflag_f32_e32 v3, v3
	v_mul_f32_e32 v3, 0x4f7ffffe, v3
	s_delay_alu instid0(VALU_DEP_1) | instskip(NEXT) | instid1(VALU_DEP_1)
	v_cvt_u32_f32_e32 v3, v3
	v_readfirstlane_b32 s16, v3
	s_wait_alu 0xfffe
	s_mul_i32 s17, s17, s16
	s_wait_alu 0xfffe
	s_mul_hi_u32 s17, s16, s17
	s_wait_alu 0xfffe
	s_add_co_i32 s16, s16, s17
	s_wait_alu 0xfffe
	s_mul_hi_u32 s16, s14, s16
	s_wait_alu 0xfffe
	s_mul_i32 s16, s16, s54
	s_wait_alu 0xfffe
	s_sub_co_i32 s16, s14, s16
	s_wait_alu 0xfffe
	s_sub_co_i32 s17, s16, s54
	s_cmp_ge_u32 s16, s54
	s_wait_alu 0xfffe
	s_cselect_b32 s16, s17, s16
	s_wait_alu 0xfffe
	s_sub_co_i32 s17, s16, s54
	s_cmp_ge_u32 s16, s54
	s_wait_alu 0xfffe
	s_cselect_b32 s56, s17, s16
	s_wait_alu 0xfffe
	s_mov_b64 s[16:17], s[56:57]
.LBB101_87:                             ;   in Loop: Header=BB101_15 Depth=1
	s_wait_alu 0xfffe
	s_sub_nc_u64 s[14:15], s[14:15], s[16:17]
	s_mov_b32 s17, 0
	s_mov_b32 s16, 0
	s_mov_b32 s23, exec_lo
                                        ; implicit-def: $vgpr5_vgpr6
	s_wait_alu 0xfffe
	v_cmpx_gt_u64_e64 s[14:15], v[0:1]
	s_cbranch_execz .LBB101_96
; %bb.88:                               ;   in Loop: Header=BB101_15 Depth=1
	v_dual_mov_b32 v13, v32 :: v_dual_mov_b32 v12, v1
	v_mov_b32_e32 v11, v0
                                        ; implicit-def: $sgpr56
	s_branch .LBB101_91
.LBB101_89:                             ;   in Loop: Header=BB101_91 Depth=2
	s_or_b32 exec_lo, exec_lo, s64
	s_wait_loadcnt_dscnt 0x0
	s_barrier_signal -1
	s_barrier_wait -1
	global_inv scope:SCOPE_SE
	ds_load_b128 v[3:6], v16 offset:3072
	s_mov_b32 s64, -1
	s_mov_b32 s65, -1
	s_wait_loadcnt_dscnt 0x0
	s_barrier_signal -1
	s_barrier_wait -1
	global_inv scope:SCOPE_SE
	v_cmp_ne_u64_e32 vcc_lo, 0, v[3:4]
	s_cbranch_vccz .LBB101_94
.LBB101_90:                             ;   in Loop: Header=BB101_91 Depth=2
	s_and_b32 s64, exec_lo, s64
	s_wait_alu 0xfffe
	s_or_b32 s16, s64, s16
	s_and_not1_b32 s56, s56, exec_lo
	s_and_b32 s64, s65, exec_lo
	s_wait_alu 0xfffe
	s_or_b32 s56, s56, s64
	s_and_not1_b32 exec_lo, exec_lo, s16
	s_cbranch_execz .LBB101_95
.LBB101_91:                             ;   Parent Loop BB101_15 Depth=1
                                        ; =>  This Inner Loop Header: Depth=2
	s_mov_b32 s64, exec_lo
	s_delay_alu instid0(VALU_DEP_1)
	v_cmpx_gt_u64_e64 s[4:5], v[11:12]
	s_cbranch_execz .LBB101_89
; %bb.92:                               ;   in Loop: Header=BB101_91 Depth=2
	ds_load_b64 v[4:5], v13
	s_wait_dscnt 0x0
	v_xor_b32_e32 v3, 0x80000000, v5
	v_and_b32_e32 v14, v4, v23
	s_delay_alu instid0(VALU_DEP_2) | instskip(NEXT) | instid1(VALU_DEP_1)
	v_and_b32_e32 v15, v3, v24
	v_cmp_eq_u64_e32 vcc_lo, v[14:15], v[21:22]
	s_and_b32 exec_lo, exec_lo, vcc_lo
	s_cbranch_execz .LBB101_89
; %bb.93:                               ;   in Loop: Header=BB101_91 Depth=2
	v_mov_b32_e32 v3, v16
	ds_store_b128 v16, v[2:5] offset:3072
	s_branch .LBB101_89
.LBB101_94:                             ;   in Loop: Header=BB101_91 Depth=2
	v_add_co_u32 v11, vcc_lo, v11, s54
	s_wait_alu 0xfffd
	v_add_co_ci_u32_e64 v12, null, 0, v12, vcc_lo
	v_add_nc_u32_e32 v13, s80, v13
	s_mov_b32 s65, 0
	s_delay_alu instid0(VALU_DEP_2)
	v_cmp_le_u64_e32 vcc_lo, s[14:15], v[11:12]
	s_or_not1_b32 s64, vcc_lo, exec_lo
	s_branch .LBB101_90
.LBB101_95:                             ;   in Loop: Header=BB101_15 Depth=1
	s_or_b32 exec_lo, exec_lo, s16
	s_wait_alu 0xfffe
	s_and_b32 s16, s56, exec_lo
.LBB101_96:                             ;   in Loop: Header=BB101_15 Depth=1
	s_wait_alu 0xfffe
	s_or_b32 exec_lo, exec_lo, s23
.LBB101_97:                             ;   in Loop: Header=BB101_15 Depth=1
	s_wait_alu 0xfffe
	s_and_b32 vcc_lo, exec_lo, s17
	s_wait_alu 0xfffe
	s_cbranch_vccz .LBB101_111
; %bb.98:                               ;   in Loop: Header=BB101_15 Depth=1
	s_mov_b32 s4, s57
	s_mov_b32 s5, s61
	s_wait_alu 0xfffe
	s_cmp_lg_u64 s[4:5], 0
	s_cbranch_scc0 .LBB101_142
; %bb.99:                               ;   in Loop: Header=BB101_15 Depth=1
	s_cvt_f32_u32 s4, s54
	s_sub_nc_u64 s[14:15], 0, s[54:55]
	s_wait_alu 0xfffe
	s_delay_alu instid0(SALU_CYCLE_1) | instskip(SKIP_1) | instid1(SALU_CYCLE_2)
	s_fmamk_f32 s4, s83, 0x0, s4
	s_wait_alu 0xfffe
	v_s_rcp_f32 s4, s4
	s_delay_alu instid0(TRANS32_DEP_1) | instskip(SKIP_1) | instid1(SALU_CYCLE_2)
	s_mul_f32 s4, s4, 0x5f7ffffc
	s_wait_alu 0xfffe
	s_mul_f32 s5, s4, 0x2f800000
	s_wait_alu 0xfffe
	s_delay_alu instid0(SALU_CYCLE_2) | instskip(SKIP_1) | instid1(SALU_CYCLE_2)
	s_trunc_f32 s5, s5
	s_wait_alu 0xfffe
	s_fmamk_f32 s4, s5, 0xcf800000, s4
	s_cvt_u32_f32 s5, s5
	s_wait_alu 0xfffe
	s_delay_alu instid0(SALU_CYCLE_1) | instskip(SKIP_1) | instid1(SALU_CYCLE_2)
	s_cvt_u32_f32 s4, s4
	s_wait_alu 0xfffe
	s_mul_u64 s[22:23], s[14:15], s[4:5]
	s_wait_alu 0xfffe
	s_mul_hi_u32 s65, s4, s23
	s_mul_i32 s64, s4, s23
	s_mul_hi_u32 s56, s4, s22
	s_mul_i32 s21, s5, s22
	s_wait_alu 0xfffe
	s_add_nc_u64 s[64:65], s[56:57], s[64:65]
	s_mul_hi_u32 s17, s5, s22
	s_mul_hi_u32 s66, s5, s23
	s_add_co_u32 s21, s64, s21
	s_wait_alu 0xfffe
	s_add_co_ci_u32 s56, s65, s17
	s_mul_i32 s22, s5, s23
	s_add_co_ci_u32 s23, s66, 0
	s_wait_alu 0xfffe
	s_add_nc_u64 s[22:23], s[56:57], s[22:23]
	s_wait_alu 0xfffe
	s_add_co_u32 s4, s4, s22
	s_cselect_b32 s17, -1, 0
	s_wait_alu 0xfffe
	s_cmp_lg_u32 s17, 0
	s_add_co_ci_u32 s5, s5, s23
	s_wait_alu 0xfffe
	s_mul_u64 s[14:15], s[14:15], s[4:5]
	s_wait_alu 0xfffe
	s_mul_hi_u32 s23, s4, s15
	s_mul_i32 s22, s4, s15
	s_mul_hi_u32 s56, s4, s14
	s_mul_i32 s21, s5, s14
	s_wait_alu 0xfffe
	s_add_nc_u64 s[22:23], s[56:57], s[22:23]
	s_mul_hi_u32 s17, s5, s14
	s_mul_hi_u32 s64, s5, s15
	s_mul_i32 s14, s5, s15
	s_wait_alu 0xfffe
	s_add_co_u32 s15, s22, s21
	s_add_co_ci_u32 s56, s23, s17
	s_add_co_ci_u32 s15, s64, 0
	s_wait_alu 0xfffe
	s_add_nc_u64 s[14:15], s[56:57], s[14:15]
	s_wait_alu 0xfffe
	s_add_co_u32 s4, s4, s14
	s_cselect_b32 s14, -1, 0
	s_wait_alu 0xfffe
	s_mul_hi_u32 s56, s60, s4
	s_cmp_lg_u32 s14, 0
	s_mul_hi_u32 s17, s61, s4
	s_add_co_ci_u32 s14, s5, s15
	s_mul_i32 s15, s61, s4
	s_wait_alu 0xfffe
	s_mul_hi_u32 s5, s60, s14
	s_mul_i32 s4, s60, s14
	s_mul_hi_u32 s21, s61, s14
	s_wait_alu 0xfffe
	s_add_nc_u64 s[4:5], s[56:57], s[4:5]
	s_mul_i32 s14, s61, s14
	s_wait_alu 0xfffe
	s_add_co_u32 s4, s4, s15
	s_add_co_ci_u32 s56, s5, s17
	s_add_co_ci_u32 s15, s21, 0
	s_wait_alu 0xfffe
	s_add_nc_u64 s[4:5], s[56:57], s[14:15]
	s_wait_alu 0xfffe
	s_mul_u64 s[4:5], s[54:55], s[4:5]
	s_wait_alu 0xfffe
	s_sub_co_u32 s4, s60, s4
	s_cselect_b32 s14, -1, 0
	s_wait_alu 0xfffe
	s_cmp_lg_u32 s14, 0
	s_sub_co_ci_u32 s5, s61, s5
	s_sub_co_u32 s14, s4, s54
	s_cselect_b32 s15, -1, 0
	s_wait_alu 0xfffe
	s_cmp_lg_u32 s15, 0
	s_sub_co_ci_u32 s15, s5, 0
	;; [unrolled: 5-line block ×3, first 2 shown]
	s_cmp_ge_u32 s14, s54
	s_cselect_b32 s22, -1, 0
	s_cmp_eq_u32 s15, 0
	s_wait_alu 0xfffe
	s_cselect_b32 s22, s22, -1
	s_wait_alu 0xfffe
	s_cmp_lg_u32 s22, 0
	s_cselect_b32 s15, s21, s15
	s_cselect_b32 s14, s17, s14
	s_cmp_ge_u32 s4, s54
	s_cselect_b32 s17, -1, 0
	s_cmp_eq_u32 s5, 0
	s_wait_alu 0xfffe
	s_cselect_b32 s17, s17, -1
	s_wait_alu 0xfffe
	s_cmp_lg_u32 s17, 0
	s_cselect_b32 s5, s15, s5
	s_cselect_b32 s4, s14, s4
	s_cbranch_execnz .LBB101_101
.LBB101_100:                            ;   in Loop: Header=BB101_15 Depth=1
	v_cvt_f32_u32_e32 v3, s54
	s_sub_co_i32 s5, 0, s54
	s_delay_alu instid0(VALU_DEP_1) | instskip(NEXT) | instid1(TRANS32_DEP_1)
	v_rcp_iflag_f32_e32 v3, v3
	v_mul_f32_e32 v3, 0x4f7ffffe, v3
	s_delay_alu instid0(VALU_DEP_1) | instskip(NEXT) | instid1(VALU_DEP_1)
	v_cvt_u32_f32_e32 v3, v3
	v_readfirstlane_b32 s4, v3
	s_wait_alu 0xfffe
	s_mul_i32 s5, s5, s4
	s_wait_alu 0xfffe
	s_mul_hi_u32 s5, s4, s5
	s_wait_alu 0xfffe
	s_add_co_i32 s4, s4, s5
	s_wait_alu 0xfffe
	s_mul_hi_u32 s4, s60, s4
	s_wait_alu 0xfffe
	s_mul_i32 s4, s4, s54
	s_wait_alu 0xfffe
	s_sub_co_i32 s4, s60, s4
	s_wait_alu 0xfffe
	s_sub_co_i32 s5, s4, s54
	s_cmp_ge_u32 s4, s54
	s_wait_alu 0xfffe
	s_cselect_b32 s4, s5, s4
	s_wait_alu 0xfffe
	s_sub_co_i32 s5, s4, s54
	s_cmp_ge_u32 s4, s54
	s_wait_alu 0xfffe
	s_cselect_b32 s56, s5, s4
	s_wait_alu 0xfffe
	s_mov_b64 s[4:5], s[56:57]
.LBB101_101:                            ;   in Loop: Header=BB101_15 Depth=1
	s_wait_alu 0xfffe
	s_sub_nc_u64 s[4:5], s[60:61], s[4:5]
	s_mov_b32 s14, exec_lo
                                        ; implicit-def: $vgpr5_vgpr6
	s_wait_alu 0xfffe
	v_cmpx_gt_u64_e64 s[4:5], v[0:1]
	s_cbranch_execz .LBB101_110
; %bb.102:                              ;   in Loop: Header=BB101_15 Depth=1
	v_dual_mov_b32 v12, v1 :: v_dual_mov_b32 v11, v0
	s_mov_b32 s17, 0
                                        ; implicit-def: $sgpr15
	s_branch .LBB101_105
.LBB101_103:                            ;   in Loop: Header=BB101_105 Depth=2
	s_wait_alu 0xfffe
	s_or_b32 exec_lo, exec_lo, s21
	s_wait_loadcnt_dscnt 0x0
	s_barrier_signal -1
	s_barrier_wait -1
	global_inv scope:SCOPE_SE
	ds_load_b128 v[3:6], v16 offset:3072
	s_mov_b32 s22, -1
	s_mov_b32 s21, -1
	s_wait_loadcnt_dscnt 0x0
	s_barrier_signal -1
	s_barrier_wait -1
	global_inv scope:SCOPE_SE
	v_cmp_ne_u64_e32 vcc_lo, 0, v[3:4]
	s_cbranch_vccz .LBB101_108
.LBB101_104:                            ;   in Loop: Header=BB101_105 Depth=2
	s_wait_alu 0xfffe
	s_and_b32 s22, exec_lo, s22
	s_wait_alu 0xfffe
	s_or_b32 s17, s22, s17
	s_and_not1_b32 s15, s15, exec_lo
	s_and_b32 s21, s21, exec_lo
	s_wait_alu 0xfffe
	s_or_b32 s15, s15, s21
	s_and_not1_b32 exec_lo, exec_lo, s17
	s_cbranch_execz .LBB101_109
.LBB101_105:                            ;   Parent Loop BB101_15 Depth=1
                                        ; =>  This Inner Loop Header: Depth=2
	s_mov_b32 s21, exec_lo
	s_delay_alu instid0(VALU_DEP_1)
	v_cmpx_gt_u64_e64 s[24:25], v[11:12]
	s_cbranch_execz .LBB101_103
; %bb.106:                              ;   in Loop: Header=BB101_105 Depth=2
	v_mul_lo_u32 v5, v12, s42
	v_mul_lo_u32 v6, v11, s43
	v_mad_co_u64_u32 v[3:4], null, v11, s42, 0
	s_delay_alu instid0(VALU_DEP_1) | instskip(NEXT) | instid1(VALU_DEP_1)
	v_add3_u32 v4, v4, v6, v5
	v_lshlrev_b64_e32 v[3:4], 3, v[3:4]
	s_delay_alu instid0(VALU_DEP_1) | instskip(SKIP_1) | instid1(VALU_DEP_2)
	v_add_co_u32 v3, vcc_lo, s50, v3
	s_wait_alu 0xfffd
	v_add_co_ci_u32_e64 v4, null, s51, v4, vcc_lo
	global_load_b64 v[4:5], v[3:4], off
	s_wait_loadcnt 0x0
	v_xor_b32_e32 v3, 0x80000000, v5
	v_and_b32_e32 v13, v4, v23
	s_delay_alu instid0(VALU_DEP_2) | instskip(NEXT) | instid1(VALU_DEP_1)
	v_and_b32_e32 v14, v3, v24
	v_cmp_eq_u64_e32 vcc_lo, v[13:14], v[21:22]
	s_and_b32 exec_lo, exec_lo, vcc_lo
	s_cbranch_execz .LBB101_103
; %bb.107:                              ;   in Loop: Header=BB101_105 Depth=2
	v_mov_b32_e32 v3, v16
	ds_store_b128 v16, v[2:5] offset:3072
	s_branch .LBB101_103
.LBB101_108:                            ;   in Loop: Header=BB101_105 Depth=2
	v_add_co_u32 v11, vcc_lo, v11, s54
	s_wait_alu 0xfffd
	v_add_co_ci_u32_e64 v12, null, 0, v12, vcc_lo
	s_mov_b32 s21, 0
	v_cmp_le_u64_e32 vcc_lo, s[4:5], v[11:12]
	s_or_not1_b32 s22, vcc_lo, exec_lo
	s_branch .LBB101_104
.LBB101_109:                            ;   in Loop: Header=BB101_15 Depth=1
	s_or_b32 exec_lo, exec_lo, s17
	s_delay_alu instid0(SALU_CYCLE_1)
	s_and_not1_b32 s4, s16, exec_lo
	s_wait_alu 0xfffe
	s_and_b32 s5, s15, exec_lo
	s_wait_alu 0xfffe
	s_or_b32 s16, s4, s5
.LBB101_110:                            ;   in Loop: Header=BB101_15 Depth=1
	s_or_b32 exec_lo, exec_lo, s14
	s_mov_b32 s21, 0
	s_mov_b32 s22, -1
.LBB101_111:                            ;   in Loop: Header=BB101_15 Depth=1
	s_wait_alu 0xfffe
	s_or_not1_b32 s4, s16, exec_lo
.LBB101_112:                            ;   in Loop: Header=BB101_15 Depth=1
	s_wait_alu 0xfffe
	s_or_b32 exec_lo, exec_lo, s18
	s_delay_alu instid0(SALU_CYCLE_1)
	s_and_not1_b32 s5, s89, exec_lo
	s_and_b32 s14, s22, exec_lo
	s_and_not1_b32 s15, s87, exec_lo
	s_and_b32 s16, s21, exec_lo
	s_and_not1_b32 s86, s86, exec_lo
	s_wait_alu 0xfffe
	s_or_b32 s89, s5, s14
	s_or_b32 s87, s15, s16
                                        ; implicit-def: $vgpr11_vgpr12
	s_and_saveexec_b32 s18, s4
	s_cbranch_execz .LBB101_14
; %bb.113:                              ;   in Loop: Header=BB101_15 Depth=1
	v_mov_b32_e32 v11, 1
	v_dual_mov_b32 v12, 0 :: v_dual_mov_b32 v13, 1
	s_xor_b32 s14, s20, -1
	s_mov_b32 s5, 0
	s_wait_alu 0xfffe
	s_and_saveexec_b32 s4, s14
	s_cbranch_execz .LBB101_122
; %bb.114:                              ;   in Loop: Header=BB101_15 Depth=1
	s_mov_b32 s5, exec_lo
	v_cmpx_le_u64_e64 v[25:26], v[7:8]
	s_wait_alu 0xfffe
	s_xor_b32 s5, exec_lo, s5
	s_cbranch_execz .LBB101_119
; %bb.115:                              ;   in Loop: Header=BB101_15 Depth=1
	ds_load_b64 v[3:4], v16 offset:5120
	v_and_b32_e32 v22, s13, v22
	v_and_b32_e32 v21, s12, v21
	v_or_b32_e32 v24, s9, v24
	v_or_b32_e32 v23, s8, v23
	s_wait_dscnt 0x0
	v_cmp_ne_u64_e32 vcc_lo, 0, v[3:4]
	s_cbranch_vccnz .LBB101_119
; %bb.116:                              ;   in Loop: Header=BB101_15 Depth=1
	s_and_saveexec_b32 s14, s2
; %bb.117:                              ;   in Loop: Header=BB101_15 Depth=1
	ds_store_b64 v16, v[7:8] offset:5128
; %bb.118:                              ;   in Loop: Header=BB101_15 Depth=1
	s_wait_alu 0xfffe
	s_or_b32 exec_lo, exec_lo, s14
	s_wait_loadcnt_dscnt 0x0
	s_barrier_signal -1
	s_barrier_wait -1
	global_inv scope:SCOPE_SE
.LBB101_119:                            ;   in Loop: Header=BB101_15 Depth=1
	s_wait_alu 0xfffe
	s_or_saveexec_b32 s5, s5
	v_mov_b32_e32 v13, 8
	s_mov_b32 s14, 0
	s_wait_alu 0xfffe
	s_xor_b32 exec_lo, exec_lo, s5
; %bb.120:                              ;   in Loop: Header=BB101_15 Depth=1
	v_sub_co_u32 v25, vcc_lo, v25, v7
	s_wait_alu 0xfffd
	v_sub_co_ci_u32_e64 v26, null, v26, v8, vcc_lo
	v_mov_b32_e32 v13, 0
	s_mov_b32 s14, exec_lo
; %bb.121:                              ;   in Loop: Header=BB101_15 Depth=1
	s_or_b32 exec_lo, exec_lo, s5
	s_delay_alu instid0(VALU_DEP_2)
	v_dual_mov_b32 v11, v25 :: v_dual_mov_b32 v12, v26
	s_wait_alu 0xfffe
	s_and_b32 s5, s14, exec_lo
.LBB101_122:                            ;   in Loop: Header=BB101_15 Depth=1
	s_wait_alu 0xfffe
	s_or_b32 exec_lo, exec_lo, s4
	s_mov_b32 s19, -1
	s_mov_b32 s4, -1
                                        ; implicit-def: $sgpr21
                                        ; implicit-def: $sgpr22
	s_and_saveexec_b32 s14, s5
	s_wait_alu 0xfffe
	s_xor_b32 s20, exec_lo, s14
	s_cbranch_execz .LBB101_267
; %bb.123:                              ;   in Loop: Header=BB101_15 Depth=1
	v_cmp_eq_u64_e32 vcc_lo, 1, v[9:10]
	v_cmp_eq_u64_e64 s4, 1, v[11:12]
                                        ; implicit-def: $sgpr22
                                        ; implicit-def: $sgpr21
	s_and_b32 s64, vcc_lo, s4
	s_mov_b32 s4, -1
	s_and_saveexec_b32 s23, s64
	s_cbranch_execz .LBB101_160
; %bb.124:                              ;   in Loop: Header=BB101_15 Depth=1
	ds_load_b64 v[3:4], v16 offset:5120
	s_wait_loadcnt_dscnt 0x0
	s_barrier_signal -1
	s_barrier_wait -1
	global_inv scope:SCOPE_SE
	v_readfirstlane_b32 s4, v3
	v_readfirstlane_b32 s5, v4
	s_and_saveexec_b32 s14, s3
; %bb.125:                              ;   in Loop: Header=BB101_15 Depth=1
	v_mov_b32_e32 v15, v16
	ds_store_b64 v33, v[15:16]
; %bb.126:                              ;   in Loop: Header=BB101_15 Depth=1
	s_wait_alu 0xfffe
	s_or_b32 exec_lo, exec_lo, s14
	v_and_b32_e32 v3, s13, v22
	v_and_b32_e32 v4, s12, v21
	s_lshl_b64 s[14:15], 1, s81
	v_or_b32_e32 v24, s9, v24
	v_or_b32_e32 v23, s8, v23
	s_wait_alu 0xfffe
	v_or_b32_e32 v22, s15, v3
	v_or_b32_e32 v21, s14, v4
	s_mov_b32 s21, -1
	s_mov_b32 s22, 0
	s_cmp_eq_u64 s[4:5], 0
	s_mov_b32 s16, 0
	s_mov_b32 s17, -1
	s_wait_loadcnt_dscnt 0x0
	s_barrier_signal -1
	s_barrier_wait -1
	global_inv scope:SCOPE_SE
                                        ; implicit-def: $vgpr5_vgpr6
	s_cbranch_scc1 .LBB101_145
; %bb.127:                              ;   in Loop: Header=BB101_15 Depth=1
	s_add_nc_u64 s[14:15], s[4:5], s[58:59]
	s_mov_b32 s16, s57
	s_wait_alu 0xfffe
	s_mov_b32 s17, s15
	s_wait_alu 0xfffe
	s_cmp_lg_u64 s[16:17], 0
	s_cbranch_scc0 .LBB101_187
; %bb.128:                              ;   in Loop: Header=BB101_15 Depth=1
	s_cvt_f32_u32 s16, s54
	s_sub_nc_u64 s[66:67], 0, s[54:55]
	s_wait_alu 0xfffe
	s_delay_alu instid0(SALU_CYCLE_1) | instskip(SKIP_1) | instid1(SALU_CYCLE_2)
	s_fmamk_f32 s16, s83, 0x0, s16
	s_wait_alu 0xfffe
	v_s_rcp_f32 s16, s16
	s_delay_alu instid0(TRANS32_DEP_1) | instskip(SKIP_1) | instid1(SALU_CYCLE_2)
	s_mul_f32 s16, s16, 0x5f7ffffc
	s_wait_alu 0xfffe
	s_mul_f32 s17, s16, 0x2f800000
	s_wait_alu 0xfffe
	s_delay_alu instid0(SALU_CYCLE_2) | instskip(SKIP_1) | instid1(SALU_CYCLE_2)
	s_trunc_f32 s17, s17
	s_wait_alu 0xfffe
	s_fmamk_f32 s16, s17, 0xcf800000, s16
	s_cvt_u32_f32 s17, s17
	s_wait_alu 0xfffe
	s_delay_alu instid0(SALU_CYCLE_1) | instskip(SKIP_1) | instid1(SALU_CYCLE_2)
	s_cvt_u32_f32 s16, s16
	s_wait_alu 0xfffe
	s_mul_u64 s[68:69], s[66:67], s[16:17]
	s_wait_alu 0xfffe
	s_mul_hi_u32 s71, s16, s69
	s_mul_i32 s70, s16, s69
	s_mul_hi_u32 s56, s16, s68
	s_mul_i32 s72, s17, s68
	s_wait_alu 0xfffe
	s_add_nc_u64 s[70:71], s[56:57], s[70:71]
	s_mul_hi_u32 s65, s17, s68
	s_mul_hi_u32 s73, s17, s69
	s_wait_alu 0xfffe
	s_add_co_u32 s56, s70, s72
	s_add_co_ci_u32 s56, s71, s65
	s_mul_i32 s68, s17, s69
	s_add_co_ci_u32 s69, s73, 0
	s_wait_alu 0xfffe
	s_add_nc_u64 s[68:69], s[56:57], s[68:69]
	s_wait_alu 0xfffe
	s_add_co_u32 s16, s16, s68
	s_cselect_b32 s56, -1, 0
	s_wait_alu 0xfffe
	s_cmp_lg_u32 s56, 0
	s_add_co_ci_u32 s17, s17, s69
	s_wait_alu 0xfffe
	s_mul_u64 s[66:67], s[66:67], s[16:17]
	s_wait_alu 0xfffe
	s_mul_hi_u32 s69, s16, s67
	s_mul_i32 s68, s16, s67
	s_mul_hi_u32 s56, s16, s66
	s_mul_i32 s70, s17, s66
	s_wait_alu 0xfffe
	s_add_nc_u64 s[68:69], s[56:57], s[68:69]
	s_mul_hi_u32 s65, s17, s66
	s_mul_hi_u32 s71, s17, s67
	s_wait_alu 0xfffe
	s_add_co_u32 s56, s68, s70
	s_add_co_ci_u32 s56, s69, s65
	s_mul_i32 s66, s17, s67
	s_add_co_ci_u32 s67, s71, 0
	s_wait_alu 0xfffe
	s_add_nc_u64 s[66:67], s[56:57], s[66:67]
	s_wait_alu 0xfffe
	s_add_co_u32 s16, s16, s66
	s_cselect_b32 s65, -1, 0
	s_wait_alu 0xfffe
	s_mul_hi_u32 s56, s14, s16
	s_cmp_lg_u32 s65, 0
	s_mul_hi_u32 s65, s15, s16
	s_add_co_ci_u32 s66, s17, s67
	s_mul_i32 s67, s15, s16
	s_wait_alu 0xfffe
	s_mul_hi_u32 s17, s14, s66
	s_mul_i32 s16, s14, s66
	s_mul_hi_u32 s68, s15, s66
	s_wait_alu 0xfffe
	s_add_nc_u64 s[16:17], s[56:57], s[16:17]
	s_mul_i32 s66, s15, s66
	s_wait_alu 0xfffe
	s_add_co_u32 s16, s16, s67
	s_add_co_ci_u32 s56, s17, s65
	s_add_co_ci_u32 s67, s68, 0
	s_wait_alu 0xfffe
	s_add_nc_u64 s[16:17], s[56:57], s[66:67]
	s_wait_alu 0xfffe
	s_mul_u64 s[16:17], s[54:55], s[16:17]
	s_wait_alu 0xfffe
	s_sub_co_u32 s16, s14, s16
	s_cselect_b32 s56, -1, 0
	s_wait_alu 0xfffe
	s_cmp_lg_u32 s56, 0
	s_sub_co_ci_u32 s17, s15, s17
	s_sub_co_u32 s56, s16, s54
	s_cselect_b32 s65, -1, 0
	s_delay_alu instid0(SALU_CYCLE_1)
	s_cmp_lg_u32 s65, 0
	s_wait_alu 0xfffe
	s_sub_co_ci_u32 s65, s17, 0
	s_sub_co_u32 s66, s56, s54
	s_cselect_b32 s67, -1, 0
	s_wait_alu 0xfffe
	s_cmp_lg_u32 s67, 0
	s_sub_co_ci_u32 s67, s65, 0
	s_cmp_ge_u32 s56, s54
	s_cselect_b32 s68, -1, 0
	s_cmp_eq_u32 s65, 0
	s_wait_alu 0xfffe
	s_cselect_b32 s68, s68, -1
	s_wait_alu 0xfffe
	s_cmp_lg_u32 s68, 0
	s_cselect_b32 s65, s67, s65
	s_cselect_b32 s56, s66, s56
	s_cmp_ge_u32 s16, s54
	s_cselect_b32 s66, -1, 0
	s_cmp_eq_u32 s17, 0
	s_wait_alu 0xfffe
	s_cselect_b32 s66, s66, -1
	s_wait_alu 0xfffe
	s_cmp_lg_u32 s66, 0
	s_cselect_b32 s17, s65, s17
	s_cselect_b32 s16, s56, s16
	s_cbranch_execnz .LBB101_130
.LBB101_129:                            ;   in Loop: Header=BB101_15 Depth=1
	v_cvt_f32_u32_e32 v3, s54
	s_sub_co_i32 s17, 0, s54
	s_delay_alu instid0(VALU_DEP_1) | instskip(NEXT) | instid1(TRANS32_DEP_1)
	v_rcp_iflag_f32_e32 v3, v3
	v_mul_f32_e32 v3, 0x4f7ffffe, v3
	s_delay_alu instid0(VALU_DEP_1) | instskip(NEXT) | instid1(VALU_DEP_1)
	v_cvt_u32_f32_e32 v3, v3
	v_readfirstlane_b32 s16, v3
	s_wait_alu 0xfffe
	s_mul_i32 s17, s17, s16
	s_wait_alu 0xfffe
	s_mul_hi_u32 s17, s16, s17
	s_wait_alu 0xfffe
	s_add_co_i32 s16, s16, s17
	s_wait_alu 0xfffe
	s_mul_hi_u32 s16, s14, s16
	s_wait_alu 0xfffe
	s_mul_i32 s16, s16, s54
	s_wait_alu 0xfffe
	s_sub_co_i32 s16, s14, s16
	s_wait_alu 0xfffe
	s_sub_co_i32 s17, s16, s54
	s_cmp_ge_u32 s16, s54
	s_wait_alu 0xfffe
	s_cselect_b32 s16, s17, s16
	s_wait_alu 0xfffe
	s_sub_co_i32 s17, s16, s54
	s_cmp_ge_u32 s16, s54
	s_wait_alu 0xfffe
	s_cselect_b32 s56, s17, s16
	s_wait_alu 0xfffe
	s_mov_b64 s[16:17], s[56:57]
.LBB101_130:                            ;   in Loop: Header=BB101_15 Depth=1
	s_wait_alu 0xfffe
	s_sub_nc_u64 s[14:15], s[14:15], s[16:17]
	s_mov_b32 s17, 0
	s_mov_b32 s16, 0
	s_mov_b32 s56, exec_lo
                                        ; implicit-def: $vgpr5_vgpr6
	s_wait_alu 0xfffe
	v_cmpx_gt_u64_e64 s[14:15], v[0:1]
	s_cbranch_execz .LBB101_144
; %bb.131:                              ;   in Loop: Header=BB101_15 Depth=1
	v_mov_b32_e32 v8, v1
	v_dual_mov_b32 v14, v32 :: v_dual_mov_b32 v7, v0
                                        ; implicit-def: $sgpr65
	s_branch .LBB101_134
.LBB101_132:                            ;   in Loop: Header=BB101_134 Depth=2
	s_wait_alu 0xfffe
	s_or_b32 exec_lo, exec_lo, s66
	s_wait_loadcnt_dscnt 0x0
	s_barrier_signal -1
	s_barrier_wait -1
	global_inv scope:SCOPE_SE
	ds_load_b128 v[3:6], v16 offset:3072
	s_mov_b32 s66, -1
	s_mov_b32 s67, -1
	s_wait_loadcnt_dscnt 0x0
	s_barrier_signal -1
	s_barrier_wait -1
	global_inv scope:SCOPE_SE
	v_cmp_ne_u64_e32 vcc_lo, 0, v[3:4]
	s_cbranch_vccz .LBB101_137
.LBB101_133:                            ;   in Loop: Header=BB101_134 Depth=2
	s_wait_alu 0xfffe
	s_and_b32 s66, exec_lo, s66
	s_wait_alu 0xfffe
	s_or_b32 s16, s66, s16
	s_and_not1_b32 s65, s65, exec_lo
	s_and_b32 s66, s67, exec_lo
	s_wait_alu 0xfffe
	s_or_b32 s65, s65, s66
	s_and_not1_b32 exec_lo, exec_lo, s16
	s_cbranch_execz .LBB101_143
.LBB101_134:                            ;   Parent Loop BB101_15 Depth=1
                                        ; =>  This Inner Loop Header: Depth=2
	s_mov_b32 s66, exec_lo
	s_delay_alu instid0(VALU_DEP_1)
	v_cmpx_gt_u64_e64 s[4:5], v[7:8]
	s_cbranch_execz .LBB101_132
; %bb.135:                              ;   in Loop: Header=BB101_134 Depth=2
	ds_load_b64 v[4:5], v14
	s_wait_dscnt 0x0
	v_xor_b32_e32 v3, 0x80000000, v5
	v_and_b32_e32 v25, v4, v23
	s_delay_alu instid0(VALU_DEP_2) | instskip(NEXT) | instid1(VALU_DEP_1)
	v_and_b32_e32 v26, v3, v24
	v_cmp_eq_u64_e32 vcc_lo, v[25:26], v[21:22]
	s_and_b32 exec_lo, exec_lo, vcc_lo
	s_cbranch_execz .LBB101_132
; %bb.136:                              ;   in Loop: Header=BB101_134 Depth=2
	v_mov_b32_e32 v3, v16
	ds_store_b128 v16, v[2:5] offset:3072
	s_branch .LBB101_132
.LBB101_137:                            ;   in Loop: Header=BB101_134 Depth=2
	v_add_co_u32 v7, vcc_lo, v7, s54
	s_wait_alu 0xfffd
	v_add_co_ci_u32_e64 v8, null, 0, v8, vcc_lo
	v_add_nc_u32_e32 v14, s80, v14
	s_mov_b32 s67, 0
	s_delay_alu instid0(VALU_DEP_2)
	v_cmp_le_u64_e32 vcc_lo, s[14:15], v[7:8]
	s_or_not1_b32 s66, vcc_lo, exec_lo
	s_branch .LBB101_133
.LBB101_138:                            ;   in Loop: Header=BB101_15 Depth=1
                                        ; implicit-def: $sgpr16_sgpr17
	s_branch .LBB101_86
.LBB101_139:                            ;   in Loop: Header=BB101_15 Depth=1
	s_wait_alu 0xfffe
	s_or_b32 exec_lo, exec_lo, s7
	s_wait_loadcnt_dscnt 0x0
	s_barrier_signal -1
	s_barrier_wait -1
	global_inv scope:SCOPE_SE
	s_and_saveexec_b32 s4, s2
	s_cbranch_execz .LBB101_141
; %bb.140:                              ;   in Loop: Header=BB101_15 Depth=1
	ds_load_b32 v3, v16 offset:5144
	s_wait_dscnt 0x0
	v_ashrrev_i32_e32 v4, 31, v3
	ds_store_b64 v16, v[3:4] offset:5120
.LBB101_141:                            ;   in Loop: Header=BB101_15 Depth=1
	s_wait_alu 0xfffe
	s_or_b32 exec_lo, exec_lo, s4
	s_wait_loadcnt_dscnt 0x0
	s_barrier_signal -1
	s_mov_b32 s4, -1
	s_barrier_wait -1
	s_and_b32 vcc_lo, exec_lo, s6
	s_wait_alu 0xfffe
	s_cbranch_vccnz .LBB101_31
	s_branch .LBB101_40
.LBB101_142:                            ;   in Loop: Header=BB101_15 Depth=1
                                        ; implicit-def: $sgpr4_sgpr5
	s_branch .LBB101_100
.LBB101_143:                            ;   in Loop: Header=BB101_15 Depth=1
	s_or_b32 exec_lo, exec_lo, s16
	s_delay_alu instid0(SALU_CYCLE_1)
	s_and_b32 s16, s65, exec_lo
.LBB101_144:                            ;   in Loop: Header=BB101_15 Depth=1
	s_or_b32 exec_lo, exec_lo, s56
.LBB101_145:                            ;   in Loop: Header=BB101_15 Depth=1
	s_wait_alu 0xfffe
	s_and_b32 vcc_lo, exec_lo, s17
	s_wait_alu 0xfffe
	s_cbranch_vccz .LBB101_159
; %bb.146:                              ;   in Loop: Header=BB101_15 Depth=1
	s_mov_b32 s4, s57
	s_mov_b32 s5, s61
	s_wait_alu 0xfffe
	s_cmp_lg_u64 s[4:5], 0
	s_cbranch_scc0 .LBB101_188
; %bb.147:                              ;   in Loop: Header=BB101_15 Depth=1
	s_cvt_f32_u32 s4, s54
	s_sub_nc_u64 s[14:15], 0, s[54:55]
	s_wait_alu 0xfffe
	s_delay_alu instid0(SALU_CYCLE_1) | instskip(SKIP_1) | instid1(SALU_CYCLE_2)
	s_fmamk_f32 s4, s83, 0x0, s4
	s_wait_alu 0xfffe
	v_s_rcp_f32 s4, s4
	s_delay_alu instid0(TRANS32_DEP_1) | instskip(SKIP_1) | instid1(SALU_CYCLE_2)
	s_mul_f32 s4, s4, 0x5f7ffffc
	s_wait_alu 0xfffe
	s_mul_f32 s5, s4, 0x2f800000
	s_wait_alu 0xfffe
	s_delay_alu instid0(SALU_CYCLE_2) | instskip(SKIP_1) | instid1(SALU_CYCLE_2)
	s_trunc_f32 s5, s5
	s_wait_alu 0xfffe
	s_fmamk_f32 s4, s5, 0xcf800000, s4
	s_cvt_u32_f32 s5, s5
	s_wait_alu 0xfffe
	s_delay_alu instid0(SALU_CYCLE_1) | instskip(SKIP_1) | instid1(SALU_CYCLE_2)
	s_cvt_u32_f32 s4, s4
	s_wait_alu 0xfffe
	s_mul_u64 s[66:67], s[14:15], s[4:5]
	s_wait_alu 0xfffe
	s_mul_hi_u32 s69, s4, s67
	s_mul_i32 s68, s4, s67
	s_mul_hi_u32 s56, s4, s66
	s_mul_i32 s21, s5, s66
	s_wait_alu 0xfffe
	s_add_nc_u64 s[68:69], s[56:57], s[68:69]
	s_mul_hi_u32 s17, s5, s66
	s_mul_hi_u32 s22, s5, s67
	s_wait_alu 0xfffe
	s_add_co_u32 s21, s68, s21
	s_add_co_ci_u32 s56, s69, s17
	s_mul_i32 s66, s5, s67
	s_add_co_ci_u32 s67, s22, 0
	s_wait_alu 0xfffe
	s_add_nc_u64 s[66:67], s[56:57], s[66:67]
	s_wait_alu 0xfffe
	s_add_co_u32 s4, s4, s66
	s_cselect_b32 s17, -1, 0
	s_wait_alu 0xfffe
	s_cmp_lg_u32 s17, 0
	s_add_co_ci_u32 s5, s5, s67
	s_wait_alu 0xfffe
	s_mul_u64 s[14:15], s[14:15], s[4:5]
	s_wait_alu 0xfffe
	s_mul_hi_u32 s67, s4, s15
	s_mul_i32 s66, s4, s15
	s_mul_hi_u32 s56, s4, s14
	s_mul_i32 s21, s5, s14
	s_wait_alu 0xfffe
	s_add_nc_u64 s[66:67], s[56:57], s[66:67]
	s_mul_hi_u32 s17, s5, s14
	s_mul_hi_u32 s22, s5, s15
	s_mul_i32 s14, s5, s15
	s_wait_alu 0xfffe
	s_add_co_u32 s15, s66, s21
	s_add_co_ci_u32 s56, s67, s17
	s_add_co_ci_u32 s15, s22, 0
	s_wait_alu 0xfffe
	s_add_nc_u64 s[14:15], s[56:57], s[14:15]
	s_wait_alu 0xfffe
	s_add_co_u32 s4, s4, s14
	s_cselect_b32 s14, -1, 0
	s_wait_alu 0xfffe
	s_mul_hi_u32 s56, s60, s4
	s_cmp_lg_u32 s14, 0
	s_mul_hi_u32 s17, s61, s4
	s_add_co_ci_u32 s14, s5, s15
	s_mul_i32 s15, s61, s4
	s_wait_alu 0xfffe
	s_mul_hi_u32 s5, s60, s14
	s_mul_i32 s4, s60, s14
	s_mul_hi_u32 s21, s61, s14
	s_wait_alu 0xfffe
	s_add_nc_u64 s[4:5], s[56:57], s[4:5]
	s_mul_i32 s14, s61, s14
	s_wait_alu 0xfffe
	s_add_co_u32 s4, s4, s15
	s_add_co_ci_u32 s56, s5, s17
	s_add_co_ci_u32 s15, s21, 0
	s_wait_alu 0xfffe
	s_add_nc_u64 s[4:5], s[56:57], s[14:15]
	s_wait_alu 0xfffe
	s_mul_u64 s[4:5], s[54:55], s[4:5]
	s_wait_alu 0xfffe
	s_sub_co_u32 s4, s60, s4
	s_cselect_b32 s14, -1, 0
	s_wait_alu 0xfffe
	s_cmp_lg_u32 s14, 0
	s_sub_co_ci_u32 s5, s61, s5
	s_sub_co_u32 s14, s4, s54
	s_cselect_b32 s15, -1, 0
	s_wait_alu 0xfffe
	s_cmp_lg_u32 s15, 0
	s_sub_co_ci_u32 s15, s5, 0
	;; [unrolled: 5-line block ×3, first 2 shown]
	s_cmp_ge_u32 s14, s54
	s_cselect_b32 s22, -1, 0
	s_cmp_eq_u32 s15, 0
	s_wait_alu 0xfffe
	s_cselect_b32 s22, s22, -1
	s_wait_alu 0xfffe
	s_cmp_lg_u32 s22, 0
	s_cselect_b32 s15, s21, s15
	s_cselect_b32 s14, s17, s14
	s_cmp_ge_u32 s4, s54
	s_cselect_b32 s17, -1, 0
	s_cmp_eq_u32 s5, 0
	s_wait_alu 0xfffe
	s_cselect_b32 s17, s17, -1
	s_wait_alu 0xfffe
	s_cmp_lg_u32 s17, 0
	s_cselect_b32 s5, s15, s5
	s_cselect_b32 s4, s14, s4
	s_cbranch_execnz .LBB101_149
.LBB101_148:                            ;   in Loop: Header=BB101_15 Depth=1
	v_cvt_f32_u32_e32 v3, s54
	s_sub_co_i32 s5, 0, s54
	s_delay_alu instid0(VALU_DEP_1) | instskip(NEXT) | instid1(TRANS32_DEP_1)
	v_rcp_iflag_f32_e32 v3, v3
	v_mul_f32_e32 v3, 0x4f7ffffe, v3
	s_delay_alu instid0(VALU_DEP_1) | instskip(NEXT) | instid1(VALU_DEP_1)
	v_cvt_u32_f32_e32 v3, v3
	v_readfirstlane_b32 s4, v3
	s_wait_alu 0xfffe
	s_mul_i32 s5, s5, s4
	s_wait_alu 0xfffe
	s_mul_hi_u32 s5, s4, s5
	s_wait_alu 0xfffe
	s_add_co_i32 s4, s4, s5
	s_wait_alu 0xfffe
	s_mul_hi_u32 s4, s60, s4
	s_wait_alu 0xfffe
	s_mul_i32 s4, s4, s54
	s_wait_alu 0xfffe
	s_sub_co_i32 s4, s60, s4
	s_wait_alu 0xfffe
	s_sub_co_i32 s5, s4, s54
	s_cmp_ge_u32 s4, s54
	s_wait_alu 0xfffe
	s_cselect_b32 s4, s5, s4
	s_wait_alu 0xfffe
	s_sub_co_i32 s5, s4, s54
	s_cmp_ge_u32 s4, s54
	s_wait_alu 0xfffe
	s_cselect_b32 s56, s5, s4
	s_wait_alu 0xfffe
	s_mov_b64 s[4:5], s[56:57]
.LBB101_149:                            ;   in Loop: Header=BB101_15 Depth=1
	s_wait_alu 0xfffe
	s_sub_nc_u64 s[4:5], s[60:61], s[4:5]
	s_mov_b32 s14, exec_lo
                                        ; implicit-def: $vgpr5_vgpr6
	s_wait_alu 0xfffe
	v_cmpx_gt_u64_e64 s[4:5], v[0:1]
	s_cbranch_execz .LBB101_158
; %bb.150:                              ;   in Loop: Header=BB101_15 Depth=1
	v_dual_mov_b32 v8, v1 :: v_dual_mov_b32 v7, v0
	s_mov_b32 s15, 0
                                        ; implicit-def: $sgpr17
	s_branch .LBB101_153
.LBB101_151:                            ;   in Loop: Header=BB101_153 Depth=2
	s_wait_alu 0xfffe
	s_or_b32 exec_lo, exec_lo, s21
	s_wait_loadcnt_dscnt 0x0
	s_barrier_signal -1
	s_barrier_wait -1
	global_inv scope:SCOPE_SE
	ds_load_b128 v[3:6], v16 offset:3072
	s_mov_b32 s22, -1
	s_mov_b32 s21, -1
	s_wait_loadcnt_dscnt 0x0
	s_barrier_signal -1
	s_barrier_wait -1
	global_inv scope:SCOPE_SE
	v_cmp_eq_u64_e32 vcc_lo, 0, v[3:4]
	s_cbranch_vccnz .LBB101_156
.LBB101_152:                            ;   in Loop: Header=BB101_153 Depth=2
	s_wait_alu 0xfffe
	s_and_b32 s22, exec_lo, s22
	s_wait_alu 0xfffe
	s_or_b32 s15, s22, s15
	s_and_not1_b32 s17, s17, exec_lo
	s_and_b32 s21, s21, exec_lo
	s_wait_alu 0xfffe
	s_or_b32 s17, s17, s21
	s_and_not1_b32 exec_lo, exec_lo, s15
	s_cbranch_execz .LBB101_157
.LBB101_153:                            ;   Parent Loop BB101_15 Depth=1
                                        ; =>  This Inner Loop Header: Depth=2
	s_mov_b32 s21, exec_lo
	s_delay_alu instid0(VALU_DEP_1)
	v_cmpx_gt_u64_e64 s[24:25], v[7:8]
	s_cbranch_execz .LBB101_151
; %bb.154:                              ;   in Loop: Header=BB101_153 Depth=2
	v_mul_lo_u32 v5, v8, s42
	v_mul_lo_u32 v6, v7, s43
	v_mad_co_u64_u32 v[3:4], null, v7, s42, 0
	s_delay_alu instid0(VALU_DEP_1) | instskip(NEXT) | instid1(VALU_DEP_1)
	v_add3_u32 v4, v4, v6, v5
	v_lshlrev_b64_e32 v[3:4], 3, v[3:4]
	s_delay_alu instid0(VALU_DEP_1) | instskip(SKIP_1) | instid1(VALU_DEP_2)
	v_add_co_u32 v3, vcc_lo, s50, v3
	s_wait_alu 0xfffd
	v_add_co_ci_u32_e64 v4, null, s51, v4, vcc_lo
	global_load_b64 v[4:5], v[3:4], off
	s_wait_loadcnt 0x0
	v_xor_b32_e32 v3, 0x80000000, v5
	v_and_b32_e32 v14, v4, v23
	s_delay_alu instid0(VALU_DEP_2) | instskip(NEXT) | instid1(VALU_DEP_1)
	v_and_b32_e32 v15, v3, v24
	v_cmp_eq_u64_e32 vcc_lo, v[14:15], v[21:22]
	s_and_b32 exec_lo, exec_lo, vcc_lo
	s_cbranch_execz .LBB101_151
; %bb.155:                              ;   in Loop: Header=BB101_153 Depth=2
	v_mov_b32_e32 v3, v16
	ds_store_b128 v16, v[2:5] offset:3072
	s_branch .LBB101_151
.LBB101_156:                            ;   in Loop: Header=BB101_153 Depth=2
	v_add_co_u32 v7, vcc_lo, v7, s54
	s_wait_alu 0xfffd
	v_add_co_ci_u32_e64 v8, null, 0, v8, vcc_lo
	s_mov_b32 s21, 0
	v_cmp_le_u64_e32 vcc_lo, s[4:5], v[7:8]
	s_or_not1_b32 s22, vcc_lo, exec_lo
	s_branch .LBB101_152
.LBB101_157:                            ;   in Loop: Header=BB101_15 Depth=1
	s_or_b32 exec_lo, exec_lo, s15
	s_delay_alu instid0(SALU_CYCLE_1)
	s_and_not1_b32 s4, s16, exec_lo
	s_wait_alu 0xfffe
	s_and_b32 s5, s17, exec_lo
	s_wait_alu 0xfffe
	s_or_b32 s16, s4, s5
.LBB101_158:                            ;   in Loop: Header=BB101_15 Depth=1
	s_or_b32 exec_lo, exec_lo, s14
	s_mov_b32 s21, 0
	s_mov_b32 s22, -1
.LBB101_159:                            ;   in Loop: Header=BB101_15 Depth=1
	s_wait_alu 0xfffe
	s_or_not1_b32 s4, s16, exec_lo
.LBB101_160:                            ;   in Loop: Header=BB101_15 Depth=1
	s_wait_alu 0xfffe
	s_or_b32 exec_lo, exec_lo, s23
	s_mov_b32 s5, 0
	s_and_saveexec_b32 s23, s4
	s_cbranch_execz .LBB101_266
; %bb.161:                              ;   in Loop: Header=BB101_15 Depth=1
	v_mov_b32_e32 v7, 1
	v_dual_mov_b32 v8, 0 :: v_dual_mov_b32 v13, 1
	s_xor_b32 s14, s64, -1
	s_wait_alu 0xfffe
	s_and_saveexec_b32 s4, s14
	s_cbranch_execz .LBB101_171
; %bb.162:                              ;   in Loop: Header=BB101_15 Depth=1
	s_mov_b32 s5, exec_lo
	v_cmpx_le_u64_e64 v[11:12], v[9:10]
	s_wait_alu 0xfffe
	s_xor_b32 s5, exec_lo, s5
	s_cbranch_execz .LBB101_168
; %bb.163:                              ;   in Loop: Header=BB101_15 Depth=1
	ds_load_b64 v[3:4], v16 offset:5120
	v_and_b32_e32 v7, s13, v22
	v_and_b32_e32 v8, s12, v21
	s_lshl_b64 s[14:15], 1, s81
	v_or_b32_e32 v24, s9, v24
	v_or_b32_e32 v23, s8, v23
	s_wait_alu 0xfffe
	v_or_b32_e32 v22, s15, v7
	v_or_b32_e32 v21, s14, v8
	s_wait_dscnt 0x0
	v_cmp_ne_u64_e32 vcc_lo, 0, v[3:4]
	s_cbranch_vccnz .LBB101_167
; %bb.164:                              ;   in Loop: Header=BB101_15 Depth=1
	s_and_saveexec_b32 s14, s2
; %bb.165:                              ;   in Loop: Header=BB101_15 Depth=1
	ds_store_b64 v16, v[9:10] offset:5128
; %bb.166:                              ;   in Loop: Header=BB101_15 Depth=1
	s_wait_alu 0xfffe
	s_or_b32 exec_lo, exec_lo, s14
	s_wait_loadcnt_dscnt 0x0
	s_barrier_signal -1
	s_barrier_wait -1
	global_inv scope:SCOPE_SE
.LBB101_167:                            ;   in Loop: Header=BB101_15 Depth=1
                                        ; implicit-def: $vgpr7_vgpr8_vgpr9_vgpr10
.LBB101_168:                            ;   in Loop: Header=BB101_15 Depth=1
	s_wait_alu 0xfffe
	s_or_saveexec_b32 s5, s5
	v_mov_b32_e32 v13, 8
	s_mov_b32 s14, 0
	s_wait_alu 0xfffe
	s_xor_b32 exec_lo, exec_lo, s5
; %bb.169:                              ;   in Loop: Header=BB101_15 Depth=1
	v_sub_co_u32 v11, vcc_lo, v11, v9
	s_wait_alu 0xfffd
	v_sub_co_ci_u32_e64 v12, null, v12, v10, vcc_lo
	v_mov_b32_e32 v13, 0
	s_mov_b32 s14, exec_lo
; %bb.170:                              ;   in Loop: Header=BB101_15 Depth=1
	s_or_b32 exec_lo, exec_lo, s5
	s_delay_alu instid0(VALU_DEP_2)
	v_dual_mov_b32 v7, v11 :: v_dual_mov_b32 v8, v12
	s_wait_alu 0xfffe
	s_and_b32 s5, s14, exec_lo
.LBB101_171:                            ;   in Loop: Header=BB101_15 Depth=1
	s_wait_alu 0xfffe
	s_or_b32 exec_lo, exec_lo, s4
	s_mov_b32 s4, -1
                                        ; implicit-def: $sgpr65
                                        ; implicit-def: $sgpr66
	s_and_saveexec_b32 s64, s5
	s_cbranch_execz .LBB101_265
; %bb.172:                              ;   in Loop: Header=BB101_15 Depth=1
	v_cmp_eq_u64_e32 vcc_lo, 1, v[7:8]
	s_cmp_eq_u64 s[10:11], 1
                                        ; implicit-def: $sgpr66
                                        ; implicit-def: $sgpr65
	s_cselect_b32 s4, -1, 0
	s_wait_alu 0xfffe
	s_and_b32 s67, s4, vcc_lo
	s_mov_b32 s4, -1
	s_wait_alu 0xfffe
	s_and_saveexec_b32 s68, s67
	s_cbranch_execz .LBB101_206
; %bb.173:                              ;   in Loop: Header=BB101_15 Depth=1
	ds_load_b64 v[3:4], v16 offset:5120
	s_wait_loadcnt_dscnt 0x0
	s_barrier_signal -1
	s_barrier_wait -1
	global_inv scope:SCOPE_SE
	v_readfirstlane_b32 s4, v3
	v_readfirstlane_b32 s5, v4
	s_and_saveexec_b32 s14, s3
; %bb.174:                              ;   in Loop: Header=BB101_15 Depth=1
	v_mov_b32_e32 v15, v16
	ds_store_b64 v33, v[15:16]
; %bb.175:                              ;   in Loop: Header=BB101_15 Depth=1
	s_wait_alu 0xfffe
	s_or_b32 exec_lo, exec_lo, s14
	v_and_b32_e32 v3, s13, v22
	v_and_b32_e32 v4, s12, v21
	s_lshl_b64 s[14:15], 2, s81
	v_or_b32_e32 v24, s9, v24
	v_or_b32_e32 v23, s8, v23
	s_wait_alu 0xfffe
	v_or_b32_e32 v22, s15, v3
	v_or_b32_e32 v21, s14, v4
	s_mov_b32 s65, -1
	s_mov_b32 s66, 0
	s_cmp_eq_u64 s[4:5], 0
	s_mov_b32 s16, 0
	s_mov_b32 s17, -1
	s_wait_loadcnt_dscnt 0x0
	s_barrier_signal -1
	s_barrier_wait -1
	global_inv scope:SCOPE_SE
                                        ; implicit-def: $vgpr5_vgpr6
	s_cbranch_scc1 .LBB101_191
; %bb.176:                              ;   in Loop: Header=BB101_15 Depth=1
	s_add_nc_u64 s[14:15], s[4:5], s[58:59]
	s_mov_b32 s16, s57
	s_wait_alu 0xfffe
	s_mov_b32 s17, s15
	s_wait_alu 0xfffe
	s_cmp_lg_u64 s[16:17], 0
	s_cbranch_scc0 .LBB101_232
; %bb.177:                              ;   in Loop: Header=BB101_15 Depth=1
	s_cvt_f32_u32 s16, s54
	s_sub_nc_u64 s[70:71], 0, s[54:55]
	s_wait_alu 0xfffe
	s_delay_alu instid0(SALU_CYCLE_1) | instskip(SKIP_1) | instid1(SALU_CYCLE_2)
	s_fmamk_f32 s16, s83, 0x0, s16
	s_wait_alu 0xfffe
	v_s_rcp_f32 s16, s16
	s_delay_alu instid0(TRANS32_DEP_1) | instskip(SKIP_1) | instid1(SALU_CYCLE_2)
	s_mul_f32 s16, s16, 0x5f7ffffc
	s_wait_alu 0xfffe
	s_mul_f32 s17, s16, 0x2f800000
	s_wait_alu 0xfffe
	s_delay_alu instid0(SALU_CYCLE_2) | instskip(SKIP_1) | instid1(SALU_CYCLE_2)
	s_trunc_f32 s17, s17
	s_wait_alu 0xfffe
	s_fmamk_f32 s16, s17, 0xcf800000, s16
	s_cvt_u32_f32 s17, s17
	s_wait_alu 0xfffe
	s_delay_alu instid0(SALU_CYCLE_1) | instskip(SKIP_1) | instid1(SALU_CYCLE_2)
	s_cvt_u32_f32 s16, s16
	s_wait_alu 0xfffe
	s_mul_u64 s[72:73], s[70:71], s[16:17]
	s_wait_alu 0xfffe
	s_mul_hi_u32 s93, s16, s73
	s_mul_i32 s92, s16, s73
	s_mul_hi_u32 s56, s16, s72
	s_mul_i32 s91, s17, s72
	s_wait_alu 0xfffe
	s_add_nc_u64 s[92:93], s[56:57], s[92:93]
	s_mul_hi_u32 s69, s17, s72
	s_mul_hi_u32 s94, s17, s73
	s_wait_alu 0xfffe
	s_add_co_u32 s56, s92, s91
	s_add_co_ci_u32 s56, s93, s69
	s_mul_i32 s72, s17, s73
	s_add_co_ci_u32 s73, s94, 0
	s_wait_alu 0xfffe
	s_add_nc_u64 s[72:73], s[56:57], s[72:73]
	s_wait_alu 0xfffe
	s_add_co_u32 s16, s16, s72
	s_cselect_b32 s56, -1, 0
	s_wait_alu 0xfffe
	s_cmp_lg_u32 s56, 0
	s_add_co_ci_u32 s17, s17, s73
	s_wait_alu 0xfffe
	s_mul_u64 s[70:71], s[70:71], s[16:17]
	s_wait_alu 0xfffe
	s_mul_hi_u32 s73, s16, s71
	s_mul_i32 s72, s16, s71
	s_mul_hi_u32 s56, s16, s70
	s_mul_i32 s91, s17, s70
	s_wait_alu 0xfffe
	s_add_nc_u64 s[72:73], s[56:57], s[72:73]
	s_mul_hi_u32 s69, s17, s70
	s_mul_hi_u32 s92, s17, s71
	s_wait_alu 0xfffe
	s_add_co_u32 s56, s72, s91
	s_add_co_ci_u32 s56, s73, s69
	s_mul_i32 s70, s17, s71
	s_add_co_ci_u32 s71, s92, 0
	s_wait_alu 0xfffe
	s_add_nc_u64 s[70:71], s[56:57], s[70:71]
	s_wait_alu 0xfffe
	s_add_co_u32 s16, s16, s70
	s_cselect_b32 s69, -1, 0
	s_wait_alu 0xfffe
	s_mul_hi_u32 s56, s14, s16
	s_cmp_lg_u32 s69, 0
	s_mul_hi_u32 s69, s15, s16
	s_add_co_ci_u32 s70, s17, s71
	s_mul_i32 s71, s15, s16
	s_wait_alu 0xfffe
	s_mul_hi_u32 s17, s14, s70
	s_mul_i32 s16, s14, s70
	s_mul_hi_u32 s72, s15, s70
	s_wait_alu 0xfffe
	s_add_nc_u64 s[16:17], s[56:57], s[16:17]
	s_mul_i32 s70, s15, s70
	s_wait_alu 0xfffe
	s_add_co_u32 s16, s16, s71
	s_add_co_ci_u32 s56, s17, s69
	s_add_co_ci_u32 s71, s72, 0
	s_wait_alu 0xfffe
	s_add_nc_u64 s[16:17], s[56:57], s[70:71]
	s_wait_alu 0xfffe
	s_mul_u64 s[16:17], s[54:55], s[16:17]
	s_wait_alu 0xfffe
	s_sub_co_u32 s16, s14, s16
	s_cselect_b32 s56, -1, 0
	s_wait_alu 0xfffe
	s_cmp_lg_u32 s56, 0
	s_sub_co_ci_u32 s17, s15, s17
	s_sub_co_u32 s56, s16, s54
	s_cselect_b32 s69, -1, 0
	s_wait_alu 0xfffe
	s_cmp_lg_u32 s69, 0
	s_sub_co_ci_u32 s69, s17, 0
	;; [unrolled: 5-line block ×3, first 2 shown]
	s_cmp_ge_u32 s56, s54
	s_cselect_b32 s72, -1, 0
	s_cmp_eq_u32 s69, 0
	s_wait_alu 0xfffe
	s_cselect_b32 s72, s72, -1
	s_wait_alu 0xfffe
	s_cmp_lg_u32 s72, 0
	s_cselect_b32 s69, s71, s69
	s_cselect_b32 s56, s70, s56
	s_cmp_ge_u32 s16, s54
	s_cselect_b32 s70, -1, 0
	s_cmp_eq_u32 s17, 0
	s_wait_alu 0xfffe
	s_cselect_b32 s70, s70, -1
	s_wait_alu 0xfffe
	s_cmp_lg_u32 s70, 0
	s_cselect_b32 s17, s69, s17
	s_cselect_b32 s16, s56, s16
	s_cbranch_execnz .LBB101_179
.LBB101_178:                            ;   in Loop: Header=BB101_15 Depth=1
	v_cvt_f32_u32_e32 v3, s54
	s_sub_co_i32 s17, 0, s54
	s_delay_alu instid0(VALU_DEP_1) | instskip(NEXT) | instid1(TRANS32_DEP_1)
	v_rcp_iflag_f32_e32 v3, v3
	v_mul_f32_e32 v3, 0x4f7ffffe, v3
	s_delay_alu instid0(VALU_DEP_1) | instskip(NEXT) | instid1(VALU_DEP_1)
	v_cvt_u32_f32_e32 v3, v3
	v_readfirstlane_b32 s16, v3
	s_wait_alu 0xfffe
	s_mul_i32 s17, s17, s16
	s_wait_alu 0xfffe
	s_mul_hi_u32 s17, s16, s17
	s_wait_alu 0xfffe
	s_add_co_i32 s16, s16, s17
	s_wait_alu 0xfffe
	s_mul_hi_u32 s16, s14, s16
	s_wait_alu 0xfffe
	s_mul_i32 s16, s16, s54
	s_wait_alu 0xfffe
	s_sub_co_i32 s16, s14, s16
	s_wait_alu 0xfffe
	s_sub_co_i32 s17, s16, s54
	s_cmp_ge_u32 s16, s54
	s_wait_alu 0xfffe
	s_cselect_b32 s16, s17, s16
	s_wait_alu 0xfffe
	s_sub_co_i32 s17, s16, s54
	s_cmp_ge_u32 s16, s54
	s_wait_alu 0xfffe
	s_cselect_b32 s56, s17, s16
	s_wait_alu 0xfffe
	s_mov_b64 s[16:17], s[56:57]
.LBB101_179:                            ;   in Loop: Header=BB101_15 Depth=1
	s_wait_alu 0xfffe
	s_sub_nc_u64 s[14:15], s[14:15], s[16:17]
	s_mov_b32 s17, 0
	s_mov_b32 s16, 0
	s_mov_b32 s56, exec_lo
                                        ; implicit-def: $vgpr5_vgpr6
	s_wait_alu 0xfffe
	v_cmpx_gt_u64_e64 s[14:15], v[0:1]
	s_cbranch_execz .LBB101_190
; %bb.180:                              ;   in Loop: Header=BB101_15 Depth=1
	v_dual_mov_b32 v11, v32 :: v_dual_mov_b32 v10, v1
	v_mov_b32_e32 v9, v0
                                        ; implicit-def: $sgpr69
	s_branch .LBB101_183
.LBB101_181:                            ;   in Loop: Header=BB101_183 Depth=2
	s_wait_alu 0xfffe
	s_or_b32 exec_lo, exec_lo, s70
	s_wait_loadcnt_dscnt 0x0
	s_barrier_signal -1
	s_barrier_wait -1
	global_inv scope:SCOPE_SE
	ds_load_b128 v[3:6], v16 offset:3072
	s_mov_b32 s70, -1
	s_mov_b32 s71, -1
	s_wait_loadcnt_dscnt 0x0
	s_barrier_signal -1
	s_barrier_wait -1
	global_inv scope:SCOPE_SE
	v_cmp_ne_u64_e32 vcc_lo, 0, v[3:4]
	s_cbranch_vccz .LBB101_186
.LBB101_182:                            ;   in Loop: Header=BB101_183 Depth=2
	s_wait_alu 0xfffe
	s_and_b32 s70, exec_lo, s70
	s_wait_alu 0xfffe
	s_or_b32 s16, s70, s16
	s_and_not1_b32 s69, s69, exec_lo
	s_and_b32 s70, s71, exec_lo
	s_wait_alu 0xfffe
	s_or_b32 s69, s69, s70
	s_and_not1_b32 exec_lo, exec_lo, s16
	s_cbranch_execz .LBB101_189
.LBB101_183:                            ;   Parent Loop BB101_15 Depth=1
                                        ; =>  This Inner Loop Header: Depth=2
	s_mov_b32 s70, exec_lo
	s_delay_alu instid0(VALU_DEP_1)
	v_cmpx_gt_u64_e64 s[4:5], v[9:10]
	s_cbranch_execz .LBB101_181
; %bb.184:                              ;   in Loop: Header=BB101_183 Depth=2
	ds_load_b64 v[4:5], v11
	s_wait_dscnt 0x0
	v_xor_b32_e32 v3, 0x80000000, v5
	v_and_b32_e32 v14, v4, v23
	s_delay_alu instid0(VALU_DEP_2) | instskip(NEXT) | instid1(VALU_DEP_1)
	v_and_b32_e32 v15, v3, v24
	v_cmp_eq_u64_e32 vcc_lo, v[14:15], v[21:22]
	s_and_b32 exec_lo, exec_lo, vcc_lo
	s_cbranch_execz .LBB101_181
; %bb.185:                              ;   in Loop: Header=BB101_183 Depth=2
	v_mov_b32_e32 v3, v16
	ds_store_b128 v16, v[2:5] offset:3072
	s_branch .LBB101_181
.LBB101_186:                            ;   in Loop: Header=BB101_183 Depth=2
	v_add_co_u32 v9, vcc_lo, v9, s54
	s_wait_alu 0xfffd
	v_add_co_ci_u32_e64 v10, null, 0, v10, vcc_lo
	v_add_nc_u32_e32 v11, s80, v11
	s_mov_b32 s71, 0
	s_delay_alu instid0(VALU_DEP_2)
	v_cmp_le_u64_e32 vcc_lo, s[14:15], v[9:10]
	s_or_not1_b32 s70, vcc_lo, exec_lo
	s_branch .LBB101_182
.LBB101_187:                            ;   in Loop: Header=BB101_15 Depth=1
                                        ; implicit-def: $sgpr16_sgpr17
	s_branch .LBB101_129
.LBB101_188:                            ;   in Loop: Header=BB101_15 Depth=1
                                        ; implicit-def: $sgpr4_sgpr5
	s_branch .LBB101_148
.LBB101_189:                            ;   in Loop: Header=BB101_15 Depth=1
	s_or_b32 exec_lo, exec_lo, s16
	s_wait_alu 0xfffe
	s_and_b32 s16, s69, exec_lo
.LBB101_190:                            ;   in Loop: Header=BB101_15 Depth=1
	s_or_b32 exec_lo, exec_lo, s56
.LBB101_191:                            ;   in Loop: Header=BB101_15 Depth=1
	s_wait_alu 0xfffe
	s_and_b32 vcc_lo, exec_lo, s17
	s_wait_alu 0xfffe
	s_cbranch_vccz .LBB101_205
; %bb.192:                              ;   in Loop: Header=BB101_15 Depth=1
	s_mov_b32 s4, s57
	s_mov_b32 s5, s61
	s_wait_alu 0xfffe
	s_cmp_lg_u64 s[4:5], 0
	s_cbranch_scc0 .LBB101_233
; %bb.193:                              ;   in Loop: Header=BB101_15 Depth=1
	s_cvt_f32_u32 s4, s54
	s_sub_nc_u64 s[14:15], 0, s[54:55]
	s_wait_alu 0xfffe
	s_delay_alu instid0(SALU_CYCLE_1) | instskip(SKIP_1) | instid1(SALU_CYCLE_2)
	s_fmamk_f32 s4, s83, 0x0, s4
	s_wait_alu 0xfffe
	v_s_rcp_f32 s4, s4
	s_delay_alu instid0(TRANS32_DEP_1) | instskip(SKIP_1) | instid1(SALU_CYCLE_2)
	s_mul_f32 s4, s4, 0x5f7ffffc
	s_wait_alu 0xfffe
	s_mul_f32 s5, s4, 0x2f800000
	s_wait_alu 0xfffe
	s_delay_alu instid0(SALU_CYCLE_2) | instskip(SKIP_1) | instid1(SALU_CYCLE_2)
	s_trunc_f32 s5, s5
	s_wait_alu 0xfffe
	s_fmamk_f32 s4, s5, 0xcf800000, s4
	s_cvt_u32_f32 s5, s5
	s_wait_alu 0xfffe
	s_delay_alu instid0(SALU_CYCLE_1) | instskip(SKIP_1) | instid1(SALU_CYCLE_2)
	s_cvt_u32_f32 s4, s4
	s_wait_alu 0xfffe
	s_mul_u64 s[70:71], s[14:15], s[4:5]
	s_wait_alu 0xfffe
	s_mul_hi_u32 s73, s4, s71
	s_mul_i32 s72, s4, s71
	s_mul_hi_u32 s56, s4, s70
	s_mul_i32 s65, s5, s70
	s_wait_alu 0xfffe
	s_add_nc_u64 s[72:73], s[56:57], s[72:73]
	s_mul_hi_u32 s17, s5, s70
	s_mul_hi_u32 s66, s5, s71
	s_wait_alu 0xfffe
	s_add_co_u32 s56, s72, s65
	s_add_co_ci_u32 s56, s73, s17
	s_mul_i32 s70, s5, s71
	s_add_co_ci_u32 s71, s66, 0
	s_wait_alu 0xfffe
	s_add_nc_u64 s[70:71], s[56:57], s[70:71]
	s_wait_alu 0xfffe
	s_add_co_u32 s4, s4, s70
	s_cselect_b32 s17, -1, 0
	s_wait_alu 0xfffe
	s_cmp_lg_u32 s17, 0
	s_add_co_ci_u32 s5, s5, s71
	s_wait_alu 0xfffe
	s_mul_u64 s[14:15], s[14:15], s[4:5]
	s_wait_alu 0xfffe
	s_mul_hi_u32 s71, s4, s15
	s_mul_i32 s70, s4, s15
	s_mul_hi_u32 s56, s4, s14
	s_mul_i32 s65, s5, s14
	s_wait_alu 0xfffe
	s_add_nc_u64 s[70:71], s[56:57], s[70:71]
	s_mul_hi_u32 s17, s5, s14
	s_mul_hi_u32 s66, s5, s15
	s_mul_i32 s14, s5, s15
	s_wait_alu 0xfffe
	s_add_co_u32 s15, s70, s65
	s_add_co_ci_u32 s56, s71, s17
	s_add_co_ci_u32 s15, s66, 0
	s_wait_alu 0xfffe
	s_add_nc_u64 s[14:15], s[56:57], s[14:15]
	s_wait_alu 0xfffe
	s_add_co_u32 s4, s4, s14
	s_cselect_b32 s14, -1, 0
	s_wait_alu 0xfffe
	s_mul_hi_u32 s56, s60, s4
	s_cmp_lg_u32 s14, 0
	s_mul_hi_u32 s17, s61, s4
	s_add_co_ci_u32 s14, s5, s15
	s_mul_i32 s15, s61, s4
	s_wait_alu 0xfffe
	s_mul_hi_u32 s5, s60, s14
	s_mul_i32 s4, s60, s14
	s_mul_hi_u32 s65, s61, s14
	s_wait_alu 0xfffe
	s_add_nc_u64 s[4:5], s[56:57], s[4:5]
	s_mul_i32 s14, s61, s14
	s_wait_alu 0xfffe
	s_add_co_u32 s4, s4, s15
	s_add_co_ci_u32 s56, s5, s17
	s_add_co_ci_u32 s15, s65, 0
	s_wait_alu 0xfffe
	s_add_nc_u64 s[4:5], s[56:57], s[14:15]
	s_wait_alu 0xfffe
	s_mul_u64 s[4:5], s[54:55], s[4:5]
	s_wait_alu 0xfffe
	s_sub_co_u32 s4, s60, s4
	s_cselect_b32 s14, -1, 0
	s_wait_alu 0xfffe
	s_cmp_lg_u32 s14, 0
	s_sub_co_ci_u32 s5, s61, s5
	s_sub_co_u32 s14, s4, s54
	s_cselect_b32 s15, -1, 0
	s_wait_alu 0xfffe
	s_cmp_lg_u32 s15, 0
	s_sub_co_ci_u32 s15, s5, 0
	;; [unrolled: 5-line block ×3, first 2 shown]
	s_cmp_ge_u32 s14, s54
	s_cselect_b32 s65, -1, 0
	s_cmp_eq_u32 s15, 0
	s_cselect_b32 s65, s65, -1
	s_delay_alu instid0(SALU_CYCLE_1)
	s_cmp_lg_u32 s65, 0
	s_wait_alu 0xfffe
	s_cselect_b32 s15, s56, s15
	s_cselect_b32 s14, s17, s14
	s_cmp_ge_u32 s4, s54
	s_cselect_b32 s17, -1, 0
	s_cmp_eq_u32 s5, 0
	s_wait_alu 0xfffe
	s_cselect_b32 s17, s17, -1
	s_wait_alu 0xfffe
	s_cmp_lg_u32 s17, 0
	s_cselect_b32 s5, s15, s5
	s_cselect_b32 s4, s14, s4
	s_cbranch_execnz .LBB101_195
.LBB101_194:                            ;   in Loop: Header=BB101_15 Depth=1
	v_cvt_f32_u32_e32 v3, s54
	s_sub_co_i32 s5, 0, s54
	s_delay_alu instid0(VALU_DEP_1) | instskip(NEXT) | instid1(TRANS32_DEP_1)
	v_rcp_iflag_f32_e32 v3, v3
	v_mul_f32_e32 v3, 0x4f7ffffe, v3
	s_delay_alu instid0(VALU_DEP_1) | instskip(NEXT) | instid1(VALU_DEP_1)
	v_cvt_u32_f32_e32 v3, v3
	v_readfirstlane_b32 s4, v3
	s_wait_alu 0xfffe
	s_mul_i32 s5, s5, s4
	s_wait_alu 0xfffe
	s_mul_hi_u32 s5, s4, s5
	s_wait_alu 0xfffe
	s_add_co_i32 s4, s4, s5
	s_wait_alu 0xfffe
	s_mul_hi_u32 s4, s60, s4
	s_wait_alu 0xfffe
	s_mul_i32 s4, s4, s54
	s_wait_alu 0xfffe
	s_sub_co_i32 s4, s60, s4
	s_wait_alu 0xfffe
	s_sub_co_i32 s5, s4, s54
	s_cmp_ge_u32 s4, s54
	s_wait_alu 0xfffe
	s_cselect_b32 s4, s5, s4
	s_wait_alu 0xfffe
	s_sub_co_i32 s5, s4, s54
	s_cmp_ge_u32 s4, s54
	s_wait_alu 0xfffe
	s_cselect_b32 s56, s5, s4
	s_wait_alu 0xfffe
	s_mov_b64 s[4:5], s[56:57]
.LBB101_195:                            ;   in Loop: Header=BB101_15 Depth=1
	s_wait_alu 0xfffe
	s_sub_nc_u64 s[4:5], s[60:61], s[4:5]
	s_mov_b32 s14, exec_lo
                                        ; implicit-def: $vgpr5_vgpr6
	s_wait_alu 0xfffe
	v_cmpx_gt_u64_e64 s[4:5], v[0:1]
	s_cbranch_execz .LBB101_204
; %bb.196:                              ;   in Loop: Header=BB101_15 Depth=1
	v_dual_mov_b32 v10, v1 :: v_dual_mov_b32 v9, v0
	s_mov_b32 s15, 0
                                        ; implicit-def: $sgpr17
	s_branch .LBB101_199
.LBB101_197:                            ;   in Loop: Header=BB101_199 Depth=2
	s_wait_alu 0xfffe
	s_or_b32 exec_lo, exec_lo, s56
	s_wait_loadcnt_dscnt 0x0
	s_barrier_signal -1
	s_barrier_wait -1
	global_inv scope:SCOPE_SE
	ds_load_b128 v[3:6], v16 offset:3072
	s_mov_b32 s65, -1
	s_mov_b32 s56, -1
	s_wait_loadcnt_dscnt 0x0
	s_barrier_signal -1
	s_barrier_wait -1
	global_inv scope:SCOPE_SE
	v_cmp_eq_u64_e32 vcc_lo, 0, v[3:4]
	s_cbranch_vccnz .LBB101_202
.LBB101_198:                            ;   in Loop: Header=BB101_199 Depth=2
	s_and_b32 s65, exec_lo, s65
	s_delay_alu instid0(SALU_CYCLE_1)
	s_or_b32 s15, s65, s15
	s_and_not1_b32 s17, s17, exec_lo
	s_wait_alu 0xfffe
	s_and_b32 s56, s56, exec_lo
	s_wait_alu 0xfffe
	s_or_b32 s17, s17, s56
	s_and_not1_b32 exec_lo, exec_lo, s15
	s_cbranch_execz .LBB101_203
.LBB101_199:                            ;   Parent Loop BB101_15 Depth=1
                                        ; =>  This Inner Loop Header: Depth=2
	s_mov_b32 s56, exec_lo
	s_delay_alu instid0(VALU_DEP_1)
	v_cmpx_gt_u64_e64 s[24:25], v[9:10]
	s_cbranch_execz .LBB101_197
; %bb.200:                              ;   in Loop: Header=BB101_199 Depth=2
	v_mul_lo_u32 v5, v10, s42
	v_mul_lo_u32 v6, v9, s43
	v_mad_co_u64_u32 v[3:4], null, v9, s42, 0
	s_delay_alu instid0(VALU_DEP_1) | instskip(NEXT) | instid1(VALU_DEP_1)
	v_add3_u32 v4, v4, v6, v5
	v_lshlrev_b64_e32 v[3:4], 3, v[3:4]
	s_delay_alu instid0(VALU_DEP_1) | instskip(SKIP_1) | instid1(VALU_DEP_2)
	v_add_co_u32 v3, vcc_lo, s50, v3
	s_wait_alu 0xfffd
	v_add_co_ci_u32_e64 v4, null, s51, v4, vcc_lo
	global_load_b64 v[4:5], v[3:4], off
	s_wait_loadcnt 0x0
	v_xor_b32_e32 v3, 0x80000000, v5
	v_and_b32_e32 v11, v4, v23
	s_delay_alu instid0(VALU_DEP_2) | instskip(NEXT) | instid1(VALU_DEP_1)
	v_and_b32_e32 v12, v3, v24
	v_cmp_eq_u64_e32 vcc_lo, v[11:12], v[21:22]
	s_and_b32 exec_lo, exec_lo, vcc_lo
	s_cbranch_execz .LBB101_197
; %bb.201:                              ;   in Loop: Header=BB101_199 Depth=2
	v_mov_b32_e32 v3, v16
	ds_store_b128 v16, v[2:5] offset:3072
	s_branch .LBB101_197
.LBB101_202:                            ;   in Loop: Header=BB101_199 Depth=2
	v_add_co_u32 v9, vcc_lo, v9, s54
	s_wait_alu 0xfffd
	v_add_co_ci_u32_e64 v10, null, 0, v10, vcc_lo
	s_mov_b32 s56, 0
	v_cmp_le_u64_e32 vcc_lo, s[4:5], v[9:10]
	s_or_not1_b32 s65, vcc_lo, exec_lo
	s_branch .LBB101_198
.LBB101_203:                            ;   in Loop: Header=BB101_15 Depth=1
	s_or_b32 exec_lo, exec_lo, s15
	s_delay_alu instid0(SALU_CYCLE_1)
	s_and_not1_b32 s4, s16, exec_lo
	s_wait_alu 0xfffe
	s_and_b32 s5, s17, exec_lo
	s_wait_alu 0xfffe
	s_or_b32 s16, s4, s5
.LBB101_204:                            ;   in Loop: Header=BB101_15 Depth=1
	s_or_b32 exec_lo, exec_lo, s14
	s_mov_b32 s65, 0
	s_mov_b32 s66, -1
.LBB101_205:                            ;   in Loop: Header=BB101_15 Depth=1
	s_wait_alu 0xfffe
	s_or_not1_b32 s4, s16, exec_lo
.LBB101_206:                            ;   in Loop: Header=BB101_15 Depth=1
	s_wait_alu 0xfffe
	s_or_b32 exec_lo, exec_lo, s68
	s_mov_b32 s5, 0
	s_and_saveexec_b32 s14, s4
	s_cbranch_execz .LBB101_264
; %bb.207:                              ;   in Loop: Header=BB101_15 Depth=1
	v_mov_b32_e32 v9, 1
	v_dual_mov_b32 v10, 0 :: v_dual_mov_b32 v13, 1
	s_xor_b32 s15, s67, -1
	s_wait_alu 0xfffe
	s_and_saveexec_b32 s4, s15
	s_cbranch_execz .LBB101_216
; %bb.208:                              ;   in Loop: Header=BB101_15 Depth=1
	s_mov_b32 s5, exec_lo
	v_cmpx_ge_u64_e64 s[10:11], v[7:8]
	s_wait_alu 0xfffe
	s_xor_b32 s5, exec_lo, s5
	s_cbranch_execz .LBB101_213
; %bb.209:                              ;   in Loop: Header=BB101_15 Depth=1
	ds_load_b64 v[3:4], v16 offset:5120
	v_and_b32_e32 v9, s13, v22
	v_and_b32_e32 v10, s12, v21
	s_lshl_b64 s[12:13], 2, s81
	v_or_b32_e32 v24, s9, v24
	v_or_b32_e32 v23, s8, v23
	s_wait_alu 0xfffe
	v_or_b32_e32 v22, s13, v9
	v_or_b32_e32 v21, s12, v10
	s_wait_dscnt 0x0
	v_cmp_ne_u64_e32 vcc_lo, 0, v[3:4]
	s_cbranch_vccnz .LBB101_213
; %bb.210:                              ;   in Loop: Header=BB101_15 Depth=1
	s_and_saveexec_b32 s12, s2
; %bb.211:                              ;   in Loop: Header=BB101_15 Depth=1
	v_dual_mov_b32 v3, s10 :: v_dual_mov_b32 v4, s11
	ds_store_b64 v16, v[3:4] offset:5128
; %bb.212:                              ;   in Loop: Header=BB101_15 Depth=1
	s_wait_alu 0xfffe
	s_or_b32 exec_lo, exec_lo, s12
	s_wait_loadcnt_dscnt 0x0
	s_barrier_signal -1
	s_barrier_wait -1
	global_inv scope:SCOPE_SE
.LBB101_213:                            ;   in Loop: Header=BB101_15 Depth=1
	s_wait_alu 0xfffe
	s_or_saveexec_b32 s5, s5
	v_mov_b32_e32 v13, 8
	s_mov_b32 s12, 0
	s_wait_alu 0xfffe
	s_xor_b32 exec_lo, exec_lo, s5
; %bb.214:                              ;   in Loop: Header=BB101_15 Depth=1
	v_sub_co_u32 v7, vcc_lo, v7, s10
	s_wait_alu 0xfffd
	v_subrev_co_ci_u32_e64 v8, null, s11, v8, vcc_lo
	v_mov_b32_e32 v13, 0
	s_mov_b32 s12, exec_lo
; %bb.215:                              ;   in Loop: Header=BB101_15 Depth=1
	s_or_b32 exec_lo, exec_lo, s5
	s_delay_alu instid0(VALU_DEP_2)
	v_dual_mov_b32 v10, v8 :: v_dual_mov_b32 v9, v7
	s_wait_alu 0xfffe
	s_and_b32 s5, s12, exec_lo
.LBB101_216:                            ;   in Loop: Header=BB101_15 Depth=1
	s_wait_alu 0xfffe
	s_or_b32 exec_lo, exec_lo, s4
	s_mov_b32 s4, -1
                                        ; implicit-def: $sgpr68
                                        ; implicit-def: $sgpr67
	s_and_saveexec_b32 s15, s5
	s_cbranch_execz .LBB101_263
; %bb.217:                              ;   in Loop: Header=BB101_15 Depth=1
	v_cmp_eq_u64_e32 vcc_lo, 1, v[9:10]
	s_cmp_eq_u64 s[6:7], 1
	s_mov_b32 s5, -1
	s_cselect_b32 s4, -1, 0
                                        ; implicit-def: $sgpr68
                                        ; implicit-def: $sgpr67
	s_wait_alu 0xfffe
	s_and_b32 s16, s4, vcc_lo
	s_wait_alu 0xfffe
	s_and_saveexec_b32 s17, s16
	s_cbranch_execz .LBB101_251
; %bb.218:                              ;   in Loop: Header=BB101_15 Depth=1
	ds_load_b64 v[3:4], v16 offset:5120
	s_wait_loadcnt_dscnt 0x0
	s_barrier_signal -1
	s_barrier_wait -1
	global_inv scope:SCOPE_SE
	v_readfirstlane_b32 s4, v3
	v_readfirstlane_b32 s5, v4
	s_and_saveexec_b32 s10, s3
; %bb.219:                              ;   in Loop: Header=BB101_15 Depth=1
	v_mov_b32_e32 v15, v16
	ds_store_b64 v33, v[15:16]
; %bb.220:                              ;   in Loop: Header=BB101_15 Depth=1
	s_wait_alu 0xfffe
	s_or_b32 exec_lo, exec_lo, s10
	v_or_b32_e32 v22, s9, v22
	v_or_b32_e32 v21, s8, v21
	;; [unrolled: 1-line block ×4, first 2 shown]
	s_mov_b32 s67, -1
	s_mov_b32 s68, 0
	s_cmp_eq_u64 s[4:5], 0
	s_mov_b32 s12, 0
	s_mov_b32 s13, -1
	s_wait_loadcnt_dscnt 0x0
	s_barrier_signal -1
	s_barrier_wait -1
	global_inv scope:SCOPE_SE
                                        ; implicit-def: $vgpr5_vgpr6
	s_cbranch_scc1 .LBB101_236
; %bb.221:                              ;   in Loop: Header=BB101_15 Depth=1
	s_add_nc_u64 s[10:11], s[4:5], s[58:59]
	s_mov_b32 s12, s57
	s_wait_alu 0xfffe
	s_mov_b32 s13, s11
	s_wait_alu 0xfffe
	s_cmp_lg_u64 s[12:13], 0
	s_cbranch_scc0 .LBB101_270
; %bb.222:                              ;   in Loop: Header=BB101_15 Depth=1
	s_cvt_f32_u32 s12, s54
	s_sub_nc_u64 s[70:71], 0, s[54:55]
	s_wait_alu 0xfffe
	s_delay_alu instid0(SALU_CYCLE_1) | instskip(SKIP_1) | instid1(SALU_CYCLE_2)
	s_fmamk_f32 s12, s83, 0x0, s12
	s_wait_alu 0xfffe
	v_s_rcp_f32 s12, s12
	s_delay_alu instid0(TRANS32_DEP_1) | instskip(SKIP_1) | instid1(SALU_CYCLE_2)
	s_mul_f32 s12, s12, 0x5f7ffffc
	s_wait_alu 0xfffe
	s_mul_f32 s13, s12, 0x2f800000
	s_wait_alu 0xfffe
	s_delay_alu instid0(SALU_CYCLE_2) | instskip(SKIP_1) | instid1(SALU_CYCLE_2)
	s_trunc_f32 s13, s13
	s_wait_alu 0xfffe
	s_fmamk_f32 s12, s13, 0xcf800000, s12
	s_cvt_u32_f32 s13, s13
	s_wait_alu 0xfffe
	s_delay_alu instid0(SALU_CYCLE_1) | instskip(SKIP_1) | instid1(SALU_CYCLE_2)
	s_cvt_u32_f32 s12, s12
	s_wait_alu 0xfffe
	s_mul_u64 s[72:73], s[70:71], s[12:13]
	s_wait_alu 0xfffe
	s_mul_hi_u32 s93, s12, s73
	s_mul_i32 s92, s12, s73
	s_mul_hi_u32 s56, s12, s72
	s_mul_i32 s91, s13, s72
	s_wait_alu 0xfffe
	s_add_nc_u64 s[92:93], s[56:57], s[92:93]
	s_mul_hi_u32 s69, s13, s72
	s_mul_hi_u32 s94, s13, s73
	s_wait_alu 0xfffe
	s_add_co_u32 s56, s92, s91
	s_add_co_ci_u32 s56, s93, s69
	s_mul_i32 s72, s13, s73
	s_add_co_ci_u32 s73, s94, 0
	s_wait_alu 0xfffe
	s_add_nc_u64 s[72:73], s[56:57], s[72:73]
	s_wait_alu 0xfffe
	s_add_co_u32 s12, s12, s72
	s_cselect_b32 s56, -1, 0
	s_wait_alu 0xfffe
	s_cmp_lg_u32 s56, 0
	s_add_co_ci_u32 s13, s13, s73
	s_wait_alu 0xfffe
	s_mul_u64 s[70:71], s[70:71], s[12:13]
	s_wait_alu 0xfffe
	s_mul_hi_u32 s73, s12, s71
	s_mul_i32 s72, s12, s71
	s_mul_hi_u32 s56, s12, s70
	s_mul_i32 s91, s13, s70
	s_wait_alu 0xfffe
	s_add_nc_u64 s[72:73], s[56:57], s[72:73]
	s_mul_hi_u32 s69, s13, s70
	s_mul_hi_u32 s92, s13, s71
	s_wait_alu 0xfffe
	s_add_co_u32 s56, s72, s91
	s_add_co_ci_u32 s56, s73, s69
	s_mul_i32 s70, s13, s71
	s_add_co_ci_u32 s71, s92, 0
	s_wait_alu 0xfffe
	s_add_nc_u64 s[70:71], s[56:57], s[70:71]
	s_wait_alu 0xfffe
	s_add_co_u32 s12, s12, s70
	s_cselect_b32 s69, -1, 0
	s_wait_alu 0xfffe
	s_mul_hi_u32 s56, s10, s12
	s_cmp_lg_u32 s69, 0
	s_mul_hi_u32 s69, s11, s12
	s_add_co_ci_u32 s70, s13, s71
	s_mul_i32 s71, s11, s12
	s_wait_alu 0xfffe
	s_mul_hi_u32 s13, s10, s70
	s_mul_i32 s12, s10, s70
	s_mul_hi_u32 s72, s11, s70
	s_wait_alu 0xfffe
	s_add_nc_u64 s[12:13], s[56:57], s[12:13]
	s_mul_i32 s70, s11, s70
	s_wait_alu 0xfffe
	s_add_co_u32 s12, s12, s71
	s_add_co_ci_u32 s56, s13, s69
	s_add_co_ci_u32 s71, s72, 0
	s_wait_alu 0xfffe
	s_add_nc_u64 s[12:13], s[56:57], s[70:71]
	s_wait_alu 0xfffe
	s_mul_u64 s[12:13], s[54:55], s[12:13]
	s_wait_alu 0xfffe
	s_sub_co_u32 s12, s10, s12
	s_cselect_b32 s56, -1, 0
	s_wait_alu 0xfffe
	s_cmp_lg_u32 s56, 0
	s_sub_co_ci_u32 s13, s11, s13
	s_sub_co_u32 s56, s12, s54
	s_cselect_b32 s69, -1, 0
	s_wait_alu 0xfffe
	s_cmp_lg_u32 s69, 0
	s_sub_co_ci_u32 s69, s13, 0
	;; [unrolled: 5-line block ×3, first 2 shown]
	s_cmp_ge_u32 s56, s54
	s_cselect_b32 s72, -1, 0
	s_cmp_eq_u32 s69, 0
	s_wait_alu 0xfffe
	s_cselect_b32 s72, s72, -1
	s_wait_alu 0xfffe
	s_cmp_lg_u32 s72, 0
	s_cselect_b32 s69, s71, s69
	s_cselect_b32 s56, s70, s56
	s_cmp_ge_u32 s12, s54
	s_cselect_b32 s70, -1, 0
	s_cmp_eq_u32 s13, 0
	s_wait_alu 0xfffe
	s_cselect_b32 s70, s70, -1
	s_wait_alu 0xfffe
	s_cmp_lg_u32 s70, 0
	s_cselect_b32 s13, s69, s13
	s_cselect_b32 s12, s56, s12
	s_cbranch_execnz .LBB101_224
.LBB101_223:                            ;   in Loop: Header=BB101_15 Depth=1
	v_cvt_f32_u32_e32 v3, s54
	s_sub_co_i32 s13, 0, s54
	s_delay_alu instid0(VALU_DEP_1) | instskip(NEXT) | instid1(TRANS32_DEP_1)
	v_rcp_iflag_f32_e32 v3, v3
	v_mul_f32_e32 v3, 0x4f7ffffe, v3
	s_delay_alu instid0(VALU_DEP_1) | instskip(NEXT) | instid1(VALU_DEP_1)
	v_cvt_u32_f32_e32 v3, v3
	v_readfirstlane_b32 s12, v3
	s_wait_alu 0xfffe
	s_mul_i32 s13, s13, s12
	s_wait_alu 0xfffe
	s_mul_hi_u32 s13, s12, s13
	s_wait_alu 0xfffe
	s_add_co_i32 s12, s12, s13
	s_wait_alu 0xfffe
	s_mul_hi_u32 s12, s10, s12
	s_wait_alu 0xfffe
	s_mul_i32 s12, s12, s54
	s_wait_alu 0xfffe
	s_sub_co_i32 s12, s10, s12
	s_wait_alu 0xfffe
	s_sub_co_i32 s13, s12, s54
	s_cmp_ge_u32 s12, s54
	s_wait_alu 0xfffe
	s_cselect_b32 s12, s13, s12
	s_wait_alu 0xfffe
	s_sub_co_i32 s13, s12, s54
	s_cmp_ge_u32 s12, s54
	s_wait_alu 0xfffe
	s_cselect_b32 s56, s13, s12
	s_wait_alu 0xfffe
	s_mov_b64 s[12:13], s[56:57]
.LBB101_224:                            ;   in Loop: Header=BB101_15 Depth=1
	s_wait_alu 0xfffe
	s_sub_nc_u64 s[10:11], s[10:11], s[12:13]
	s_mov_b32 s13, 0
	s_mov_b32 s12, 0
	s_mov_b32 s56, exec_lo
                                        ; implicit-def: $vgpr5_vgpr6
	s_wait_alu 0xfffe
	v_cmpx_gt_u64_e64 s[10:11], v[0:1]
	s_cbranch_execz .LBB101_235
; %bb.225:                              ;   in Loop: Header=BB101_15 Depth=1
	v_dual_mov_b32 v11, v32 :: v_dual_mov_b32 v8, v1
	v_mov_b32_e32 v7, v0
                                        ; implicit-def: $sgpr69
	s_branch .LBB101_228
.LBB101_226:                            ;   in Loop: Header=BB101_228 Depth=2
	s_wait_alu 0xfffe
	s_or_b32 exec_lo, exec_lo, s70
	s_wait_loadcnt_dscnt 0x0
	s_barrier_signal -1
	s_barrier_wait -1
	global_inv scope:SCOPE_SE
	ds_load_b128 v[3:6], v16 offset:3072
	s_mov_b32 s70, -1
	s_mov_b32 s71, -1
	s_wait_loadcnt_dscnt 0x0
	s_barrier_signal -1
	s_barrier_wait -1
	global_inv scope:SCOPE_SE
	v_cmp_ne_u64_e32 vcc_lo, 0, v[3:4]
	s_cbranch_vccz .LBB101_231
.LBB101_227:                            ;   in Loop: Header=BB101_228 Depth=2
	s_wait_alu 0xfffe
	s_and_b32 s70, exec_lo, s70
	s_wait_alu 0xfffe
	s_or_b32 s12, s70, s12
	s_and_not1_b32 s69, s69, exec_lo
	s_and_b32 s70, s71, exec_lo
	s_wait_alu 0xfffe
	s_or_b32 s69, s69, s70
	s_and_not1_b32 exec_lo, exec_lo, s12
	s_cbranch_execz .LBB101_234
.LBB101_228:                            ;   Parent Loop BB101_15 Depth=1
                                        ; =>  This Inner Loop Header: Depth=2
	s_mov_b32 s70, exec_lo
	s_delay_alu instid0(VALU_DEP_1)
	v_cmpx_gt_u64_e64 s[4:5], v[7:8]
	s_cbranch_execz .LBB101_226
; %bb.229:                              ;   in Loop: Header=BB101_228 Depth=2
	ds_load_b64 v[4:5], v11
	s_wait_dscnt 0x0
	v_xor_b32_e32 v3, 0x80000000, v5
	v_and_b32_e32 v14, v4, v23
	s_delay_alu instid0(VALU_DEP_2) | instskip(NEXT) | instid1(VALU_DEP_1)
	v_and_b32_e32 v15, v3, v24
	v_cmp_eq_u64_e32 vcc_lo, v[14:15], v[21:22]
	s_and_b32 exec_lo, exec_lo, vcc_lo
	s_cbranch_execz .LBB101_226
; %bb.230:                              ;   in Loop: Header=BB101_228 Depth=2
	v_mov_b32_e32 v3, v16
	ds_store_b128 v16, v[2:5] offset:3072
	s_branch .LBB101_226
.LBB101_231:                            ;   in Loop: Header=BB101_228 Depth=2
	v_add_co_u32 v7, vcc_lo, v7, s54
	s_wait_alu 0xfffd
	v_add_co_ci_u32_e64 v8, null, 0, v8, vcc_lo
	v_add_nc_u32_e32 v11, s80, v11
	s_mov_b32 s71, 0
	s_delay_alu instid0(VALU_DEP_2)
	v_cmp_le_u64_e32 vcc_lo, s[10:11], v[7:8]
	s_or_not1_b32 s70, vcc_lo, exec_lo
	s_branch .LBB101_227
.LBB101_232:                            ;   in Loop: Header=BB101_15 Depth=1
                                        ; implicit-def: $sgpr16_sgpr17
	s_branch .LBB101_178
.LBB101_233:                            ;   in Loop: Header=BB101_15 Depth=1
                                        ; implicit-def: $sgpr4_sgpr5
	s_branch .LBB101_194
.LBB101_234:                            ;   in Loop: Header=BB101_15 Depth=1
	s_or_b32 exec_lo, exec_lo, s12
	s_wait_alu 0xfffe
	s_and_b32 s12, s69, exec_lo
.LBB101_235:                            ;   in Loop: Header=BB101_15 Depth=1
	s_or_b32 exec_lo, exec_lo, s56
.LBB101_236:                            ;   in Loop: Header=BB101_15 Depth=1
	s_wait_alu 0xfffe
	s_and_b32 vcc_lo, exec_lo, s13
	s_wait_alu 0xfffe
	s_cbranch_vccz .LBB101_250
; %bb.237:                              ;   in Loop: Header=BB101_15 Depth=1
	s_mov_b32 s4, s57
	s_mov_b32 s5, s61
	s_wait_alu 0xfffe
	s_cmp_lg_u64 s[4:5], 0
	s_cbranch_scc0 .LBB101_271
; %bb.238:                              ;   in Loop: Header=BB101_15 Depth=1
	s_cvt_f32_u32 s4, s54
	s_sub_nc_u64 s[10:11], 0, s[54:55]
	s_wait_alu 0xfffe
	s_delay_alu instid0(SALU_CYCLE_1) | instskip(SKIP_1) | instid1(SALU_CYCLE_2)
	s_fmamk_f32 s4, s83, 0x0, s4
	s_wait_alu 0xfffe
	v_s_rcp_f32 s4, s4
	s_delay_alu instid0(TRANS32_DEP_1) | instskip(SKIP_1) | instid1(SALU_CYCLE_2)
	s_mul_f32 s4, s4, 0x5f7ffffc
	s_wait_alu 0xfffe
	s_mul_f32 s5, s4, 0x2f800000
	s_wait_alu 0xfffe
	s_delay_alu instid0(SALU_CYCLE_2) | instskip(SKIP_1) | instid1(SALU_CYCLE_2)
	s_trunc_f32 s5, s5
	s_wait_alu 0xfffe
	s_fmamk_f32 s4, s5, 0xcf800000, s4
	s_cvt_u32_f32 s5, s5
	s_wait_alu 0xfffe
	s_delay_alu instid0(SALU_CYCLE_1) | instskip(SKIP_1) | instid1(SALU_CYCLE_2)
	s_cvt_u32_f32 s4, s4
	s_wait_alu 0xfffe
	s_mul_u64 s[68:69], s[10:11], s[4:5]
	s_wait_alu 0xfffe
	s_mul_hi_u32 s71, s4, s69
	s_mul_i32 s70, s4, s69
	s_mul_hi_u32 s56, s4, s68
	s_mul_i32 s67, s5, s68
	s_wait_alu 0xfffe
	s_add_nc_u64 s[70:71], s[56:57], s[70:71]
	s_mul_hi_u32 s13, s5, s68
	s_mul_hi_u32 s72, s5, s69
	s_wait_alu 0xfffe
	s_add_co_u32 s56, s70, s67
	s_add_co_ci_u32 s56, s71, s13
	s_mul_i32 s68, s5, s69
	s_add_co_ci_u32 s69, s72, 0
	s_wait_alu 0xfffe
	s_add_nc_u64 s[68:69], s[56:57], s[68:69]
	s_wait_alu 0xfffe
	s_add_co_u32 s4, s4, s68
	s_cselect_b32 s13, -1, 0
	s_wait_alu 0xfffe
	s_cmp_lg_u32 s13, 0
	s_add_co_ci_u32 s5, s5, s69
	s_wait_alu 0xfffe
	s_mul_u64 s[10:11], s[10:11], s[4:5]
	s_wait_alu 0xfffe
	s_mul_hi_u32 s69, s4, s11
	s_mul_i32 s68, s4, s11
	s_mul_hi_u32 s56, s4, s10
	s_mul_i32 s67, s5, s10
	s_wait_alu 0xfffe
	s_add_nc_u64 s[68:69], s[56:57], s[68:69]
	s_mul_hi_u32 s13, s5, s10
	s_mul_hi_u32 s70, s5, s11
	s_mul_i32 s10, s5, s11
	s_wait_alu 0xfffe
	s_add_co_u32 s11, s68, s67
	s_add_co_ci_u32 s56, s69, s13
	s_add_co_ci_u32 s11, s70, 0
	s_wait_alu 0xfffe
	s_add_nc_u64 s[10:11], s[56:57], s[10:11]
	s_wait_alu 0xfffe
	s_add_co_u32 s4, s4, s10
	s_cselect_b32 s10, -1, 0
	s_wait_alu 0xfffe
	s_mul_hi_u32 s56, s60, s4
	s_cmp_lg_u32 s10, 0
	s_mul_hi_u32 s13, s61, s4
	s_add_co_ci_u32 s10, s5, s11
	s_mul_i32 s11, s61, s4
	s_wait_alu 0xfffe
	s_mul_hi_u32 s5, s60, s10
	s_mul_i32 s4, s60, s10
	s_mul_hi_u32 s67, s61, s10
	s_wait_alu 0xfffe
	s_add_nc_u64 s[4:5], s[56:57], s[4:5]
	s_mul_i32 s10, s61, s10
	s_wait_alu 0xfffe
	s_add_co_u32 s4, s4, s11
	s_add_co_ci_u32 s56, s5, s13
	s_add_co_ci_u32 s11, s67, 0
	s_wait_alu 0xfffe
	s_add_nc_u64 s[4:5], s[56:57], s[10:11]
	s_wait_alu 0xfffe
	s_mul_u64 s[4:5], s[54:55], s[4:5]
	s_wait_alu 0xfffe
	s_sub_co_u32 s4, s60, s4
	s_cselect_b32 s10, -1, 0
	s_wait_alu 0xfffe
	s_cmp_lg_u32 s10, 0
	s_sub_co_ci_u32 s5, s61, s5
	s_sub_co_u32 s10, s4, s54
	s_cselect_b32 s11, -1, 0
	s_wait_alu 0xfffe
	s_cmp_lg_u32 s11, 0
	s_sub_co_ci_u32 s11, s5, 0
	;; [unrolled: 5-line block ×3, first 2 shown]
	s_cmp_ge_u32 s10, s54
	s_cselect_b32 s67, -1, 0
	s_cmp_eq_u32 s11, 0
	s_wait_alu 0xfffe
	s_cselect_b32 s67, s67, -1
	s_wait_alu 0xfffe
	s_cmp_lg_u32 s67, 0
	s_cselect_b32 s11, s56, s11
	s_cselect_b32 s10, s13, s10
	s_cmp_ge_u32 s4, s54
	s_cselect_b32 s13, -1, 0
	s_cmp_eq_u32 s5, 0
	s_wait_alu 0xfffe
	s_cselect_b32 s13, s13, -1
	s_wait_alu 0xfffe
	s_cmp_lg_u32 s13, 0
	s_cselect_b32 s5, s11, s5
	s_cselect_b32 s4, s10, s4
	s_cbranch_execnz .LBB101_240
.LBB101_239:                            ;   in Loop: Header=BB101_15 Depth=1
	v_cvt_f32_u32_e32 v3, s54
	s_sub_co_i32 s5, 0, s54
	s_delay_alu instid0(VALU_DEP_1) | instskip(NEXT) | instid1(TRANS32_DEP_1)
	v_rcp_iflag_f32_e32 v3, v3
	v_mul_f32_e32 v3, 0x4f7ffffe, v3
	s_delay_alu instid0(VALU_DEP_1) | instskip(NEXT) | instid1(VALU_DEP_1)
	v_cvt_u32_f32_e32 v3, v3
	v_readfirstlane_b32 s4, v3
	s_wait_alu 0xfffe
	s_mul_i32 s5, s5, s4
	s_wait_alu 0xfffe
	s_mul_hi_u32 s5, s4, s5
	s_wait_alu 0xfffe
	s_add_co_i32 s4, s4, s5
	s_wait_alu 0xfffe
	s_mul_hi_u32 s4, s60, s4
	s_wait_alu 0xfffe
	s_mul_i32 s4, s4, s54
	s_wait_alu 0xfffe
	s_sub_co_i32 s4, s60, s4
	s_wait_alu 0xfffe
	s_sub_co_i32 s5, s4, s54
	s_cmp_ge_u32 s4, s54
	s_wait_alu 0xfffe
	s_cselect_b32 s4, s5, s4
	s_wait_alu 0xfffe
	s_sub_co_i32 s5, s4, s54
	s_cmp_ge_u32 s4, s54
	s_wait_alu 0xfffe
	s_cselect_b32 s56, s5, s4
	s_wait_alu 0xfffe
	s_mov_b64 s[4:5], s[56:57]
.LBB101_240:                            ;   in Loop: Header=BB101_15 Depth=1
	s_wait_alu 0xfffe
	s_sub_nc_u64 s[4:5], s[60:61], s[4:5]
	s_mov_b32 s10, exec_lo
                                        ; implicit-def: $vgpr5_vgpr6
	s_wait_alu 0xfffe
	v_cmpx_gt_u64_e64 s[4:5], v[0:1]
	s_cbranch_execz .LBB101_249
; %bb.241:                              ;   in Loop: Header=BB101_15 Depth=1
	v_dual_mov_b32 v8, v1 :: v_dual_mov_b32 v7, v0
	s_mov_b32 s11, 0
                                        ; implicit-def: $sgpr13
	s_branch .LBB101_244
.LBB101_242:                            ;   in Loop: Header=BB101_244 Depth=2
	s_wait_alu 0xfffe
	s_or_b32 exec_lo, exec_lo, s56
	s_wait_loadcnt_dscnt 0x0
	s_barrier_signal -1
	s_barrier_wait -1
	global_inv scope:SCOPE_SE
	ds_load_b128 v[3:6], v16 offset:3072
	s_mov_b32 s67, -1
	s_mov_b32 s56, -1
	s_wait_loadcnt_dscnt 0x0
	s_barrier_signal -1
	s_barrier_wait -1
	global_inv scope:SCOPE_SE
	v_cmp_eq_u64_e32 vcc_lo, 0, v[3:4]
	s_cbranch_vccnz .LBB101_247
.LBB101_243:                            ;   in Loop: Header=BB101_244 Depth=2
	s_wait_alu 0xfffe
	s_and_b32 s67, exec_lo, s67
	s_wait_alu 0xfffe
	s_or_b32 s11, s67, s11
	s_and_not1_b32 s13, s13, exec_lo
	s_and_b32 s56, s56, exec_lo
	s_wait_alu 0xfffe
	s_or_b32 s13, s13, s56
	s_and_not1_b32 exec_lo, exec_lo, s11
	s_cbranch_execz .LBB101_248
.LBB101_244:                            ;   Parent Loop BB101_15 Depth=1
                                        ; =>  This Inner Loop Header: Depth=2
	s_mov_b32 s56, exec_lo
	s_delay_alu instid0(VALU_DEP_1)
	v_cmpx_gt_u64_e64 s[24:25], v[7:8]
	s_cbranch_execz .LBB101_242
; %bb.245:                              ;   in Loop: Header=BB101_244 Depth=2
	v_mul_lo_u32 v5, v8, s42
	v_mul_lo_u32 v6, v7, s43
	v_mad_co_u64_u32 v[3:4], null, v7, s42, 0
	s_delay_alu instid0(VALU_DEP_1) | instskip(NEXT) | instid1(VALU_DEP_1)
	v_add3_u32 v4, v4, v6, v5
	v_lshlrev_b64_e32 v[3:4], 3, v[3:4]
	s_delay_alu instid0(VALU_DEP_1) | instskip(SKIP_1) | instid1(VALU_DEP_2)
	v_add_co_u32 v3, vcc_lo, s50, v3
	s_wait_alu 0xfffd
	v_add_co_ci_u32_e64 v4, null, s51, v4, vcc_lo
	global_load_b64 v[4:5], v[3:4], off
	s_wait_loadcnt 0x0
	v_xor_b32_e32 v3, 0x80000000, v5
	v_and_b32_e32 v11, v4, v23
	s_delay_alu instid0(VALU_DEP_2) | instskip(NEXT) | instid1(VALU_DEP_1)
	v_and_b32_e32 v12, v3, v24
	v_cmp_eq_u64_e32 vcc_lo, v[11:12], v[21:22]
	s_and_b32 exec_lo, exec_lo, vcc_lo
	s_cbranch_execz .LBB101_242
; %bb.246:                              ;   in Loop: Header=BB101_244 Depth=2
	v_mov_b32_e32 v3, v16
	ds_store_b128 v16, v[2:5] offset:3072
	s_branch .LBB101_242
.LBB101_247:                            ;   in Loop: Header=BB101_244 Depth=2
	v_add_co_u32 v7, vcc_lo, v7, s54
	s_wait_alu 0xfffd
	v_add_co_ci_u32_e64 v8, null, 0, v8, vcc_lo
	s_mov_b32 s56, 0
	v_cmp_le_u64_e32 vcc_lo, s[4:5], v[7:8]
	s_or_not1_b32 s67, vcc_lo, exec_lo
	s_branch .LBB101_243
.LBB101_248:                            ;   in Loop: Header=BB101_15 Depth=1
	s_or_b32 exec_lo, exec_lo, s11
	s_delay_alu instid0(SALU_CYCLE_1)
	s_and_not1_b32 s4, s12, exec_lo
	s_wait_alu 0xfffe
	s_and_b32 s5, s13, exec_lo
	s_wait_alu 0xfffe
	s_or_b32 s12, s4, s5
.LBB101_249:                            ;   in Loop: Header=BB101_15 Depth=1
	s_or_b32 exec_lo, exec_lo, s10
	s_mov_b32 s67, 0
	s_mov_b32 s68, -1
.LBB101_250:                            ;   in Loop: Header=BB101_15 Depth=1
	s_wait_alu 0xfffe
	s_or_not1_b32 s5, s12, exec_lo
.LBB101_251:                            ;   in Loop: Header=BB101_15 Depth=1
	s_wait_alu 0xfffe
	s_or_b32 exec_lo, exec_lo, s17
	s_mov_b32 s10, 0
	s_and_saveexec_b32 s4, s5
	s_cbranch_execz .LBB101_262
; %bb.252:                              ;   in Loop: Header=BB101_15 Depth=1
	v_mov_b32_e32 v3, 1
	v_dual_mov_b32 v4, 0 :: v_dual_mov_b32 v13, 1
	s_xor_b32 s10, s16, -1
	s_wait_alu 0xfffe
	s_and_saveexec_b32 s5, s10
	s_cbranch_execz .LBB101_261
; %bb.253:                              ;   in Loop: Header=BB101_15 Depth=1
	s_mov_b32 s10, exec_lo
	v_cmpx_ge_u64_e64 s[6:7], v[9:10]
	s_wait_alu 0xfffe
	s_xor_b32 s10, exec_lo, s10
	s_cbranch_execz .LBB101_258
; %bb.254:                              ;   in Loop: Header=BB101_15 Depth=1
	ds_load_b64 v[3:4], v16 offset:5120
	v_or_b32_e32 v22, s9, v22
	v_or_b32_e32 v21, s8, v21
	;; [unrolled: 1-line block ×4, first 2 shown]
	s_wait_dscnt 0x0
	v_cmp_ne_u64_e32 vcc_lo, 0, v[3:4]
	s_cbranch_vccnz .LBB101_258
; %bb.255:                              ;   in Loop: Header=BB101_15 Depth=1
	s_and_saveexec_b32 s8, s2
; %bb.256:                              ;   in Loop: Header=BB101_15 Depth=1
	v_dual_mov_b32 v3, s6 :: v_dual_mov_b32 v4, s7
	ds_store_b64 v16, v[3:4] offset:5128
; %bb.257:                              ;   in Loop: Header=BB101_15 Depth=1
	s_wait_alu 0xfffe
	s_or_b32 exec_lo, exec_lo, s8
	s_wait_loadcnt_dscnt 0x0
	s_barrier_signal -1
	s_barrier_wait -1
	global_inv scope:SCOPE_SE
.LBB101_258:                            ;   in Loop: Header=BB101_15 Depth=1
	s_wait_alu 0xfffe
	s_and_not1_saveexec_b32 s8, s10
; %bb.259:                              ;   in Loop: Header=BB101_15 Depth=1
	v_sub_co_u32 v9, vcc_lo, v9, s6
	s_wait_alu 0xfffd
	v_subrev_co_ci_u32_e64 v10, null, s7, v10, vcc_lo
; %bb.260:                              ;   in Loop: Header=BB101_15 Depth=1
	s_wait_alu 0xfffe
	s_or_b32 exec_lo, exec_lo, s8
	v_mov_b32_e32 v3, v9
	s_delay_alu instid0(VALU_DEP_2)
	v_dual_mov_b32 v13, 8 :: v_dual_mov_b32 v4, v10
.LBB101_261:                            ;   in Loop: Header=BB101_15 Depth=1
	s_wait_alu 0xfffe
	s_or_b32 exec_lo, exec_lo, s5
	s_delay_alu instid0(VALU_DEP_1)
	v_dual_mov_b32 v10, v4 :: v_dual_mov_b32 v9, v3
	s_mov_b32 s10, exec_lo
.LBB101_262:                            ;   in Loop: Header=BB101_15 Depth=1
	s_wait_alu 0xfffe
	s_or_b32 exec_lo, exec_lo, s4
	s_delay_alu instid0(SALU_CYCLE_1)
	s_or_not1_b32 s4, s10, exec_lo
.LBB101_263:                            ;   in Loop: Header=BB101_15 Depth=1
	s_wait_alu 0xfffe
	s_or_b32 exec_lo, exec_lo, s15
	v_dual_mov_b32 v7, v9 :: v_dual_mov_b32 v8, v10
	s_and_not1_b32 s5, s66, exec_lo
	s_and_b32 s6, s68, exec_lo
	s_and_not1_b32 s7, s65, exec_lo
	s_and_b32 s8, s67, exec_lo
	s_wait_alu 0xfffe
	s_or_b32 s66, s5, s6
	s_or_b32 s65, s7, s8
	s_and_b32 s5, s4, exec_lo
.LBB101_264:                            ;   in Loop: Header=BB101_15 Depth=1
	s_wait_alu 0xfffe
	s_or_b32 exec_lo, exec_lo, s14
	s_delay_alu instid0(SALU_CYCLE_1)
	s_or_not1_b32 s4, s5, exec_lo
.LBB101_265:                            ;   in Loop: Header=BB101_15 Depth=1
	s_or_b32 exec_lo, exec_lo, s64
	v_dual_mov_b32 v12, v8 :: v_dual_mov_b32 v11, v7
	s_and_not1_b32 s5, s22, exec_lo
	s_and_b32 s6, s66, exec_lo
	s_and_not1_b32 s7, s21, exec_lo
	s_and_b32 s8, s65, exec_lo
	s_wait_alu 0xfffe
	s_or_b32 s22, s5, s6
	s_or_b32 s21, s7, s8
	s_and_b32 s5, s4, exec_lo
.LBB101_266:                            ;   in Loop: Header=BB101_15 Depth=1
	s_wait_alu 0xfffe
	s_or_b32 exec_lo, exec_lo, s23
	s_delay_alu instid0(SALU_CYCLE_1)
	s_or_not1_b32 s4, s5, exec_lo
.LBB101_267:                            ;   in Loop: Header=BB101_15 Depth=1
	s_wait_alu 0xfffe
	s_or_b32 exec_lo, exec_lo, s20
	s_mov_b32 s5, 0
	s_and_saveexec_b32 s6, s4
	s_wait_alu 0xfffe
	s_xor_b32 s4, exec_lo, s6
	s_cbranch_execz .LBB101_13
; %bb.268:                              ;   in Loop: Header=BB101_15 Depth=1
	v_and_b32_e32 v3, 7, v13
	s_mov_b32 s6, -1
	s_mov_b32 s5, -1
	s_mov_b32 s7, exec_lo
	s_delay_alu instid0(VALU_DEP_1)
	v_cmpx_eq_u32_e32 0, v3
	s_cbranch_execz .LBB101_12
; %bb.269:                              ;   in Loop: Header=BB101_15 Depth=1
	s_xor_b32 s84, s84, 1
	s_add_co_i32 s8, s81, -2
	s_cmp_eq_u32 s81, 0
	s_wait_alu 0xfffe
	s_mov_b32 s81, s8
	s_cselect_b32 s6, -1, 0
	s_xor_b32 s5, exec_lo, -1
	s_wait_alu 0xfffe
	s_or_not1_b32 s6, s6, exec_lo
	s_branch .LBB101_12
.LBB101_270:                            ;   in Loop: Header=BB101_15 Depth=1
                                        ; implicit-def: $sgpr12_sgpr13
	s_branch .LBB101_223
.LBB101_271:                            ;   in Loop: Header=BB101_15 Depth=1
                                        ; implicit-def: $sgpr4_sgpr5
	s_branch .LBB101_239
.LBB101_272:
	s_or_b32 exec_lo, exec_lo, s82
	s_wait_alu 0xfffe
	s_xor_b32 s4, s90, -1
	s_xor_b32 s1, s88, -1
	;; [unrolled: 1-line block ×3, first 2 shown]
	s_mov_b32 s2, 0
	s_and_saveexec_b32 s5, s1
	s_wait_alu 0xfffe
	s_xor_b32 s1, exec_lo, s5
	s_cbranch_execnz .LBB101_279
; %bb.273:
	s_and_not1_saveexec_b32 s0, s1
	s_cbranch_execnz .LBB101_292
.LBB101_274:
	s_or_b32 exec_lo, exec_lo, s0
	s_and_saveexec_b32 s0, s2
.LBB101_275:
	; divergent unreachable
.LBB101_276:
	s_endpgm
.LBB101_277:
	v_cvt_f32_u32_e32 v1, s26
	s_sub_co_i32 s3, 0, s26
	s_mov_b32 s41, 0
	s_delay_alu instid0(VALU_DEP_1) | instskip(NEXT) | instid1(TRANS32_DEP_1)
	v_rcp_iflag_f32_e32 v1, v1
	v_mul_f32_e32 v1, 0x4f7ffffe, v1
	s_delay_alu instid0(VALU_DEP_1) | instskip(NEXT) | instid1(VALU_DEP_1)
	v_cvt_u32_f32_e32 v1, v1
	v_readfirstlane_b32 s2, v1
	s_mul_i32 s3, s3, s2
	s_delay_alu instid0(SALU_CYCLE_1) | instskip(NEXT) | instid1(SALU_CYCLE_1)
	s_mul_hi_u32 s3, s2, s3
	s_add_co_i32 s2, s2, s3
	s_delay_alu instid0(SALU_CYCLE_1) | instskip(NEXT) | instid1(SALU_CYCLE_1)
	s_mul_hi_u32 s2, s34, s2
	s_mul_i32 s3, s2, s26
	s_add_co_i32 s4, s2, 1
	s_sub_co_i32 s3, s34, s3
	s_delay_alu instid0(SALU_CYCLE_1)
	s_sub_co_i32 s5, s3, s26
	s_cmp_ge_u32 s3, s26
	s_cselect_b32 s2, s4, s2
	s_cselect_b32 s3, s5, s3
	s_add_co_i32 s4, s2, 1
	s_cmp_ge_u32 s3, s26
	s_cselect_b32 s40, s4, s2
	s_wait_kmcnt 0x0
	v_cmp_lt_u64_e64 s2, s[34:35], s[10:11]
	s_mov_b64 s[14:15], 0
	s_and_b32 vcc_lo, exec_lo, s2
	s_cbranch_vccnz .LBB101_5
.LBB101_278:
	v_cvt_f32_u32_e32 v1, s10
	s_sub_co_i32 s3, 0, s10
	s_mov_b32 s15, 0
	s_delay_alu instid0(VALU_DEP_1) | instskip(NEXT) | instid1(TRANS32_DEP_1)
	v_rcp_iflag_f32_e32 v1, v1
	v_mul_f32_e32 v1, 0x4f7ffffe, v1
	s_delay_alu instid0(VALU_DEP_1) | instskip(NEXT) | instid1(VALU_DEP_1)
	v_cvt_u32_f32_e32 v1, v1
	v_readfirstlane_b32 s2, v1
	s_mul_i32 s3, s3, s2
	s_delay_alu instid0(SALU_CYCLE_1) | instskip(NEXT) | instid1(SALU_CYCLE_1)
	s_mul_hi_u32 s3, s2, s3
	s_add_co_i32 s2, s2, s3
	s_delay_alu instid0(SALU_CYCLE_1) | instskip(NEXT) | instid1(SALU_CYCLE_1)
	s_mul_hi_u32 s2, s34, s2
	s_mul_i32 s3, s2, s10
	s_add_co_i32 s4, s2, 1
	s_sub_co_i32 s3, s34, s3
	s_delay_alu instid0(SALU_CYCLE_1)
	s_sub_co_i32 s5, s3, s10
	s_cmp_ge_u32 s3, s10
	s_cselect_b32 s2, s4, s2
	s_cselect_b32 s3, s5, s3
	s_add_co_i32 s4, s2, 1
	s_cmp_ge_u32 s3, s10
	s_cselect_b32 s14, s4, s2
	v_cmp_eq_u32_e64 s2, 0, v0
	s_and_saveexec_b32 s3, s2
	s_cbranch_execnz .LBB101_6
	s_branch .LBB101_7
.LBB101_279:
	s_and_saveexec_b32 s2, s4
	s_delay_alu instid0(SALU_CYCLE_1)
	s_xor_b32 s2, exec_lo, s2
	s_cbranch_execz .LBB101_290
; %bb.280:
	s_and_saveexec_b32 s4, s3
	s_wait_alu 0xfffe
	s_xor_b32 s3, exec_lo, s4
; %bb.281:
	v_xor_b32_e32 v22, 0x80000000, v22
	s_delay_alu instid0(VALU_DEP_1)
	v_dual_mov_b32 v5, v21 :: v_dual_mov_b32 v6, v22
; %bb.282:
	s_or_b32 exec_lo, exec_lo, s3
	s_mul_u64 s[4:5], s[46:47], s[44:45]
	s_mul_u64 s[6:7], s[46:47], s[36:37]
	s_wait_alu 0xfffe
	s_sub_nc_u64 s[4:5], s[34:35], s[4:5]
	s_lshl_b64 s[6:7], s[6:7], 3
	s_wait_alu 0xfffe
	s_mul_u64 s[4:5], s[4:5], s[38:39]
	v_mov_b32_e32 v2, 0
	s_add_nc_u64 s[6:7], s[52:53], s[6:7]
	s_wait_alu 0xfffe
	s_lshl_b64 s[4:5], s[4:5], 3
	s_wait_alu 0xfffe
	s_add_nc_u64 s[4:5], s[6:7], s[4:5]
	global_store_b64 v2, v[5:6], s[4:5]
	s_and_saveexec_b32 s3, s0
	s_cbranch_execz .LBB101_289
; %bb.283:
	s_mov_b32 s0, 0
                                        ; implicit-def: $sgpr4
                                        ; implicit-def: $sgpr6
                                        ; implicit-def: $sgpr5
	s_branch .LBB101_285
.LBB101_284:                            ;   in Loop: Header=BB101_285 Depth=1
	s_wait_alu 0xfffe
	s_or_b32 exec_lo, exec_lo, s7
	s_delay_alu instid0(SALU_CYCLE_1)
	s_and_b32 s7, exec_lo, s6
	s_wait_alu 0xfffe
	s_or_b32 s0, s7, s0
	s_and_not1_b32 s4, s4, exec_lo
	s_and_b32 s7, s5, exec_lo
	s_wait_alu 0xfffe
	s_or_b32 s4, s4, s7
	s_and_not1_b32 exec_lo, exec_lo, s0
	s_cbranch_execz .LBB101_287
.LBB101_285:                            ; =>This Inner Loop Header: Depth=1
	v_dual_mov_b32 v3, v1 :: v_dual_mov_b32 v2, v0
	s_wait_alu 0xfffe
	s_or_b32 s5, s5, exec_lo
	s_or_b32 s6, s6, exec_lo
	s_delay_alu instid0(VALU_DEP_1) | instskip(SKIP_2) | instid1(VALU_DEP_1)
	v_mul_lo_u32 v4, v3, s42
	v_mul_lo_u32 v7, v2, s43
	v_mad_co_u64_u32 v[0:1], null, v2, s42, 0
	v_add3_u32 v1, v1, v7, v4
	s_delay_alu instid0(VALU_DEP_1) | instskip(NEXT) | instid1(VALU_DEP_1)
	v_lshlrev_b64_e32 v[0:1], 3, v[0:1]
	v_add_co_u32 v0, vcc_lo, s50, v0
	s_wait_alu 0xfffd
	s_delay_alu instid0(VALU_DEP_2)
	v_add_co_ci_u32_e64 v1, null, s51, v1, vcc_lo
	global_load_b64 v[0:1], v[0:1], off
	s_wait_loadcnt 0x0
	v_cmp_ne_u64_e32 vcc_lo, v[0:1], v[5:6]
                                        ; implicit-def: $vgpr0_vgpr1
	s_and_saveexec_b32 s7, vcc_lo
	s_cbranch_execz .LBB101_284
; %bb.286:                              ;   in Loop: Header=BB101_285 Depth=1
	v_add_co_u32 v0, vcc_lo, v2, s54
	s_wait_alu 0xfffd
	v_add_co_ci_u32_e64 v1, null, 0, v3, vcc_lo
	s_wait_alu 0xfffe
	s_and_not1_b32 s6, s6, exec_lo
	s_and_not1_b32 s5, s5, exec_lo
	s_delay_alu instid0(VALU_DEP_1)
	v_cmp_le_u64_e32 vcc_lo, s[24:25], v[0:1]
	s_and_b32 s8, vcc_lo, exec_lo
	s_wait_alu 0xfffe
	s_or_b32 s6, s6, s8
	s_branch .LBB101_284
.LBB101_287:
	s_or_b32 exec_lo, exec_lo, s0
	s_wait_alu 0xfffe
	s_and_saveexec_b32 s0, s4
	s_delay_alu instid0(SALU_CYCLE_1)
	s_xor_b32 s0, exec_lo, s0
	s_cbranch_execz .LBB101_289
; %bb.288:
	s_mul_u64 s[4:5], s[40:41], s[26:27]
	s_mul_u64 s[6:7], s[40:41], s[28:29]
	s_wait_alu 0xfffe
	s_sub_nc_u64 s[4:5], s[34:35], s[4:5]
	s_lshl_b64 s[6:7], s[6:7], 3
	s_wait_alu 0xfffe
	s_mul_u64 s[4:5], s[4:5], s[30:31]
	v_mov_b32_e32 v0, 0
	s_add_nc_u64 s[6:7], s[48:49], s[6:7]
	s_wait_alu 0xfffe
	s_lshl_b64 s[4:5], s[4:5], 3
	s_wait_alu 0xfffe
	s_add_nc_u64 s[4:5], s[6:7], s[4:5]
	global_store_b64 v0, v[2:3], s[4:5]
.LBB101_289:
	s_or_b32 exec_lo, exec_lo, s3
.LBB101_290:
	s_or_saveexec_b32 s0, s2
	s_mov_b32 s2, 0
	s_xor_b32 exec_lo, exec_lo, s0
	s_cbranch_execnz .LBB101_293
.LBB101_291:
	s_or_b32 exec_lo, exec_lo, s0
	s_delay_alu instid0(SALU_CYCLE_1)
	s_and_b32 s2, s2, exec_lo
	s_and_not1_saveexec_b32 s0, s1
	s_cbranch_execz .LBB101_274
.LBB101_292:
	s_or_b32 s2, s2, exec_lo
	s_trap 2
	s_or_b32 exec_lo, exec_lo, s0
	s_and_saveexec_b32 s0, s2
	s_cbranch_execnz .LBB101_275
	s_branch .LBB101_276
.LBB101_293:
	s_mov_b32 s2, exec_lo
	s_trap 2
	s_branch .LBB101_291
	.section	.rodata,"a",@progbits
	.p2align	6, 0x0
	.amdhsa_kernel _ZN2at6native12_GLOBAL__N_112gatherMedianIlmLi2EEEvNS_4cuda6detail10TensorInfoIT_T0_EENS5_IlS7_EENS5_IKS6_S7_EES7_S7_S7_b
		.amdhsa_group_segment_fixed_size 5152
		.amdhsa_private_segment_fixed_size 0
		.amdhsa_kernarg_size 1536
		.amdhsa_user_sgpr_count 2
		.amdhsa_user_sgpr_dispatch_ptr 0
		.amdhsa_user_sgpr_queue_ptr 0
		.amdhsa_user_sgpr_kernarg_segment_ptr 1
		.amdhsa_user_sgpr_dispatch_id 0
		.amdhsa_user_sgpr_private_segment_size 0
		.amdhsa_wavefront_size32 1
		.amdhsa_uses_dynamic_stack 0
		.amdhsa_enable_private_segment 0
		.amdhsa_system_sgpr_workgroup_id_x 1
		.amdhsa_system_sgpr_workgroup_id_y 1
		.amdhsa_system_sgpr_workgroup_id_z 1
		.amdhsa_system_sgpr_workgroup_info 0
		.amdhsa_system_vgpr_workitem_id 0
		.amdhsa_next_free_vgpr 52
		.amdhsa_next_free_sgpr 96
		.amdhsa_reserve_vcc 1
		.amdhsa_float_round_mode_32 0
		.amdhsa_float_round_mode_16_64 0
		.amdhsa_float_denorm_mode_32 3
		.amdhsa_float_denorm_mode_16_64 3
		.amdhsa_fp16_overflow 0
		.amdhsa_workgroup_processor_mode 1
		.amdhsa_memory_ordered 1
		.amdhsa_forward_progress 1
		.amdhsa_inst_pref_size 142
		.amdhsa_round_robin_scheduling 0
		.amdhsa_exception_fp_ieee_invalid_op 0
		.amdhsa_exception_fp_denorm_src 0
		.amdhsa_exception_fp_ieee_div_zero 0
		.amdhsa_exception_fp_ieee_overflow 0
		.amdhsa_exception_fp_ieee_underflow 0
		.amdhsa_exception_fp_ieee_inexact 0
		.amdhsa_exception_int_div_zero 0
	.end_amdhsa_kernel
	.section	.text._ZN2at6native12_GLOBAL__N_112gatherMedianIlmLi2EEEvNS_4cuda6detail10TensorInfoIT_T0_EENS5_IlS7_EENS5_IKS6_S7_EES7_S7_S7_b,"axG",@progbits,_ZN2at6native12_GLOBAL__N_112gatherMedianIlmLi2EEEvNS_4cuda6detail10TensorInfoIT_T0_EENS5_IlS7_EENS5_IKS6_S7_EES7_S7_S7_b,comdat
.Lfunc_end101:
	.size	_ZN2at6native12_GLOBAL__N_112gatherMedianIlmLi2EEEvNS_4cuda6detail10TensorInfoIT_T0_EENS5_IlS7_EENS5_IKS6_S7_EES7_S7_S7_b, .Lfunc_end101-_ZN2at6native12_GLOBAL__N_112gatherMedianIlmLi2EEEvNS_4cuda6detail10TensorInfoIT_T0_EENS5_IlS7_EENS5_IKS6_S7_EES7_S7_S7_b
                                        ; -- End function
	.set _ZN2at6native12_GLOBAL__N_112gatherMedianIlmLi2EEEvNS_4cuda6detail10TensorInfoIT_T0_EENS5_IlS7_EENS5_IKS6_S7_EES7_S7_S7_b.num_vgpr, 52
	.set _ZN2at6native12_GLOBAL__N_112gatherMedianIlmLi2EEEvNS_4cuda6detail10TensorInfoIT_T0_EENS5_IlS7_EENS5_IKS6_S7_EES7_S7_S7_b.num_agpr, 0
	.set _ZN2at6native12_GLOBAL__N_112gatherMedianIlmLi2EEEvNS_4cuda6detail10TensorInfoIT_T0_EENS5_IlS7_EENS5_IKS6_S7_EES7_S7_S7_b.numbered_sgpr, 96
	.set _ZN2at6native12_GLOBAL__N_112gatherMedianIlmLi2EEEvNS_4cuda6detail10TensorInfoIT_T0_EENS5_IlS7_EENS5_IKS6_S7_EES7_S7_S7_b.num_named_barrier, 0
	.set _ZN2at6native12_GLOBAL__N_112gatherMedianIlmLi2EEEvNS_4cuda6detail10TensorInfoIT_T0_EENS5_IlS7_EENS5_IKS6_S7_EES7_S7_S7_b.private_seg_size, 0
	.set _ZN2at6native12_GLOBAL__N_112gatherMedianIlmLi2EEEvNS_4cuda6detail10TensorInfoIT_T0_EENS5_IlS7_EENS5_IKS6_S7_EES7_S7_S7_b.uses_vcc, 1
	.set _ZN2at6native12_GLOBAL__N_112gatherMedianIlmLi2EEEvNS_4cuda6detail10TensorInfoIT_T0_EENS5_IlS7_EENS5_IKS6_S7_EES7_S7_S7_b.uses_flat_scratch, 0
	.set _ZN2at6native12_GLOBAL__N_112gatherMedianIlmLi2EEEvNS_4cuda6detail10TensorInfoIT_T0_EENS5_IlS7_EENS5_IKS6_S7_EES7_S7_S7_b.has_dyn_sized_stack, 0
	.set _ZN2at6native12_GLOBAL__N_112gatherMedianIlmLi2EEEvNS_4cuda6detail10TensorInfoIT_T0_EENS5_IlS7_EENS5_IKS6_S7_EES7_S7_S7_b.has_recursion, 0
	.set _ZN2at6native12_GLOBAL__N_112gatherMedianIlmLi2EEEvNS_4cuda6detail10TensorInfoIT_T0_EENS5_IlS7_EENS5_IKS6_S7_EES7_S7_S7_b.has_indirect_call, 0
	.section	.AMDGPU.csdata,"",@progbits
; Kernel info:
; codeLenInByte = 18108
; TotalNumSgprs: 98
; NumVgprs: 52
; ScratchSize: 0
; MemoryBound: 0
; FloatMode: 240
; IeeeMode: 1
; LDSByteSize: 5152 bytes/workgroup (compile time only)
; SGPRBlocks: 0
; VGPRBlocks: 6
; NumSGPRsForWavesPerEU: 98
; NumVGPRsForWavesPerEU: 52
; Occupancy: 16
; WaveLimiterHint : 1
; COMPUTE_PGM_RSRC2:SCRATCH_EN: 0
; COMPUTE_PGM_RSRC2:USER_SGPR: 2
; COMPUTE_PGM_RSRC2:TRAP_HANDLER: 0
; COMPUTE_PGM_RSRC2:TGID_X_EN: 1
; COMPUTE_PGM_RSRC2:TGID_Y_EN: 1
; COMPUTE_PGM_RSRC2:TGID_Z_EN: 1
; COMPUTE_PGM_RSRC2:TIDIG_COMP_CNT: 0
	.section	.text._ZN2at6native12_GLOBAL__N_112gatherMedianIlmLi3EEEvNS_4cuda6detail10TensorInfoIT_T0_EENS5_IlS7_EENS5_IKS6_S7_EES7_S7_S7_b,"axG",@progbits,_ZN2at6native12_GLOBAL__N_112gatherMedianIlmLi3EEEvNS_4cuda6detail10TensorInfoIT_T0_EENS5_IlS7_EENS5_IKS6_S7_EES7_S7_S7_b,comdat
	.globl	_ZN2at6native12_GLOBAL__N_112gatherMedianIlmLi3EEEvNS_4cuda6detail10TensorInfoIT_T0_EENS5_IlS7_EENS5_IKS6_S7_EES7_S7_S7_b ; -- Begin function _ZN2at6native12_GLOBAL__N_112gatherMedianIlmLi3EEEvNS_4cuda6detail10TensorInfoIT_T0_EENS5_IlS7_EENS5_IKS6_S7_EES7_S7_S7_b
	.p2align	8
	.type	_ZN2at6native12_GLOBAL__N_112gatherMedianIlmLi3EEEvNS_4cuda6detail10TensorInfoIT_T0_EENS5_IlS7_EENS5_IKS6_S7_EES7_S7_S7_b,@function
_ZN2at6native12_GLOBAL__N_112gatherMedianIlmLi3EEEvNS_4cuda6detail10TensorInfoIT_T0_EENS5_IlS7_EENS5_IKS6_S7_EES7_S7_S7_b: ; @_ZN2at6native12_GLOBAL__N_112gatherMedianIlmLi3EEEvNS_4cuda6detail10TensorInfoIT_T0_EENS5_IlS7_EENS5_IKS6_S7_EES7_S7_S7_b
; %bb.0:
	s_clause 0x1
	s_load_b64 s[12:13], s[0:1], 0x500
	s_load_b128 s[24:27], s[0:1], 0x4e0
	s_lshr_b32 s2, ttmp7, 16
	s_and_b32 s3, ttmp7, 0xffff
	s_mov_b32 s35, 0
	s_wait_kmcnt 0x0
	s_mul_i32 s2, s13, s2
	s_delay_alu instid0(SALU_CYCLE_1) | instskip(NEXT) | instid1(SALU_CYCLE_1)
	s_add_co_i32 s2, s2, s3
	s_mul_i32 s2, s2, s12
	s_delay_alu instid0(SALU_CYCLE_1) | instskip(NEXT) | instid1(SALU_CYCLE_1)
	s_add_co_i32 s34, s2, ttmp9
	v_cmp_le_u64_e64 s2, s[26:27], s[34:35]
	s_and_b32 vcc_lo, exec_lo, s2
	s_cbranch_vccnz .LBB102_284
; %bb.1:
	s_load_b128 s[36:39], s[0:1], 0x10
	s_mov_b64 s[52:53], 0
	s_mov_b64 s[50:51], 0
	s_wait_kmcnt 0x0
	v_cmp_lt_u64_e64 s2, s[34:35], s[38:39]
	s_and_b32 vcc_lo, exec_lo, s2
	s_cbranch_vccnz .LBB102_3
; %bb.2:
	v_cvt_f32_u32_e32 v1, s38
	s_sub_co_i32 s3, 0, s38
	s_mov_b32 s51, 0
	s_delay_alu instid0(VALU_DEP_1) | instskip(NEXT) | instid1(TRANS32_DEP_1)
	v_rcp_iflag_f32_e32 v1, v1
	v_mul_f32_e32 v1, 0x4f7ffffe, v1
	s_delay_alu instid0(VALU_DEP_1) | instskip(NEXT) | instid1(VALU_DEP_1)
	v_cvt_u32_f32_e32 v1, v1
	v_readfirstlane_b32 s2, v1
	s_mul_i32 s3, s3, s2
	s_delay_alu instid0(SALU_CYCLE_1) | instskip(NEXT) | instid1(SALU_CYCLE_1)
	s_mul_hi_u32 s3, s2, s3
	s_add_co_i32 s2, s2, s3
	s_delay_alu instid0(SALU_CYCLE_1) | instskip(NEXT) | instid1(SALU_CYCLE_1)
	s_mul_hi_u32 s2, s34, s2
	s_mul_i32 s3, s2, s38
	s_add_co_i32 s4, s2, 1
	s_sub_co_i32 s3, s34, s3
	s_delay_alu instid0(SALU_CYCLE_1)
	s_sub_co_i32 s5, s3, s38
	s_cmp_ge_u32 s3, s38
	s_cselect_b32 s2, s4, s2
	s_cselect_b32 s3, s5, s3
	s_add_co_i32 s4, s2, 1
	s_cmp_ge_u32 s3, s38
	s_cselect_b32 s50, s4, s2
.LBB102_3:
	s_load_b128 s[28:31], s[0:1], 0x1b0
	v_cmp_lt_u64_e64 s2, s[50:51], s[36:37]
	s_and_b32 vcc_lo, exec_lo, s2
	s_cbranch_vccnz .LBB102_5
; %bb.4:
	v_cvt_f32_u32_e32 v1, s36
	s_sub_co_i32 s3, 0, s36
	s_mov_b32 s53, 0
	s_delay_alu instid0(VALU_DEP_1) | instskip(NEXT) | instid1(TRANS32_DEP_1)
	v_rcp_iflag_f32_e32 v1, v1
	v_mul_f32_e32 v1, 0x4f7ffffe, v1
	s_delay_alu instid0(VALU_DEP_1) | instskip(NEXT) | instid1(VALU_DEP_1)
	v_cvt_u32_f32_e32 v1, v1
	v_readfirstlane_b32 s2, v1
	s_mul_i32 s3, s3, s2
	s_delay_alu instid0(SALU_CYCLE_1) | instskip(NEXT) | instid1(SALU_CYCLE_1)
	s_mul_hi_u32 s3, s2, s3
	s_add_co_i32 s2, s2, s3
	s_delay_alu instid0(SALU_CYCLE_1) | instskip(NEXT) | instid1(SALU_CYCLE_1)
	s_mul_hi_u32 s2, s50, s2
	s_mul_i32 s3, s2, s36
	s_add_co_i32 s4, s2, 1
	s_sub_co_i32 s3, s50, s3
	s_delay_alu instid0(SALU_CYCLE_1)
	s_sub_co_i32 s5, s3, s36
	s_cmp_ge_u32 s3, s36
	s_cselect_b32 s2, s4, s2
	s_cselect_b32 s3, s5, s3
	s_add_co_i32 s4, s2, 1
	s_cmp_ge_u32 s3, s36
	s_cselect_b32 s52, s4, s2
.LBB102_5:
	s_wait_kmcnt 0x0
	v_cmp_lt_u64_e64 s2, s[34:35], s[30:31]
	s_mov_b64 s[48:49], 0
	s_mov_b64 s[26:27], 0
	s_and_b32 vcc_lo, exec_lo, s2
	s_cbranch_vccnz .LBB102_7
; %bb.6:
	v_cvt_f32_u32_e32 v1, s30
	s_sub_co_i32 s3, 0, s30
	s_mov_b32 s27, 0
	s_delay_alu instid0(VALU_DEP_1) | instskip(NEXT) | instid1(TRANS32_DEP_1)
	v_rcp_iflag_f32_e32 v1, v1
	v_mul_f32_e32 v1, 0x4f7ffffe, v1
	s_delay_alu instid0(VALU_DEP_1) | instskip(NEXT) | instid1(VALU_DEP_1)
	v_cvt_u32_f32_e32 v1, v1
	v_readfirstlane_b32 s2, v1
	s_mul_i32 s3, s3, s2
	s_delay_alu instid0(SALU_CYCLE_1) | instskip(NEXT) | instid1(SALU_CYCLE_1)
	s_mul_hi_u32 s3, s2, s3
	s_add_co_i32 s2, s2, s3
	s_delay_alu instid0(SALU_CYCLE_1) | instskip(NEXT) | instid1(SALU_CYCLE_1)
	s_mul_hi_u32 s2, s34, s2
	s_mul_i32 s3, s2, s30
	s_add_co_i32 s4, s2, 1
	s_sub_co_i32 s3, s34, s3
	s_delay_alu instid0(SALU_CYCLE_1)
	s_sub_co_i32 s5, s3, s30
	s_cmp_ge_u32 s3, s30
	s_cselect_b32 s2, s4, s2
	s_cselect_b32 s3, s5, s3
	s_add_co_i32 s4, s2, 1
	s_cmp_ge_u32 s3, s30
	s_cselect_b32 s26, s4, s2
.LBB102_7:
	s_load_b128 s[4:7], s[0:1], 0x350
	v_cmp_lt_u64_e64 s2, s[26:27], s[28:29]
	s_and_b32 vcc_lo, exec_lo, s2
	s_cbranch_vccnz .LBB102_9
; %bb.8:
	v_cvt_f32_u32_e32 v1, s28
	s_sub_co_i32 s3, 0, s28
	s_mov_b32 s49, 0
	s_delay_alu instid0(VALU_DEP_1) | instskip(NEXT) | instid1(TRANS32_DEP_1)
	v_rcp_iflag_f32_e32 v1, v1
	v_mul_f32_e32 v1, 0x4f7ffffe, v1
	s_delay_alu instid0(VALU_DEP_1) | instskip(NEXT) | instid1(VALU_DEP_1)
	v_cvt_u32_f32_e32 v1, v1
	v_readfirstlane_b32 s2, v1
	s_mul_i32 s3, s3, s2
	s_delay_alu instid0(SALU_CYCLE_1) | instskip(NEXT) | instid1(SALU_CYCLE_1)
	s_mul_hi_u32 s3, s2, s3
	s_add_co_i32 s2, s2, s3
	s_delay_alu instid0(SALU_CYCLE_1) | instskip(NEXT) | instid1(SALU_CYCLE_1)
	s_mul_hi_u32 s2, s26, s2
	s_mul_i32 s3, s2, s28
	s_add_co_i32 s8, s2, 1
	s_sub_co_i32 s3, s26, s3
	s_delay_alu instid0(SALU_CYCLE_1)
	s_sub_co_i32 s9, s3, s28
	s_cmp_ge_u32 s3, s28
	s_cselect_b32 s2, s8, s2
	s_cselect_b32 s3, s9, s3
	s_add_co_i32 s8, s2, 1
	s_cmp_ge_u32 s3, s28
	s_cselect_b32 s48, s8, s2
.LBB102_9:
	s_load_b64 s[54:55], s[0:1], 0x4f0
	s_wait_kmcnt 0x0
	v_cmp_lt_u64_e64 s2, s[34:35], s[6:7]
	s_mov_b64 s[14:15], 0
	s_mov_b64 s[16:17], 0
	s_and_b32 vcc_lo, exec_lo, s2
	s_cbranch_vccnz .LBB102_11
; %bb.10:
	v_cvt_f32_u32_e32 v1, s6
	s_sub_co_i32 s3, 0, s6
	s_mov_b32 s17, 0
	s_delay_alu instid0(VALU_DEP_1) | instskip(NEXT) | instid1(TRANS32_DEP_1)
	v_rcp_iflag_f32_e32 v1, v1
	v_mul_f32_e32 v1, 0x4f7ffffe, v1
	s_delay_alu instid0(VALU_DEP_1) | instskip(NEXT) | instid1(VALU_DEP_1)
	v_cvt_u32_f32_e32 v1, v1
	v_readfirstlane_b32 s2, v1
	s_mul_i32 s3, s3, s2
	s_delay_alu instid0(SALU_CYCLE_1) | instskip(NEXT) | instid1(SALU_CYCLE_1)
	s_mul_hi_u32 s3, s2, s3
	s_add_co_i32 s2, s2, s3
	s_delay_alu instid0(SALU_CYCLE_1) | instskip(NEXT) | instid1(SALU_CYCLE_1)
	s_mul_hi_u32 s2, s34, s2
	s_mul_i32 s3, s2, s6
	s_add_co_i32 s8, s2, 1
	s_sub_co_i32 s3, s34, s3
	s_delay_alu instid0(SALU_CYCLE_1)
	s_sub_co_i32 s9, s3, s6
	s_cmp_ge_u32 s3, s6
	s_cselect_b32 s2, s8, s2
	s_cselect_b32 s3, s9, s3
	s_add_co_i32 s8, s2, 1
	s_cmp_ge_u32 s3, s6
	s_cselect_b32 s16, s8, s2
.LBB102_11:
	s_delay_alu instid0(SALU_CYCLE_1)
	v_cmp_lt_u64_e64 s2, s[16:17], s[4:5]
	s_and_b32 vcc_lo, exec_lo, s2
	s_cbranch_vccnz .LBB102_13
; %bb.12:
	v_cvt_f32_u32_e32 v1, s4
	s_sub_co_i32 s3, 0, s4
	s_mov_b32 s15, 0
	s_delay_alu instid0(VALU_DEP_1) | instskip(NEXT) | instid1(TRANS32_DEP_1)
	v_rcp_iflag_f32_e32 v1, v1
	v_mul_f32_e32 v1, 0x4f7ffffe, v1
	s_delay_alu instid0(VALU_DEP_1) | instskip(NEXT) | instid1(VALU_DEP_1)
	v_cvt_u32_f32_e32 v1, v1
	v_readfirstlane_b32 s2, v1
	s_mul_i32 s3, s3, s2
	s_delay_alu instid0(SALU_CYCLE_1) | instskip(NEXT) | instid1(SALU_CYCLE_1)
	s_mul_hi_u32 s3, s2, s3
	s_add_co_i32 s2, s2, s3
	s_delay_alu instid0(SALU_CYCLE_1) | instskip(NEXT) | instid1(SALU_CYCLE_1)
	s_mul_hi_u32 s2, s16, s2
	s_mul_i32 s3, s2, s4
	s_add_co_i32 s8, s2, 1
	s_sub_co_i32 s3, s16, s3
	s_delay_alu instid0(SALU_CYCLE_1)
	s_sub_co_i32 s9, s3, s4
	s_cmp_ge_u32 s3, s4
	s_cselect_b32 s2, s8, s2
	s_cselect_b32 s3, s9, s3
	s_add_co_i32 s8, s2, 1
	s_cmp_ge_u32 s3, s4
	s_cselect_b32 s14, s8, s2
.LBB102_13:
	s_clause 0x1
	s_load_b64 s[20:21], s[0:1], 0x420
	s_load_b128 s[8:11], s[0:1], 0x410
	v_cmp_eq_u32_e64 s2, 0, v0
	s_and_saveexec_b32 s3, s2
; %bb.14:
	v_mov_b32_e32 v1, 0
	s_delay_alu instid0(VALU_DEP_1)
	v_mov_b32_e32 v2, v1
	ds_store_b64 v1, v[1:2] offset:5136
; %bb.15:
	s_or_b32 exec_lo, exec_lo, s3
	v_dual_mov_b32 v1, 0 :: v_dual_mov_b32 v26, s25
	s_wait_dscnt 0x0
	s_barrier_signal -1
	s_barrier_wait -1
	global_inv scope:SCOPE_SE
	s_wait_loadcnt 0x0
	s_barrier_signal -1
	s_barrier_wait -1
	global_inv scope:SCOPE_SE
	ds_load_b64 v[1:2], v1 offset:5136
	s_clause 0x4
	s_load_b32 s3, s[0:1], 0x4f8
	s_load_b64 s[18:19], s[0:1], 0x280
	s_load_b128 s[40:43], s[0:1], 0x270
	s_load_b64 s[60:61], s[0:1], 0xe0
	s_load_b128 s[44:47], s[0:1], 0xd0
                                        ; implicit-def: $vgpr44 : SGPR spill to VGPR lane
	v_mov_b32_e32 v25, s24
	s_wait_kmcnt 0x0
	s_bitcmp1_b32 s3, 0
	s_wait_dscnt 0x0
	v_cmp_gt_i64_e32 vcc_lo, 1, v[1:2]
	s_cselect_b32 s3, -1, 0
	v_writelane_b32 v44, s18, 0
	s_or_b32 s3, s3, vcc_lo
	v_writelane_b32 v44, s19, 1
	s_and_not1_b32 vcc_lo, exec_lo, s3
	s_cbranch_vccnz .LBB102_17
; %bb.16:
	v_not_b32_e32 v1, v1
	v_not_b32_e32 v2, v2
	s_delay_alu instid0(VALU_DEP_2) | instskip(NEXT) | instid1(VALU_DEP_1)
	v_add_co_u32 v1, vcc_lo, s24, v1
	v_add_co_ci_u32_e64 v2, null, s25, v2, vcc_lo
	s_delay_alu instid0(VALU_DEP_1) | instskip(NEXT) | instid1(VALU_DEP_1)
	v_lshrrev_b64 v[1:2], 1, v[1:2]
	v_add_co_u32 v25, vcc_lo, v1, 1
	s_wait_alu 0xfffd
	s_delay_alu instid0(VALU_DEP_2)
	v_add_co_ci_u32_e64 v26, null, 0, v2, vcc_lo
.LBB102_17:
	s_load_b64 s[22:23], s[0:1], 0x340
	s_add_nc_u64 s[18:19], s[0:1], 0x500
	s_and_saveexec_b32 s3, s2
	s_cbranch_execz .LBB102_19
; %bb.18:
	v_dual_mov_b32 v1, 0 :: v_dual_mov_b32 v4, s25
	s_delay_alu instid0(VALU_DEP_1)
	v_dual_mov_b32 v3, s24 :: v_dual_mov_b32 v2, v1
	ds_store_b32 v1, v1 offset:5144
	ds_store_b128 v1, v[1:4] offset:5120
.LBB102_19:
	s_or_b32 exec_lo, exec_lo, s3
	s_mul_u64 s[6:7], s[16:17], s[6:7]
	s_mul_u64 s[4:5], s[14:15], s[4:5]
	s_clause 0x1
	s_load_b64 s[56:57], s[0:1], 0x1a0
	s_load_b64 s[64:65], s[0:1], 0x0
	s_sub_nc_u64 s[0:1], s[34:35], s[6:7]
	s_sub_nc_u64 s[4:5], s[16:17], s[4:5]
	s_mul_u64 s[6:7], s[14:15], s[8:9]
	s_wait_alu 0xfffe
	s_mul_u64 s[4:5], s[4:5], s[10:11]
	s_lshl_b64 s[6:7], s[6:7], 3
	s_mul_u64 s[0:1], s[0:1], s[20:21]
	s_wait_kmcnt 0x0
	s_wait_alu 0xfffe
	s_add_nc_u64 s[6:7], s[22:23], s[6:7]
	s_lshl_b64 s[4:5], s[4:5], 3
	s_lshl_b64 s[0:1], s[0:1], 3
	s_wait_alu 0xfffe
	s_add_nc_u64 s[4:5], s[6:7], s[4:5]
	s_wait_loadcnt_dscnt 0x0
	s_wait_alu 0xfffe
	s_add_nc_u64 s[62:63], s[4:5], s[0:1]
	s_barrier_signal -1
	s_barrier_wait -1
	global_inv scope:SCOPE_SE
	s_load_b32 s4, s[18:19], 0xc
	v_mad_co_u64_u32 v[2:3], null, s54, v0, 0
	v_mbcnt_lo_u32_b32 v31, -1, 0
	v_cmp_gt_u32_e32 vcc_lo, 32, v0
	v_dual_mov_b32 v5, 0 :: v_dual_lshlrev_b32 v32, 3, v0
	v_mov_b32_e32 v16, 0
	s_delay_alu instid0(VALU_DEP_4) | instskip(SKIP_1) | instid1(VALU_DEP_4)
	v_cmp_gt_i32_e64 s3, 4, v31
	v_mad_co_u64_u32 v[3:4], null, s55, v0, v[3:4]
	v_add_nc_u32_e32 v33, 0xc00, v32
	s_delay_alu instid0(VALU_DEP_4) | instskip(NEXT) | instid1(VALU_DEP_4)
	v_dual_mov_b32 v1, v16 :: v_dual_mov_b32 v20, v16
	s_and_b32 s33, vcc_lo, s3
	s_mov_b32 s69, 0
	v_dual_mov_b32 v21, 0 :: v_dual_lshlrev_b32 v36, 5, v0
	s_delay_alu instid0(VALU_DEP_4)
	v_lshlrev_b64_e32 v[2:3], 3, v[2:3]
	v_cmp_gt_u64_e64 s0, s[24:25], v[0:1]
	s_wait_kmcnt 0x0
	s_and_b32 s66, s4, 0xffff
	s_bfe_u32 s4, s4, 0xb0005
	s_cmp_gt_u32 s66, 31
	v_cmp_lt_u64_e64 s86, 0x180, s[24:25]
	v_add_co_u32 v17, vcc_lo, s62, v2
	s_cselect_b32 s87, -1, 0
	s_cmp_lt_u32 ttmp9, s12
	s_wait_alu 0xfffd
	v_add_co_ci_u32_e64 v18, null, s63, v3, vcc_lo
	v_lshlrev_b64_e64 v[2:3], v31, -1
	s_cselect_b32 s68, 12, 18
	s_wait_alu 0xfffe
	s_add_co_i32 s5, s4, -1
	s_bfe_u32 s88, s66, 0x30005
	s_wait_alu 0xfffe
	s_and_b32 s5, s5, 0xffff
	s_mov_b32 s67, s69
	s_wait_alu 0xfffe
	s_cmp_gt_u32 s5, 6
	s_movk_i32 s5, 0x3e0
	v_dual_mov_b32 v22, 0 :: v_dual_mov_b32 v23, 0
	v_writelane_b32 v44, s56, 2
	v_cmp_eq_u32_e64 s1, 0, v31
	v_cmp_gt_u32_e64 s3, 2, v0
	v_dual_mov_b32 v6, 0 :: v_dual_lshlrev_b32 v19, 2, v0
	v_not_b32_e32 v34, v2
	s_cselect_b32 s89, -1, 0
	s_and_b32 s90, s4, 0x7f8
	s_wait_alu 0xfffe
	v_and_or_b32 v35, v0, s5, 0xc00
	v_lshl_or_b32 v37, v31, 3, 0xc00
	v_mov_b32_e32 v24, 0
	v_mov_b32_e32 v2, 1
	s_add_nc_u64 s[70:71], s[66:67], -1
	s_cmp_lg_u32 s88, 0
	s_add_nc_u64 s[72:73], s[70:71], s[24:25]
	s_cselect_b32 s91, -1, 0
	s_lshl_b32 s92, s66, 3
	s_mov_b32 s93, 62
	s_add_nc_u64 s[74:75], s[18:19], s[68:69]
	s_mov_b32 s95, 0x4f800000
	s_mov_b32 s94, 0
	;; [unrolled: 1-line block ×3, first 2 shown]
	v_writelane_b32 v44, s57, 3
                                        ; implicit-def: $sgpr100
                                        ; implicit-def: $sgpr102
                                        ; implicit-def: $sgpr97
                                        ; implicit-def: $sgpr99
                                        ; implicit-def: $sgpr101
                                        ; implicit-def: $sgpr98
	s_branch .LBB102_23
.LBB102_20:                             ;   in Loop: Header=BB102_23 Depth=1
	s_wait_alu 0xfffe
	s_or_b32 exec_lo, exec_lo, s7
	s_delay_alu instid0(SALU_CYCLE_1)
	s_and_b32 s5, s5, exec_lo
	s_and_not1_b32 s22, s22, exec_lo
	s_and_not1_b32 s21, s21, exec_lo
	s_or_not1_b32 s19, s6, exec_lo
.LBB102_21:                             ;   in Loop: Header=BB102_23 Depth=1
	s_wait_alu 0xfffe
	s_or_b32 exec_lo, exec_lo, s4
	s_delay_alu instid0(SALU_CYCLE_1)
	s_and_not1_b32 s4, s98, exec_lo
	s_and_b32 s5, s5, exec_lo
	s_and_not1_b32 s6, s99, exec_lo
	s_wait_alu 0xfffe
	s_or_b32 s98, s4, s5
	s_and_not1_b32 s4, s101, exec_lo
	s_and_b32 s5, s22, exec_lo
	s_and_b32 s7, s21, exec_lo
	s_wait_alu 0xfffe
	s_or_b32 s101, s4, s5
	s_or_b32 s99, s6, s7
	s_or_not1_b32 s19, s19, exec_lo
.LBB102_22:                             ;   in Loop: Header=BB102_23 Depth=1
	s_wait_alu 0xfffe
	s_or_b32 exec_lo, exec_lo, s18
	s_delay_alu instid0(SALU_CYCLE_1)
	s_and_b32 s4, exec_lo, s19
	v_dual_mov_b32 v26, v12 :: v_dual_mov_b32 v25, v11
	s_wait_alu 0xfffe
	s_or_b32 s94, s4, s94
	s_and_not1_b32 s4, s97, exec_lo
	s_and_b32 s5, s98, exec_lo
	s_and_not1_b32 s6, s102, exec_lo
	s_wait_alu 0xfffe
	s_or_b32 s97, s4, s5
	s_and_b32 s4, s101, exec_lo
	s_and_not1_b32 s5, s100, exec_lo
	s_and_b32 s7, s99, exec_lo
	s_wait_alu 0xfffe
	s_or_b32 s102, s6, s4
	s_or_b32 s100, s5, s7
	s_and_not1_b32 exec_lo, exec_lo, s94
	s_cbranch_execz .LBB102_280
.LBB102_23:                             ; =>This Loop Header: Depth=1
                                        ;     Child Loop BB102_29 Depth 2
                                        ;     Child Loop BB102_42 Depth 2
	;; [unrolled: 1-line block ×16, first 2 shown]
	ds_load_b128 v[7:10], v16 offset:5120
	s_wait_dscnt 0x0
	v_readfirstlane_b32 s77, v8
	v_readfirstlane_b32 s76, v7
	s_cmp_lg_u64 s[76:77], 0
	s_cbranch_scc1 .LBB102_50
; %bb.24:                               ;   in Loop: Header=BB102_23 Depth=1
	s_and_b32 vcc_lo, exec_lo, s86
	s_wait_alu 0xfffe
	s_cbranch_vccz .LBB102_37
; %bb.25:                               ;   in Loop: Header=BB102_23 Depth=1
	v_cmp_gt_u64_e32 vcc_lo, 0x181, v[9:10]
	s_mov_b32 s6, 0
	s_mov_b32 s4, 0
	s_cbranch_vccz .LBB102_38
; %bb.26:                               ;   in Loop: Header=BB102_23 Depth=1
	s_and_saveexec_b32 s7, s0
	s_cbranch_execz .LBB102_147
; %bb.27:                               ;   in Loop: Header=BB102_23 Depth=1
	global_load_u16 v7, v16, s[74:75]
	global_load_b64 v[3:4], v[17:18], off
	s_mov_b32 s8, 0
	s_wait_loadcnt 0x1
	v_dual_mov_b32 v8, v1 :: v_dual_and_b32 v11, 0xffff, v7
	v_mov_b32_e32 v7, v0
	s_branch .LBB102_29
.LBB102_28:                             ;   in Loop: Header=BB102_29 Depth=2
	s_wait_alu 0xfffe
	s_or_b32 exec_lo, exec_lo, s5
	v_dual_mov_b32 v3, v9 :: v_dual_mov_b32 v4, v10
	s_and_not1_b32 exec_lo, exec_lo, s8
	s_cbranch_execz .LBB102_147
.LBB102_29:                             ;   Parent Loop BB102_23 Depth=1
                                        ; =>  This Inner Loop Header: Depth=2
	s_delay_alu instid0(VALU_DEP_1)
	v_add_co_u32 v7, vcc_lo, v7, v11
	v_mov_b32_e32 v9, 0
	s_wait_alu 0xfffd
	v_add_co_ci_u32_e64 v8, null, 0, v8, vcc_lo
	v_mov_b32_e32 v10, 0
	s_mov_b32 s5, exec_lo
	s_delay_alu instid0(VALU_DEP_2)
	v_cmp_le_u64_e32 vcc_lo, s[24:25], v[7:8]
	v_cmpx_gt_u64_e64 s[24:25], v[7:8]
	s_cbranch_execz .LBB102_31
; %bb.30:                               ;   in Loop: Header=BB102_29 Depth=2
	s_wait_dscnt 0x0
	v_mul_lo_u32 v12, v8, s54
	v_mul_lo_u32 v13, v7, s55
	v_mad_co_u64_u32 v[9:10], null, v7, s54, 0
	s_delay_alu instid0(VALU_DEP_1) | instskip(NEXT) | instid1(VALU_DEP_1)
	v_add3_u32 v10, v10, v13, v12
	v_lshlrev_b64_e32 v[9:10], 3, v[9:10]
	s_delay_alu instid0(VALU_DEP_1) | instskip(SKIP_1) | instid1(VALU_DEP_2)
	v_add_co_u32 v9, s4, s62, v9
	s_wait_alu 0xf1fe
	v_add_co_ci_u32_e64 v10, null, s63, v10, s4
	global_load_b64 v[9:10], v[9:10], off
.LBB102_31:                             ;   in Loop: Header=BB102_29 Depth=2
	s_wait_alu 0xfffe
	s_or_b32 exec_lo, exec_lo, s5
	s_wait_loadcnt_dscnt 0x0
	v_xor_b32_e32 v12, 0x80000000, v4
	s_delay_alu instid0(VALU_DEP_1) | instskip(SKIP_1) | instid1(VALU_DEP_1)
	v_and_b32_e32 v13, v12, v24
	v_and_b32_e32 v12, v3, v23
	v_cmp_eq_u64_e64 s4, v[12:13], v[21:22]
	v_mov_b32_e32 v12, 0
	s_cmp_lg_u32 s4, 0
	s_cselect_b32 s5, -1, 0
	s_wait_alu 0xfffe
	s_and_b32 s5, s1, s5
	s_wait_alu 0xfffe
	s_and_saveexec_b32 s9, s5
	s_cbranch_execz .LBB102_35
; %bb.32:                               ;   in Loop: Header=BB102_29 Depth=2
	s_mov_b32 s12, exec_lo
	s_bcnt1_i32_b32 s10, s4
	s_wait_alu 0xfffe
	v_mbcnt_lo_u32_b32 v12, s12, 0
	s_mov_b32 s11, exec_lo
                                        ; implicit-def: $vgpr13
	s_delay_alu instid0(VALU_DEP_1)
	v_cmpx_eq_u32_e32 0, v12
; %bb.33:                               ;   in Loop: Header=BB102_29 Depth=2
	s_bcnt1_i32_b32 s5, s12
	s_wait_alu 0xfffe
	s_mul_i32 s5, s10, s5
	s_wait_alu 0xfffe
	v_mov_b32_e32 v13, s5
	ds_add_rtn_u32 v13, v16, v13 offset:5144
; %bb.34:                               ;   in Loop: Header=BB102_29 Depth=2
	s_or_b32 exec_lo, exec_lo, s11
	s_wait_dscnt 0x0
	v_readfirstlane_b32 s5, v13
	s_wait_alu 0xf1ff
	s_delay_alu instid0(VALU_DEP_1)
	v_mad_u32_u24 v12, s10, v12, s5
.LBB102_35:                             ;   in Loop: Header=BB102_29 Depth=2
	s_wait_alu 0xfffe
	s_or_b32 exec_lo, exec_lo, s9
	ds_bpermute_b32 v12, v16, v12
	s_and_b32 s5, exec_lo, vcc_lo
	s_wait_alu 0xfffe
	s_or_b32 s8, s5, s8
	s_and_saveexec_b32 s5, s4
	s_cbranch_execz .LBB102_28
; %bb.36:                               ;   in Loop: Header=BB102_29 Depth=2
	v_and_b32_e32 v13, s4, v34
	s_delay_alu instid0(VALU_DEP_1) | instskip(NEXT) | instid1(VALU_DEP_1)
	v_bcnt_u32_b32 v13, v13, 0
	v_lshlrev_b32_e32 v13, 3, v13
	s_wait_dscnt 0x0
	s_delay_alu instid0(VALU_DEP_1)
	v_lshl_add_u32 v12, v12, 3, v13
	ds_store_b64 v12, v[3:4]
	s_branch .LBB102_28
.LBB102_37:                             ;   in Loop: Header=BB102_23 Depth=1
	s_mov_b32 s6, -1
	s_mov_b32 s4, 0
.LBB102_38:                             ;   in Loop: Header=BB102_23 Depth=1
	s_wait_alu 0xfffe
	s_and_b32 vcc_lo, exec_lo, s6
	s_wait_alu 0xfffe
	s_cbranch_vccz .LBB102_48
.LBB102_39:                             ;   in Loop: Header=BB102_23 Depth=1
	s_and_saveexec_b32 s4, s0
	s_cbranch_execz .LBB102_45
; %bb.40:                               ;   in Loop: Header=BB102_23 Depth=1
	global_load_u16 v7, v16, s[74:75]
	global_load_b64 v[3:4], v[17:18], off
	s_mov_b32 s5, exec_lo
	s_wait_loadcnt 0x1
	v_and_b32_e32 v13, 0xffff, v7
	v_mov_b32_e32 v7, v0
	s_delay_alu instid0(VALU_DEP_2) | instskip(NEXT) | instid1(VALU_DEP_1)
	v_add_nc_u32_e32 v15, v13, v0
	v_cmpx_gt_u64_e64 s[24:25], v[15:16]
	s_cbranch_execz .LBB102_44
; %bb.41:                               ;   in Loop: Header=BB102_23 Depth=1
	v_dual_mov_b32 v9, v15 :: v_dual_mov_b32 v10, v16
	v_dual_mov_b32 v8, v1 :: v_dual_mov_b32 v7, v0
	s_mov_b32 s6, 0
.LBB102_42:                             ;   Parent Loop BB102_23 Depth=1
                                        ; =>  This Inner Loop Header: Depth=2
	s_delay_alu instid0(VALU_DEP_2) | instskip(NEXT) | instid1(VALU_DEP_2)
	v_dual_mov_b32 v15, v10 :: v_dual_mov_b32 v14, v9
	v_lshlrev_b32_e32 v7, 3, v7
	s_delay_alu instid0(VALU_DEP_2) | instskip(NEXT) | instid1(VALU_DEP_3)
	v_mul_lo_u32 v10, v15, s54
	v_mul_lo_u32 v11, v14, s55
	v_mad_co_u64_u32 v[8:9], null, v14, s54, 0
	s_wait_loadcnt 0x0
	ds_store_b64 v7, v[3:4]
	v_add3_u32 v9, v9, v11, v10
	s_delay_alu instid0(VALU_DEP_1) | instskip(NEXT) | instid1(VALU_DEP_1)
	v_lshlrev_b64_e32 v[8:9], 3, v[8:9]
	v_add_co_u32 v8, vcc_lo, s62, v8
	s_wait_alu 0xfffd
	s_delay_alu instid0(VALU_DEP_2)
	v_add_co_ci_u32_e64 v9, null, s63, v9, vcc_lo
	global_load_b64 v[11:12], v[8:9], off
	v_add_co_u32 v9, vcc_lo, v14, v13
	s_wait_alu 0xfffd
	v_add_co_ci_u32_e64 v10, null, 0, v15, vcc_lo
	v_dual_mov_b32 v7, v14 :: v_dual_mov_b32 v8, v15
	s_delay_alu instid0(VALU_DEP_2)
	v_cmp_le_u64_e32 vcc_lo, s[24:25], v[9:10]
	s_wait_alu 0xfffe
	s_or_b32 s6, vcc_lo, s6
	s_wait_loadcnt 0x0
	v_dual_mov_b32 v3, v11 :: v_dual_mov_b32 v4, v12
	s_wait_alu 0xfffe
	s_and_not1_b32 exec_lo, exec_lo, s6
	s_cbranch_execnz .LBB102_42
; %bb.43:                               ;   in Loop: Header=BB102_23 Depth=1
	s_or_b32 exec_lo, exec_lo, s6
	v_sub_nc_u32_e32 v7, v9, v13
	v_dual_mov_b32 v3, v11 :: v_dual_mov_b32 v4, v12
.LBB102_44:                             ;   in Loop: Header=BB102_23 Depth=1
	s_wait_alu 0xfffe
	s_or_b32 exec_lo, exec_lo, s5
	s_delay_alu instid0(VALU_DEP_2)
	v_lshlrev_b32_e32 v7, 3, v7
	s_wait_loadcnt 0x0
	ds_store_b64 v7, v[3:4]
.LBB102_45:                             ;   in Loop: Header=BB102_23 Depth=1
	s_wait_alu 0xfffe
	s_or_b32 exec_lo, exec_lo, s4
	s_wait_loadcnt_dscnt 0x0
	s_barrier_signal -1
	s_barrier_wait -1
	global_inv scope:SCOPE_SE
	s_and_saveexec_b32 s4, s2
; %bb.46:                               ;   in Loop: Header=BB102_23 Depth=1
	v_dual_mov_b32 v3, s24 :: v_dual_mov_b32 v4, s25
	ds_store_b64 v16, v[3:4] offset:5120
; %bb.47:                               ;   in Loop: Header=BB102_23 Depth=1
	s_wait_alu 0xfffe
	s_or_b32 exec_lo, exec_lo, s4
	s_mov_b32 s4, -1
	s_wait_loadcnt_dscnt 0x0
	s_barrier_signal -1
	s_barrier_wait -1
.LBB102_48:                             ;   in Loop: Header=BB102_23 Depth=1
	s_wait_alu 0xfffe
	s_and_b32 vcc_lo, exec_lo, s4
	s_mov_b64 s[76:77], 0
	s_wait_alu 0xfffe
	s_cbranch_vccz .LBB102_50
; %bb.49:                               ;   in Loop: Header=BB102_23 Depth=1
	s_wait_loadcnt 0x0
	global_inv scope:SCOPE_SE
	ds_load_b64 v[3:4], v16 offset:5120
	s_wait_dscnt 0x0
	v_readfirstlane_b32 s76, v3
.LBB102_50:                             ;   in Loop: Header=BB102_23 Depth=1
	s_delay_alu instid0(VALU_DEP_1)
	s_cmp_lt_i32 s76, 1
	s_mov_b32 s4, -1
                                        ; implicit-def: $vgpr13_vgpr14
                                        ; implicit-def: $vgpr9_vgpr10
	s_cbranch_scc1 .LBB102_60
; %bb.51:                               ;   in Loop: Header=BB102_23 Depth=1
	s_wait_alu 0xfffe
	s_and_b32 vcc_lo, exec_lo, s4
	s_wait_alu 0xfffe
	s_cbranch_vccnz .LBB102_74
.LBB102_52:                             ;   in Loop: Header=BB102_23 Depth=1
	s_lshl_b32 s4, s96, 7
	s_and_saveexec_b32 s5, s1
	s_cbranch_execz .LBB102_54
.LBB102_53:                             ;   in Loop: Header=BB102_23 Depth=1
	s_wait_alu 0xfffe
	v_lshl_add_u32 v3, s4, 3, v35
	ds_store_b128 v3, v[7:10]
	ds_store_b128 v3, v[11:14] offset:16
.LBB102_54:                             ;   in Loop: Header=BB102_23 Depth=1
	s_wait_alu 0xfffe
	s_or_b32 exec_lo, exec_lo, s5
	s_wait_loadcnt_dscnt 0x0
	s_barrier_signal -1
	s_barrier_wait -1
	global_inv scope:SCOPE_SE
	s_and_saveexec_b32 s5, s33
	s_cbranch_execz .LBB102_88
; %bb.55:                               ;   in Loop: Header=BB102_23 Depth=1
	v_mov_b32_e32 v3, 0
	v_mov_b32_e32 v4, 0
	s_and_not1_b32 vcc_lo, exec_lo, s87
	s_wait_alu 0xfffe
	s_cbranch_vccnz .LBB102_87
; %bb.56:                               ;   in Loop: Header=BB102_23 Depth=1
	v_mov_b32_e32 v3, 0
	v_mov_b32_e32 v4, 0
	s_and_not1_b32 vcc_lo, exec_lo, s89
	s_wait_alu 0xfffe
	s_cbranch_vccnz .LBB102_84
; %bb.57:                               ;   in Loop: Header=BB102_23 Depth=1
	v_lshl_add_u32 v7, s96, 10, v37
	s_mov_b32 s6, 0
.LBB102_58:                             ;   Parent Loop BB102_23 Depth=1
                                        ; =>  This Inner Loop Header: Depth=2
	ds_load_2addr_b64 v[8:11], v7 offset1:4
	ds_load_2addr_b64 v[12:15], v7 offset0:8 offset1:12
	ds_load_2addr_b64 v[27:30], v7 offset0:16 offset1:20
	s_wait_alu 0xfffe
	s_add_co_i32 s6, s6, 8
	s_wait_alu 0xfffe
	s_cmp_eq_u32 s90, s6
	s_wait_dscnt 0x2
	v_add_co_u32 v3, vcc_lo, v8, v3
	s_wait_alu 0xfffd
	v_add_co_ci_u32_e64 v4, null, v9, v4, vcc_lo
	s_delay_alu instid0(VALU_DEP_2) | instskip(SKIP_1) | instid1(VALU_DEP_2)
	v_add_co_u32 v3, vcc_lo, v10, v3
	s_wait_alu 0xfffd
	v_add_co_ci_u32_e64 v4, null, v11, v4, vcc_lo
	ds_load_2addr_b64 v[8:11], v7 offset0:24 offset1:28
	s_wait_dscnt 0x2
	v_add_co_u32 v3, vcc_lo, v12, v3
	s_wait_alu 0xfffd
	v_add_co_ci_u32_e64 v4, null, v13, v4, vcc_lo
	v_add_nc_u32_e32 v7, 0x100, v7
	s_delay_alu instid0(VALU_DEP_3) | instskip(SKIP_1) | instid1(VALU_DEP_3)
	v_add_co_u32 v3, vcc_lo, v14, v3
	s_wait_alu 0xfffd
	v_add_co_ci_u32_e64 v4, null, v15, v4, vcc_lo
	s_wait_dscnt 0x1
	s_delay_alu instid0(VALU_DEP_2) | instskip(SKIP_1) | instid1(VALU_DEP_2)
	v_add_co_u32 v3, vcc_lo, v27, v3
	s_wait_alu 0xfffd
	v_add_co_ci_u32_e64 v4, null, v28, v4, vcc_lo
	s_delay_alu instid0(VALU_DEP_2) | instskip(SKIP_1) | instid1(VALU_DEP_2)
	v_add_co_u32 v3, vcc_lo, v29, v3
	s_wait_alu 0xfffd
	v_add_co_ci_u32_e64 v4, null, v30, v4, vcc_lo
	s_wait_dscnt 0x0
	s_delay_alu instid0(VALU_DEP_2) | instskip(SKIP_1) | instid1(VALU_DEP_2)
	v_add_co_u32 v3, vcc_lo, v8, v3
	s_wait_alu 0xfffd
	v_add_co_ci_u32_e64 v4, null, v9, v4, vcc_lo
	s_delay_alu instid0(VALU_DEP_2) | instskip(SKIP_1) | instid1(VALU_DEP_2)
	v_add_co_u32 v3, vcc_lo, v10, v3
	s_wait_alu 0xfffd
	v_add_co_ci_u32_e64 v4, null, v11, v4, vcc_lo
	s_cbranch_scc0 .LBB102_58
; %bb.59:                               ;   in Loop: Header=BB102_23 Depth=1
	s_mov_b32 s6, s90
	s_and_not1_b32 vcc_lo, exec_lo, s91
	s_wait_alu 0xfffe
	s_cbranch_vccz .LBB102_85
	s_branch .LBB102_87
.LBB102_60:                             ;   in Loop: Header=BB102_23 Depth=1
	global_load_u16 v27, v16, s[74:75]
	s_mov_b32 s5, s25
	s_wait_loadcnt 0x0
	v_readfirstlane_b32 s4, v27
	s_wait_alu 0xfffe
	s_and_b32 s6, 0xffff, s4
	s_mov_b32 s4, s69
	s_wait_alu 0xfffe
	s_lshl_b32 s18, s6, 2
	s_cmp_lg_u64 s[4:5], 0
	s_cbranch_scc0 .LBB102_83
; %bb.61:                               ;   in Loop: Header=BB102_23 Depth=1
	s_wait_alu 0xfffe
	s_cvt_f32_u32 s4, s18
	s_mov_b32 s19, s69
	s_wait_alu 0xfffe
	s_sub_nc_u64 s[6:7], 0, s[18:19]
	s_fmamk_f32 s4, s95, 0x0, s4
	s_wait_alu 0xfffe
	s_delay_alu instid0(SALU_CYCLE_2) | instskip(NEXT) | instid1(TRANS32_DEP_1)
	v_s_rcp_f32 s4, s4
	s_mul_f32 s4, s4, 0x5f7ffffc
	s_wait_alu 0xfffe
	s_delay_alu instid0(SALU_CYCLE_2) | instskip(SKIP_1) | instid1(SALU_CYCLE_2)
	s_mul_f32 s5, s4, 0x2f800000
	s_wait_alu 0xfffe
	s_trunc_f32 s5, s5
	s_wait_alu 0xfffe
	s_delay_alu instid0(SALU_CYCLE_2) | instskip(SKIP_2) | instid1(SALU_CYCLE_1)
	s_fmamk_f32 s4, s5, 0xcf800000, s4
	s_cvt_u32_f32 s5, s5
	s_wait_alu 0xfffe
	s_cvt_u32_f32 s4, s4
	s_wait_alu 0xfffe
	s_delay_alu instid0(SALU_CYCLE_2)
	s_mul_u64 s[8:9], s[6:7], s[4:5]
	s_wait_alu 0xfffe
	s_mul_hi_u32 s11, s4, s9
	s_mul_i32 s10, s4, s9
	s_mul_hi_u32 s68, s4, s8
	s_mul_i32 s13, s5, s8
	s_wait_alu 0xfffe
	s_add_nc_u64 s[10:11], s[68:69], s[10:11]
	s_mul_hi_u32 s12, s5, s8
	s_mul_hi_u32 s14, s5, s9
	s_mul_i32 s8, s5, s9
	s_wait_alu 0xfffe
	s_add_co_u32 s9, s10, s13
	s_add_co_ci_u32 s68, s11, s12
	s_add_co_ci_u32 s9, s14, 0
	s_wait_alu 0xfffe
	s_add_nc_u64 s[8:9], s[68:69], s[8:9]
	s_wait_alu 0xfffe
	s_add_co_u32 s4, s4, s8
	s_cselect_b32 s8, -1, 0
	s_wait_alu 0xfffe
	s_cmp_lg_u32 s8, 0
	s_add_co_ci_u32 s5, s5, s9
	s_wait_alu 0xfffe
	s_mul_u64 s[6:7], s[6:7], s[4:5]
	s_wait_alu 0xfffe
	s_mul_hi_u32 s9, s4, s7
	s_mul_i32 s8, s4, s7
	s_mul_hi_u32 s68, s4, s6
	s_mul_i32 s11, s5, s6
	s_wait_alu 0xfffe
	s_add_nc_u64 s[8:9], s[68:69], s[8:9]
	s_mul_hi_u32 s10, s5, s6
	s_mul_hi_u32 s12, s5, s7
	s_mul_i32 s6, s5, s7
	s_wait_alu 0xfffe
	s_add_co_u32 s7, s8, s11
	s_add_co_ci_u32 s68, s9, s10
	s_add_co_ci_u32 s7, s12, 0
	s_wait_alu 0xfffe
	s_add_nc_u64 s[6:7], s[68:69], s[6:7]
	s_wait_alu 0xfffe
	s_add_co_u32 s4, s4, s6
	s_cselect_b32 s6, -1, 0
	s_wait_alu 0xfffe
	s_mul_hi_u32 s68, s24, s4
	s_cmp_lg_u32 s6, 0
	s_mul_hi_u32 s8, s25, s4
	s_add_co_ci_u32 s6, s5, s7
	s_mul_i32 s7, s25, s4
	s_wait_alu 0xfffe
	s_mul_hi_u32 s5, s24, s6
	s_mul_i32 s4, s24, s6
	s_mul_hi_u32 s9, s25, s6
	s_wait_alu 0xfffe
	s_add_nc_u64 s[4:5], s[68:69], s[4:5]
	s_mul_i32 s6, s25, s6
	s_wait_alu 0xfffe
	s_add_co_u32 s4, s4, s7
	s_add_co_ci_u32 s68, s5, s8
	s_add_co_ci_u32 s7, s9, 0
	s_wait_alu 0xfffe
	s_add_nc_u64 s[4:5], s[68:69], s[6:7]
	s_wait_alu 0xfffe
	s_mul_u64 s[4:5], s[18:19], s[4:5]
	s_wait_alu 0xfffe
	s_sub_co_u32 s4, s24, s4
	s_cselect_b32 s6, -1, 0
	s_wait_alu 0xfffe
	s_cmp_lg_u32 s6, 0
	s_sub_co_ci_u32 s5, s25, s5
	s_sub_co_u32 s6, s4, s18
	s_cselect_b32 s7, -1, 0
	s_wait_alu 0xfffe
	s_cmp_lg_u32 s7, 0
	s_sub_co_ci_u32 s7, s5, 0
	;; [unrolled: 5-line block ×3, first 2 shown]
	s_cmp_ge_u32 s6, s18
	s_cselect_b32 s10, -1, 0
	s_cmp_eq_u32 s7, 0
	s_wait_alu 0xfffe
	s_cselect_b32 s10, s10, -1
	s_wait_alu 0xfffe
	s_cmp_lg_u32 s10, 0
	s_cselect_b32 s7, s9, s7
	s_cselect_b32 s6, s8, s6
	s_cmp_ge_u32 s4, s18
	s_cselect_b32 s8, -1, 0
	s_cmp_eq_u32 s5, 0
	s_wait_alu 0xfffe
	s_cselect_b32 s8, s8, -1
	s_wait_alu 0xfffe
	s_cmp_lg_u32 s8, 0
	s_cselect_b32 s5, s7, s5
	s_cselect_b32 s4, s6, s4
	s_cbranch_execnz .LBB102_63
.LBB102_62:                             ;   in Loop: Header=BB102_23 Depth=1
	s_wait_alu 0xfffe
	v_cvt_f32_u32_e32 v3, s18
	s_sub_co_i32 s5, 0, s18
	s_delay_alu instid0(VALU_DEP_1) | instskip(NEXT) | instid1(TRANS32_DEP_1)
	v_rcp_iflag_f32_e32 v3, v3
	v_mul_f32_e32 v3, 0x4f7ffffe, v3
	s_delay_alu instid0(VALU_DEP_1) | instskip(NEXT) | instid1(VALU_DEP_1)
	v_cvt_u32_f32_e32 v3, v3
	v_readfirstlane_b32 s4, v3
	s_wait_alu 0xfffe
	s_mul_i32 s5, s5, s4
	s_wait_alu 0xfffe
	s_mul_hi_u32 s5, s4, s5
	s_wait_alu 0xfffe
	s_add_co_i32 s4, s4, s5
	s_wait_alu 0xfffe
	s_mul_hi_u32 s4, s24, s4
	s_wait_alu 0xfffe
	s_mul_i32 s4, s4, s18
	s_wait_alu 0xfffe
	s_sub_co_i32 s4, s24, s4
	s_wait_alu 0xfffe
	s_sub_co_i32 s5, s4, s18
	s_cmp_ge_u32 s4, s18
	s_wait_alu 0xfffe
	s_cselect_b32 s4, s5, s4
	s_wait_alu 0xfffe
	s_sub_co_i32 s5, s4, s18
	s_cmp_ge_u32 s4, s18
	s_wait_alu 0xfffe
	s_cselect_b32 s68, s5, s4
	s_wait_alu 0xfffe
	s_mov_b64 s[4:5], s[68:69]
.LBB102_63:                             ;   in Loop: Header=BB102_23 Depth=1
	v_mov_b32_e32 v7, 0
	v_dual_mov_b32 v11, 0 :: v_dual_mov_b32 v8, 0
	v_dual_mov_b32 v9, 0 :: v_dual_mov_b32 v12, 0
	;; [unrolled: 1-line block ×3, first 2 shown]
	v_mov_b32_e32 v14, 0
	s_wait_alu 0xfffe
	s_sub_nc_u64 s[20:21], s[24:25], s[4:5]
	s_mov_b32 s19, exec_lo
	s_wait_alu 0xfffe
	v_cmpx_gt_u64_e64 s[20:21], v[19:20]
	s_cbranch_execz .LBB102_67
; %bb.64:                               ;   in Loop: Header=BB102_23 Depth=1
	v_dual_mov_b32 v3, v19 :: v_dual_mov_b32 v4, v20
	s_mov_b64 s[22:23], 0
	s_mov_b32 s56, 0
	s_mov_b64 s[78:79], 0
	s_mov_b64 s[80:81], 0
	s_mov_b64 s[82:83], 0
.LBB102_65:                             ;   Parent Loop BB102_23 Depth=1
                                        ; =>  This Inner Loop Header: Depth=2
	v_mul_lo_u32 v9, v4, s54
	v_mul_lo_u32 v10, v3, s55
	v_mad_co_u64_u32 v[7:8], null, v3, s54, 0
	s_lshl_b64 s[4:5], s[54:55], 3
	v_dual_mov_b32 v29, v16 :: v_dual_mov_b32 v30, v16
	v_add3_u32 v8, v8, v10, v9
	s_delay_alu instid0(VALU_DEP_1) | instskip(NEXT) | instid1(VALU_DEP_1)
	v_lshlrev_b64_e32 v[7:8], 3, v[7:8]
	v_add_co_u32 v7, vcc_lo, s62, v7
	s_wait_alu 0xfffd
	s_delay_alu instid0(VALU_DEP_2) | instskip(SKIP_1) | instid1(VALU_DEP_2)
	v_add_co_ci_u32_e64 v8, null, s63, v8, vcc_lo
	s_wait_alu 0xfffe
	v_add_co_u32 v9, vcc_lo, v7, s4
	s_wait_alu 0xfffd
	s_delay_alu instid0(VALU_DEP_2)
	v_add_co_ci_u32_e64 v10, null, s5, v8, vcc_lo
	global_load_b64 v[7:8], v[7:8], off
	v_add_co_u32 v11, vcc_lo, v9, s4
	s_wait_alu 0xfffd
	v_add_co_ci_u32_e64 v12, null, s5, v10, vcc_lo
	s_clause 0x1
	global_load_b64 v[9:10], v[9:10], off
	global_load_b64 v[13:14], v[11:12], off
	v_add_co_u32 v11, vcc_lo, v11, s4
	s_wait_alu 0xfffd
	v_add_co_ci_u32_e64 v12, null, s5, v12, vcc_lo
	v_mov_b32_e32 v39, v16
	v_add_co_u32 v3, vcc_lo, v3, s18
	global_load_b64 v[11:12], v[11:12], off
	s_wait_alu 0xfffd
	v_add_co_ci_u32_e64 v4, null, 0, v4, vcc_lo
	s_delay_alu instid0(VALU_DEP_1) | instskip(SKIP_3) | instid1(VALU_DEP_2)
	v_cmp_le_u64_e32 vcc_lo, s[20:21], v[3:4]
	s_wait_loadcnt 0x3
	v_xor_b32_e32 v8, 0x80000000, v8
	v_and_b32_e32 v40, v7, v23
	v_and_b32_e32 v41, v8, v24
	v_lshrrev_b64 v[7:8], s93, v[7:8]
	s_wait_loadcnt 0x2
	v_xor_b32_e32 v10, 0x80000000, v10
	s_wait_loadcnt 0x1
	v_xor_b32_e32 v14, 0x80000000, v14
	v_and_b32_e32 v42, v9, v23
	v_cmp_eq_u64_e64 s4, v[40:41], v[21:22]
	v_and_b32_e32 v8, v13, v23
	v_and_b32_e32 v15, 3, v7
	v_lshrrev_b64 v[40:41], s93, v[9:10]
	v_and_b32_e32 v9, v14, v24
	s_wait_loadcnt 0x0
	v_xor_b32_e32 v12, 0x80000000, v12
	v_lshrrev_b64 v[13:14], s93, v[13:14]
	v_cmp_eq_u64_e64 s6, 0, v[15:16]
	v_and_b32_e32 v43, v10, v24
	v_and_b32_e32 v28, 3, v40
	v_cmp_eq_u64_e64 s7, 1, v[15:16]
	v_cmp_eq_u64_e64 s8, 2, v[15:16]
	;; [unrolled: 1-line block ×3, first 2 shown]
	v_lshrrev_b64 v[9:10], s93, v[11:12]
	s_and_b32 s6, s4, s6
	v_cmp_eq_u64_e64 s5, v[42:43], v[21:22]
	v_cmp_eq_u64_e64 s9, 3, v[15:16]
	v_and_b32_e32 v38, 3, v13
	v_cmp_eq_u64_e64 s11, 0, v[28:29]
	v_cmp_eq_u64_e64 s12, 1, v[28:29]
	s_wait_alu 0xfffe
	v_cndmask_b32_e64 v10, 0, 1, s6
	s_and_b32 s6, s4, s7
	v_cmp_eq_u64_e64 s13, 2, v[28:29]
	v_cmp_eq_u64_e64 s14, 3, v[28:29]
	v_and_b32_e32 v7, v11, v23
	v_and_b32_e32 v8, v12, v24
	s_wait_alu 0xfffe
	v_cndmask_b32_e64 v11, 0, 1, s6
	s_and_b32 s6, s4, s8
	v_and_b32_e32 v29, 3, v9
	s_wait_alu 0xfffe
	v_cndmask_b32_e64 v12, 0, 1, s6
	v_cmp_eq_u64_e64 s6, 0, v[38:39]
	s_and_b32 s4, s4, s9
	s_and_b32 s11, s5, s11
	;; [unrolled: 1-line block ×3, first 2 shown]
	v_cmp_eq_u64_e64 s7, 1, v[38:39]
	s_wait_alu 0xfffe
	v_cndmask_b32_e64 v13, 0, 1, s4
	v_cmp_eq_u64_e64 s4, v[7:8], v[21:22]
	v_cmp_ne_u32_e64 s15, 0, v10
	v_cndmask_b32_e64 v7, 0, 1, s11
	v_cndmask_b32_e64 v8, 0, 1, s12
	s_and_b32 s13, s5, s13
	s_and_b32 s5, s5, s14
	v_cmp_eq_u64_e64 s8, 2, v[38:39]
	v_cmp_eq_u64_e64 s9, 3, v[38:39]
	s_wait_alu 0xfffe
	v_cndmask_b32_e64 v9, 0, 1, s13
	v_cndmask_b32_e64 v10, 0, 1, s5
	v_cmp_eq_u64_e64 s5, 0, v[29:30]
	s_and_b32 s6, s10, s6
	v_cmp_eq_u64_e64 s14, 1, v[29:30]
	s_bcnt1_i32_b32 s57, s15
	v_cmp_ne_u32_e64 s15, 0, v7
	s_wait_alu 0xfffe
	v_cndmask_b32_e64 v7, 0, 1, s6
	v_cmp_ne_u32_e64 s6, 0, v8
	s_and_b32 s7, s10, s7
	v_cmp_eq_u64_e64 s16, 2, v[29:30]
	v_cmp_eq_u64_e64 s17, 3, v[29:30]
	s_wait_alu 0xfffe
	v_cndmask_b32_e64 v8, 0, 1, s7
	v_cmp_ne_u32_e64 s7, 0, v9
	s_and_b32 s8, s10, s8
	s_and_b32 s9, s10, s9
	;; [unrolled: 1-line block ×3, first 2 shown]
	s_wait_alu 0xfffe
	v_cndmask_b32_e64 v9, 0, 1, s8
	v_cmp_ne_u32_e64 s13, 0, v13
	v_cmp_ne_u32_e64 s8, 0, v10
	v_cndmask_b32_e64 v10, 0, 1, s9
	s_bcnt1_i32_b32 s10, s15
	v_cmp_ne_u32_e64 s9, 0, v7
	v_cndmask_b32_e64 v7, 0, 1, s5
	s_bcnt1_i32_b32 s15, s6
	s_and_b32 s6, s4, s14
	v_cmp_ne_u32_e64 s12, 0, v12
	v_cmp_ne_u32_e64 s5, 0, v8
	s_wait_alu 0xfffe
	v_cndmask_b32_e64 v8, 0, 1, s6
	s_bcnt1_i32_b32 s14, s7
	s_and_b32 s7, s4, s16
	v_cmp_ne_u32_e64 s11, 0, v11
	s_and_b32 s4, s4, s17
	v_cmp_ne_u32_e64 s6, 0, v9
	s_wait_alu 0xfffe
	v_cndmask_b32_e64 v9, 0, 1, s7
	s_bcnt1_i32_b32 s13, s13
	s_bcnt1_i32_b32 s8, s8
	v_cmp_ne_u32_e64 s7, 0, v10
	v_cndmask_b32_e64 v10, 0, 1, s4
	v_cmp_ne_u32_e64 s4, 0, v7
	s_bcnt1_i32_b32 s12, s12
	s_wait_alu 0xfffe
	s_add_co_i32 s8, s8, s13
	s_bcnt1_i32_b32 s13, s5
	v_cmp_ne_u32_e64 s5, 0, v8
	s_bcnt1_i32_b32 s11, s11
	s_add_co_i32 s10, s10, s57
	s_bcnt1_i32_b32 s9, s9
	s_add_co_i32 s12, s14, s12
	s_bcnt1_i32_b32 s14, s6
	v_cmp_ne_u32_e64 s6, 0, v9
	s_wait_alu 0xfffe
	s_add_co_i32 s11, s15, s11
	s_add_co_i32 s9, s10, s9
	s_bcnt1_i32_b32 s4, s4
	s_bcnt1_i32_b32 s15, s7
	v_cmp_ne_u32_e64 s7, 0, v10
	s_wait_alu 0xfffe
	s_add_co_i32 s10, s11, s13
	s_bcnt1_i32_b32 s5, s5
	s_add_co_i32 s68, s9, s4
	s_add_co_i32 s11, s12, s14
	s_bcnt1_i32_b32 s6, s6
	s_wait_alu 0xfffe
	s_add_nc_u64 s[82:83], s[82:83], s[68:69]
	s_add_co_i32 s68, s10, s5
	s_add_co_i32 s8, s8, s15
	s_bcnt1_i32_b32 s7, s7
	s_wait_alu 0xfffe
	s_add_nc_u64 s[80:81], s[80:81], s[68:69]
	s_add_co_i32 s68, s11, s6
	v_mov_b32_e32 v7, s82
	s_wait_alu 0xfffe
	s_add_nc_u64 s[78:79], s[78:79], s[68:69]
	s_add_co_i32 s68, s8, s7
	v_mov_b32_e32 v9, s80
	s_wait_alu 0xfffe
	s_add_nc_u64 s[22:23], s[22:23], s[68:69]
	v_mov_b32_e32 v11, s78
	s_wait_alu 0xfffe
	v_dual_mov_b32 v13, s22 :: v_dual_mov_b32 v8, s83
	v_mov_b32_e32 v10, s81
	v_mov_b32_e32 v12, s79
	;; [unrolled: 1-line block ×3, first 2 shown]
	s_or_b32 s56, vcc_lo, s56
	s_wait_alu 0xfffe
	s_and_not1_b32 exec_lo, exec_lo, s56
	s_cbranch_execnz .LBB102_65
; %bb.66:                               ;   in Loop: Header=BB102_23 Depth=1
	s_or_b32 exec_lo, exec_lo, s56
.LBB102_67:                             ;   in Loop: Header=BB102_23 Depth=1
	s_wait_alu 0xfffe
	s_or_b32 exec_lo, exec_lo, s19
	v_add_co_u32 v3, s4, s20, v0
	v_and_b32_e32 v38, 0xffff, v27
	s_wait_alu 0xf1ff
	v_add_co_ci_u32_e64 v4, null, s21, 0, s4
	s_mov_b32 s8, exec_lo
	v_cmpx_gt_u64_e64 s[24:25], v[3:4]
	s_cbranch_execz .LBB102_73
; %bb.68:                               ;   in Loop: Header=BB102_23 Depth=1
	v_mul_lo_u32 v15, v4, s54
	v_mul_lo_u32 v29, v3, s55
	v_mad_co_u64_u32 v[27:28], null, v3, s54, 0
	s_mov_b32 s9, 0
	v_add3_u32 v28, v28, v29, v15
	s_delay_alu instid0(VALU_DEP_1) | instskip(NEXT) | instid1(VALU_DEP_1)
	v_lshlrev_b64_e32 v[27:28], 3, v[27:28]
	v_add_co_u32 v27, vcc_lo, s62, v27
	s_wait_alu 0xfffd
	s_delay_alu instid0(VALU_DEP_2)
	v_add_co_ci_u32_e64 v28, null, s63, v28, vcc_lo
	global_load_b64 v[29:30], v[27:28], off
	s_branch .LBB102_70
.LBB102_69:                             ;   in Loop: Header=BB102_70 Depth=2
	s_wait_alu 0xfffe
	s_or_b32 exec_lo, exec_lo, s5
	s_wait_loadcnt 0x0
	v_xor_b32_e32 v30, 0x80000000, v30
	s_and_b32 s6, exec_lo, vcc_lo
	s_wait_alu 0xfffe
	s_or_b32 s9, s6, s9
	s_delay_alu instid0(VALU_DEP_1) | instskip(SKIP_2) | instid1(VALU_DEP_3)
	v_lshrrev_b64 v[39:40], s93, v[29:30]
	v_and_b32_e32 v29, v29, v23
	v_and_b32_e32 v30, v30, v24
	;; [unrolled: 1-line block ×3, first 2 shown]
	s_delay_alu instid0(VALU_DEP_2) | instskip(NEXT) | instid1(VALU_DEP_2)
	v_cmp_eq_u64_e64 s4, v[29:30], v[21:22]
	v_cmp_eq_u64_e64 s5, 0, v[15:16]
	v_cmp_eq_u64_e32 vcc_lo, 1, v[15:16]
	v_cmp_eq_u64_e64 s6, 2, v[15:16]
	v_cmp_eq_u64_e64 s7, 3, v[15:16]
	s_and_b32 s5, s4, s5
	s_wait_alu 0xfffe
	v_cndmask_b32_e64 v15, 0, 1, s5
	s_and_b32 s5, s4, vcc_lo
	s_wait_alu 0xfffe
	v_cndmask_b32_e64 v29, 0, 1, s5
	s_and_b32 s5, s4, s6
	s_and_b32 s4, s4, s7
	s_wait_alu 0xfffe
	v_cndmask_b32_e64 v30, 0, 1, s5
	v_cmp_ne_u32_e32 vcc_lo, 0, v15
	v_cndmask_b32_e64 v39, 0, 1, s4
	v_cmp_ne_u32_e64 s4, 0, v29
	s_delay_alu instid0(VALU_DEP_4)
	v_cmp_ne_u32_e64 s5, 0, v30
	s_bcnt1_i32_b32 s7, vcc_lo
	v_cmp_ne_u32_e64 s6, 0, v39
	s_bcnt1_i32_b32 s4, s4
	s_wait_alu 0xfffe
	v_add_co_u32 v7, vcc_lo, v7, s7
	s_bcnt1_i32_b32 s5, s5
	s_wait_alu 0xfffd
	v_add_co_ci_u32_e64 v8, null, 0, v8, vcc_lo
	v_add_co_u32 v9, vcc_lo, v9, s4
	s_wait_alu 0xfffd
	v_add_co_ci_u32_e64 v10, null, 0, v10, vcc_lo
	s_wait_alu 0xfffe
	v_add_co_u32 v11, vcc_lo, v11, s5
	s_bcnt1_i32_b32 s4, s6
	s_wait_alu 0xfffd
	v_add_co_ci_u32_e64 v12, null, 0, v12, vcc_lo
	s_wait_alu 0xfffe
	v_add_co_u32 v13, vcc_lo, v13, s4
	v_mov_b32_e32 v30, v28
	s_wait_alu 0xfffd
	v_add_co_ci_u32_e64 v14, null, 0, v14, vcc_lo
	v_mov_b32_e32 v29, v27
	s_and_not1_b32 exec_lo, exec_lo, s9
	s_cbranch_execz .LBB102_72
.LBB102_70:                             ;   Parent Loop BB102_23 Depth=1
                                        ; =>  This Inner Loop Header: Depth=2
	v_add_co_u32 v3, vcc_lo, v3, v38
	v_mov_b32_e32 v27, 0
	s_wait_alu 0xfffd
	v_add_co_ci_u32_e64 v4, null, 0, v4, vcc_lo
	v_mov_b32_e32 v28, 0
	s_mov_b32 s5, exec_lo
	s_delay_alu instid0(VALU_DEP_2)
	v_cmp_le_u64_e32 vcc_lo, s[24:25], v[3:4]
	v_cmpx_gt_u64_e64 s[24:25], v[3:4]
	s_cbranch_execz .LBB102_69
; %bb.71:                               ;   in Loop: Header=BB102_70 Depth=2
	v_mul_lo_u32 v15, v4, s54
	v_mul_lo_u32 v39, v3, s55
	v_mad_co_u64_u32 v[27:28], null, v3, s54, 0
	s_delay_alu instid0(VALU_DEP_1) | instskip(NEXT) | instid1(VALU_DEP_1)
	v_add3_u32 v28, v28, v39, v15
	v_lshlrev_b64_e32 v[27:28], 3, v[27:28]
	s_delay_alu instid0(VALU_DEP_1) | instskip(SKIP_1) | instid1(VALU_DEP_2)
	v_add_co_u32 v27, s4, s62, v27
	s_wait_alu 0xf1ff
	v_add_co_ci_u32_e64 v28, null, s63, v28, s4
	global_load_b64 v[27:28], v[27:28], off
	s_branch .LBB102_69
.LBB102_72:                             ;   in Loop: Header=BB102_23 Depth=1
	s_or_b32 exec_lo, exec_lo, s9
.LBB102_73:                             ;   in Loop: Header=BB102_23 Depth=1
	s_wait_alu 0xfffe
	s_or_b32 exec_lo, exec_lo, s8
	s_branch .LBB102_52
.LBB102_74:                             ;   in Loop: Header=BB102_23 Depth=1
	global_load_u16 v3, v16, s[74:75]
	v_mov_b32_e32 v7, 0
	v_mov_b32_e32 v9, 0
	;; [unrolled: 1-line block ×3, first 2 shown]
	v_dual_mov_b32 v13, 0 :: v_dual_mov_b32 v10, 0
	v_mov_b32_e32 v12, 0
	v_mov_b32_e32 v14, 0
	s_mov_b32 vcc_hi, exec_lo
	s_wait_loadcnt 0x0
	v_dual_mov_b32 v8, 0 :: v_dual_and_b32 v29, 0xffff, v3
	v_readfirstlane_b32 s4, v3
	s_and_b32 s77, 0xffff, s4
	s_delay_alu instid0(SALU_CYCLE_1) | instskip(SKIP_4) | instid1(SALU_CYCLE_1)
	s_lshl_b32 s104, s77, 2
	s_wait_alu 0xfffe
	s_cvt_f32_u32 s4, s104
	s_sub_co_i32 s5, 0, s104
	s_wait_alu 0xfffe
	v_rcp_iflag_f32_e32 v4, s4
	s_delay_alu instid0(TRANS32_DEP_1) | instskip(SKIP_2) | instid1(SALU_CYCLE_2)
	v_readfirstlane_b32 s4, v4
	s_mul_f32 s4, s4, 0x4f7ffffe
	s_wait_alu 0xfffe
	s_cvt_u32_f32 s4, s4
	s_wait_alu 0xfffe
	s_delay_alu instid0(SALU_CYCLE_2)
	s_mul_i32 s5, s5, s4
	s_wait_alu 0xfffe
	s_mul_hi_u32 s5, s4, s5
	s_wait_alu 0xfffe
	s_add_co_i32 s4, s4, s5
	s_wait_alu 0xfffe
	s_mul_hi_u32 s4, s76, s4
	s_wait_alu 0xfffe
	s_mul_i32 s5, s4, s104
	s_add_co_i32 s6, s4, 1
	s_wait_alu 0xfffe
	s_sub_co_i32 s5, s76, s5
	s_wait_alu 0xfffe
	s_sub_co_i32 s7, s5, s104
	s_cmp_ge_u32 s5, s104
	s_cselect_b32 s4, s6, s4
	s_wait_alu 0xfffe
	s_cselect_b32 s5, s7, s5
	s_add_co_i32 s6, s4, 1
	s_wait_alu 0xfffe
	s_cmp_ge_u32 s5, s104
	s_cselect_b32 s103, s6, s4
	s_wait_alu 0xfffe
	v_mul_hi_u32 v4, s103, v29
	v_mul_lo_u32 v3, s103, v29
	s_delay_alu instid0(VALU_DEP_1) | instskip(NEXT) | instid1(VALU_DEP_1)
	v_lshlrev_b64_e32 v[3:4], 2, v[3:4]
	v_cmpx_gt_u64_e64 v[3:4], v[19:20]
	s_cbranch_execz .LBB102_78
; %bb.75:                               ;   in Loop: Header=BB102_23 Depth=1
	v_mov_b32_e32 v28, v20
	v_dual_mov_b32 v30, v36 :: v_dual_mov_b32 v27, v19
	s_lshl_b32 s56, s77, 5
	s_mov_b64 s[78:79], 0
	s_mov_b32 s57, 0
	s_mov_b64 s[80:81], 0
	s_mov_b64 s[82:83], 0
	;; [unrolled: 1-line block ×3, first 2 shown]
.LBB102_76:                             ;   Parent Loop BB102_23 Depth=1
                                        ; =>  This Inner Loop Header: Depth=2
	ds_load_b128 v[7:10], v30
	v_add_co_u32 v27, s15, v27, s104
	s_wait_alu 0xf1ff
	v_add_co_ci_u32_e64 v28, null, 0, v28, s15
	s_delay_alu instid0(VALU_DEP_1)
	v_cmp_ge_u64_e64 s15, v[27:28], v[3:4]
	s_wait_dscnt 0x0
	v_xor_b32_e32 v8, 0x80000000, v8
	v_xor_b32_e32 v10, 0x80000000, v10
	v_and_b32_e32 v11, v7, v23
	v_and_b32_e32 v13, v9, v23
	s_delay_alu instid0(VALU_DEP_4)
	v_lshrrev_b64 v[38:39], s93, v[7:8]
	v_and_b32_e32 v12, v8, v24
	v_and_b32_e32 v14, v10, v24
	v_lshrrev_b64 v[39:40], s93, v[9:10]
	ds_load_b128 v[7:10], v30 offset:16
	s_wait_alu 0xfffe
	v_add_nc_u32_e32 v30, s56, v30
	v_and_b32_e32 v15, 3, v38
	s_delay_alu instid0(VALU_DEP_1)
	v_cmp_eq_u64_e64 s16, 0, v[15:16]
	v_cmp_eq_u64_e64 s18, 1, v[15:16]
	;; [unrolled: 1-line block ×4, first 2 shown]
	s_wait_dscnt 0x0
	v_xor_b32_e32 v8, 0x80000000, v8
	v_xor_b32_e32 v10, 0x80000000, v10
	v_and_b32_e32 v40, v7, v23
	v_and_b32_e32 v42, v9, v23
	s_delay_alu instid0(VALU_DEP_4)
	v_and_b32_e32 v41, v8, v24
	v_lshrrev_b64 v[7:8], s93, v[7:8]
	v_lshrrev_b64 v[8:9], s93, v[9:10]
	v_and_b32_e32 v43, v10, v24
	v_dual_mov_b32 v10, v16 :: v_dual_and_b32 v9, 3, v39
	v_cmp_eq_u64_e32 vcc_lo, v[11:12], v[21:22]
	v_cmp_eq_u64_e64 s5, v[40:41], v[21:22]
	s_delay_alu instid0(VALU_DEP_4) | instskip(NEXT) | instid1(VALU_DEP_4)
	v_cmp_eq_u64_e64 s6, v[42:43], v[21:22]
	v_cmp_eq_u64_e64 s7, 0, v[9:10]
	;; [unrolled: 1-line block ×5, first 2 shown]
	v_and_b32_e32 v9, 3, v7
	v_dual_mov_b32 v8, v16 :: v_dual_and_b32 v7, 3, v8
	v_cmp_eq_u64_e64 s4, v[13:14], v[21:22]
	s_and_b32 s16, vcc_lo, s16
	v_cmp_eq_u64_e64 s11, 0, v[9:10]
	v_cmp_eq_u64_e64 s12, 1, v[9:10]
	;; [unrolled: 1-line block ×6, first 2 shown]
	s_and_b32 s7, s4, s7
	s_wait_alu 0xfffe
	v_cndmask_b32_e64 v7, 0, 1, s16
	v_cndmask_b32_e64 v8, 0, 1, s7
	s_and_b32 s11, s5, s11
	v_cmp_eq_u64_e64 s13, 2, v[9:10]
	v_cmp_eq_u64_e64 s14, 3, v[9:10]
	s_and_b32 s17, s6, s17
	s_and_b32 s18, vcc_lo, s18
	s_and_b32 s20, vcc_lo, s20
	;; [unrolled: 1-line block ×3, first 2 shown]
	v_cmp_ne_u32_e32 vcc_lo, 0, v7
	s_wait_alu 0xfffe
	v_cndmask_b32_e64 v7, 0, 1, s11
	s_and_b32 s8, s4, s8
	s_and_b32 s68, s4, s9
	s_and_b32 s58, s4, s10
	v_cmp_ne_u32_e64 s4, 0, v8
	v_cndmask_b32_e64 v8, 0, 1, s17
	s_and_b32 s12, s5, s12
	s_and_b32 s13, s5, s13
	s_and_b32 s59, s5, s14
	v_cmp_ne_u32_e64 s5, 0, v7
	;; [unrolled: 5-line block ×3, first 2 shown]
	s_wait_alu 0xfffe
	v_cndmask_b32_e64 v8, 0, 1, s8
	v_cmp_ne_u32_e64 s7, 0, v7
	v_cndmask_b32_e64 v7, 0, 1, s12
	s_bcnt1_i32_b32 s4, s4
	s_bcnt1_i32_b32 s5, s5
	v_cmp_ne_u32_e64 s8, 0, v8
	v_cndmask_b32_e64 v8, 0, 1, s19
	v_cmp_ne_u32_e64 s9, 0, v7
	v_cndmask_b32_e64 v7, 0, 1, s20
	s_bcnt1_i32_b32 s20, vcc_lo
	s_bcnt1_i32_b32 s7, s7
	v_cmp_ne_u32_e64 s10, 0, v8
	v_cndmask_b32_e64 v8, 0, 1, s68
	v_cmp_ne_u32_e64 s11, 0, v7
	v_cndmask_b32_e64 v7, 0, 1, s13
	s_bcnt1_i32_b32 s8, s8
	s_wait_alu 0xfffe
	s_add_co_i32 s4, s4, s20
	v_cmp_ne_u32_e64 s12, 0, v8
	v_cndmask_b32_e64 v8, 0, 1, s21
	v_cmp_ne_u32_e64 s13, 0, v7
	v_cndmask_b32_e64 v7, 0, 1, s22
	s_bcnt1_i32_b32 s6, s6
	s_bcnt1_i32_b32 s9, s9
	v_cmp_ne_u32_e64 s14, 0, v8
	v_cndmask_b32_e64 v8, 0, 1, s58
	v_cmp_ne_u32_e64 s16, 0, v7
	v_cndmask_b32_e64 v7, 0, 1, s59
	s_bcnt1_i32_b32 s11, s11
	s_bcnt1_i32_b32 s12, s12
	v_cmp_ne_u32_e64 s17, 0, v8
	v_cndmask_b32_e64 v8, 0, 1, s23
	v_cmp_ne_u32_e64 s18, 0, v7
	s_add_co_i32 s7, s8, s7
	s_wait_alu 0xfffe
	s_add_co_i32 s4, s4, s5
	s_bcnt1_i32_b32 s10, s10
	v_cmp_ne_u32_e64 s19, 0, v8
	s_bcnt1_i32_b32 s13, s13
	s_bcnt1_i32_b32 s16, s16
	;; [unrolled: 1-line block ×3, first 2 shown]
	s_add_co_i32 s8, s12, s11
	s_add_co_i32 s5, s7, s9
	s_wait_alu 0xfffe
	s_add_co_i32 s68, s4, s6
	s_bcnt1_i32_b32 s14, s14
	s_bcnt1_i32_b32 s18, s18
	s_add_co_i32 s11, s17, s16
	s_add_co_i32 s7, s8, s13
	s_wait_alu 0xfffe
	s_add_nc_u64 s[84:85], s[84:85], s[68:69]
	s_add_co_i32 s68, s5, s10
	s_bcnt1_i32_b32 s19, s19
	s_add_co_i32 s8, s11, s18
	s_wait_alu 0xfffe
	s_add_nc_u64 s[82:83], s[82:83], s[68:69]
	s_add_co_i32 s68, s7, s14
	v_mov_b32_e32 v7, s84
	s_wait_alu 0xfffe
	s_add_nc_u64 s[80:81], s[80:81], s[68:69]
	s_add_co_i32 s68, s8, s19
	v_mov_b32_e32 v9, s82
	s_wait_alu 0xfffe
	s_add_nc_u64 s[78:79], s[78:79], s[68:69]
	v_mov_b32_e32 v11, s80
	s_wait_alu 0xfffe
	v_dual_mov_b32 v13, s78 :: v_dual_mov_b32 v8, s85
	v_mov_b32_e32 v10, s83
	v_mov_b32_e32 v12, s81
	;; [unrolled: 1-line block ×3, first 2 shown]
	s_or_b32 s57, s15, s57
	s_wait_alu 0xfffe
	s_and_not1_b32 exec_lo, exec_lo, s57
	s_cbranch_execnz .LBB102_76
; %bb.77:                               ;   in Loop: Header=BB102_23 Depth=1
	s_or_b32 exec_lo, exec_lo, s57
.LBB102_78:                             ;   in Loop: Header=BB102_23 Depth=1
	s_delay_alu instid0(SALU_CYCLE_1)
	s_or_b32 exec_lo, exec_lo, vcc_hi
	v_add_co_u32 v3, vcc_lo, v3, v0
	s_wait_alu 0xfffd
	v_add_co_ci_u32_e64 v4, null, 0, v4, vcc_lo
	s_and_b32 s68, s76, 0x7fffffff
	s_mov_b32 s9, exec_lo
	s_wait_alu 0xfffe
	v_cmpx_gt_u64_e64 s[68:69], v[3:4]
	s_cbranch_execz .LBB102_82
; %bb.79:                               ;   in Loop: Header=BB102_23 Depth=1
	s_mul_i32 s103, s103, s77
	s_lshl_b32 s11, s77, 3
	s_wait_alu 0xfffe
	v_lshl_add_u32 v27, s103, 5, v32
	s_mov_b32 s10, 0
.LBB102_80:                             ;   Parent Loop BB102_23 Depth=1
                                        ; =>  This Inner Loop Header: Depth=2
	ds_load_b64 v[38:39], v27
	v_add_co_u32 v3, vcc_lo, v3, v29
	s_wait_alu 0xfffd
	v_add_co_ci_u32_e64 v4, null, 0, v4, vcc_lo
	v_add_nc_u32_e32 v27, s11, v27
	s_delay_alu instid0(VALU_DEP_2) | instskip(SKIP_3) | instid1(VALU_DEP_2)
	v_cmp_le_u64_e32 vcc_lo, s[68:69], v[3:4]
	s_wait_dscnt 0x0
	v_xor_b32_e32 v39, 0x80000000, v39
	v_and_b32_e32 v40, v38, v23
	v_and_b32_e32 v41, v39, v24
	v_lshrrev_b64 v[38:39], s93, v[38:39]
	s_delay_alu instid0(VALU_DEP_2) | instskip(NEXT) | instid1(VALU_DEP_2)
	v_cmp_eq_u64_e64 s4, v[40:41], v[21:22]
	v_and_b32_e32 v15, 3, v38
	s_delay_alu instid0(VALU_DEP_1)
	v_cmp_eq_u64_e64 s5, 0, v[15:16]
	v_cmp_eq_u64_e64 s6, 1, v[15:16]
	;; [unrolled: 1-line block ×4, first 2 shown]
	s_and_b32 s5, s4, s5
	s_wait_alu 0xfffe
	v_cndmask_b32_e64 v15, 0, 1, s5
	s_and_b32 s5, s4, s6
	s_wait_alu 0xfffe
	v_cndmask_b32_e64 v28, 0, 1, s5
	s_and_b32 s5, s4, s7
	s_and_b32 s4, s4, s8
	s_wait_alu 0xfffe
	v_cndmask_b32_e64 v30, 0, 1, s5
	v_cndmask_b32_e64 v38, 0, 1, s4
	v_cmp_ne_u32_e64 s4, 0, v15
	v_cmp_ne_u32_e64 s5, 0, v28
	s_delay_alu instid0(VALU_DEP_4) | instskip(NEXT) | instid1(VALU_DEP_4)
	v_cmp_ne_u32_e64 s6, 0, v30
	v_cmp_ne_u32_e64 s7, 0, v38
	s_bcnt1_i32_b32 s4, s4
	s_bcnt1_i32_b32 s5, s5
	s_wait_alu 0xfffe
	v_add_co_u32 v7, s4, v7, s4
	s_bcnt1_i32_b32 s6, s6
	v_add_co_ci_u32_e64 v8, null, 0, v8, s4
	v_add_co_u32 v9, s4, v9, s5
	s_bcnt1_i32_b32 s7, s7
	v_add_co_ci_u32_e64 v10, null, 0, v10, s4
	s_wait_alu 0xfffe
	v_add_co_u32 v11, s4, v11, s6
	s_wait_alu 0xf1ff
	v_add_co_ci_u32_e64 v12, null, 0, v12, s4
	v_add_co_u32 v13, s4, v13, s7
	s_wait_alu 0xf1ff
	v_add_co_ci_u32_e64 v14, null, 0, v14, s4
	s_or_b32 s10, vcc_lo, s10
	s_wait_alu 0xfffe
	s_and_not1_b32 exec_lo, exec_lo, s10
	s_cbranch_execnz .LBB102_80
; %bb.81:                               ;   in Loop: Header=BB102_23 Depth=1
	s_or_b32 exec_lo, exec_lo, s10
.LBB102_82:                             ;   in Loop: Header=BB102_23 Depth=1
	s_delay_alu instid0(SALU_CYCLE_1)
	s_or_b32 exec_lo, exec_lo, s9
	s_lshl_b32 s4, s96, 7
	s_and_saveexec_b32 s5, s1
	s_cbranch_execnz .LBB102_53
	s_branch .LBB102_54
.LBB102_83:                             ;   in Loop: Header=BB102_23 Depth=1
                                        ; implicit-def: $sgpr4_sgpr5
	s_branch .LBB102_62
.LBB102_84:                             ;   in Loop: Header=BB102_23 Depth=1
	s_mov_b32 s6, 0
	s_and_not1_b32 vcc_lo, exec_lo, s91
	s_wait_alu 0xfffe
	s_cbranch_vccnz .LBB102_87
.LBB102_85:                             ;   in Loop: Header=BB102_23 Depth=1
	s_lshl_b32 s7, s96, 10
	s_lshl_b32 s6, s6, 5
	s_wait_alu 0xfffe
	v_add3_u32 v7, s7, s6, v37
	s_mov_b32 s6, s88
.LBB102_86:                             ;   Parent Loop BB102_23 Depth=1
                                        ; =>  This Inner Loop Header: Depth=2
	ds_load_b64 v[8:9], v7
	v_add_nc_u32_e32 v7, 32, v7
	s_wait_alu 0xfffe
	s_add_co_i32 s6, s6, -1
	s_wait_alu 0xfffe
	s_cmp_lg_u32 s6, 0
	s_wait_dscnt 0x0
	v_add_co_u32 v3, vcc_lo, v8, v3
	s_wait_alu 0xfffd
	v_add_co_ci_u32_e64 v4, null, v9, v4, vcc_lo
	s_cbranch_scc1 .LBB102_86
.LBB102_87:                             ;   in Loop: Header=BB102_23 Depth=1
	v_add_lshl_u32 v7, s4, v31, 3
	ds_store_b64 v7, v[3:4] offset:3072
.LBB102_88:                             ;   in Loop: Header=BB102_23 Depth=1
	s_wait_alu 0xfffe
	s_or_b32 exec_lo, exec_lo, s5
	s_lshl_b32 s4, s4, 3
	s_wait_loadcnt_dscnt 0x0
	s_wait_alu 0xfffe
	v_mov_b32_e32 v3, s4
	s_barrier_signal -1
	s_barrier_wait -1
	global_inv scope:SCOPE_SE
	v_cmp_eq_u64_e32 vcc_lo, 1, v[25:26]
	ds_load_b128 v[7:10], v3 offset:3072
	ds_load_b128 v[11:14], v3 offset:3088
	s_lshl_b64 s[8:9], 3, s93
	s_mov_b32 s19, -1
	s_wait_alu 0xfffe
	s_not_b64 s[12:13], s[8:9]
                                        ; implicit-def: $sgpr22
                                        ; implicit-def: $sgpr21
	s_wait_dscnt 0x1
	v_cmp_eq_u64_e64 s4, 1, v[7:8]
	s_wait_dscnt 0x0
	v_readfirstlane_b32 s10, v11
	v_readfirstlane_b32 s11, v12
	;; [unrolled: 1-line block ×4, first 2 shown]
	s_and_b32 s20, s4, vcc_lo
	s_mov_b32 s4, -1
	s_wait_alu 0xfffe
	s_and_saveexec_b32 s18, s20
	s_cbranch_execz .LBB102_120
; %bb.89:                               ;   in Loop: Header=BB102_23 Depth=1
	ds_load_b64 v[3:4], v16 offset:5120
	s_wait_loadcnt_dscnt 0x0
	s_barrier_signal -1
	s_barrier_wait -1
	global_inv scope:SCOPE_SE
	v_readfirstlane_b32 s4, v3
	v_readfirstlane_b32 s5, v4
	s_and_saveexec_b32 s14, s3
; %bb.90:                               ;   in Loop: Header=BB102_23 Depth=1
	v_mov_b32_e32 v15, v16
	ds_store_b64 v33, v[15:16]
; %bb.91:                               ;   in Loop: Header=BB102_23 Depth=1
	s_wait_alu 0xfffe
	s_or_b32 exec_lo, exec_lo, s14
	v_and_b32_e32 v22, s13, v22
	v_and_b32_e32 v21, s12, v21
	v_or_b32_e32 v24, s9, v24
	v_or_b32_e32 v23, s8, v23
	s_mov_b32 s21, -1
	s_mov_b32 s22, 0
	s_cmp_eq_u64 s[4:5], 0
	s_mov_b32 s16, 0
	s_mov_b32 s17, -1
	s_wait_loadcnt_dscnt 0x0
	s_barrier_signal -1
	s_barrier_wait -1
	global_inv scope:SCOPE_SE
                                        ; implicit-def: $vgpr5_vgpr6
	s_cbranch_scc1 .LBB102_105
; %bb.92:                               ;   in Loop: Header=BB102_23 Depth=1
	s_add_nc_u64 s[14:15], s[4:5], s[70:71]
	s_mov_b32 s16, s69
	s_wait_alu 0xfffe
	s_mov_b32 s17, s15
	s_wait_alu 0xfffe
	s_cmp_lg_u64 s[16:17], 0
	s_cbranch_scc0 .LBB102_146
; %bb.93:                               ;   in Loop: Header=BB102_23 Depth=1
	s_cvt_f32_u32 s16, s66
	s_sub_nc_u64 s[56:57], 0, s[66:67]
	s_wait_alu 0xfffe
	s_delay_alu instid0(SALU_CYCLE_1) | instskip(SKIP_1) | instid1(SALU_CYCLE_2)
	s_fmamk_f32 s16, s95, 0x0, s16
	s_wait_alu 0xfffe
	v_s_rcp_f32 s16, s16
	s_delay_alu instid0(TRANS32_DEP_1) | instskip(SKIP_1) | instid1(SALU_CYCLE_2)
	s_mul_f32 s16, s16, 0x5f7ffffc
	s_wait_alu 0xfffe
	s_mul_f32 s17, s16, 0x2f800000
	s_wait_alu 0xfffe
	s_delay_alu instid0(SALU_CYCLE_2) | instskip(SKIP_1) | instid1(SALU_CYCLE_2)
	s_trunc_f32 s17, s17
	s_wait_alu 0xfffe
	s_fmamk_f32 s16, s17, 0xcf800000, s16
	s_cvt_u32_f32 s17, s17
	s_wait_alu 0xfffe
	s_delay_alu instid0(SALU_CYCLE_1) | instskip(SKIP_1) | instid1(SALU_CYCLE_2)
	s_cvt_u32_f32 s16, s16
	s_wait_alu 0xfffe
	s_mul_u64 s[76:77], s[56:57], s[16:17]
	s_delay_alu instid0(SALU_CYCLE_1)
	s_mul_hi_u32 s79, s16, s77
	s_mul_i32 s78, s16, s77
	s_mul_hi_u32 s68, s16, s76
	s_mul_i32 s58, s17, s76
	s_wait_alu 0xfffe
	s_add_nc_u64 s[78:79], s[68:69], s[78:79]
	s_mul_hi_u32 s23, s17, s76
	s_mul_hi_u32 s59, s17, s77
	s_wait_alu 0xfffe
	s_add_co_u32 s58, s78, s58
	s_add_co_ci_u32 s68, s79, s23
	s_mul_i32 s76, s17, s77
	s_add_co_ci_u32 s77, s59, 0
	s_wait_alu 0xfffe
	s_add_nc_u64 s[76:77], s[68:69], s[76:77]
	s_delay_alu instid0(SALU_CYCLE_1)
	s_add_co_u32 s16, s16, s76
	s_cselect_b32 s23, -1, 0
	s_wait_alu 0xfffe
	s_cmp_lg_u32 s23, 0
	s_add_co_ci_u32 s17, s17, s77
	s_wait_alu 0xfffe
	s_mul_u64 s[56:57], s[56:57], s[16:17]
	s_wait_alu 0xfffe
	s_mul_hi_u32 s77, s16, s57
	s_mul_i32 s76, s16, s57
	s_mul_hi_u32 s68, s16, s56
	s_mul_i32 s58, s17, s56
	s_wait_alu 0xfffe
	s_add_nc_u64 s[76:77], s[68:69], s[76:77]
	s_mul_hi_u32 s23, s17, s56
	s_mul_hi_u32 s59, s17, s57
	s_mul_i32 s56, s17, s57
	s_add_co_u32 s57, s76, s58
	s_wait_alu 0xfffe
	s_add_co_ci_u32 s68, s77, s23
	s_add_co_ci_u32 s57, s59, 0
	s_wait_alu 0xfffe
	s_add_nc_u64 s[56:57], s[68:69], s[56:57]
	s_wait_alu 0xfffe
	s_add_co_u32 s16, s16, s56
	s_cselect_b32 s23, -1, 0
	s_wait_alu 0xfffe
	s_mul_hi_u32 s68, s14, s16
	s_cmp_lg_u32 s23, 0
	s_mul_hi_u32 s23, s15, s16
	s_add_co_ci_u32 s56, s17, s57
	s_mul_i32 s57, s15, s16
	s_wait_alu 0xfffe
	s_mul_hi_u32 s17, s14, s56
	s_mul_i32 s16, s14, s56
	s_mul_hi_u32 s58, s15, s56
	s_wait_alu 0xfffe
	s_add_nc_u64 s[16:17], s[68:69], s[16:17]
	s_mul_i32 s56, s15, s56
	s_wait_alu 0xfffe
	s_add_co_u32 s16, s16, s57
	s_add_co_ci_u32 s68, s17, s23
	s_add_co_ci_u32 s57, s58, 0
	s_wait_alu 0xfffe
	s_add_nc_u64 s[16:17], s[68:69], s[56:57]
	s_wait_alu 0xfffe
	s_mul_u64 s[16:17], s[66:67], s[16:17]
	s_wait_alu 0xfffe
	s_sub_co_u32 s16, s14, s16
	s_cselect_b32 s23, -1, 0
	s_wait_alu 0xfffe
	s_cmp_lg_u32 s23, 0
	s_sub_co_ci_u32 s17, s15, s17
	s_sub_co_u32 s23, s16, s66
	s_cselect_b32 s56, -1, 0
	s_wait_alu 0xfffe
	s_cmp_lg_u32 s56, 0
	s_sub_co_ci_u32 s56, s17, 0
	;; [unrolled: 5-line block ×3, first 2 shown]
	s_cmp_ge_u32 s23, s66
	s_cselect_b32 s59, -1, 0
	s_cmp_eq_u32 s56, 0
	s_wait_alu 0xfffe
	s_cselect_b32 s59, s59, -1
	s_wait_alu 0xfffe
	s_cmp_lg_u32 s59, 0
	s_cselect_b32 s56, s58, s56
	s_cselect_b32 s23, s57, s23
	s_cmp_ge_u32 s16, s66
	s_cselect_b32 s57, -1, 0
	s_cmp_eq_u32 s17, 0
	s_wait_alu 0xfffe
	s_cselect_b32 s57, s57, -1
	s_wait_alu 0xfffe
	s_cmp_lg_u32 s57, 0
	s_cselect_b32 s17, s56, s17
	s_cselect_b32 s16, s23, s16
	s_cbranch_execnz .LBB102_95
.LBB102_94:                             ;   in Loop: Header=BB102_23 Depth=1
	v_cvt_f32_u32_e32 v3, s66
	s_sub_co_i32 s17, 0, s66
	s_delay_alu instid0(VALU_DEP_1) | instskip(NEXT) | instid1(TRANS32_DEP_1)
	v_rcp_iflag_f32_e32 v3, v3
	v_mul_f32_e32 v3, 0x4f7ffffe, v3
	s_delay_alu instid0(VALU_DEP_1) | instskip(NEXT) | instid1(VALU_DEP_1)
	v_cvt_u32_f32_e32 v3, v3
	v_readfirstlane_b32 s16, v3
	s_wait_alu 0xfffe
	s_mul_i32 s17, s17, s16
	s_wait_alu 0xfffe
	s_mul_hi_u32 s17, s16, s17
	s_wait_alu 0xfffe
	s_add_co_i32 s16, s16, s17
	s_wait_alu 0xfffe
	s_mul_hi_u32 s16, s14, s16
	s_wait_alu 0xfffe
	s_mul_i32 s16, s16, s66
	s_wait_alu 0xfffe
	s_sub_co_i32 s16, s14, s16
	s_wait_alu 0xfffe
	s_sub_co_i32 s17, s16, s66
	s_cmp_ge_u32 s16, s66
	s_wait_alu 0xfffe
	s_cselect_b32 s16, s17, s16
	s_wait_alu 0xfffe
	s_sub_co_i32 s17, s16, s66
	s_cmp_ge_u32 s16, s66
	s_wait_alu 0xfffe
	s_cselect_b32 s68, s17, s16
	s_wait_alu 0xfffe
	s_mov_b64 s[16:17], s[68:69]
.LBB102_95:                             ;   in Loop: Header=BB102_23 Depth=1
	s_wait_alu 0xfffe
	s_sub_nc_u64 s[14:15], s[14:15], s[16:17]
	s_mov_b32 s17, 0
	s_mov_b32 s16, 0
	s_mov_b32 s23, exec_lo
                                        ; implicit-def: $vgpr5_vgpr6
	s_wait_alu 0xfffe
	v_cmpx_gt_u64_e64 s[14:15], v[0:1]
	s_cbranch_execz .LBB102_104
; %bb.96:                               ;   in Loop: Header=BB102_23 Depth=1
	v_dual_mov_b32 v13, v32 :: v_dual_mov_b32 v12, v1
	v_mov_b32_e32 v11, v0
                                        ; implicit-def: $sgpr56
	s_branch .LBB102_99
.LBB102_97:                             ;   in Loop: Header=BB102_99 Depth=2
	s_wait_alu 0xfffe
	s_or_b32 exec_lo, exec_lo, s57
	s_wait_loadcnt_dscnt 0x0
	s_barrier_signal -1
	s_barrier_wait -1
	global_inv scope:SCOPE_SE
	ds_load_b128 v[3:6], v16 offset:3072
	s_mov_b32 s57, -1
	s_mov_b32 s68, -1
	s_wait_loadcnt_dscnt 0x0
	s_barrier_signal -1
	s_barrier_wait -1
	global_inv scope:SCOPE_SE
	v_cmp_ne_u64_e32 vcc_lo, 0, v[3:4]
	s_cbranch_vccz .LBB102_102
.LBB102_98:                             ;   in Loop: Header=BB102_99 Depth=2
	s_wait_alu 0xfffe
	s_and_b32 s57, exec_lo, s57
	s_wait_alu 0xfffe
	s_or_b32 s16, s57, s16
	s_and_not1_b32 s56, s56, exec_lo
	s_and_b32 s57, s68, exec_lo
	s_wait_alu 0xfffe
	s_or_b32 s56, s56, s57
	s_and_not1_b32 exec_lo, exec_lo, s16
	s_cbranch_execz .LBB102_103
.LBB102_99:                             ;   Parent Loop BB102_23 Depth=1
                                        ; =>  This Inner Loop Header: Depth=2
	s_mov_b32 s57, exec_lo
	s_delay_alu instid0(VALU_DEP_1)
	v_cmpx_gt_u64_e64 s[4:5], v[11:12]
	s_cbranch_execz .LBB102_97
; %bb.100:                              ;   in Loop: Header=BB102_99 Depth=2
	ds_load_b64 v[4:5], v13
	s_wait_dscnt 0x0
	v_xor_b32_e32 v3, 0x80000000, v5
	v_and_b32_e32 v14, v4, v23
	s_delay_alu instid0(VALU_DEP_2) | instskip(NEXT) | instid1(VALU_DEP_1)
	v_and_b32_e32 v15, v3, v24
	v_cmp_eq_u64_e32 vcc_lo, v[14:15], v[21:22]
	s_and_b32 exec_lo, exec_lo, vcc_lo
	s_cbranch_execz .LBB102_97
; %bb.101:                              ;   in Loop: Header=BB102_99 Depth=2
	v_mov_b32_e32 v3, v16
	ds_store_b128 v16, v[2:5] offset:3072
	s_branch .LBB102_97
.LBB102_102:                            ;   in Loop: Header=BB102_99 Depth=2
	v_add_co_u32 v11, vcc_lo, v11, s66
	s_wait_alu 0xfffd
	v_add_co_ci_u32_e64 v12, null, 0, v12, vcc_lo
	v_add_nc_u32_e32 v13, s92, v13
	s_mov_b32 s68, 0
	s_delay_alu instid0(VALU_DEP_2)
	v_cmp_le_u64_e32 vcc_lo, s[14:15], v[11:12]
	s_or_not1_b32 s57, vcc_lo, exec_lo
	s_branch .LBB102_98
.LBB102_103:                            ;   in Loop: Header=BB102_23 Depth=1
	s_or_b32 exec_lo, exec_lo, s16
	s_wait_alu 0xfffe
	s_and_b32 s16, s56, exec_lo
.LBB102_104:                            ;   in Loop: Header=BB102_23 Depth=1
	s_or_b32 exec_lo, exec_lo, s23
.LBB102_105:                            ;   in Loop: Header=BB102_23 Depth=1
	s_wait_alu 0xfffe
	s_and_b32 vcc_lo, exec_lo, s17
	s_wait_alu 0xfffe
	s_cbranch_vccz .LBB102_119
; %bb.106:                              ;   in Loop: Header=BB102_23 Depth=1
	s_mov_b32 s4, s69
	s_mov_b32 s5, s73
	s_wait_alu 0xfffe
	s_cmp_lg_u64 s[4:5], 0
	s_cbranch_scc0 .LBB102_150
; %bb.107:                              ;   in Loop: Header=BB102_23 Depth=1
	s_cvt_f32_u32 s4, s66
	s_sub_nc_u64 s[14:15], 0, s[66:67]
	s_wait_alu 0xfffe
	s_delay_alu instid0(SALU_CYCLE_1) | instskip(SKIP_1) | instid1(SALU_CYCLE_2)
	s_fmamk_f32 s4, s95, 0x0, s4
	s_wait_alu 0xfffe
	v_s_rcp_f32 s4, s4
	s_delay_alu instid0(TRANS32_DEP_1) | instskip(SKIP_1) | instid1(SALU_CYCLE_2)
	s_mul_f32 s4, s4, 0x5f7ffffc
	s_wait_alu 0xfffe
	s_mul_f32 s5, s4, 0x2f800000
	s_wait_alu 0xfffe
	s_delay_alu instid0(SALU_CYCLE_2) | instskip(SKIP_1) | instid1(SALU_CYCLE_2)
	s_trunc_f32 s5, s5
	s_wait_alu 0xfffe
	s_fmamk_f32 s4, s5, 0xcf800000, s4
	s_cvt_u32_f32 s5, s5
	s_wait_alu 0xfffe
	s_delay_alu instid0(SALU_CYCLE_1) | instskip(SKIP_1) | instid1(SALU_CYCLE_2)
	s_cvt_u32_f32 s4, s4
	s_wait_alu 0xfffe
	s_mul_u64 s[22:23], s[14:15], s[4:5]
	s_wait_alu 0xfffe
	s_mul_hi_u32 s57, s4, s23
	s_mul_i32 s56, s4, s23
	s_mul_hi_u32 s68, s4, s22
	s_mul_i32 s21, s5, s22
	s_wait_alu 0xfffe
	s_add_nc_u64 s[56:57], s[68:69], s[56:57]
	s_mul_hi_u32 s17, s5, s22
	s_mul_hi_u32 s58, s5, s23
	s_wait_alu 0xfffe
	s_add_co_u32 s21, s56, s21
	s_add_co_ci_u32 s68, s57, s17
	s_mul_i32 s22, s5, s23
	s_add_co_ci_u32 s23, s58, 0
	s_wait_alu 0xfffe
	s_add_nc_u64 s[22:23], s[68:69], s[22:23]
	s_wait_alu 0xfffe
	s_add_co_u32 s4, s4, s22
	s_cselect_b32 s17, -1, 0
	s_wait_alu 0xfffe
	s_cmp_lg_u32 s17, 0
	s_add_co_ci_u32 s5, s5, s23
	s_wait_alu 0xfffe
	s_mul_u64 s[14:15], s[14:15], s[4:5]
	s_wait_alu 0xfffe
	s_mul_hi_u32 s23, s4, s15
	s_mul_i32 s22, s4, s15
	s_mul_hi_u32 s68, s4, s14
	s_mul_i32 s21, s5, s14
	s_wait_alu 0xfffe
	s_add_nc_u64 s[22:23], s[68:69], s[22:23]
	s_mul_hi_u32 s17, s5, s14
	s_mul_hi_u32 s56, s5, s15
	s_mul_i32 s14, s5, s15
	s_wait_alu 0xfffe
	s_add_co_u32 s15, s22, s21
	s_add_co_ci_u32 s68, s23, s17
	s_add_co_ci_u32 s15, s56, 0
	s_wait_alu 0xfffe
	s_add_nc_u64 s[14:15], s[68:69], s[14:15]
	s_wait_alu 0xfffe
	s_add_co_u32 s4, s4, s14
	s_cselect_b32 s14, -1, 0
	s_wait_alu 0xfffe
	s_mul_hi_u32 s68, s72, s4
	s_cmp_lg_u32 s14, 0
	s_mul_hi_u32 s17, s73, s4
	s_add_co_ci_u32 s14, s5, s15
	s_mul_i32 s15, s73, s4
	s_wait_alu 0xfffe
	s_mul_hi_u32 s5, s72, s14
	s_mul_i32 s4, s72, s14
	s_mul_hi_u32 s21, s73, s14
	s_wait_alu 0xfffe
	s_add_nc_u64 s[4:5], s[68:69], s[4:5]
	s_mul_i32 s14, s73, s14
	s_wait_alu 0xfffe
	s_add_co_u32 s4, s4, s15
	s_add_co_ci_u32 s68, s5, s17
	s_add_co_ci_u32 s15, s21, 0
	s_wait_alu 0xfffe
	s_add_nc_u64 s[4:5], s[68:69], s[14:15]
	s_wait_alu 0xfffe
	s_mul_u64 s[4:5], s[66:67], s[4:5]
	s_wait_alu 0xfffe
	s_sub_co_u32 s4, s72, s4
	s_cselect_b32 s14, -1, 0
	s_wait_alu 0xfffe
	s_cmp_lg_u32 s14, 0
	s_sub_co_ci_u32 s5, s73, s5
	s_sub_co_u32 s14, s4, s66
	s_cselect_b32 s15, -1, 0
	s_wait_alu 0xfffe
	s_cmp_lg_u32 s15, 0
	s_sub_co_ci_u32 s15, s5, 0
	;; [unrolled: 5-line block ×3, first 2 shown]
	s_cmp_ge_u32 s14, s66
	s_cselect_b32 s22, -1, 0
	s_cmp_eq_u32 s15, 0
	s_wait_alu 0xfffe
	s_cselect_b32 s22, s22, -1
	s_wait_alu 0xfffe
	s_cmp_lg_u32 s22, 0
	s_cselect_b32 s15, s21, s15
	s_cselect_b32 s14, s17, s14
	s_cmp_ge_u32 s4, s66
	s_cselect_b32 s17, -1, 0
	s_cmp_eq_u32 s5, 0
	s_wait_alu 0xfffe
	s_cselect_b32 s17, s17, -1
	s_wait_alu 0xfffe
	s_cmp_lg_u32 s17, 0
	s_cselect_b32 s5, s15, s5
	s_cselect_b32 s4, s14, s4
	s_cbranch_execnz .LBB102_109
.LBB102_108:                            ;   in Loop: Header=BB102_23 Depth=1
	v_cvt_f32_u32_e32 v3, s66
	s_sub_co_i32 s5, 0, s66
	s_delay_alu instid0(VALU_DEP_1) | instskip(NEXT) | instid1(TRANS32_DEP_1)
	v_rcp_iflag_f32_e32 v3, v3
	v_mul_f32_e32 v3, 0x4f7ffffe, v3
	s_delay_alu instid0(VALU_DEP_1) | instskip(NEXT) | instid1(VALU_DEP_1)
	v_cvt_u32_f32_e32 v3, v3
	v_readfirstlane_b32 s4, v3
	s_wait_alu 0xfffe
	s_mul_i32 s5, s5, s4
	s_wait_alu 0xfffe
	s_mul_hi_u32 s5, s4, s5
	s_wait_alu 0xfffe
	s_add_co_i32 s4, s4, s5
	s_wait_alu 0xfffe
	s_mul_hi_u32 s4, s72, s4
	s_wait_alu 0xfffe
	s_mul_i32 s4, s4, s66
	s_wait_alu 0xfffe
	s_sub_co_i32 s4, s72, s4
	s_wait_alu 0xfffe
	s_sub_co_i32 s5, s4, s66
	s_cmp_ge_u32 s4, s66
	s_wait_alu 0xfffe
	s_cselect_b32 s4, s5, s4
	s_wait_alu 0xfffe
	s_sub_co_i32 s5, s4, s66
	s_cmp_ge_u32 s4, s66
	s_wait_alu 0xfffe
	s_cselect_b32 s68, s5, s4
	s_wait_alu 0xfffe
	s_mov_b64 s[4:5], s[68:69]
.LBB102_109:                            ;   in Loop: Header=BB102_23 Depth=1
	s_wait_alu 0xfffe
	s_sub_nc_u64 s[4:5], s[72:73], s[4:5]
	s_mov_b32 s14, exec_lo
                                        ; implicit-def: $vgpr5_vgpr6
	s_wait_alu 0xfffe
	v_cmpx_gt_u64_e64 s[4:5], v[0:1]
	s_cbranch_execz .LBB102_118
; %bb.110:                              ;   in Loop: Header=BB102_23 Depth=1
	v_dual_mov_b32 v12, v1 :: v_dual_mov_b32 v11, v0
	s_mov_b32 s17, 0
                                        ; implicit-def: $sgpr15
	s_branch .LBB102_113
.LBB102_111:                            ;   in Loop: Header=BB102_113 Depth=2
	s_wait_alu 0xfffe
	s_or_b32 exec_lo, exec_lo, s21
	s_wait_loadcnt_dscnt 0x0
	s_barrier_signal -1
	s_barrier_wait -1
	global_inv scope:SCOPE_SE
	ds_load_b128 v[3:6], v16 offset:3072
	s_mov_b32 s22, -1
	s_mov_b32 s21, -1
	s_wait_loadcnt_dscnt 0x0
	s_barrier_signal -1
	s_barrier_wait -1
	global_inv scope:SCOPE_SE
	v_cmp_ne_u64_e32 vcc_lo, 0, v[3:4]
	s_cbranch_vccz .LBB102_116
.LBB102_112:                            ;   in Loop: Header=BB102_113 Depth=2
	s_wait_alu 0xfffe
	s_and_b32 s22, exec_lo, s22
	s_wait_alu 0xfffe
	s_or_b32 s17, s22, s17
	s_and_not1_b32 s15, s15, exec_lo
	s_and_b32 s21, s21, exec_lo
	s_wait_alu 0xfffe
	s_or_b32 s15, s15, s21
	s_and_not1_b32 exec_lo, exec_lo, s17
	s_cbranch_execz .LBB102_117
.LBB102_113:                            ;   Parent Loop BB102_23 Depth=1
                                        ; =>  This Inner Loop Header: Depth=2
	s_mov_b32 s21, exec_lo
	s_delay_alu instid0(VALU_DEP_1)
	v_cmpx_gt_u64_e64 s[24:25], v[11:12]
	s_cbranch_execz .LBB102_111
; %bb.114:                              ;   in Loop: Header=BB102_113 Depth=2
	v_mul_lo_u32 v5, v12, s54
	v_mul_lo_u32 v6, v11, s55
	v_mad_co_u64_u32 v[3:4], null, v11, s54, 0
	s_delay_alu instid0(VALU_DEP_1) | instskip(NEXT) | instid1(VALU_DEP_1)
	v_add3_u32 v4, v4, v6, v5
	v_lshlrev_b64_e32 v[3:4], 3, v[3:4]
	s_delay_alu instid0(VALU_DEP_1) | instskip(SKIP_1) | instid1(VALU_DEP_2)
	v_add_co_u32 v3, vcc_lo, s62, v3
	s_wait_alu 0xfffd
	v_add_co_ci_u32_e64 v4, null, s63, v4, vcc_lo
	global_load_b64 v[4:5], v[3:4], off
	s_wait_loadcnt 0x0
	v_xor_b32_e32 v3, 0x80000000, v5
	v_and_b32_e32 v13, v4, v23
	s_delay_alu instid0(VALU_DEP_2) | instskip(NEXT) | instid1(VALU_DEP_1)
	v_and_b32_e32 v14, v3, v24
	v_cmp_eq_u64_e32 vcc_lo, v[13:14], v[21:22]
	s_and_b32 exec_lo, exec_lo, vcc_lo
	s_cbranch_execz .LBB102_111
; %bb.115:                              ;   in Loop: Header=BB102_113 Depth=2
	v_mov_b32_e32 v3, v16
	ds_store_b128 v16, v[2:5] offset:3072
	s_branch .LBB102_111
.LBB102_116:                            ;   in Loop: Header=BB102_113 Depth=2
	v_add_co_u32 v11, vcc_lo, v11, s66
	s_wait_alu 0xfffd
	v_add_co_ci_u32_e64 v12, null, 0, v12, vcc_lo
	s_mov_b32 s21, 0
	v_cmp_le_u64_e32 vcc_lo, s[4:5], v[11:12]
	s_or_not1_b32 s22, vcc_lo, exec_lo
	s_branch .LBB102_112
.LBB102_117:                            ;   in Loop: Header=BB102_23 Depth=1
	s_or_b32 exec_lo, exec_lo, s17
	s_delay_alu instid0(SALU_CYCLE_1)
	s_and_not1_b32 s4, s16, exec_lo
	s_wait_alu 0xfffe
	s_and_b32 s5, s15, exec_lo
	s_wait_alu 0xfffe
	s_or_b32 s16, s4, s5
.LBB102_118:                            ;   in Loop: Header=BB102_23 Depth=1
	s_or_b32 exec_lo, exec_lo, s14
	s_mov_b32 s21, 0
	s_mov_b32 s22, -1
.LBB102_119:                            ;   in Loop: Header=BB102_23 Depth=1
	s_wait_alu 0xfffe
	s_or_not1_b32 s4, s16, exec_lo
.LBB102_120:                            ;   in Loop: Header=BB102_23 Depth=1
	s_wait_alu 0xfffe
	s_or_b32 exec_lo, exec_lo, s18
	s_delay_alu instid0(SALU_CYCLE_1)
	s_and_not1_b32 s5, s101, exec_lo
	s_and_b32 s14, s22, exec_lo
	s_and_not1_b32 s15, s99, exec_lo
	s_and_b32 s16, s21, exec_lo
	s_and_not1_b32 s98, s98, exec_lo
	s_wait_alu 0xfffe
	s_or_b32 s101, s5, s14
	s_or_b32 s99, s15, s16
                                        ; implicit-def: $vgpr11_vgpr12
	s_and_saveexec_b32 s18, s4
	s_cbranch_execz .LBB102_22
; %bb.121:                              ;   in Loop: Header=BB102_23 Depth=1
	v_mov_b32_e32 v11, 1
	v_dual_mov_b32 v12, 0 :: v_dual_mov_b32 v13, 1
	s_xor_b32 s14, s20, -1
	s_mov_b32 s5, 0
	s_wait_alu 0xfffe
	s_and_saveexec_b32 s4, s14
	s_cbranch_execz .LBB102_130
; %bb.122:                              ;   in Loop: Header=BB102_23 Depth=1
	s_mov_b32 s5, exec_lo
	v_cmpx_le_u64_e64 v[25:26], v[7:8]
	s_wait_alu 0xfffe
	s_xor_b32 s5, exec_lo, s5
	s_cbranch_execz .LBB102_127
; %bb.123:                              ;   in Loop: Header=BB102_23 Depth=1
	ds_load_b64 v[3:4], v16 offset:5120
	v_and_b32_e32 v22, s13, v22
	v_and_b32_e32 v21, s12, v21
	v_or_b32_e32 v24, s9, v24
	v_or_b32_e32 v23, s8, v23
	s_wait_dscnt 0x0
	v_cmp_ne_u64_e32 vcc_lo, 0, v[3:4]
	s_cbranch_vccnz .LBB102_127
; %bb.124:                              ;   in Loop: Header=BB102_23 Depth=1
	s_and_saveexec_b32 s14, s2
; %bb.125:                              ;   in Loop: Header=BB102_23 Depth=1
	ds_store_b64 v16, v[7:8] offset:5128
; %bb.126:                              ;   in Loop: Header=BB102_23 Depth=1
	s_wait_alu 0xfffe
	s_or_b32 exec_lo, exec_lo, s14
	s_wait_loadcnt_dscnt 0x0
	s_barrier_signal -1
	s_barrier_wait -1
	global_inv scope:SCOPE_SE
.LBB102_127:                            ;   in Loop: Header=BB102_23 Depth=1
	s_wait_alu 0xfffe
	s_or_saveexec_b32 s5, s5
	v_mov_b32_e32 v13, 8
	s_mov_b32 s14, 0
	s_wait_alu 0xfffe
	s_xor_b32 exec_lo, exec_lo, s5
; %bb.128:                              ;   in Loop: Header=BB102_23 Depth=1
	v_sub_co_u32 v25, vcc_lo, v25, v7
	s_wait_alu 0xfffd
	v_sub_co_ci_u32_e64 v26, null, v26, v8, vcc_lo
	v_mov_b32_e32 v13, 0
	s_mov_b32 s14, exec_lo
; %bb.129:                              ;   in Loop: Header=BB102_23 Depth=1
	s_or_b32 exec_lo, exec_lo, s5
	s_delay_alu instid0(VALU_DEP_2)
	v_dual_mov_b32 v11, v25 :: v_dual_mov_b32 v12, v26
	s_wait_alu 0xfffe
	s_and_b32 s5, s14, exec_lo
.LBB102_130:                            ;   in Loop: Header=BB102_23 Depth=1
	s_wait_alu 0xfffe
	s_or_b32 exec_lo, exec_lo, s4
	s_mov_b32 s19, -1
	s_mov_b32 s4, -1
                                        ; implicit-def: $sgpr21
                                        ; implicit-def: $sgpr22
	s_and_saveexec_b32 s14, s5
	s_wait_alu 0xfffe
	s_xor_b32 s20, exec_lo, s14
	s_cbranch_execz .LBB102_275
; %bb.131:                              ;   in Loop: Header=BB102_23 Depth=1
	v_cmp_eq_u64_e32 vcc_lo, 1, v[9:10]
	v_cmp_eq_u64_e64 s4, 1, v[11:12]
                                        ; implicit-def: $sgpr22
                                        ; implicit-def: $sgpr21
	s_and_b32 s76, vcc_lo, s4
	s_mov_b32 s4, -1
	s_and_saveexec_b32 s23, s76
	s_cbranch_execz .LBB102_168
; %bb.132:                              ;   in Loop: Header=BB102_23 Depth=1
	ds_load_b64 v[3:4], v16 offset:5120
	s_wait_loadcnt_dscnt 0x0
	s_barrier_signal -1
	s_barrier_wait -1
	global_inv scope:SCOPE_SE
	v_readfirstlane_b32 s4, v3
	v_readfirstlane_b32 s5, v4
	s_and_saveexec_b32 s14, s3
; %bb.133:                              ;   in Loop: Header=BB102_23 Depth=1
	v_mov_b32_e32 v15, v16
	ds_store_b64 v33, v[15:16]
; %bb.134:                              ;   in Loop: Header=BB102_23 Depth=1
	s_wait_alu 0xfffe
	s_or_b32 exec_lo, exec_lo, s14
	v_and_b32_e32 v3, s13, v22
	v_and_b32_e32 v4, s12, v21
	s_lshl_b64 s[14:15], 1, s93
	v_or_b32_e32 v24, s9, v24
	v_or_b32_e32 v23, s8, v23
	s_wait_alu 0xfffe
	v_or_b32_e32 v22, s15, v3
	v_or_b32_e32 v21, s14, v4
	s_mov_b32 s21, -1
	s_mov_b32 s22, 0
	s_cmp_eq_u64 s[4:5], 0
	s_mov_b32 s16, 0
	s_mov_b32 s17, -1
	s_wait_loadcnt_dscnt 0x0
	s_barrier_signal -1
	s_barrier_wait -1
	global_inv scope:SCOPE_SE
                                        ; implicit-def: $vgpr5_vgpr6
	s_cbranch_scc1 .LBB102_153
; %bb.135:                              ;   in Loop: Header=BB102_23 Depth=1
	s_add_nc_u64 s[14:15], s[4:5], s[70:71]
	s_mov_b32 s16, s69
	s_wait_alu 0xfffe
	s_mov_b32 s17, s15
	s_wait_alu 0xfffe
	s_cmp_lg_u64 s[16:17], 0
	s_cbranch_scc0 .LBB102_195
; %bb.136:                              ;   in Loop: Header=BB102_23 Depth=1
	s_cvt_f32_u32 s16, s66
	s_sub_nc_u64 s[56:57], 0, s[66:67]
	s_wait_alu 0xfffe
	s_delay_alu instid0(SALU_CYCLE_1) | instskip(SKIP_1) | instid1(SALU_CYCLE_2)
	s_fmamk_f32 s16, s95, 0x0, s16
	s_wait_alu 0xfffe
	v_s_rcp_f32 s16, s16
	s_delay_alu instid0(TRANS32_DEP_1) | instskip(SKIP_1) | instid1(SALU_CYCLE_2)
	s_mul_f32 s16, s16, 0x5f7ffffc
	s_wait_alu 0xfffe
	s_mul_f32 s17, s16, 0x2f800000
	s_wait_alu 0xfffe
	s_delay_alu instid0(SALU_CYCLE_2) | instskip(SKIP_1) | instid1(SALU_CYCLE_2)
	s_trunc_f32 s17, s17
	s_wait_alu 0xfffe
	s_fmamk_f32 s16, s17, 0xcf800000, s16
	s_cvt_u32_f32 s17, s17
	s_wait_alu 0xfffe
	s_delay_alu instid0(SALU_CYCLE_1) | instskip(SKIP_1) | instid1(SALU_CYCLE_2)
	s_cvt_u32_f32 s16, s16
	s_wait_alu 0xfffe
	s_mul_u64 s[78:79], s[56:57], s[16:17]
	s_wait_alu 0xfffe
	s_mul_hi_u32 s81, s16, s79
	s_mul_i32 s80, s16, s79
	s_mul_hi_u32 s68, s16, s78
	s_mul_i32 s59, s17, s78
	s_wait_alu 0xfffe
	s_add_nc_u64 s[80:81], s[68:69], s[80:81]
	s_mul_hi_u32 s58, s17, s78
	s_mul_hi_u32 s77, s17, s79
	s_wait_alu 0xfffe
	s_add_co_u32 s59, s80, s59
	s_add_co_ci_u32 s68, s81, s58
	s_mul_i32 s78, s17, s79
	s_add_co_ci_u32 s79, s77, 0
	s_wait_alu 0xfffe
	s_add_nc_u64 s[78:79], s[68:69], s[78:79]
	s_wait_alu 0xfffe
	s_add_co_u32 s16, s16, s78
	s_cselect_b32 s58, -1, 0
	s_wait_alu 0xfffe
	s_cmp_lg_u32 s58, 0
	s_add_co_ci_u32 s17, s17, s79
	s_wait_alu 0xfffe
	s_mul_u64 s[56:57], s[56:57], s[16:17]
	s_wait_alu 0xfffe
	s_mul_hi_u32 s79, s16, s57
	s_mul_i32 s78, s16, s57
	s_mul_hi_u32 s68, s16, s56
	s_mul_i32 s59, s17, s56
	s_wait_alu 0xfffe
	s_add_nc_u64 s[78:79], s[68:69], s[78:79]
	s_mul_hi_u32 s58, s17, s56
	s_mul_hi_u32 s77, s17, s57
	s_mul_i32 s56, s17, s57
	s_wait_alu 0xfffe
	s_add_co_u32 s57, s78, s59
	s_add_co_ci_u32 s68, s79, s58
	s_add_co_ci_u32 s57, s77, 0
	s_wait_alu 0xfffe
	s_add_nc_u64 s[56:57], s[68:69], s[56:57]
	s_wait_alu 0xfffe
	s_add_co_u32 s16, s16, s56
	s_cselect_b32 s56, -1, 0
	s_wait_alu 0xfffe
	s_mul_hi_u32 s68, s14, s16
	s_cmp_lg_u32 s56, 0
	s_mul_hi_u32 s58, s15, s16
	s_add_co_ci_u32 s56, s17, s57
	s_mul_i32 s57, s15, s16
	s_wait_alu 0xfffe
	s_mul_hi_u32 s17, s14, s56
	s_mul_i32 s16, s14, s56
	s_mul_hi_u32 s59, s15, s56
	s_wait_alu 0xfffe
	s_add_nc_u64 s[16:17], s[68:69], s[16:17]
	s_mul_i32 s56, s15, s56
	s_wait_alu 0xfffe
	s_add_co_u32 s16, s16, s57
	s_add_co_ci_u32 s68, s17, s58
	s_add_co_ci_u32 s57, s59, 0
	s_wait_alu 0xfffe
	s_add_nc_u64 s[16:17], s[68:69], s[56:57]
	s_wait_alu 0xfffe
	s_mul_u64 s[16:17], s[66:67], s[16:17]
	s_wait_alu 0xfffe
	s_sub_co_u32 s16, s14, s16
	s_cselect_b32 s56, -1, 0
	s_wait_alu 0xfffe
	s_cmp_lg_u32 s56, 0
	s_sub_co_ci_u32 s17, s15, s17
	s_sub_co_u32 s56, s16, s66
	s_cselect_b32 s57, -1, 0
	s_wait_alu 0xfffe
	s_cmp_lg_u32 s57, 0
	s_sub_co_ci_u32 s57, s17, 0
	s_sub_co_u32 s58, s56, s66
	s_cselect_b32 s59, -1, 0
	s_wait_alu 0xfffe
	s_cmp_lg_u32 s59, 0
	s_sub_co_ci_u32 s59, s57, 0
	s_cmp_ge_u32 s56, s66
	s_cselect_b32 s68, -1, 0
	s_cmp_eq_u32 s57, 0
	s_wait_alu 0xfffe
	s_cselect_b32 s68, s68, -1
	s_wait_alu 0xfffe
	s_cmp_lg_u32 s68, 0
	s_cselect_b32 s57, s59, s57
	s_cselect_b32 s56, s58, s56
	s_cmp_ge_u32 s16, s66
	s_cselect_b32 s58, -1, 0
	s_cmp_eq_u32 s17, 0
	s_wait_alu 0xfffe
	s_cselect_b32 s58, s58, -1
	s_wait_alu 0xfffe
	s_cmp_lg_u32 s58, 0
	s_cselect_b32 s17, s57, s17
	s_cselect_b32 s16, s56, s16
	s_cbranch_execnz .LBB102_138
.LBB102_137:                            ;   in Loop: Header=BB102_23 Depth=1
	v_cvt_f32_u32_e32 v3, s66
	s_sub_co_i32 s17, 0, s66
	s_delay_alu instid0(VALU_DEP_1) | instskip(NEXT) | instid1(TRANS32_DEP_1)
	v_rcp_iflag_f32_e32 v3, v3
	v_mul_f32_e32 v3, 0x4f7ffffe, v3
	s_delay_alu instid0(VALU_DEP_1) | instskip(NEXT) | instid1(VALU_DEP_1)
	v_cvt_u32_f32_e32 v3, v3
	v_readfirstlane_b32 s16, v3
	s_wait_alu 0xfffe
	s_mul_i32 s17, s17, s16
	s_wait_alu 0xfffe
	s_mul_hi_u32 s17, s16, s17
	s_wait_alu 0xfffe
	s_add_co_i32 s16, s16, s17
	s_wait_alu 0xfffe
	s_mul_hi_u32 s16, s14, s16
	s_wait_alu 0xfffe
	s_mul_i32 s16, s16, s66
	s_wait_alu 0xfffe
	s_sub_co_i32 s16, s14, s16
	s_wait_alu 0xfffe
	s_sub_co_i32 s17, s16, s66
	s_cmp_ge_u32 s16, s66
	s_wait_alu 0xfffe
	s_cselect_b32 s16, s17, s16
	s_wait_alu 0xfffe
	s_sub_co_i32 s17, s16, s66
	s_cmp_ge_u32 s16, s66
	s_wait_alu 0xfffe
	s_cselect_b32 s68, s17, s16
	s_wait_alu 0xfffe
	s_mov_b64 s[16:17], s[68:69]
.LBB102_138:                            ;   in Loop: Header=BB102_23 Depth=1
	s_wait_alu 0xfffe
	s_sub_nc_u64 s[14:15], s[14:15], s[16:17]
	s_mov_b32 s17, 0
	s_mov_b32 s16, 0
	s_mov_b32 s56, exec_lo
                                        ; implicit-def: $vgpr5_vgpr6
	s_wait_alu 0xfffe
	v_cmpx_gt_u64_e64 s[14:15], v[0:1]
	s_cbranch_execz .LBB102_152
; %bb.139:                              ;   in Loop: Header=BB102_23 Depth=1
	v_mov_b32_e32 v8, v1
	v_dual_mov_b32 v14, v32 :: v_dual_mov_b32 v7, v0
                                        ; implicit-def: $sgpr57
	s_branch .LBB102_142
.LBB102_140:                            ;   in Loop: Header=BB102_142 Depth=2
	s_wait_alu 0xfffe
	s_or_b32 exec_lo, exec_lo, s68
	s_wait_loadcnt_dscnt 0x0
	s_barrier_signal -1
	s_barrier_wait -1
	global_inv scope:SCOPE_SE
	ds_load_b128 v[3:6], v16 offset:3072
	s_mov_b32 s68, -1
	s_mov_b32 s77, -1
	s_wait_loadcnt_dscnt 0x0
	s_barrier_signal -1
	s_barrier_wait -1
	global_inv scope:SCOPE_SE
	v_cmp_ne_u64_e32 vcc_lo, 0, v[3:4]
	s_cbranch_vccz .LBB102_145
.LBB102_141:                            ;   in Loop: Header=BB102_142 Depth=2
	s_wait_alu 0xfffe
	s_and_b32 s58, exec_lo, s68
	s_wait_alu 0xfffe
	s_or_b32 s16, s58, s16
	s_and_not1_b32 s57, s57, exec_lo
	s_and_b32 s58, s77, exec_lo
	s_wait_alu 0xfffe
	s_or_b32 s57, s57, s58
	s_and_not1_b32 exec_lo, exec_lo, s16
	s_cbranch_execz .LBB102_151
.LBB102_142:                            ;   Parent Loop BB102_23 Depth=1
                                        ; =>  This Inner Loop Header: Depth=2
	s_mov_b32 s68, exec_lo
	s_delay_alu instid0(VALU_DEP_1)
	v_cmpx_gt_u64_e64 s[4:5], v[7:8]
	s_cbranch_execz .LBB102_140
; %bb.143:                              ;   in Loop: Header=BB102_142 Depth=2
	ds_load_b64 v[4:5], v14
	s_wait_dscnt 0x0
	v_xor_b32_e32 v3, 0x80000000, v5
	v_and_b32_e32 v25, v4, v23
	s_delay_alu instid0(VALU_DEP_2) | instskip(NEXT) | instid1(VALU_DEP_1)
	v_and_b32_e32 v26, v3, v24
	v_cmp_eq_u64_e32 vcc_lo, v[25:26], v[21:22]
	s_and_b32 exec_lo, exec_lo, vcc_lo
	s_cbranch_execz .LBB102_140
; %bb.144:                              ;   in Loop: Header=BB102_142 Depth=2
	v_mov_b32_e32 v3, v16
	ds_store_b128 v16, v[2:5] offset:3072
	s_branch .LBB102_140
.LBB102_145:                            ;   in Loop: Header=BB102_142 Depth=2
	v_add_co_u32 v7, vcc_lo, v7, s66
	s_wait_alu 0xfffd
	v_add_co_ci_u32_e64 v8, null, 0, v8, vcc_lo
	v_add_nc_u32_e32 v14, s92, v14
	s_mov_b32 s77, 0
	s_delay_alu instid0(VALU_DEP_2)
	v_cmp_le_u64_e32 vcc_lo, s[14:15], v[7:8]
	s_or_not1_b32 s68, vcc_lo, exec_lo
	s_branch .LBB102_141
.LBB102_146:                            ;   in Loop: Header=BB102_23 Depth=1
                                        ; implicit-def: $sgpr16_sgpr17
	s_branch .LBB102_94
.LBB102_147:                            ;   in Loop: Header=BB102_23 Depth=1
	s_wait_alu 0xfffe
	s_or_b32 exec_lo, exec_lo, s7
	s_wait_loadcnt_dscnt 0x0
	s_barrier_signal -1
	s_barrier_wait -1
	global_inv scope:SCOPE_SE
	s_and_saveexec_b32 s4, s2
	s_cbranch_execz .LBB102_149
; %bb.148:                              ;   in Loop: Header=BB102_23 Depth=1
	ds_load_b32 v3, v16 offset:5144
	s_wait_dscnt 0x0
	v_ashrrev_i32_e32 v4, 31, v3
	ds_store_b64 v16, v[3:4] offset:5120
.LBB102_149:                            ;   in Loop: Header=BB102_23 Depth=1
	s_wait_alu 0xfffe
	s_or_b32 exec_lo, exec_lo, s4
	s_wait_loadcnt_dscnt 0x0
	s_barrier_signal -1
	s_mov_b32 s4, -1
	s_barrier_wait -1
	s_and_b32 vcc_lo, exec_lo, s6
	s_wait_alu 0xfffe
	s_cbranch_vccnz .LBB102_39
	s_branch .LBB102_48
.LBB102_150:                            ;   in Loop: Header=BB102_23 Depth=1
                                        ; implicit-def: $sgpr4_sgpr5
	s_branch .LBB102_108
.LBB102_151:                            ;   in Loop: Header=BB102_23 Depth=1
	s_or_b32 exec_lo, exec_lo, s16
	s_wait_alu 0xfffe
	s_and_b32 s16, s57, exec_lo
.LBB102_152:                            ;   in Loop: Header=BB102_23 Depth=1
	s_or_b32 exec_lo, exec_lo, s56
.LBB102_153:                            ;   in Loop: Header=BB102_23 Depth=1
	s_wait_alu 0xfffe
	s_and_b32 vcc_lo, exec_lo, s17
	s_wait_alu 0xfffe
	s_cbranch_vccz .LBB102_167
; %bb.154:                              ;   in Loop: Header=BB102_23 Depth=1
	s_mov_b32 s4, s69
	s_mov_b32 s5, s73
	s_wait_alu 0xfffe
	s_cmp_lg_u64 s[4:5], 0
	s_cbranch_scc0 .LBB102_196
; %bb.155:                              ;   in Loop: Header=BB102_23 Depth=1
	s_cvt_f32_u32 s4, s66
	s_sub_nc_u64 s[14:15], 0, s[66:67]
	s_wait_alu 0xfffe
	s_delay_alu instid0(SALU_CYCLE_1) | instskip(SKIP_1) | instid1(SALU_CYCLE_2)
	s_fmamk_f32 s4, s95, 0x0, s4
	s_wait_alu 0xfffe
	v_s_rcp_f32 s4, s4
	s_delay_alu instid0(TRANS32_DEP_1) | instskip(SKIP_1) | instid1(SALU_CYCLE_2)
	s_mul_f32 s4, s4, 0x5f7ffffc
	s_wait_alu 0xfffe
	s_mul_f32 s5, s4, 0x2f800000
	s_wait_alu 0xfffe
	s_delay_alu instid0(SALU_CYCLE_2) | instskip(SKIP_1) | instid1(SALU_CYCLE_2)
	s_trunc_f32 s5, s5
	s_wait_alu 0xfffe
	s_fmamk_f32 s4, s5, 0xcf800000, s4
	s_cvt_u32_f32 s5, s5
	s_wait_alu 0xfffe
	s_delay_alu instid0(SALU_CYCLE_1) | instskip(SKIP_1) | instid1(SALU_CYCLE_2)
	s_cvt_u32_f32 s4, s4
	s_wait_alu 0xfffe
	s_mul_u64 s[56:57], s[14:15], s[4:5]
	s_wait_alu 0xfffe
	s_mul_hi_u32 s79, s4, s57
	s_mul_i32 s78, s4, s57
	s_mul_hi_u32 s68, s4, s56
	s_mul_i32 s21, s5, s56
	s_wait_alu 0xfffe
	s_add_nc_u64 s[78:79], s[68:69], s[78:79]
	s_mul_hi_u32 s17, s5, s56
	s_mul_hi_u32 s22, s5, s57
	s_wait_alu 0xfffe
	s_add_co_u32 s21, s78, s21
	s_add_co_ci_u32 s68, s79, s17
	s_mul_i32 s56, s5, s57
	s_add_co_ci_u32 s57, s22, 0
	s_wait_alu 0xfffe
	s_add_nc_u64 s[56:57], s[68:69], s[56:57]
	s_wait_alu 0xfffe
	s_add_co_u32 s4, s4, s56
	s_cselect_b32 s17, -1, 0
	s_wait_alu 0xfffe
	s_cmp_lg_u32 s17, 0
	s_add_co_ci_u32 s5, s5, s57
	s_wait_alu 0xfffe
	s_mul_u64 s[14:15], s[14:15], s[4:5]
	s_wait_alu 0xfffe
	s_mul_hi_u32 s57, s4, s15
	s_mul_i32 s56, s4, s15
	s_mul_hi_u32 s68, s4, s14
	s_mul_i32 s21, s5, s14
	s_wait_alu 0xfffe
	s_add_nc_u64 s[56:57], s[68:69], s[56:57]
	s_mul_hi_u32 s17, s5, s14
	s_mul_hi_u32 s22, s5, s15
	s_mul_i32 s14, s5, s15
	s_wait_alu 0xfffe
	s_add_co_u32 s15, s56, s21
	s_add_co_ci_u32 s68, s57, s17
	s_add_co_ci_u32 s15, s22, 0
	s_wait_alu 0xfffe
	s_add_nc_u64 s[14:15], s[68:69], s[14:15]
	s_wait_alu 0xfffe
	s_add_co_u32 s4, s4, s14
	s_cselect_b32 s14, -1, 0
	s_wait_alu 0xfffe
	s_mul_hi_u32 s68, s72, s4
	s_cmp_lg_u32 s14, 0
	s_mul_hi_u32 s17, s73, s4
	s_add_co_ci_u32 s14, s5, s15
	s_mul_i32 s15, s73, s4
	s_wait_alu 0xfffe
	s_mul_hi_u32 s5, s72, s14
	s_mul_i32 s4, s72, s14
	s_mul_hi_u32 s21, s73, s14
	s_wait_alu 0xfffe
	s_add_nc_u64 s[4:5], s[68:69], s[4:5]
	s_mul_i32 s14, s73, s14
	s_wait_alu 0xfffe
	s_add_co_u32 s4, s4, s15
	s_add_co_ci_u32 s68, s5, s17
	s_add_co_ci_u32 s15, s21, 0
	s_wait_alu 0xfffe
	s_add_nc_u64 s[4:5], s[68:69], s[14:15]
	s_wait_alu 0xfffe
	s_mul_u64 s[4:5], s[66:67], s[4:5]
	s_wait_alu 0xfffe
	s_sub_co_u32 s4, s72, s4
	s_cselect_b32 s14, -1, 0
	s_wait_alu 0xfffe
	s_cmp_lg_u32 s14, 0
	s_sub_co_ci_u32 s5, s73, s5
	s_sub_co_u32 s14, s4, s66
	s_cselect_b32 s15, -1, 0
	s_wait_alu 0xfffe
	s_cmp_lg_u32 s15, 0
	s_sub_co_ci_u32 s15, s5, 0
	;; [unrolled: 5-line block ×3, first 2 shown]
	s_cmp_ge_u32 s14, s66
	s_cselect_b32 s22, -1, 0
	s_cmp_eq_u32 s15, 0
	s_wait_alu 0xfffe
	s_cselect_b32 s22, s22, -1
	s_wait_alu 0xfffe
	s_cmp_lg_u32 s22, 0
	s_cselect_b32 s15, s21, s15
	s_cselect_b32 s14, s17, s14
	s_cmp_ge_u32 s4, s66
	s_cselect_b32 s17, -1, 0
	s_cmp_eq_u32 s5, 0
	s_wait_alu 0xfffe
	s_cselect_b32 s17, s17, -1
	s_wait_alu 0xfffe
	s_cmp_lg_u32 s17, 0
	s_cselect_b32 s5, s15, s5
	s_cselect_b32 s4, s14, s4
	s_cbranch_execnz .LBB102_157
.LBB102_156:                            ;   in Loop: Header=BB102_23 Depth=1
	v_cvt_f32_u32_e32 v3, s66
	s_sub_co_i32 s5, 0, s66
	s_delay_alu instid0(VALU_DEP_1) | instskip(NEXT) | instid1(TRANS32_DEP_1)
	v_rcp_iflag_f32_e32 v3, v3
	v_mul_f32_e32 v3, 0x4f7ffffe, v3
	s_delay_alu instid0(VALU_DEP_1) | instskip(NEXT) | instid1(VALU_DEP_1)
	v_cvt_u32_f32_e32 v3, v3
	v_readfirstlane_b32 s4, v3
	s_wait_alu 0xfffe
	s_mul_i32 s5, s5, s4
	s_wait_alu 0xfffe
	s_mul_hi_u32 s5, s4, s5
	s_wait_alu 0xfffe
	s_add_co_i32 s4, s4, s5
	s_wait_alu 0xfffe
	s_mul_hi_u32 s4, s72, s4
	s_wait_alu 0xfffe
	s_mul_i32 s4, s4, s66
	s_wait_alu 0xfffe
	s_sub_co_i32 s4, s72, s4
	s_wait_alu 0xfffe
	s_sub_co_i32 s5, s4, s66
	s_cmp_ge_u32 s4, s66
	s_wait_alu 0xfffe
	s_cselect_b32 s4, s5, s4
	s_wait_alu 0xfffe
	s_sub_co_i32 s5, s4, s66
	s_cmp_ge_u32 s4, s66
	s_wait_alu 0xfffe
	s_cselect_b32 s68, s5, s4
	s_wait_alu 0xfffe
	s_mov_b64 s[4:5], s[68:69]
.LBB102_157:                            ;   in Loop: Header=BB102_23 Depth=1
	s_wait_alu 0xfffe
	s_sub_nc_u64 s[4:5], s[72:73], s[4:5]
	s_mov_b32 s14, exec_lo
                                        ; implicit-def: $vgpr5_vgpr6
	s_wait_alu 0xfffe
	v_cmpx_gt_u64_e64 s[4:5], v[0:1]
	s_cbranch_execz .LBB102_166
; %bb.158:                              ;   in Loop: Header=BB102_23 Depth=1
	v_dual_mov_b32 v8, v1 :: v_dual_mov_b32 v7, v0
	s_mov_b32 s15, 0
                                        ; implicit-def: $sgpr17
	s_branch .LBB102_161
.LBB102_159:                            ;   in Loop: Header=BB102_161 Depth=2
	s_wait_alu 0xfffe
	s_or_b32 exec_lo, exec_lo, s21
	s_wait_loadcnt_dscnt 0x0
	s_barrier_signal -1
	s_barrier_wait -1
	global_inv scope:SCOPE_SE
	ds_load_b128 v[3:6], v16 offset:3072
	s_mov_b32 s22, -1
	s_mov_b32 s21, -1
	s_wait_loadcnt_dscnt 0x0
	s_barrier_signal -1
	s_barrier_wait -1
	global_inv scope:SCOPE_SE
	v_cmp_eq_u64_e32 vcc_lo, 0, v[3:4]
	s_cbranch_vccnz .LBB102_164
.LBB102_160:                            ;   in Loop: Header=BB102_161 Depth=2
	s_wait_alu 0xfffe
	s_and_b32 s22, exec_lo, s22
	s_wait_alu 0xfffe
	s_or_b32 s15, s22, s15
	s_and_not1_b32 s17, s17, exec_lo
	s_and_b32 s21, s21, exec_lo
	s_wait_alu 0xfffe
	s_or_b32 s17, s17, s21
	s_and_not1_b32 exec_lo, exec_lo, s15
	s_cbranch_execz .LBB102_165
.LBB102_161:                            ;   Parent Loop BB102_23 Depth=1
                                        ; =>  This Inner Loop Header: Depth=2
	s_mov_b32 s21, exec_lo
	s_delay_alu instid0(VALU_DEP_1)
	v_cmpx_gt_u64_e64 s[24:25], v[7:8]
	s_cbranch_execz .LBB102_159
; %bb.162:                              ;   in Loop: Header=BB102_161 Depth=2
	v_mul_lo_u32 v5, v8, s54
	v_mul_lo_u32 v6, v7, s55
	v_mad_co_u64_u32 v[3:4], null, v7, s54, 0
	s_delay_alu instid0(VALU_DEP_1) | instskip(NEXT) | instid1(VALU_DEP_1)
	v_add3_u32 v4, v4, v6, v5
	v_lshlrev_b64_e32 v[3:4], 3, v[3:4]
	s_delay_alu instid0(VALU_DEP_1) | instskip(SKIP_1) | instid1(VALU_DEP_2)
	v_add_co_u32 v3, vcc_lo, s62, v3
	s_wait_alu 0xfffd
	v_add_co_ci_u32_e64 v4, null, s63, v4, vcc_lo
	global_load_b64 v[4:5], v[3:4], off
	s_wait_loadcnt 0x0
	v_xor_b32_e32 v3, 0x80000000, v5
	v_and_b32_e32 v14, v4, v23
	s_delay_alu instid0(VALU_DEP_2) | instskip(NEXT) | instid1(VALU_DEP_1)
	v_and_b32_e32 v15, v3, v24
	v_cmp_eq_u64_e32 vcc_lo, v[14:15], v[21:22]
	s_and_b32 exec_lo, exec_lo, vcc_lo
	s_cbranch_execz .LBB102_159
; %bb.163:                              ;   in Loop: Header=BB102_161 Depth=2
	v_mov_b32_e32 v3, v16
	ds_store_b128 v16, v[2:5] offset:3072
	s_branch .LBB102_159
.LBB102_164:                            ;   in Loop: Header=BB102_161 Depth=2
	v_add_co_u32 v7, vcc_lo, v7, s66
	s_wait_alu 0xfffd
	v_add_co_ci_u32_e64 v8, null, 0, v8, vcc_lo
	s_mov_b32 s21, 0
	v_cmp_le_u64_e32 vcc_lo, s[4:5], v[7:8]
	s_or_not1_b32 s22, vcc_lo, exec_lo
	s_branch .LBB102_160
.LBB102_165:                            ;   in Loop: Header=BB102_23 Depth=1
	s_or_b32 exec_lo, exec_lo, s15
	s_delay_alu instid0(SALU_CYCLE_1)
	s_and_not1_b32 s4, s16, exec_lo
	s_wait_alu 0xfffe
	s_and_b32 s5, s17, exec_lo
	s_wait_alu 0xfffe
	s_or_b32 s16, s4, s5
.LBB102_166:                            ;   in Loop: Header=BB102_23 Depth=1
	s_or_b32 exec_lo, exec_lo, s14
	s_mov_b32 s21, 0
	s_mov_b32 s22, -1
.LBB102_167:                            ;   in Loop: Header=BB102_23 Depth=1
	s_wait_alu 0xfffe
	s_or_not1_b32 s4, s16, exec_lo
.LBB102_168:                            ;   in Loop: Header=BB102_23 Depth=1
	s_wait_alu 0xfffe
	s_or_b32 exec_lo, exec_lo, s23
	s_mov_b32 s5, 0
	s_and_saveexec_b32 s23, s4
	s_cbranch_execz .LBB102_274
; %bb.169:                              ;   in Loop: Header=BB102_23 Depth=1
	v_mov_b32_e32 v7, 1
	v_dual_mov_b32 v8, 0 :: v_dual_mov_b32 v13, 1
	s_xor_b32 s14, s76, -1
	s_wait_alu 0xfffe
	s_and_saveexec_b32 s4, s14
	s_cbranch_execz .LBB102_179
; %bb.170:                              ;   in Loop: Header=BB102_23 Depth=1
	s_mov_b32 s5, exec_lo
	v_cmpx_le_u64_e64 v[11:12], v[9:10]
	s_wait_alu 0xfffe
	s_xor_b32 s5, exec_lo, s5
	s_cbranch_execz .LBB102_176
; %bb.171:                              ;   in Loop: Header=BB102_23 Depth=1
	ds_load_b64 v[3:4], v16 offset:5120
	v_and_b32_e32 v7, s13, v22
	v_and_b32_e32 v8, s12, v21
	s_lshl_b64 s[14:15], 1, s93
	v_or_b32_e32 v24, s9, v24
	v_or_b32_e32 v23, s8, v23
	s_wait_alu 0xfffe
	v_or_b32_e32 v22, s15, v7
	v_or_b32_e32 v21, s14, v8
	s_wait_dscnt 0x0
	v_cmp_ne_u64_e32 vcc_lo, 0, v[3:4]
	s_cbranch_vccnz .LBB102_175
; %bb.172:                              ;   in Loop: Header=BB102_23 Depth=1
	s_and_saveexec_b32 s14, s2
; %bb.173:                              ;   in Loop: Header=BB102_23 Depth=1
	ds_store_b64 v16, v[9:10] offset:5128
; %bb.174:                              ;   in Loop: Header=BB102_23 Depth=1
	s_wait_alu 0xfffe
	s_or_b32 exec_lo, exec_lo, s14
	s_wait_loadcnt_dscnt 0x0
	s_barrier_signal -1
	s_barrier_wait -1
	global_inv scope:SCOPE_SE
.LBB102_175:                            ;   in Loop: Header=BB102_23 Depth=1
                                        ; implicit-def: $vgpr7_vgpr8_vgpr9_vgpr10
.LBB102_176:                            ;   in Loop: Header=BB102_23 Depth=1
	s_wait_alu 0xfffe
	s_or_saveexec_b32 s5, s5
	v_mov_b32_e32 v13, 8
	s_mov_b32 s14, 0
	s_wait_alu 0xfffe
	s_xor_b32 exec_lo, exec_lo, s5
; %bb.177:                              ;   in Loop: Header=BB102_23 Depth=1
	v_sub_co_u32 v11, vcc_lo, v11, v9
	s_wait_alu 0xfffd
	v_sub_co_ci_u32_e64 v12, null, v12, v10, vcc_lo
	v_mov_b32_e32 v13, 0
	s_mov_b32 s14, exec_lo
; %bb.178:                              ;   in Loop: Header=BB102_23 Depth=1
	s_or_b32 exec_lo, exec_lo, s5
	s_delay_alu instid0(VALU_DEP_2)
	v_dual_mov_b32 v7, v11 :: v_dual_mov_b32 v8, v12
	s_wait_alu 0xfffe
	s_and_b32 s5, s14, exec_lo
.LBB102_179:                            ;   in Loop: Header=BB102_23 Depth=1
	s_wait_alu 0xfffe
	s_or_b32 exec_lo, exec_lo, s4
	s_mov_b32 s4, -1
                                        ; implicit-def: $sgpr77
                                        ; implicit-def: $sgpr78
	s_and_saveexec_b32 s76, s5
	s_cbranch_execz .LBB102_273
; %bb.180:                              ;   in Loop: Header=BB102_23 Depth=1
	v_cmp_eq_u64_e32 vcc_lo, 1, v[7:8]
	s_cmp_eq_u64 s[10:11], 1
                                        ; implicit-def: $sgpr78
                                        ; implicit-def: $sgpr77
	s_cselect_b32 s4, -1, 0
	s_wait_alu 0xfffe
	s_and_b32 s79, s4, vcc_lo
	s_mov_b32 s4, -1
	s_wait_alu 0xfffe
	s_and_saveexec_b32 s80, s79
	s_cbranch_execz .LBB102_214
; %bb.181:                              ;   in Loop: Header=BB102_23 Depth=1
	ds_load_b64 v[3:4], v16 offset:5120
	s_wait_loadcnt_dscnt 0x0
	s_barrier_signal -1
	s_barrier_wait -1
	global_inv scope:SCOPE_SE
	v_readfirstlane_b32 s4, v3
	v_readfirstlane_b32 s5, v4
	s_and_saveexec_b32 s14, s3
; %bb.182:                              ;   in Loop: Header=BB102_23 Depth=1
	v_mov_b32_e32 v15, v16
	ds_store_b64 v33, v[15:16]
; %bb.183:                              ;   in Loop: Header=BB102_23 Depth=1
	s_wait_alu 0xfffe
	s_or_b32 exec_lo, exec_lo, s14
	v_and_b32_e32 v3, s13, v22
	v_and_b32_e32 v4, s12, v21
	s_lshl_b64 s[14:15], 2, s93
	v_or_b32_e32 v24, s9, v24
	v_or_b32_e32 v23, s8, v23
	s_wait_alu 0xfffe
	v_or_b32_e32 v22, s15, v3
	v_or_b32_e32 v21, s14, v4
	s_mov_b32 s77, -1
	s_mov_b32 s78, 0
	s_cmp_eq_u64 s[4:5], 0
	s_mov_b32 s16, 0
	s_mov_b32 s17, -1
	s_wait_loadcnt_dscnt 0x0
	s_barrier_signal -1
	s_barrier_wait -1
	global_inv scope:SCOPE_SE
                                        ; implicit-def: $vgpr5_vgpr6
	s_cbranch_scc1 .LBB102_199
; %bb.184:                              ;   in Loop: Header=BB102_23 Depth=1
	s_add_nc_u64 s[14:15], s[4:5], s[70:71]
	s_mov_b32 s16, s69
	s_wait_alu 0xfffe
	s_mov_b32 s17, s15
	s_wait_alu 0xfffe
	s_cmp_lg_u64 s[16:17], 0
	s_cbranch_scc0 .LBB102_240
; %bb.185:                              ;   in Loop: Header=BB102_23 Depth=1
	s_cvt_f32_u32 s16, s66
	s_sub_nc_u64 s[56:57], 0, s[66:67]
	s_wait_alu 0xfffe
	s_delay_alu instid0(SALU_CYCLE_1) | instskip(SKIP_1) | instid1(SALU_CYCLE_2)
	s_fmamk_f32 s16, s95, 0x0, s16
	s_wait_alu 0xfffe
	v_s_rcp_f32 s16, s16
	s_delay_alu instid0(TRANS32_DEP_1) | instskip(SKIP_1) | instid1(SALU_CYCLE_2)
	s_mul_f32 s16, s16, 0x5f7ffffc
	s_wait_alu 0xfffe
	s_mul_f32 s17, s16, 0x2f800000
	s_wait_alu 0xfffe
	s_delay_alu instid0(SALU_CYCLE_2) | instskip(SKIP_1) | instid1(SALU_CYCLE_2)
	s_trunc_f32 s17, s17
	s_wait_alu 0xfffe
	s_fmamk_f32 s16, s17, 0xcf800000, s16
	s_cvt_u32_f32 s17, s17
	s_wait_alu 0xfffe
	s_delay_alu instid0(SALU_CYCLE_1) | instskip(SKIP_1) | instid1(SALU_CYCLE_2)
	s_cvt_u32_f32 s16, s16
	s_wait_alu 0xfffe
	s_mul_u64 s[82:83], s[56:57], s[16:17]
	s_wait_alu 0xfffe
	s_mul_hi_u32 s85, s16, s83
	s_mul_i32 s84, s16, s83
	s_mul_hi_u32 s68, s16, s82
	s_mul_i32 s59, s17, s82
	s_wait_alu 0xfffe
	s_add_nc_u64 s[84:85], s[68:69], s[84:85]
	s_mul_hi_u32 s58, s17, s82
	s_mul_hi_u32 s81, s17, s83
	s_wait_alu 0xfffe
	s_add_co_u32 s59, s84, s59
	s_add_co_ci_u32 s68, s85, s58
	s_mul_i32 s82, s17, s83
	s_add_co_ci_u32 s83, s81, 0
	s_wait_alu 0xfffe
	s_add_nc_u64 s[82:83], s[68:69], s[82:83]
	s_wait_alu 0xfffe
	s_add_co_u32 s16, s16, s82
	s_cselect_b32 s58, -1, 0
	s_wait_alu 0xfffe
	s_cmp_lg_u32 s58, 0
	s_add_co_ci_u32 s17, s17, s83
	s_wait_alu 0xfffe
	s_mul_u64 s[56:57], s[56:57], s[16:17]
	s_wait_alu 0xfffe
	s_mul_hi_u32 s83, s16, s57
	s_mul_i32 s82, s16, s57
	s_mul_hi_u32 s68, s16, s56
	s_mul_i32 s59, s17, s56
	s_wait_alu 0xfffe
	s_add_nc_u64 s[82:83], s[68:69], s[82:83]
	s_mul_hi_u32 s58, s17, s56
	s_mul_hi_u32 s81, s17, s57
	s_mul_i32 s56, s17, s57
	s_wait_alu 0xfffe
	s_add_co_u32 s57, s82, s59
	s_add_co_ci_u32 s68, s83, s58
	s_add_co_ci_u32 s57, s81, 0
	s_wait_alu 0xfffe
	s_add_nc_u64 s[56:57], s[68:69], s[56:57]
	s_wait_alu 0xfffe
	s_add_co_u32 s16, s16, s56
	s_cselect_b32 s56, -1, 0
	s_wait_alu 0xfffe
	s_mul_hi_u32 s68, s14, s16
	s_cmp_lg_u32 s56, 0
	s_mul_hi_u32 s58, s15, s16
	s_add_co_ci_u32 s56, s17, s57
	s_mul_i32 s57, s15, s16
	s_wait_alu 0xfffe
	s_mul_hi_u32 s17, s14, s56
	s_mul_i32 s16, s14, s56
	s_mul_hi_u32 s59, s15, s56
	s_wait_alu 0xfffe
	s_add_nc_u64 s[16:17], s[68:69], s[16:17]
	s_mul_i32 s56, s15, s56
	s_wait_alu 0xfffe
	s_add_co_u32 s16, s16, s57
	s_add_co_ci_u32 s68, s17, s58
	s_add_co_ci_u32 s57, s59, 0
	s_wait_alu 0xfffe
	s_add_nc_u64 s[16:17], s[68:69], s[56:57]
	s_wait_alu 0xfffe
	s_mul_u64 s[16:17], s[66:67], s[16:17]
	s_wait_alu 0xfffe
	s_sub_co_u32 s16, s14, s16
	s_cselect_b32 s56, -1, 0
	s_wait_alu 0xfffe
	s_cmp_lg_u32 s56, 0
	s_sub_co_ci_u32 s17, s15, s17
	s_sub_co_u32 s56, s16, s66
	s_cselect_b32 s57, -1, 0
	s_wait_alu 0xfffe
	s_cmp_lg_u32 s57, 0
	s_sub_co_ci_u32 s57, s17, 0
	;; [unrolled: 5-line block ×3, first 2 shown]
	s_cmp_ge_u32 s56, s66
	s_cselect_b32 s68, -1, 0
	s_cmp_eq_u32 s57, 0
	s_wait_alu 0xfffe
	s_cselect_b32 s68, s68, -1
	s_wait_alu 0xfffe
	s_cmp_lg_u32 s68, 0
	s_cselect_b32 s57, s59, s57
	s_cselect_b32 s56, s58, s56
	s_cmp_ge_u32 s16, s66
	s_cselect_b32 s58, -1, 0
	s_cmp_eq_u32 s17, 0
	s_wait_alu 0xfffe
	s_cselect_b32 s58, s58, -1
	s_wait_alu 0xfffe
	s_cmp_lg_u32 s58, 0
	s_cselect_b32 s17, s57, s17
	s_cselect_b32 s16, s56, s16
	s_cbranch_execnz .LBB102_187
.LBB102_186:                            ;   in Loop: Header=BB102_23 Depth=1
	v_cvt_f32_u32_e32 v3, s66
	s_sub_co_i32 s17, 0, s66
	s_delay_alu instid0(VALU_DEP_1) | instskip(NEXT) | instid1(TRANS32_DEP_1)
	v_rcp_iflag_f32_e32 v3, v3
	v_mul_f32_e32 v3, 0x4f7ffffe, v3
	s_delay_alu instid0(VALU_DEP_1) | instskip(NEXT) | instid1(VALU_DEP_1)
	v_cvt_u32_f32_e32 v3, v3
	v_readfirstlane_b32 s16, v3
	s_wait_alu 0xfffe
	s_mul_i32 s17, s17, s16
	s_wait_alu 0xfffe
	s_mul_hi_u32 s17, s16, s17
	s_wait_alu 0xfffe
	s_add_co_i32 s16, s16, s17
	s_wait_alu 0xfffe
	s_mul_hi_u32 s16, s14, s16
	s_wait_alu 0xfffe
	s_mul_i32 s16, s16, s66
	s_wait_alu 0xfffe
	s_sub_co_i32 s16, s14, s16
	s_wait_alu 0xfffe
	s_sub_co_i32 s17, s16, s66
	s_cmp_ge_u32 s16, s66
	s_wait_alu 0xfffe
	s_cselect_b32 s16, s17, s16
	s_wait_alu 0xfffe
	s_sub_co_i32 s17, s16, s66
	s_cmp_ge_u32 s16, s66
	s_wait_alu 0xfffe
	s_cselect_b32 s68, s17, s16
	s_wait_alu 0xfffe
	s_mov_b64 s[16:17], s[68:69]
.LBB102_187:                            ;   in Loop: Header=BB102_23 Depth=1
	s_wait_alu 0xfffe
	s_sub_nc_u64 s[14:15], s[14:15], s[16:17]
	s_mov_b32 s17, 0
	s_mov_b32 s16, 0
	s_mov_b32 s56, exec_lo
                                        ; implicit-def: $vgpr5_vgpr6
	s_wait_alu 0xfffe
	v_cmpx_gt_u64_e64 s[14:15], v[0:1]
	s_cbranch_execz .LBB102_198
; %bb.188:                              ;   in Loop: Header=BB102_23 Depth=1
	v_dual_mov_b32 v11, v32 :: v_dual_mov_b32 v10, v1
	v_mov_b32_e32 v9, v0
                                        ; implicit-def: $sgpr57
	s_branch .LBB102_191
.LBB102_189:                            ;   in Loop: Header=BB102_191 Depth=2
	s_wait_alu 0xfffe
	s_or_b32 exec_lo, exec_lo, s68
	s_wait_loadcnt_dscnt 0x0
	s_barrier_signal -1
	s_barrier_wait -1
	global_inv scope:SCOPE_SE
	ds_load_b128 v[3:6], v16 offset:3072
	s_mov_b32 s68, -1
	s_mov_b32 s81, -1
	s_wait_loadcnt_dscnt 0x0
	s_barrier_signal -1
	s_barrier_wait -1
	global_inv scope:SCOPE_SE
	v_cmp_ne_u64_e32 vcc_lo, 0, v[3:4]
	s_cbranch_vccz .LBB102_194
.LBB102_190:                            ;   in Loop: Header=BB102_191 Depth=2
	s_wait_alu 0xfffe
	s_and_b32 s58, exec_lo, s68
	s_wait_alu 0xfffe
	s_or_b32 s16, s58, s16
	s_and_not1_b32 s57, s57, exec_lo
	s_and_b32 s58, s81, exec_lo
	s_wait_alu 0xfffe
	s_or_b32 s57, s57, s58
	s_and_not1_b32 exec_lo, exec_lo, s16
	s_cbranch_execz .LBB102_197
.LBB102_191:                            ;   Parent Loop BB102_23 Depth=1
                                        ; =>  This Inner Loop Header: Depth=2
	s_mov_b32 s68, exec_lo
	s_delay_alu instid0(VALU_DEP_1)
	v_cmpx_gt_u64_e64 s[4:5], v[9:10]
	s_cbranch_execz .LBB102_189
; %bb.192:                              ;   in Loop: Header=BB102_191 Depth=2
	ds_load_b64 v[4:5], v11
	s_wait_dscnt 0x0
	v_xor_b32_e32 v3, 0x80000000, v5
	v_and_b32_e32 v14, v4, v23
	s_delay_alu instid0(VALU_DEP_2) | instskip(NEXT) | instid1(VALU_DEP_1)
	v_and_b32_e32 v15, v3, v24
	v_cmp_eq_u64_e32 vcc_lo, v[14:15], v[21:22]
	s_and_b32 exec_lo, exec_lo, vcc_lo
	s_cbranch_execz .LBB102_189
; %bb.193:                              ;   in Loop: Header=BB102_191 Depth=2
	v_mov_b32_e32 v3, v16
	ds_store_b128 v16, v[2:5] offset:3072
	s_branch .LBB102_189
.LBB102_194:                            ;   in Loop: Header=BB102_191 Depth=2
	v_add_co_u32 v9, vcc_lo, v9, s66
	s_wait_alu 0xfffd
	v_add_co_ci_u32_e64 v10, null, 0, v10, vcc_lo
	v_add_nc_u32_e32 v11, s92, v11
	s_mov_b32 s81, 0
	s_delay_alu instid0(VALU_DEP_2)
	v_cmp_le_u64_e32 vcc_lo, s[14:15], v[9:10]
	s_or_not1_b32 s68, vcc_lo, exec_lo
	s_branch .LBB102_190
.LBB102_195:                            ;   in Loop: Header=BB102_23 Depth=1
                                        ; implicit-def: $sgpr16_sgpr17
	s_branch .LBB102_137
.LBB102_196:                            ;   in Loop: Header=BB102_23 Depth=1
                                        ; implicit-def: $sgpr4_sgpr5
	s_branch .LBB102_156
.LBB102_197:                            ;   in Loop: Header=BB102_23 Depth=1
	s_or_b32 exec_lo, exec_lo, s16
	s_wait_alu 0xfffe
	s_and_b32 s16, s57, exec_lo
.LBB102_198:                            ;   in Loop: Header=BB102_23 Depth=1
	s_or_b32 exec_lo, exec_lo, s56
.LBB102_199:                            ;   in Loop: Header=BB102_23 Depth=1
	s_wait_alu 0xfffe
	s_and_b32 vcc_lo, exec_lo, s17
	s_wait_alu 0xfffe
	s_cbranch_vccz .LBB102_213
; %bb.200:                              ;   in Loop: Header=BB102_23 Depth=1
	s_mov_b32 s4, s69
	s_mov_b32 s5, s73
	s_wait_alu 0xfffe
	s_cmp_lg_u64 s[4:5], 0
	s_cbranch_scc0 .LBB102_241
; %bb.201:                              ;   in Loop: Header=BB102_23 Depth=1
	s_cvt_f32_u32 s4, s66
	s_sub_nc_u64 s[14:15], 0, s[66:67]
	s_wait_alu 0xfffe
	s_delay_alu instid0(SALU_CYCLE_1) | instskip(SKIP_1) | instid1(SALU_CYCLE_2)
	s_fmamk_f32 s4, s95, 0x0, s4
	s_wait_alu 0xfffe
	v_s_rcp_f32 s4, s4
	s_delay_alu instid0(TRANS32_DEP_1) | instskip(SKIP_1) | instid1(SALU_CYCLE_2)
	s_mul_f32 s4, s4, 0x5f7ffffc
	s_wait_alu 0xfffe
	s_mul_f32 s5, s4, 0x2f800000
	s_wait_alu 0xfffe
	s_delay_alu instid0(SALU_CYCLE_2) | instskip(SKIP_1) | instid1(SALU_CYCLE_2)
	s_trunc_f32 s5, s5
	s_wait_alu 0xfffe
	s_fmamk_f32 s4, s5, 0xcf800000, s4
	s_cvt_u32_f32 s5, s5
	s_wait_alu 0xfffe
	s_delay_alu instid0(SALU_CYCLE_1) | instskip(SKIP_1) | instid1(SALU_CYCLE_2)
	s_cvt_u32_f32 s4, s4
	s_wait_alu 0xfffe
	s_mul_u64 s[56:57], s[14:15], s[4:5]
	s_wait_alu 0xfffe
	s_mul_hi_u32 s83, s4, s57
	s_mul_i32 s82, s4, s57
	s_mul_hi_u32 s68, s4, s56
	s_mul_i32 s58, s5, s56
	s_wait_alu 0xfffe
	s_add_nc_u64 s[82:83], s[68:69], s[82:83]
	s_mul_hi_u32 s17, s5, s56
	s_mul_hi_u32 s59, s5, s57
	s_mul_i32 s56, s5, s57
	s_wait_alu 0xfffe
	s_add_co_u32 s57, s82, s58
	s_add_co_ci_u32 s68, s83, s17
	s_add_co_ci_u32 s57, s59, 0
	s_wait_alu 0xfffe
	s_add_nc_u64 s[56:57], s[68:69], s[56:57]
	s_wait_alu 0xfffe
	s_add_co_u32 s4, s4, s56
	s_cselect_b32 s17, -1, 0
	s_wait_alu 0xfffe
	s_cmp_lg_u32 s17, 0
	s_add_co_ci_u32 s5, s5, s57
	s_wait_alu 0xfffe
	s_mul_u64 s[14:15], s[14:15], s[4:5]
	s_wait_alu 0xfffe
	s_mul_hi_u32 s57, s4, s15
	s_mul_i32 s56, s4, s15
	s_mul_hi_u32 s68, s4, s14
	s_mul_i32 s58, s5, s14
	s_wait_alu 0xfffe
	s_add_nc_u64 s[56:57], s[68:69], s[56:57]
	s_mul_hi_u32 s17, s5, s14
	s_mul_hi_u32 s59, s5, s15
	s_mul_i32 s14, s5, s15
	s_wait_alu 0xfffe
	s_add_co_u32 s15, s56, s58
	s_add_co_ci_u32 s68, s57, s17
	s_add_co_ci_u32 s15, s59, 0
	s_wait_alu 0xfffe
	s_add_nc_u64 s[14:15], s[68:69], s[14:15]
	s_wait_alu 0xfffe
	s_add_co_u32 s4, s4, s14
	s_cselect_b32 s14, -1, 0
	s_wait_alu 0xfffe
	s_mul_hi_u32 s68, s72, s4
	s_cmp_lg_u32 s14, 0
	s_mul_hi_u32 s17, s73, s4
	s_add_co_ci_u32 s14, s5, s15
	s_mul_i32 s15, s73, s4
	s_wait_alu 0xfffe
	s_mul_hi_u32 s5, s72, s14
	s_mul_i32 s4, s72, s14
	s_mul_hi_u32 s56, s73, s14
	s_wait_alu 0xfffe
	s_add_nc_u64 s[4:5], s[68:69], s[4:5]
	s_mul_i32 s14, s73, s14
	s_wait_alu 0xfffe
	s_add_co_u32 s4, s4, s15
	s_add_co_ci_u32 s68, s5, s17
	s_add_co_ci_u32 s15, s56, 0
	s_wait_alu 0xfffe
	s_add_nc_u64 s[4:5], s[68:69], s[14:15]
	s_wait_alu 0xfffe
	s_mul_u64 s[4:5], s[66:67], s[4:5]
	s_wait_alu 0xfffe
	s_sub_co_u32 s4, s72, s4
	s_cselect_b32 s14, -1, 0
	s_wait_alu 0xfffe
	s_cmp_lg_u32 s14, 0
	s_sub_co_ci_u32 s5, s73, s5
	s_sub_co_u32 s14, s4, s66
	s_cselect_b32 s15, -1, 0
	s_wait_alu 0xfffe
	s_cmp_lg_u32 s15, 0
	s_sub_co_ci_u32 s15, s5, 0
	;; [unrolled: 5-line block ×3, first 2 shown]
	s_cmp_ge_u32 s14, s66
	s_cselect_b32 s57, -1, 0
	s_cmp_eq_u32 s15, 0
	s_wait_alu 0xfffe
	s_cselect_b32 s57, s57, -1
	s_wait_alu 0xfffe
	s_cmp_lg_u32 s57, 0
	s_cselect_b32 s15, s56, s15
	s_cselect_b32 s14, s17, s14
	s_cmp_ge_u32 s4, s66
	s_cselect_b32 s17, -1, 0
	s_cmp_eq_u32 s5, 0
	s_wait_alu 0xfffe
	s_cselect_b32 s17, s17, -1
	s_wait_alu 0xfffe
	s_cmp_lg_u32 s17, 0
	s_cselect_b32 s5, s15, s5
	s_cselect_b32 s4, s14, s4
	s_cbranch_execnz .LBB102_203
.LBB102_202:                            ;   in Loop: Header=BB102_23 Depth=1
	v_cvt_f32_u32_e32 v3, s66
	s_sub_co_i32 s5, 0, s66
	s_delay_alu instid0(VALU_DEP_1) | instskip(NEXT) | instid1(TRANS32_DEP_1)
	v_rcp_iflag_f32_e32 v3, v3
	v_mul_f32_e32 v3, 0x4f7ffffe, v3
	s_delay_alu instid0(VALU_DEP_1) | instskip(NEXT) | instid1(VALU_DEP_1)
	v_cvt_u32_f32_e32 v3, v3
	v_readfirstlane_b32 s4, v3
	s_wait_alu 0xfffe
	s_mul_i32 s5, s5, s4
	s_wait_alu 0xfffe
	s_mul_hi_u32 s5, s4, s5
	s_wait_alu 0xfffe
	s_add_co_i32 s4, s4, s5
	s_wait_alu 0xfffe
	s_mul_hi_u32 s4, s72, s4
	s_wait_alu 0xfffe
	s_mul_i32 s4, s4, s66
	s_wait_alu 0xfffe
	s_sub_co_i32 s4, s72, s4
	s_wait_alu 0xfffe
	s_sub_co_i32 s5, s4, s66
	s_cmp_ge_u32 s4, s66
	s_wait_alu 0xfffe
	s_cselect_b32 s4, s5, s4
	s_wait_alu 0xfffe
	s_sub_co_i32 s5, s4, s66
	s_cmp_ge_u32 s4, s66
	s_wait_alu 0xfffe
	s_cselect_b32 s68, s5, s4
	s_wait_alu 0xfffe
	s_mov_b64 s[4:5], s[68:69]
.LBB102_203:                            ;   in Loop: Header=BB102_23 Depth=1
	s_wait_alu 0xfffe
	s_sub_nc_u64 s[4:5], s[72:73], s[4:5]
	s_mov_b32 s14, exec_lo
                                        ; implicit-def: $vgpr5_vgpr6
	s_wait_alu 0xfffe
	v_cmpx_gt_u64_e64 s[4:5], v[0:1]
	s_cbranch_execz .LBB102_212
; %bb.204:                              ;   in Loop: Header=BB102_23 Depth=1
	v_dual_mov_b32 v10, v1 :: v_dual_mov_b32 v9, v0
	s_mov_b32 s15, 0
                                        ; implicit-def: $sgpr17
	s_branch .LBB102_207
.LBB102_205:                            ;   in Loop: Header=BB102_207 Depth=2
	s_wait_alu 0xfffe
	s_or_b32 exec_lo, exec_lo, s56
	s_wait_loadcnt_dscnt 0x0
	s_barrier_signal -1
	s_barrier_wait -1
	global_inv scope:SCOPE_SE
	ds_load_b128 v[3:6], v16 offset:3072
	s_mov_b32 s57, -1
	s_mov_b32 s56, -1
	s_wait_loadcnt_dscnt 0x0
	s_barrier_signal -1
	s_barrier_wait -1
	global_inv scope:SCOPE_SE
	v_cmp_eq_u64_e32 vcc_lo, 0, v[3:4]
	s_cbranch_vccnz .LBB102_210
.LBB102_206:                            ;   in Loop: Header=BB102_207 Depth=2
	s_wait_alu 0xfffe
	s_and_b32 s57, exec_lo, s57
	s_wait_alu 0xfffe
	s_or_b32 s15, s57, s15
	s_and_not1_b32 s17, s17, exec_lo
	s_and_b32 s56, s56, exec_lo
	s_wait_alu 0xfffe
	s_or_b32 s17, s17, s56
	s_and_not1_b32 exec_lo, exec_lo, s15
	s_cbranch_execz .LBB102_211
.LBB102_207:                            ;   Parent Loop BB102_23 Depth=1
                                        ; =>  This Inner Loop Header: Depth=2
	s_mov_b32 s56, exec_lo
	s_delay_alu instid0(VALU_DEP_1)
	v_cmpx_gt_u64_e64 s[24:25], v[9:10]
	s_cbranch_execz .LBB102_205
; %bb.208:                              ;   in Loop: Header=BB102_207 Depth=2
	v_mul_lo_u32 v5, v10, s54
	v_mul_lo_u32 v6, v9, s55
	v_mad_co_u64_u32 v[3:4], null, v9, s54, 0
	s_delay_alu instid0(VALU_DEP_1) | instskip(NEXT) | instid1(VALU_DEP_1)
	v_add3_u32 v4, v4, v6, v5
	v_lshlrev_b64_e32 v[3:4], 3, v[3:4]
	s_delay_alu instid0(VALU_DEP_1) | instskip(SKIP_1) | instid1(VALU_DEP_2)
	v_add_co_u32 v3, vcc_lo, s62, v3
	s_wait_alu 0xfffd
	v_add_co_ci_u32_e64 v4, null, s63, v4, vcc_lo
	global_load_b64 v[4:5], v[3:4], off
	s_wait_loadcnt 0x0
	v_xor_b32_e32 v3, 0x80000000, v5
	v_and_b32_e32 v11, v4, v23
	s_delay_alu instid0(VALU_DEP_2) | instskip(NEXT) | instid1(VALU_DEP_1)
	v_and_b32_e32 v12, v3, v24
	v_cmp_eq_u64_e32 vcc_lo, v[11:12], v[21:22]
	s_and_b32 exec_lo, exec_lo, vcc_lo
	s_cbranch_execz .LBB102_205
; %bb.209:                              ;   in Loop: Header=BB102_207 Depth=2
	v_mov_b32_e32 v3, v16
	ds_store_b128 v16, v[2:5] offset:3072
	s_branch .LBB102_205
.LBB102_210:                            ;   in Loop: Header=BB102_207 Depth=2
	v_add_co_u32 v9, vcc_lo, v9, s66
	s_wait_alu 0xfffd
	v_add_co_ci_u32_e64 v10, null, 0, v10, vcc_lo
	s_mov_b32 s56, 0
	v_cmp_le_u64_e32 vcc_lo, s[4:5], v[9:10]
	s_or_not1_b32 s57, vcc_lo, exec_lo
	s_branch .LBB102_206
.LBB102_211:                            ;   in Loop: Header=BB102_23 Depth=1
	s_or_b32 exec_lo, exec_lo, s15
	s_delay_alu instid0(SALU_CYCLE_1)
	s_and_not1_b32 s4, s16, exec_lo
	s_wait_alu 0xfffe
	s_and_b32 s5, s17, exec_lo
	s_wait_alu 0xfffe
	s_or_b32 s16, s4, s5
.LBB102_212:                            ;   in Loop: Header=BB102_23 Depth=1
	s_or_b32 exec_lo, exec_lo, s14
	s_mov_b32 s77, 0
	s_mov_b32 s78, -1
.LBB102_213:                            ;   in Loop: Header=BB102_23 Depth=1
	s_wait_alu 0xfffe
	s_or_not1_b32 s4, s16, exec_lo
.LBB102_214:                            ;   in Loop: Header=BB102_23 Depth=1
	s_wait_alu 0xfffe
	s_or_b32 exec_lo, exec_lo, s80
	s_mov_b32 s5, 0
	s_and_saveexec_b32 s14, s4
	s_cbranch_execz .LBB102_272
; %bb.215:                              ;   in Loop: Header=BB102_23 Depth=1
	v_mov_b32_e32 v9, 1
	v_dual_mov_b32 v10, 0 :: v_dual_mov_b32 v13, 1
	s_xor_b32 s15, s79, -1
	s_wait_alu 0xfffe
	s_and_saveexec_b32 s4, s15
	s_cbranch_execz .LBB102_224
; %bb.216:                              ;   in Loop: Header=BB102_23 Depth=1
	s_mov_b32 s5, exec_lo
	v_cmpx_ge_u64_e64 s[10:11], v[7:8]
	s_wait_alu 0xfffe
	s_xor_b32 s5, exec_lo, s5
	s_cbranch_execz .LBB102_221
; %bb.217:                              ;   in Loop: Header=BB102_23 Depth=1
	ds_load_b64 v[3:4], v16 offset:5120
	v_and_b32_e32 v9, s13, v22
	v_and_b32_e32 v10, s12, v21
	s_lshl_b64 s[12:13], 2, s93
	v_or_b32_e32 v24, s9, v24
	v_or_b32_e32 v23, s8, v23
	s_wait_alu 0xfffe
	v_or_b32_e32 v22, s13, v9
	v_or_b32_e32 v21, s12, v10
	s_wait_dscnt 0x0
	v_cmp_ne_u64_e32 vcc_lo, 0, v[3:4]
	s_cbranch_vccnz .LBB102_221
; %bb.218:                              ;   in Loop: Header=BB102_23 Depth=1
	s_and_saveexec_b32 s12, s2
; %bb.219:                              ;   in Loop: Header=BB102_23 Depth=1
	v_dual_mov_b32 v3, s10 :: v_dual_mov_b32 v4, s11
	ds_store_b64 v16, v[3:4] offset:5128
; %bb.220:                              ;   in Loop: Header=BB102_23 Depth=1
	s_wait_alu 0xfffe
	s_or_b32 exec_lo, exec_lo, s12
	s_wait_loadcnt_dscnt 0x0
	s_barrier_signal -1
	s_barrier_wait -1
	global_inv scope:SCOPE_SE
.LBB102_221:                            ;   in Loop: Header=BB102_23 Depth=1
	s_wait_alu 0xfffe
	s_or_saveexec_b32 s5, s5
	v_mov_b32_e32 v13, 8
	s_mov_b32 s12, 0
	s_wait_alu 0xfffe
	s_xor_b32 exec_lo, exec_lo, s5
; %bb.222:                              ;   in Loop: Header=BB102_23 Depth=1
	v_sub_co_u32 v7, vcc_lo, v7, s10
	s_wait_alu 0xfffd
	v_subrev_co_ci_u32_e64 v8, null, s11, v8, vcc_lo
	v_mov_b32_e32 v13, 0
	s_mov_b32 s12, exec_lo
; %bb.223:                              ;   in Loop: Header=BB102_23 Depth=1
	s_or_b32 exec_lo, exec_lo, s5
	s_delay_alu instid0(VALU_DEP_2)
	v_dual_mov_b32 v10, v8 :: v_dual_mov_b32 v9, v7
	s_wait_alu 0xfffe
	s_and_b32 s5, s12, exec_lo
.LBB102_224:                            ;   in Loop: Header=BB102_23 Depth=1
	s_wait_alu 0xfffe
	s_or_b32 exec_lo, exec_lo, s4
	s_mov_b32 s4, -1
                                        ; implicit-def: $sgpr80
                                        ; implicit-def: $sgpr79
	s_and_saveexec_b32 s15, s5
	s_cbranch_execz .LBB102_271
; %bb.225:                              ;   in Loop: Header=BB102_23 Depth=1
	v_cmp_eq_u64_e32 vcc_lo, 1, v[9:10]
	s_cmp_eq_u64 s[6:7], 1
	s_mov_b32 s5, -1
	s_cselect_b32 s4, -1, 0
                                        ; implicit-def: $sgpr80
                                        ; implicit-def: $sgpr79
	s_wait_alu 0xfffe
	s_and_b32 s16, s4, vcc_lo
	s_wait_alu 0xfffe
	s_and_saveexec_b32 s17, s16
	s_cbranch_execz .LBB102_259
; %bb.226:                              ;   in Loop: Header=BB102_23 Depth=1
	ds_load_b64 v[3:4], v16 offset:5120
	s_wait_loadcnt_dscnt 0x0
	s_barrier_signal -1
	s_barrier_wait -1
	global_inv scope:SCOPE_SE
	v_readfirstlane_b32 s4, v3
	v_readfirstlane_b32 s5, v4
	s_and_saveexec_b32 s10, s3
; %bb.227:                              ;   in Loop: Header=BB102_23 Depth=1
	v_mov_b32_e32 v15, v16
	ds_store_b64 v33, v[15:16]
; %bb.228:                              ;   in Loop: Header=BB102_23 Depth=1
	s_wait_alu 0xfffe
	s_or_b32 exec_lo, exec_lo, s10
	v_or_b32_e32 v22, s9, v22
	v_or_b32_e32 v21, s8, v21
	;; [unrolled: 1-line block ×4, first 2 shown]
	s_mov_b32 s79, -1
	s_mov_b32 s80, 0
	s_cmp_eq_u64 s[4:5], 0
	s_mov_b32 s12, 0
	s_mov_b32 s13, -1
	s_wait_loadcnt_dscnt 0x0
	s_barrier_signal -1
	s_barrier_wait -1
	global_inv scope:SCOPE_SE
                                        ; implicit-def: $vgpr5_vgpr6
	s_cbranch_scc1 .LBB102_244
; %bb.229:                              ;   in Loop: Header=BB102_23 Depth=1
	s_add_nc_u64 s[10:11], s[4:5], s[70:71]
	s_mov_b32 s12, s69
	s_wait_alu 0xfffe
	s_mov_b32 s13, s11
	s_wait_alu 0xfffe
	s_cmp_lg_u64 s[12:13], 0
	s_cbranch_scc0 .LBB102_278
; %bb.230:                              ;   in Loop: Header=BB102_23 Depth=1
	s_cvt_f32_u32 s12, s66
	s_sub_nc_u64 s[56:57], 0, s[66:67]
	s_wait_alu 0xfffe
	s_delay_alu instid0(SALU_CYCLE_1) | instskip(SKIP_1) | instid1(SALU_CYCLE_2)
	s_fmamk_f32 s12, s95, 0x0, s12
	s_wait_alu 0xfffe
	v_s_rcp_f32 s12, s12
	s_delay_alu instid0(TRANS32_DEP_1) | instskip(SKIP_1) | instid1(SALU_CYCLE_2)
	s_mul_f32 s12, s12, 0x5f7ffffc
	s_wait_alu 0xfffe
	s_mul_f32 s13, s12, 0x2f800000
	s_wait_alu 0xfffe
	s_delay_alu instid0(SALU_CYCLE_2) | instskip(SKIP_1) | instid1(SALU_CYCLE_2)
	s_trunc_f32 s13, s13
	s_wait_alu 0xfffe
	s_fmamk_f32 s12, s13, 0xcf800000, s12
	s_cvt_u32_f32 s13, s13
	s_wait_alu 0xfffe
	s_delay_alu instid0(SALU_CYCLE_1) | instskip(SKIP_1) | instid1(SALU_CYCLE_2)
	s_cvt_u32_f32 s12, s12
	s_wait_alu 0xfffe
	s_mul_u64 s[82:83], s[56:57], s[12:13]
	s_wait_alu 0xfffe
	s_mul_hi_u32 s85, s12, s83
	s_mul_i32 s84, s12, s83
	s_mul_hi_u32 s68, s12, s82
	s_mul_i32 s59, s13, s82
	s_wait_alu 0xfffe
	s_add_nc_u64 s[84:85], s[68:69], s[84:85]
	s_mul_hi_u32 s58, s13, s82
	s_mul_hi_u32 s81, s13, s83
	s_wait_alu 0xfffe
	s_add_co_u32 s59, s84, s59
	s_add_co_ci_u32 s68, s85, s58
	s_mul_i32 s82, s13, s83
	s_add_co_ci_u32 s83, s81, 0
	s_wait_alu 0xfffe
	s_add_nc_u64 s[82:83], s[68:69], s[82:83]
	s_wait_alu 0xfffe
	s_add_co_u32 s12, s12, s82
	s_cselect_b32 s58, -1, 0
	s_wait_alu 0xfffe
	s_cmp_lg_u32 s58, 0
	s_add_co_ci_u32 s13, s13, s83
	s_wait_alu 0xfffe
	s_mul_u64 s[56:57], s[56:57], s[12:13]
	s_wait_alu 0xfffe
	s_mul_hi_u32 s83, s12, s57
	s_mul_i32 s82, s12, s57
	s_mul_hi_u32 s68, s12, s56
	s_mul_i32 s59, s13, s56
	s_wait_alu 0xfffe
	s_add_nc_u64 s[82:83], s[68:69], s[82:83]
	s_mul_hi_u32 s58, s13, s56
	s_mul_hi_u32 s81, s13, s57
	s_mul_i32 s56, s13, s57
	s_wait_alu 0xfffe
	s_add_co_u32 s57, s82, s59
	s_add_co_ci_u32 s68, s83, s58
	s_add_co_ci_u32 s57, s81, 0
	s_wait_alu 0xfffe
	s_add_nc_u64 s[56:57], s[68:69], s[56:57]
	s_wait_alu 0xfffe
	s_add_co_u32 s12, s12, s56
	s_cselect_b32 s56, -1, 0
	s_wait_alu 0xfffe
	s_mul_hi_u32 s68, s10, s12
	s_cmp_lg_u32 s56, 0
	s_mul_hi_u32 s58, s11, s12
	s_add_co_ci_u32 s56, s13, s57
	s_mul_i32 s57, s11, s12
	s_wait_alu 0xfffe
	s_mul_hi_u32 s13, s10, s56
	s_mul_i32 s12, s10, s56
	s_mul_hi_u32 s59, s11, s56
	s_wait_alu 0xfffe
	s_add_nc_u64 s[12:13], s[68:69], s[12:13]
	s_mul_i32 s56, s11, s56
	s_wait_alu 0xfffe
	s_add_co_u32 s12, s12, s57
	s_add_co_ci_u32 s68, s13, s58
	s_add_co_ci_u32 s57, s59, 0
	s_wait_alu 0xfffe
	s_add_nc_u64 s[12:13], s[68:69], s[56:57]
	s_wait_alu 0xfffe
	s_mul_u64 s[12:13], s[66:67], s[12:13]
	s_wait_alu 0xfffe
	s_sub_co_u32 s12, s10, s12
	s_cselect_b32 s56, -1, 0
	s_wait_alu 0xfffe
	s_cmp_lg_u32 s56, 0
	s_sub_co_ci_u32 s13, s11, s13
	s_sub_co_u32 s56, s12, s66
	s_cselect_b32 s57, -1, 0
	s_wait_alu 0xfffe
	s_cmp_lg_u32 s57, 0
	s_sub_co_ci_u32 s57, s13, 0
	;; [unrolled: 5-line block ×3, first 2 shown]
	s_cmp_ge_u32 s56, s66
	s_cselect_b32 s68, -1, 0
	s_cmp_eq_u32 s57, 0
	s_wait_alu 0xfffe
	s_cselect_b32 s68, s68, -1
	s_wait_alu 0xfffe
	s_cmp_lg_u32 s68, 0
	s_cselect_b32 s57, s59, s57
	s_cselect_b32 s56, s58, s56
	s_cmp_ge_u32 s12, s66
	s_cselect_b32 s58, -1, 0
	s_cmp_eq_u32 s13, 0
	s_wait_alu 0xfffe
	s_cselect_b32 s58, s58, -1
	s_wait_alu 0xfffe
	s_cmp_lg_u32 s58, 0
	s_cselect_b32 s13, s57, s13
	s_cselect_b32 s12, s56, s12
	s_cbranch_execnz .LBB102_232
.LBB102_231:                            ;   in Loop: Header=BB102_23 Depth=1
	v_cvt_f32_u32_e32 v3, s66
	s_sub_co_i32 s13, 0, s66
	s_delay_alu instid0(VALU_DEP_1) | instskip(NEXT) | instid1(TRANS32_DEP_1)
	v_rcp_iflag_f32_e32 v3, v3
	v_mul_f32_e32 v3, 0x4f7ffffe, v3
	s_delay_alu instid0(VALU_DEP_1) | instskip(NEXT) | instid1(VALU_DEP_1)
	v_cvt_u32_f32_e32 v3, v3
	v_readfirstlane_b32 s12, v3
	s_wait_alu 0xfffe
	s_mul_i32 s13, s13, s12
	s_wait_alu 0xfffe
	s_mul_hi_u32 s13, s12, s13
	s_wait_alu 0xfffe
	s_add_co_i32 s12, s12, s13
	s_wait_alu 0xfffe
	s_mul_hi_u32 s12, s10, s12
	s_wait_alu 0xfffe
	s_mul_i32 s12, s12, s66
	s_wait_alu 0xfffe
	s_sub_co_i32 s12, s10, s12
	s_wait_alu 0xfffe
	s_sub_co_i32 s13, s12, s66
	s_cmp_ge_u32 s12, s66
	s_wait_alu 0xfffe
	s_cselect_b32 s12, s13, s12
	s_wait_alu 0xfffe
	s_sub_co_i32 s13, s12, s66
	s_cmp_ge_u32 s12, s66
	s_wait_alu 0xfffe
	s_cselect_b32 s68, s13, s12
	s_wait_alu 0xfffe
	s_mov_b64 s[12:13], s[68:69]
.LBB102_232:                            ;   in Loop: Header=BB102_23 Depth=1
	s_wait_alu 0xfffe
	s_sub_nc_u64 s[10:11], s[10:11], s[12:13]
	s_mov_b32 s13, 0
	s_mov_b32 s12, 0
	s_mov_b32 s56, exec_lo
                                        ; implicit-def: $vgpr5_vgpr6
	s_wait_alu 0xfffe
	v_cmpx_gt_u64_e64 s[10:11], v[0:1]
	s_cbranch_execz .LBB102_243
; %bb.233:                              ;   in Loop: Header=BB102_23 Depth=1
	v_dual_mov_b32 v11, v32 :: v_dual_mov_b32 v8, v1
	v_mov_b32_e32 v7, v0
                                        ; implicit-def: $sgpr57
	s_branch .LBB102_236
.LBB102_234:                            ;   in Loop: Header=BB102_236 Depth=2
	s_wait_alu 0xfffe
	s_or_b32 exec_lo, exec_lo, s68
	s_wait_loadcnt_dscnt 0x0
	s_barrier_signal -1
	s_barrier_wait -1
	global_inv scope:SCOPE_SE
	ds_load_b128 v[3:6], v16 offset:3072
	s_mov_b32 s68, -1
	s_mov_b32 s81, -1
	s_wait_loadcnt_dscnt 0x0
	s_barrier_signal -1
	s_barrier_wait -1
	global_inv scope:SCOPE_SE
	v_cmp_ne_u64_e32 vcc_lo, 0, v[3:4]
	s_cbranch_vccz .LBB102_239
.LBB102_235:                            ;   in Loop: Header=BB102_236 Depth=2
	s_wait_alu 0xfffe
	s_and_b32 s58, exec_lo, s68
	s_wait_alu 0xfffe
	s_or_b32 s12, s58, s12
	s_and_not1_b32 s57, s57, exec_lo
	s_and_b32 s58, s81, exec_lo
	s_wait_alu 0xfffe
	s_or_b32 s57, s57, s58
	s_and_not1_b32 exec_lo, exec_lo, s12
	s_cbranch_execz .LBB102_242
.LBB102_236:                            ;   Parent Loop BB102_23 Depth=1
                                        ; =>  This Inner Loop Header: Depth=2
	s_mov_b32 s68, exec_lo
	s_delay_alu instid0(VALU_DEP_1)
	v_cmpx_gt_u64_e64 s[4:5], v[7:8]
	s_cbranch_execz .LBB102_234
; %bb.237:                              ;   in Loop: Header=BB102_236 Depth=2
	ds_load_b64 v[4:5], v11
	s_wait_dscnt 0x0
	v_xor_b32_e32 v3, 0x80000000, v5
	v_and_b32_e32 v14, v4, v23
	s_delay_alu instid0(VALU_DEP_2) | instskip(NEXT) | instid1(VALU_DEP_1)
	v_and_b32_e32 v15, v3, v24
	v_cmp_eq_u64_e32 vcc_lo, v[14:15], v[21:22]
	s_and_b32 exec_lo, exec_lo, vcc_lo
	s_cbranch_execz .LBB102_234
; %bb.238:                              ;   in Loop: Header=BB102_236 Depth=2
	v_mov_b32_e32 v3, v16
	ds_store_b128 v16, v[2:5] offset:3072
	s_branch .LBB102_234
.LBB102_239:                            ;   in Loop: Header=BB102_236 Depth=2
	v_add_co_u32 v7, vcc_lo, v7, s66
	s_wait_alu 0xfffd
	v_add_co_ci_u32_e64 v8, null, 0, v8, vcc_lo
	v_add_nc_u32_e32 v11, s92, v11
	s_mov_b32 s81, 0
	s_delay_alu instid0(VALU_DEP_2)
	v_cmp_le_u64_e32 vcc_lo, s[10:11], v[7:8]
	s_or_not1_b32 s68, vcc_lo, exec_lo
	s_branch .LBB102_235
.LBB102_240:                            ;   in Loop: Header=BB102_23 Depth=1
                                        ; implicit-def: $sgpr16_sgpr17
	s_branch .LBB102_186
.LBB102_241:                            ;   in Loop: Header=BB102_23 Depth=1
                                        ; implicit-def: $sgpr4_sgpr5
	s_branch .LBB102_202
.LBB102_242:                            ;   in Loop: Header=BB102_23 Depth=1
	s_or_b32 exec_lo, exec_lo, s12
	s_wait_alu 0xfffe
	s_and_b32 s12, s57, exec_lo
.LBB102_243:                            ;   in Loop: Header=BB102_23 Depth=1
	s_or_b32 exec_lo, exec_lo, s56
.LBB102_244:                            ;   in Loop: Header=BB102_23 Depth=1
	s_wait_alu 0xfffe
	s_and_b32 vcc_lo, exec_lo, s13
	s_wait_alu 0xfffe
	s_cbranch_vccz .LBB102_258
; %bb.245:                              ;   in Loop: Header=BB102_23 Depth=1
	s_mov_b32 s4, s69
	s_mov_b32 s5, s73
	s_wait_alu 0xfffe
	s_cmp_lg_u64 s[4:5], 0
	s_cbranch_scc0 .LBB102_279
; %bb.246:                              ;   in Loop: Header=BB102_23 Depth=1
	s_cvt_f32_u32 s4, s66
	s_sub_nc_u64 s[10:11], 0, s[66:67]
	s_wait_alu 0xfffe
	s_delay_alu instid0(SALU_CYCLE_1) | instskip(SKIP_1) | instid1(SALU_CYCLE_2)
	s_fmamk_f32 s4, s95, 0x0, s4
	s_wait_alu 0xfffe
	v_s_rcp_f32 s4, s4
	s_delay_alu instid0(TRANS32_DEP_1) | instskip(SKIP_1) | instid1(SALU_CYCLE_2)
	s_mul_f32 s4, s4, 0x5f7ffffc
	s_wait_alu 0xfffe
	s_mul_f32 s5, s4, 0x2f800000
	s_wait_alu 0xfffe
	s_delay_alu instid0(SALU_CYCLE_2) | instskip(SKIP_1) | instid1(SALU_CYCLE_2)
	s_trunc_f32 s5, s5
	s_wait_alu 0xfffe
	s_fmamk_f32 s4, s5, 0xcf800000, s4
	s_cvt_u32_f32 s5, s5
	s_wait_alu 0xfffe
	s_delay_alu instid0(SALU_CYCLE_1) | instskip(SKIP_1) | instid1(SALU_CYCLE_2)
	s_cvt_u32_f32 s4, s4
	s_wait_alu 0xfffe
	s_mul_u64 s[56:57], s[10:11], s[4:5]
	s_wait_alu 0xfffe
	s_mul_hi_u32 s81, s4, s57
	s_mul_i32 s80, s4, s57
	s_mul_hi_u32 s68, s4, s56
	s_mul_i32 s58, s5, s56
	s_wait_alu 0xfffe
	s_add_nc_u64 s[80:81], s[68:69], s[80:81]
	s_mul_hi_u32 s13, s5, s56
	s_mul_hi_u32 s59, s5, s57
	s_mul_i32 s56, s5, s57
	s_wait_alu 0xfffe
	s_add_co_u32 s57, s80, s58
	s_add_co_ci_u32 s68, s81, s13
	s_add_co_ci_u32 s57, s59, 0
	s_wait_alu 0xfffe
	s_add_nc_u64 s[56:57], s[68:69], s[56:57]
	s_wait_alu 0xfffe
	s_add_co_u32 s4, s4, s56
	s_cselect_b32 s13, -1, 0
	s_wait_alu 0xfffe
	s_cmp_lg_u32 s13, 0
	s_add_co_ci_u32 s5, s5, s57
	s_wait_alu 0xfffe
	s_mul_u64 s[10:11], s[10:11], s[4:5]
	s_wait_alu 0xfffe
	s_mul_hi_u32 s57, s4, s11
	s_mul_i32 s56, s4, s11
	s_mul_hi_u32 s68, s4, s10
	s_mul_i32 s58, s5, s10
	s_wait_alu 0xfffe
	s_add_nc_u64 s[56:57], s[68:69], s[56:57]
	s_mul_hi_u32 s13, s5, s10
	s_mul_hi_u32 s59, s5, s11
	s_mul_i32 s10, s5, s11
	s_wait_alu 0xfffe
	s_add_co_u32 s11, s56, s58
	s_add_co_ci_u32 s68, s57, s13
	s_add_co_ci_u32 s11, s59, 0
	s_wait_alu 0xfffe
	s_add_nc_u64 s[10:11], s[68:69], s[10:11]
	s_wait_alu 0xfffe
	s_add_co_u32 s4, s4, s10
	s_cselect_b32 s10, -1, 0
	s_wait_alu 0xfffe
	s_mul_hi_u32 s68, s72, s4
	s_cmp_lg_u32 s10, 0
	s_mul_hi_u32 s13, s73, s4
	s_add_co_ci_u32 s10, s5, s11
	s_mul_i32 s11, s73, s4
	s_wait_alu 0xfffe
	s_mul_hi_u32 s5, s72, s10
	s_mul_i32 s4, s72, s10
	s_mul_hi_u32 s56, s73, s10
	s_wait_alu 0xfffe
	s_add_nc_u64 s[4:5], s[68:69], s[4:5]
	s_mul_i32 s10, s73, s10
	s_wait_alu 0xfffe
	s_add_co_u32 s4, s4, s11
	s_add_co_ci_u32 s68, s5, s13
	s_add_co_ci_u32 s11, s56, 0
	s_wait_alu 0xfffe
	s_add_nc_u64 s[4:5], s[68:69], s[10:11]
	s_wait_alu 0xfffe
	s_mul_u64 s[4:5], s[66:67], s[4:5]
	s_wait_alu 0xfffe
	s_sub_co_u32 s4, s72, s4
	s_cselect_b32 s10, -1, 0
	s_wait_alu 0xfffe
	s_cmp_lg_u32 s10, 0
	s_sub_co_ci_u32 s5, s73, s5
	s_sub_co_u32 s10, s4, s66
	s_cselect_b32 s11, -1, 0
	s_wait_alu 0xfffe
	s_cmp_lg_u32 s11, 0
	s_sub_co_ci_u32 s11, s5, 0
	;; [unrolled: 5-line block ×3, first 2 shown]
	s_cmp_ge_u32 s10, s66
	s_cselect_b32 s57, -1, 0
	s_cmp_eq_u32 s11, 0
	s_wait_alu 0xfffe
	s_cselect_b32 s57, s57, -1
	s_wait_alu 0xfffe
	s_cmp_lg_u32 s57, 0
	s_cselect_b32 s11, s56, s11
	s_cselect_b32 s10, s13, s10
	s_cmp_ge_u32 s4, s66
	s_cselect_b32 s13, -1, 0
	s_cmp_eq_u32 s5, 0
	s_wait_alu 0xfffe
	s_cselect_b32 s13, s13, -1
	s_wait_alu 0xfffe
	s_cmp_lg_u32 s13, 0
	s_cselect_b32 s5, s11, s5
	s_cselect_b32 s4, s10, s4
	s_cbranch_execnz .LBB102_248
.LBB102_247:                            ;   in Loop: Header=BB102_23 Depth=1
	v_cvt_f32_u32_e32 v3, s66
	s_sub_co_i32 s5, 0, s66
	s_delay_alu instid0(VALU_DEP_1) | instskip(NEXT) | instid1(TRANS32_DEP_1)
	v_rcp_iflag_f32_e32 v3, v3
	v_mul_f32_e32 v3, 0x4f7ffffe, v3
	s_delay_alu instid0(VALU_DEP_1) | instskip(NEXT) | instid1(VALU_DEP_1)
	v_cvt_u32_f32_e32 v3, v3
	v_readfirstlane_b32 s4, v3
	s_wait_alu 0xfffe
	s_mul_i32 s5, s5, s4
	s_wait_alu 0xfffe
	s_mul_hi_u32 s5, s4, s5
	s_wait_alu 0xfffe
	s_add_co_i32 s4, s4, s5
	s_wait_alu 0xfffe
	s_mul_hi_u32 s4, s72, s4
	s_wait_alu 0xfffe
	s_mul_i32 s4, s4, s66
	s_wait_alu 0xfffe
	s_sub_co_i32 s4, s72, s4
	s_wait_alu 0xfffe
	s_sub_co_i32 s5, s4, s66
	s_cmp_ge_u32 s4, s66
	s_wait_alu 0xfffe
	s_cselect_b32 s4, s5, s4
	s_wait_alu 0xfffe
	s_sub_co_i32 s5, s4, s66
	s_cmp_ge_u32 s4, s66
	s_wait_alu 0xfffe
	s_cselect_b32 s68, s5, s4
	s_wait_alu 0xfffe
	s_mov_b64 s[4:5], s[68:69]
.LBB102_248:                            ;   in Loop: Header=BB102_23 Depth=1
	s_wait_alu 0xfffe
	s_sub_nc_u64 s[4:5], s[72:73], s[4:5]
	s_mov_b32 s10, exec_lo
                                        ; implicit-def: $vgpr5_vgpr6
	s_wait_alu 0xfffe
	v_cmpx_gt_u64_e64 s[4:5], v[0:1]
	s_cbranch_execz .LBB102_257
; %bb.249:                              ;   in Loop: Header=BB102_23 Depth=1
	v_dual_mov_b32 v8, v1 :: v_dual_mov_b32 v7, v0
	s_mov_b32 s11, 0
                                        ; implicit-def: $sgpr13
	s_branch .LBB102_252
.LBB102_250:                            ;   in Loop: Header=BB102_252 Depth=2
	s_wait_alu 0xfffe
	s_or_b32 exec_lo, exec_lo, s56
	s_wait_loadcnt_dscnt 0x0
	s_barrier_signal -1
	s_barrier_wait -1
	global_inv scope:SCOPE_SE
	ds_load_b128 v[3:6], v16 offset:3072
	s_mov_b32 s57, -1
	s_mov_b32 s56, -1
	s_wait_loadcnt_dscnt 0x0
	s_barrier_signal -1
	s_barrier_wait -1
	global_inv scope:SCOPE_SE
	v_cmp_eq_u64_e32 vcc_lo, 0, v[3:4]
	s_cbranch_vccnz .LBB102_255
.LBB102_251:                            ;   in Loop: Header=BB102_252 Depth=2
	s_wait_alu 0xfffe
	s_and_b32 s57, exec_lo, s57
	s_wait_alu 0xfffe
	s_or_b32 s11, s57, s11
	s_and_not1_b32 s13, s13, exec_lo
	s_and_b32 s56, s56, exec_lo
	s_wait_alu 0xfffe
	s_or_b32 s13, s13, s56
	s_and_not1_b32 exec_lo, exec_lo, s11
	s_cbranch_execz .LBB102_256
.LBB102_252:                            ;   Parent Loop BB102_23 Depth=1
                                        ; =>  This Inner Loop Header: Depth=2
	s_mov_b32 s56, exec_lo
	s_delay_alu instid0(VALU_DEP_1)
	v_cmpx_gt_u64_e64 s[24:25], v[7:8]
	s_cbranch_execz .LBB102_250
; %bb.253:                              ;   in Loop: Header=BB102_252 Depth=2
	v_mul_lo_u32 v5, v8, s54
	v_mul_lo_u32 v6, v7, s55
	v_mad_co_u64_u32 v[3:4], null, v7, s54, 0
	s_delay_alu instid0(VALU_DEP_1) | instskip(NEXT) | instid1(VALU_DEP_1)
	v_add3_u32 v4, v4, v6, v5
	v_lshlrev_b64_e32 v[3:4], 3, v[3:4]
	s_delay_alu instid0(VALU_DEP_1) | instskip(SKIP_1) | instid1(VALU_DEP_2)
	v_add_co_u32 v3, vcc_lo, s62, v3
	s_wait_alu 0xfffd
	v_add_co_ci_u32_e64 v4, null, s63, v4, vcc_lo
	global_load_b64 v[4:5], v[3:4], off
	s_wait_loadcnt 0x0
	v_xor_b32_e32 v3, 0x80000000, v5
	v_and_b32_e32 v11, v4, v23
	s_delay_alu instid0(VALU_DEP_2) | instskip(NEXT) | instid1(VALU_DEP_1)
	v_and_b32_e32 v12, v3, v24
	v_cmp_eq_u64_e32 vcc_lo, v[11:12], v[21:22]
	s_and_b32 exec_lo, exec_lo, vcc_lo
	s_cbranch_execz .LBB102_250
; %bb.254:                              ;   in Loop: Header=BB102_252 Depth=2
	v_mov_b32_e32 v3, v16
	ds_store_b128 v16, v[2:5] offset:3072
	s_branch .LBB102_250
.LBB102_255:                            ;   in Loop: Header=BB102_252 Depth=2
	v_add_co_u32 v7, vcc_lo, v7, s66
	s_wait_alu 0xfffd
	v_add_co_ci_u32_e64 v8, null, 0, v8, vcc_lo
	s_mov_b32 s56, 0
	v_cmp_le_u64_e32 vcc_lo, s[4:5], v[7:8]
	s_or_not1_b32 s57, vcc_lo, exec_lo
	s_branch .LBB102_251
.LBB102_256:                            ;   in Loop: Header=BB102_23 Depth=1
	s_or_b32 exec_lo, exec_lo, s11
	s_delay_alu instid0(SALU_CYCLE_1)
	s_and_not1_b32 s4, s12, exec_lo
	s_wait_alu 0xfffe
	s_and_b32 s5, s13, exec_lo
	s_wait_alu 0xfffe
	s_or_b32 s12, s4, s5
.LBB102_257:                            ;   in Loop: Header=BB102_23 Depth=1
	s_or_b32 exec_lo, exec_lo, s10
	s_mov_b32 s79, 0
	s_mov_b32 s80, -1
.LBB102_258:                            ;   in Loop: Header=BB102_23 Depth=1
	s_wait_alu 0xfffe
	s_or_not1_b32 s5, s12, exec_lo
.LBB102_259:                            ;   in Loop: Header=BB102_23 Depth=1
	s_wait_alu 0xfffe
	s_or_b32 exec_lo, exec_lo, s17
	s_mov_b32 s10, 0
	s_and_saveexec_b32 s4, s5
	s_cbranch_execz .LBB102_270
; %bb.260:                              ;   in Loop: Header=BB102_23 Depth=1
	v_mov_b32_e32 v3, 1
	v_dual_mov_b32 v4, 0 :: v_dual_mov_b32 v13, 1
	s_xor_b32 s10, s16, -1
	s_wait_alu 0xfffe
	s_and_saveexec_b32 s5, s10
	s_cbranch_execz .LBB102_269
; %bb.261:                              ;   in Loop: Header=BB102_23 Depth=1
	s_mov_b32 s10, exec_lo
	v_cmpx_ge_u64_e64 s[6:7], v[9:10]
	s_wait_alu 0xfffe
	s_xor_b32 s10, exec_lo, s10
	s_cbranch_execz .LBB102_266
; %bb.262:                              ;   in Loop: Header=BB102_23 Depth=1
	ds_load_b64 v[3:4], v16 offset:5120
	v_or_b32_e32 v22, s9, v22
	v_or_b32_e32 v21, s8, v21
	;; [unrolled: 1-line block ×4, first 2 shown]
	s_wait_dscnt 0x0
	v_cmp_ne_u64_e32 vcc_lo, 0, v[3:4]
	s_cbranch_vccnz .LBB102_266
; %bb.263:                              ;   in Loop: Header=BB102_23 Depth=1
	s_and_saveexec_b32 s8, s2
; %bb.264:                              ;   in Loop: Header=BB102_23 Depth=1
	v_dual_mov_b32 v3, s6 :: v_dual_mov_b32 v4, s7
	ds_store_b64 v16, v[3:4] offset:5128
; %bb.265:                              ;   in Loop: Header=BB102_23 Depth=1
	s_wait_alu 0xfffe
	s_or_b32 exec_lo, exec_lo, s8
	s_wait_loadcnt_dscnt 0x0
	s_barrier_signal -1
	s_barrier_wait -1
	global_inv scope:SCOPE_SE
.LBB102_266:                            ;   in Loop: Header=BB102_23 Depth=1
	s_wait_alu 0xfffe
	s_and_not1_saveexec_b32 s8, s10
; %bb.267:                              ;   in Loop: Header=BB102_23 Depth=1
	v_sub_co_u32 v9, vcc_lo, v9, s6
	s_wait_alu 0xfffd
	v_subrev_co_ci_u32_e64 v10, null, s7, v10, vcc_lo
; %bb.268:                              ;   in Loop: Header=BB102_23 Depth=1
	s_wait_alu 0xfffe
	s_or_b32 exec_lo, exec_lo, s8
	v_mov_b32_e32 v3, v9
	s_delay_alu instid0(VALU_DEP_2)
	v_dual_mov_b32 v13, 8 :: v_dual_mov_b32 v4, v10
.LBB102_269:                            ;   in Loop: Header=BB102_23 Depth=1
	s_wait_alu 0xfffe
	s_or_b32 exec_lo, exec_lo, s5
	s_delay_alu instid0(VALU_DEP_1)
	v_dual_mov_b32 v10, v4 :: v_dual_mov_b32 v9, v3
	s_mov_b32 s10, exec_lo
.LBB102_270:                            ;   in Loop: Header=BB102_23 Depth=1
	s_wait_alu 0xfffe
	s_or_b32 exec_lo, exec_lo, s4
	s_delay_alu instid0(SALU_CYCLE_1)
	s_or_not1_b32 s4, s10, exec_lo
.LBB102_271:                            ;   in Loop: Header=BB102_23 Depth=1
	s_wait_alu 0xfffe
	s_or_b32 exec_lo, exec_lo, s15
	v_dual_mov_b32 v7, v9 :: v_dual_mov_b32 v8, v10
	s_and_not1_b32 s5, s78, exec_lo
	s_and_b32 s6, s80, exec_lo
	s_and_not1_b32 s7, s77, exec_lo
	s_and_b32 s8, s79, exec_lo
	s_wait_alu 0xfffe
	s_or_b32 s78, s5, s6
	s_or_b32 s77, s7, s8
	s_and_b32 s5, s4, exec_lo
.LBB102_272:                            ;   in Loop: Header=BB102_23 Depth=1
	s_wait_alu 0xfffe
	s_or_b32 exec_lo, exec_lo, s14
	s_delay_alu instid0(SALU_CYCLE_1)
	s_or_not1_b32 s4, s5, exec_lo
.LBB102_273:                            ;   in Loop: Header=BB102_23 Depth=1
	s_or_b32 exec_lo, exec_lo, s76
	v_dual_mov_b32 v12, v8 :: v_dual_mov_b32 v11, v7
	s_and_not1_b32 s5, s22, exec_lo
	s_and_b32 s6, s78, exec_lo
	s_and_not1_b32 s7, s21, exec_lo
	s_and_b32 s8, s77, exec_lo
	s_wait_alu 0xfffe
	s_or_b32 s22, s5, s6
	s_or_b32 s21, s7, s8
	s_and_b32 s5, s4, exec_lo
.LBB102_274:                            ;   in Loop: Header=BB102_23 Depth=1
	s_wait_alu 0xfffe
	s_or_b32 exec_lo, exec_lo, s23
	s_delay_alu instid0(SALU_CYCLE_1)
	s_or_not1_b32 s4, s5, exec_lo
.LBB102_275:                            ;   in Loop: Header=BB102_23 Depth=1
	s_wait_alu 0xfffe
	s_or_b32 exec_lo, exec_lo, s20
	s_mov_b32 s5, 0
	s_and_saveexec_b32 s6, s4
	s_wait_alu 0xfffe
	s_xor_b32 s4, exec_lo, s6
	s_cbranch_execz .LBB102_21
; %bb.276:                              ;   in Loop: Header=BB102_23 Depth=1
	v_and_b32_e32 v3, 7, v13
	s_mov_b32 s6, -1
	s_mov_b32 s5, -1
	s_mov_b32 s7, exec_lo
	s_delay_alu instid0(VALU_DEP_1)
	v_cmpx_eq_u32_e32 0, v3
	s_cbranch_execz .LBB102_20
; %bb.277:                              ;   in Loop: Header=BB102_23 Depth=1
	s_xor_b32 s96, s96, 1
	s_add_co_i32 s8, s93, -2
	s_cmp_eq_u32 s93, 0
	s_wait_alu 0xfffe
	s_mov_b32 s93, s8
	s_cselect_b32 s6, -1, 0
	s_xor_b32 s5, exec_lo, -1
	s_wait_alu 0xfffe
	s_or_not1_b32 s6, s6, exec_lo
	s_branch .LBB102_20
.LBB102_278:                            ;   in Loop: Header=BB102_23 Depth=1
                                        ; implicit-def: $sgpr12_sgpr13
	s_branch .LBB102_231
.LBB102_279:                            ;   in Loop: Header=BB102_23 Depth=1
                                        ; implicit-def: $sgpr4_sgpr5
	s_branch .LBB102_247
.LBB102_280:
	s_or_b32 exec_lo, exec_lo, s94
	s_wait_alu 0xfffe
	s_xor_b32 s4, s102, -1
	s_xor_b32 s1, s100, -1
	;; [unrolled: 1-line block ×3, first 2 shown]
	s_mov_b32 s2, 0
	s_and_saveexec_b32 s5, s1
	s_wait_alu 0xfffe
	s_xor_b32 s1, exec_lo, s5
	s_cbranch_execnz .LBB102_285
; %bb.281:
	s_and_not1_saveexec_b32 s0, s1
	s_cbranch_execnz .LBB102_298
.LBB102_282:
	s_or_b32 exec_lo, exec_lo, s0
	s_and_saveexec_b32 s0, s2
.LBB102_283:
	; divergent unreachable
.LBB102_284:
	s_endpgm
.LBB102_285:
	s_and_saveexec_b32 s2, s4
	s_delay_alu instid0(SALU_CYCLE_1)
	s_xor_b32 s2, exec_lo, s2
	s_cbranch_execz .LBB102_296
; %bb.286:
	s_and_saveexec_b32 s4, s3
	s_wait_alu 0xfffe
	s_xor_b32 s3, exec_lo, s4
; %bb.287:
	v_xor_b32_e32 v22, 0x80000000, v22
	s_delay_alu instid0(VALU_DEP_1)
	v_dual_mov_b32 v5, v21 :: v_dual_mov_b32 v6, v22
; %bb.288:
	s_or_b32 exec_lo, exec_lo, s3
	s_mul_u64 s[4:5], s[52:53], s[36:37]
	s_mul_u64 s[6:7], s[52:53], s[44:45]
	s_wait_alu 0xfffe
	s_sub_nc_u64 s[4:5], s[50:51], s[4:5]
	s_mul_u64 s[8:9], s[50:51], s[38:39]
	s_wait_alu 0xfffe
	s_mul_u64 s[4:5], s[4:5], s[46:47]
	s_lshl_b64 s[6:7], s[6:7], 3
	s_sub_nc_u64 s[8:9], s[34:35], s[8:9]
	s_wait_alu 0xfffe
	s_add_nc_u64 s[6:7], s[64:65], s[6:7]
	s_lshl_b64 s[4:5], s[4:5], 3
	s_mul_u64 s[8:9], s[8:9], s[60:61]
	v_mov_b32_e32 v2, 0
	s_wait_alu 0xfffe
	s_add_nc_u64 s[4:5], s[6:7], s[4:5]
	s_lshl_b64 s[6:7], s[8:9], 3
	s_wait_alu 0xfffe
	s_add_nc_u64 s[4:5], s[4:5], s[6:7]
	global_store_b64 v2, v[5:6], s[4:5]
	s_and_saveexec_b32 s3, s0
	s_cbranch_execz .LBB102_295
; %bb.289:
	s_mov_b32 s0, 0
                                        ; implicit-def: $sgpr4
                                        ; implicit-def: $sgpr6
                                        ; implicit-def: $sgpr5
	s_branch .LBB102_291
.LBB102_290:                            ;   in Loop: Header=BB102_291 Depth=1
	s_wait_alu 0xfffe
	s_or_b32 exec_lo, exec_lo, s7
	s_delay_alu instid0(SALU_CYCLE_1)
	s_and_b32 s7, exec_lo, s6
	s_wait_alu 0xfffe
	s_or_b32 s0, s7, s0
	s_and_not1_b32 s4, s4, exec_lo
	s_and_b32 s7, s5, exec_lo
	s_wait_alu 0xfffe
	s_or_b32 s4, s4, s7
	s_and_not1_b32 exec_lo, exec_lo, s0
	s_cbranch_execz .LBB102_293
.LBB102_291:                            ; =>This Inner Loop Header: Depth=1
	v_dual_mov_b32 v3, v1 :: v_dual_mov_b32 v2, v0
	s_wait_alu 0xfffe
	s_or_b32 s5, s5, exec_lo
	s_or_b32 s6, s6, exec_lo
	s_delay_alu instid0(VALU_DEP_1) | instskip(SKIP_2) | instid1(VALU_DEP_1)
	v_mul_lo_u32 v4, v3, s54
	v_mul_lo_u32 v7, v2, s55
	v_mad_co_u64_u32 v[0:1], null, v2, s54, 0
	v_add3_u32 v1, v1, v7, v4
	s_delay_alu instid0(VALU_DEP_1) | instskip(NEXT) | instid1(VALU_DEP_1)
	v_lshlrev_b64_e32 v[0:1], 3, v[0:1]
	v_add_co_u32 v0, vcc_lo, s62, v0
	s_wait_alu 0xfffd
	s_delay_alu instid0(VALU_DEP_2)
	v_add_co_ci_u32_e64 v1, null, s63, v1, vcc_lo
	global_load_b64 v[0:1], v[0:1], off
	s_wait_loadcnt 0x0
	v_cmp_ne_u64_e32 vcc_lo, v[0:1], v[5:6]
                                        ; implicit-def: $vgpr0_vgpr1
	s_and_saveexec_b32 s7, vcc_lo
	s_cbranch_execz .LBB102_290
; %bb.292:                              ;   in Loop: Header=BB102_291 Depth=1
	v_add_co_u32 v0, vcc_lo, v2, s66
	s_wait_alu 0xfffd
	v_add_co_ci_u32_e64 v1, null, 0, v3, vcc_lo
	s_wait_alu 0xfffe
	s_and_not1_b32 s6, s6, exec_lo
	s_and_not1_b32 s5, s5, exec_lo
	s_delay_alu instid0(VALU_DEP_1)
	v_cmp_le_u64_e32 vcc_lo, s[24:25], v[0:1]
	s_and_b32 s8, vcc_lo, exec_lo
	s_wait_alu 0xfffe
	s_or_b32 s6, s6, s8
	s_branch .LBB102_290
.LBB102_293:
	s_or_b32 exec_lo, exec_lo, s0
	s_wait_alu 0xfffe
	s_and_saveexec_b32 s0, s4
	s_delay_alu instid0(SALU_CYCLE_1)
	s_xor_b32 s0, exec_lo, s0
	s_cbranch_execz .LBB102_295
; %bb.294:
	v_readlane_b32 s10, v44, 2
	v_readlane_b32 s11, v44, 3
	s_mul_u64 s[6:7], s[48:49], s[40:41]
	s_mul_u64 s[4:5], s[48:49], s[28:29]
	s_wait_alu 0xfffe
	s_lshl_b64 s[6:7], s[6:7], 3
	s_sub_nc_u64 s[4:5], s[26:27], s[4:5]
	s_wait_alu 0xfffe
	s_add_nc_u64 s[6:7], s[10:11], s[6:7]
	v_readlane_b32 s10, v44, 0
	v_readlane_b32 s11, v44, 1
	s_mul_u64 s[8:9], s[26:27], s[30:31]
	s_mul_u64 s[4:5], s[4:5], s[42:43]
	s_wait_alu 0xfffe
	s_sub_nc_u64 s[8:9], s[34:35], s[8:9]
	s_lshl_b64 s[4:5], s[4:5], 3
	s_wait_alu 0xfffe
	s_mul_u64 s[8:9], s[8:9], s[10:11]
	v_mov_b32_e32 v0, 0
	s_add_nc_u64 s[4:5], s[6:7], s[4:5]
	s_wait_alu 0xfffe
	s_lshl_b64 s[6:7], s[8:9], 3
	s_wait_alu 0xfffe
	s_add_nc_u64 s[4:5], s[4:5], s[6:7]
	global_store_b64 v0, v[2:3], s[4:5]
.LBB102_295:
	s_or_b32 exec_lo, exec_lo, s3
.LBB102_296:
	s_or_saveexec_b32 s0, s2
	s_mov_b32 s2, 0
	s_xor_b32 exec_lo, exec_lo, s0
	s_cbranch_execnz .LBB102_299
.LBB102_297:
	s_or_b32 exec_lo, exec_lo, s0
	s_delay_alu instid0(SALU_CYCLE_1)
	s_and_b32 s2, s2, exec_lo
	s_and_not1_saveexec_b32 s0, s1
	s_cbranch_execz .LBB102_282
.LBB102_298:
	s_or_b32 s2, s2, exec_lo
	s_trap 2
	s_or_b32 exec_lo, exec_lo, s0
	s_and_saveexec_b32 s0, s2
	s_cbranch_execnz .LBB102_283
	s_branch .LBB102_284
.LBB102_299:
	s_mov_b32 s2, exec_lo
	s_trap 2
	s_branch .LBB102_297
	.section	.rodata,"a",@progbits
	.p2align	6, 0x0
	.amdhsa_kernel _ZN2at6native12_GLOBAL__N_112gatherMedianIlmLi3EEEvNS_4cuda6detail10TensorInfoIT_T0_EENS5_IlS7_EENS5_IKS6_S7_EES7_S7_S7_b
		.amdhsa_group_segment_fixed_size 5152
		.amdhsa_private_segment_fixed_size 0
		.amdhsa_kernarg_size 1536
		.amdhsa_user_sgpr_count 2
		.amdhsa_user_sgpr_dispatch_ptr 0
		.amdhsa_user_sgpr_queue_ptr 0
		.amdhsa_user_sgpr_kernarg_segment_ptr 1
		.amdhsa_user_sgpr_dispatch_id 0
		.amdhsa_user_sgpr_private_segment_size 0
		.amdhsa_wavefront_size32 1
		.amdhsa_uses_dynamic_stack 0
		.amdhsa_enable_private_segment 0
		.amdhsa_system_sgpr_workgroup_id_x 1
		.amdhsa_system_sgpr_workgroup_id_y 1
		.amdhsa_system_sgpr_workgroup_id_z 1
		.amdhsa_system_sgpr_workgroup_info 0
		.amdhsa_system_vgpr_workitem_id 0
		.amdhsa_next_free_vgpr 45
		.amdhsa_next_free_sgpr 105
		.amdhsa_reserve_vcc 1
		.amdhsa_float_round_mode_32 0
		.amdhsa_float_round_mode_16_64 0
		.amdhsa_float_denorm_mode_32 3
		.amdhsa_float_denorm_mode_16_64 3
		.amdhsa_fp16_overflow 0
		.amdhsa_workgroup_processor_mode 1
		.amdhsa_memory_ordered 1
		.amdhsa_forward_progress 1
		.amdhsa_inst_pref_size 146
		.amdhsa_round_robin_scheduling 0
		.amdhsa_exception_fp_ieee_invalid_op 0
		.amdhsa_exception_fp_denorm_src 0
		.amdhsa_exception_fp_ieee_div_zero 0
		.amdhsa_exception_fp_ieee_overflow 0
		.amdhsa_exception_fp_ieee_underflow 0
		.amdhsa_exception_fp_ieee_inexact 0
		.amdhsa_exception_int_div_zero 0
	.end_amdhsa_kernel
	.section	.text._ZN2at6native12_GLOBAL__N_112gatherMedianIlmLi3EEEvNS_4cuda6detail10TensorInfoIT_T0_EENS5_IlS7_EENS5_IKS6_S7_EES7_S7_S7_b,"axG",@progbits,_ZN2at6native12_GLOBAL__N_112gatherMedianIlmLi3EEEvNS_4cuda6detail10TensorInfoIT_T0_EENS5_IlS7_EENS5_IKS6_S7_EES7_S7_S7_b,comdat
.Lfunc_end102:
	.size	_ZN2at6native12_GLOBAL__N_112gatherMedianIlmLi3EEEvNS_4cuda6detail10TensorInfoIT_T0_EENS5_IlS7_EENS5_IKS6_S7_EES7_S7_S7_b, .Lfunc_end102-_ZN2at6native12_GLOBAL__N_112gatherMedianIlmLi3EEEvNS_4cuda6detail10TensorInfoIT_T0_EENS5_IlS7_EENS5_IKS6_S7_EES7_S7_S7_b
                                        ; -- End function
	.set _ZN2at6native12_GLOBAL__N_112gatherMedianIlmLi3EEEvNS_4cuda6detail10TensorInfoIT_T0_EENS5_IlS7_EENS5_IKS6_S7_EES7_S7_S7_b.num_vgpr, 45
	.set _ZN2at6native12_GLOBAL__N_112gatherMedianIlmLi3EEEvNS_4cuda6detail10TensorInfoIT_T0_EENS5_IlS7_EENS5_IKS6_S7_EES7_S7_S7_b.num_agpr, 0
	.set _ZN2at6native12_GLOBAL__N_112gatherMedianIlmLi3EEEvNS_4cuda6detail10TensorInfoIT_T0_EENS5_IlS7_EENS5_IKS6_S7_EES7_S7_S7_b.numbered_sgpr, 105
	.set _ZN2at6native12_GLOBAL__N_112gatherMedianIlmLi3EEEvNS_4cuda6detail10TensorInfoIT_T0_EENS5_IlS7_EENS5_IKS6_S7_EES7_S7_S7_b.num_named_barrier, 0
	.set _ZN2at6native12_GLOBAL__N_112gatherMedianIlmLi3EEEvNS_4cuda6detail10TensorInfoIT_T0_EENS5_IlS7_EENS5_IKS6_S7_EES7_S7_S7_b.private_seg_size, 0
	.set _ZN2at6native12_GLOBAL__N_112gatherMedianIlmLi3EEEvNS_4cuda6detail10TensorInfoIT_T0_EENS5_IlS7_EENS5_IKS6_S7_EES7_S7_S7_b.uses_vcc, 1
	.set _ZN2at6native12_GLOBAL__N_112gatherMedianIlmLi3EEEvNS_4cuda6detail10TensorInfoIT_T0_EENS5_IlS7_EENS5_IKS6_S7_EES7_S7_S7_b.uses_flat_scratch, 0
	.set _ZN2at6native12_GLOBAL__N_112gatherMedianIlmLi3EEEvNS_4cuda6detail10TensorInfoIT_T0_EENS5_IlS7_EENS5_IKS6_S7_EES7_S7_S7_b.has_dyn_sized_stack, 0
	.set _ZN2at6native12_GLOBAL__N_112gatherMedianIlmLi3EEEvNS_4cuda6detail10TensorInfoIT_T0_EENS5_IlS7_EENS5_IKS6_S7_EES7_S7_S7_b.has_recursion, 0
	.set _ZN2at6native12_GLOBAL__N_112gatherMedianIlmLi3EEEvNS_4cuda6detail10TensorInfoIT_T0_EENS5_IlS7_EENS5_IKS6_S7_EES7_S7_S7_b.has_indirect_call, 0
	.section	.AMDGPU.csdata,"",@progbits
; Kernel info:
; codeLenInByte = 18612
; TotalNumSgprs: 107
; NumVgprs: 45
; ScratchSize: 0
; MemoryBound: 0
; FloatMode: 240
; IeeeMode: 1
; LDSByteSize: 5152 bytes/workgroup (compile time only)
; SGPRBlocks: 0
; VGPRBlocks: 5
; NumSGPRsForWavesPerEU: 107
; NumVGPRsForWavesPerEU: 45
; Occupancy: 16
; WaveLimiterHint : 1
; COMPUTE_PGM_RSRC2:SCRATCH_EN: 0
; COMPUTE_PGM_RSRC2:USER_SGPR: 2
; COMPUTE_PGM_RSRC2:TRAP_HANDLER: 0
; COMPUTE_PGM_RSRC2:TGID_X_EN: 1
; COMPUTE_PGM_RSRC2:TGID_Y_EN: 1
; COMPUTE_PGM_RSRC2:TGID_Z_EN: 1
; COMPUTE_PGM_RSRC2:TIDIG_COMP_CNT: 0
	.section	.text._ZN2at6native12_GLOBAL__N_112gatherMedianIlmLin1EEEvNS_4cuda6detail10TensorInfoIT_T0_EENS5_IlS7_EENS5_IKS6_S7_EES7_S7_S7_b,"axG",@progbits,_ZN2at6native12_GLOBAL__N_112gatherMedianIlmLin1EEEvNS_4cuda6detail10TensorInfoIT_T0_EENS5_IlS7_EENS5_IKS6_S7_EES7_S7_S7_b,comdat
	.globl	_ZN2at6native12_GLOBAL__N_112gatherMedianIlmLin1EEEvNS_4cuda6detail10TensorInfoIT_T0_EENS5_IlS7_EENS5_IKS6_S7_EES7_S7_S7_b ; -- Begin function _ZN2at6native12_GLOBAL__N_112gatherMedianIlmLin1EEEvNS_4cuda6detail10TensorInfoIT_T0_EENS5_IlS7_EENS5_IKS6_S7_EES7_S7_S7_b
	.p2align	8
	.type	_ZN2at6native12_GLOBAL__N_112gatherMedianIlmLin1EEEvNS_4cuda6detail10TensorInfoIT_T0_EENS5_IlS7_EENS5_IKS6_S7_EES7_S7_S7_b,@function
_ZN2at6native12_GLOBAL__N_112gatherMedianIlmLin1EEEvNS_4cuda6detail10TensorInfoIT_T0_EENS5_IlS7_EENS5_IKS6_S7_EES7_S7_S7_b: ; @_ZN2at6native12_GLOBAL__N_112gatherMedianIlmLin1EEEvNS_4cuda6detail10TensorInfoIT_T0_EENS5_IlS7_EENS5_IKS6_S7_EES7_S7_S7_b
; %bb.0:
	s_clause 0x1
	s_load_b64 s[4:5], s[0:1], 0x500
	s_load_b128 s[24:27], s[0:1], 0x4e0
	s_lshr_b32 s2, ttmp7, 16
	s_and_b32 s3, ttmp7, 0xffff
	s_wait_kmcnt 0x0
	s_mul_i32 s2, s5, s2
	s_delay_alu instid0(SALU_CYCLE_1) | instskip(SKIP_2) | instid1(SALU_CYCLE_1)
	s_add_co_i32 s2, s2, s3
	s_mov_b32 s3, 0
	s_mul_i32 s2, s2, s4
	s_add_co_i32 s2, s2, ttmp9
	s_delay_alu instid0(SALU_CYCLE_1)
	v_cmp_le_u64_e64 s5, s[26:27], s[2:3]
	s_and_b32 vcc_lo, exec_lo, s5
	s_cbranch_vccnz .LBB103_297
; %bb.1:
	s_clause 0x1
	s_load_b32 s5, s[0:1], 0x198
	s_load_b64 s[28:29], s[0:1], 0x4f0
	s_mov_b64 s[26:27], 0
	s_mov_b64 s[34:35], s[2:3]
	s_wait_kmcnt 0x0
	s_cmp_lt_i32 s5, 2
	s_cbranch_scc1 .LBB103_9
; %bb.2:
	s_mov_b32 s6, 0
	s_add_co_i32 s8, s5, -1
	s_mov_b32 s9, s6
	s_add_co_i32 s5, s5, 1
	s_lshl_b64 s[8:9], s[8:9], 3
	s_mov_b64 s[10:11], s[2:3]
	s_add_nc_u64 s[8:9], s[0:1], s[8:9]
	s_delay_alu instid0(SALU_CYCLE_1)
	s_add_nc_u64 s[8:9], s[8:9], 8
.LBB103_3:                              ; =>This Inner Loop Header: Depth=1
	s_load_b64 s[12:13], s[8:9], 0x0
                                        ; implicit-def: $sgpr34_sgpr35
	s_wait_kmcnt 0x0
	s_or_b64 s[14:15], s[10:11], s[12:13]
	s_delay_alu instid0(SALU_CYCLE_1)
	s_mov_b32 s7, s15
	s_wait_alu 0xfffe
	s_cmp_lg_u64 s[6:7], 0
	s_mov_b32 s7, -1
	s_cbranch_scc0 .LBB103_5
; %bb.4:                                ;   in Loop: Header=BB103_3 Depth=1
	s_cvt_f32_u32 s7, s12
	s_cvt_f32_u32 s14, s13
	s_sub_nc_u64 s[16:17], 0, s[12:13]
	s_mov_b32 s19, s6
	s_mov_b32 s23, s6
	s_wait_alu 0xfffe
	s_fmamk_f32 s7, s14, 0x4f800000, s7
	s_wait_alu 0xfffe
	s_delay_alu instid0(SALU_CYCLE_2) | instskip(NEXT) | instid1(TRANS32_DEP_1)
	v_s_rcp_f32 s7, s7
	s_mul_f32 s7, s7, 0x5f7ffffc
	s_wait_alu 0xfffe
	s_delay_alu instid0(SALU_CYCLE_2) | instskip(NEXT) | instid1(SALU_CYCLE_3)
	s_mul_f32 s14, s7, 0x2f800000
	s_trunc_f32 s14, s14
	s_delay_alu instid0(SALU_CYCLE_3) | instskip(SKIP_2) | instid1(SALU_CYCLE_1)
	s_fmamk_f32 s7, s14, 0xcf800000, s7
	s_cvt_u32_f32 s15, s14
	s_wait_alu 0xfffe
	s_cvt_u32_f32 s14, s7
	s_delay_alu instid0(SALU_CYCLE_3) | instskip(NEXT) | instid1(SALU_CYCLE_1)
	s_mul_u64 s[20:21], s[16:17], s[14:15]
	s_mul_hi_u32 s31, s14, s21
	s_mul_i32 s30, s14, s21
	s_mul_hi_u32 s18, s14, s20
	s_mul_i32 s22, s15, s20
	s_add_nc_u64 s[18:19], s[18:19], s[30:31]
	s_mul_hi_u32 s7, s15, s20
	s_mul_hi_u32 s33, s15, s21
	s_add_co_u32 s18, s18, s22
	s_wait_alu 0xfffe
	s_add_co_ci_u32 s22, s19, s7
	s_mul_i32 s20, s15, s21
	s_add_co_ci_u32 s21, s33, 0
	s_delay_alu instid0(SALU_CYCLE_1)
	s_add_nc_u64 s[18:19], s[22:23], s[20:21]
	s_mov_b32 s21, s6
	s_add_co_u32 s14, s14, s18
	s_cselect_b32 s7, -1, 0
	s_wait_alu 0xfffe
	s_cmp_lg_u32 s7, 0
	s_add_co_ci_u32 s15, s15, s19
	s_mov_b32 s19, s6
	s_mul_u64 s[16:17], s[16:17], s[14:15]
	s_delay_alu instid0(SALU_CYCLE_1)
	s_mul_hi_u32 s23, s14, s17
	s_mul_i32 s22, s14, s17
	s_mul_hi_u32 s18, s14, s16
	s_mul_i32 s20, s15, s16
	s_add_nc_u64 s[18:19], s[18:19], s[22:23]
	s_mul_hi_u32 s7, s15, s16
	s_mul_hi_u32 s30, s15, s17
	s_mul_i32 s16, s15, s17
	s_add_co_u32 s17, s18, s20
	s_wait_alu 0xfffe
	s_add_co_ci_u32 s20, s19, s7
	s_add_co_ci_u32 s17, s30, 0
	s_mov_b32 s19, s6
	s_add_nc_u64 s[16:17], s[20:21], s[16:17]
	s_delay_alu instid0(SALU_CYCLE_1)
	s_add_co_u32 s7, s14, s16
	s_cselect_b32 s14, -1, 0
	s_wait_alu 0xfffe
	s_mul_hi_u32 s18, s10, s7
	s_cmp_lg_u32 s14, 0
	s_mul_hi_u32 s20, s11, s7
	s_add_co_ci_u32 s16, s15, s17
	s_mul_i32 s7, s11, s7
	s_mul_hi_u32 s15, s10, s16
	s_mul_i32 s14, s10, s16
	s_mul_hi_u32 s17, s11, s16
	s_add_nc_u64 s[14:15], s[18:19], s[14:15]
	s_mul_i32 s16, s11, s16
	s_wait_alu 0xfffe
	s_add_co_u32 s7, s14, s7
	s_add_co_ci_u32 s20, s15, s20
	s_add_co_ci_u32 s17, s17, 0
	s_delay_alu instid0(SALU_CYCLE_1) | instskip(NEXT) | instid1(SALU_CYCLE_1)
	s_add_nc_u64 s[14:15], s[20:21], s[16:17]
	s_mul_u64 s[16:17], s[12:13], s[14:15]
	s_delay_alu instid0(SALU_CYCLE_1)
	s_sub_co_u32 s7, s10, s16
	s_cselect_b32 s16, -1, 0
	s_sub_co_i32 s18, s11, s17
	s_cmp_lg_u32 s16, 0
	s_sub_co_ci_u32 s18, s18, s13
	s_wait_alu 0xfffe
	s_sub_co_u32 s19, s7, s12
	s_cselect_b32 s20, -1, 0
	s_delay_alu instid0(SALU_CYCLE_1) | instskip(SKIP_1) | instid1(SALU_CYCLE_1)
	s_cmp_lg_u32 s20, 0
	s_sub_co_ci_u32 s18, s18, 0
	s_cmp_ge_u32 s18, s13
	s_cselect_b32 s20, -1, 0
	s_cmp_ge_u32 s19, s12
	s_cselect_b32 s21, -1, 0
	s_cmp_eq_u32 s18, s13
	s_add_nc_u64 s[18:19], s[14:15], 1
	s_cselect_b32 s22, s21, s20
	s_add_nc_u64 s[20:21], s[14:15], 2
	s_cmp_lg_u32 s22, 0
	s_cselect_b32 s18, s20, s18
	s_cselect_b32 s19, s21, s19
	s_cmp_lg_u32 s16, 0
	s_sub_co_ci_u32 s16, s11, s17
	s_delay_alu instid0(SALU_CYCLE_1)
	s_cmp_ge_u32 s16, s13
	s_cselect_b32 s17, -1, 0
	s_cmp_ge_u32 s7, s12
	s_cselect_b32 s7, -1, 0
	s_cmp_eq_u32 s16, s13
	s_wait_alu 0xfffe
	s_cselect_b32 s7, s7, s17
	s_wait_alu 0xfffe
	s_cmp_lg_u32 s7, 0
	s_mov_b32 s7, 0
	s_cselect_b32 s35, s19, s15
	s_cselect_b32 s34, s18, s14
.LBB103_5:                              ;   in Loop: Header=BB103_3 Depth=1
	s_wait_alu 0xfffe
	s_and_not1_b32 vcc_lo, exec_lo, s7
	s_cbranch_vccnz .LBB103_7
; %bb.6:                                ;   in Loop: Header=BB103_3 Depth=1
	v_cvt_f32_u32_e32 v1, s12
	s_sub_co_i32 s14, 0, s12
	s_mov_b32 s35, s6
	s_delay_alu instid0(VALU_DEP_1) | instskip(NEXT) | instid1(TRANS32_DEP_1)
	v_rcp_iflag_f32_e32 v1, v1
	v_mul_f32_e32 v1, 0x4f7ffffe, v1
	s_delay_alu instid0(VALU_DEP_1) | instskip(NEXT) | instid1(VALU_DEP_1)
	v_cvt_u32_f32_e32 v1, v1
	v_readfirstlane_b32 s7, v1
	s_mul_i32 s14, s14, s7
	s_delay_alu instid0(SALU_CYCLE_1) | instskip(NEXT) | instid1(SALU_CYCLE_1)
	s_mul_hi_u32 s14, s7, s14
	s_add_co_i32 s7, s7, s14
	s_wait_alu 0xfffe
	s_mul_hi_u32 s7, s10, s7
	s_wait_alu 0xfffe
	s_mul_i32 s14, s7, s12
	s_add_co_i32 s15, s7, 1
	s_sub_co_i32 s14, s10, s14
	s_delay_alu instid0(SALU_CYCLE_1)
	s_sub_co_i32 s16, s14, s12
	s_cmp_ge_u32 s14, s12
	s_cselect_b32 s7, s15, s7
	s_cselect_b32 s14, s16, s14
	s_wait_alu 0xfffe
	s_add_co_i32 s15, s7, 1
	s_cmp_ge_u32 s14, s12
	s_cselect_b32 s34, s15, s7
.LBB103_7:                              ;   in Loop: Header=BB103_3 Depth=1
	s_load_b64 s[14:15], s[8:9], 0xc8
	s_mul_u64 s[12:13], s[34:35], s[12:13]
	s_add_co_i32 s5, s5, -1
	s_wait_alu 0xfffe
	s_sub_nc_u64 s[10:11], s[10:11], s[12:13]
	s_cmp_gt_u32 s5, 2
	s_add_nc_u64 s[8:9], s[8:9], -8
	s_wait_kmcnt 0x0
	s_mul_u64 s[10:11], s[14:15], s[10:11]
	s_delay_alu instid0(SALU_CYCLE_1)
	s_add_nc_u64 s[26:27], s[10:11], s[26:27]
	s_cbranch_scc0 .LBB103_9
; %bb.8:                                ;   in Loop: Header=BB103_3 Depth=1
	s_mov_b64 s[10:11], s[34:35]
	s_branch .LBB103_3
.LBB103_9:
	s_load_b32 s5, s[0:1], 0x338
	s_add_nc_u64 s[6:7], s[0:1], 0x500
	s_add_nc_u64 s[8:9], s[0:1], 0x1a0
	s_mov_b64 s[30:31], 0
	s_mov_b64 s[36:37], s[2:3]
	s_wait_kmcnt 0x0
	s_cmp_lt_i32 s5, 2
	s_cbranch_scc1 .LBB103_17
; %bb.10:
	s_mov_b32 s10, 0
	s_add_co_i32 s12, s5, -1
	s_mov_b32 s13, s10
	s_add_co_i32 s5, s5, 1
	s_wait_alu 0xfffe
	s_lshl_b64 s[12:13], s[12:13], 3
	s_mov_b64 s[14:15], s[2:3]
	s_wait_alu 0xfffe
	s_add_nc_u64 s[12:13], s[8:9], s[12:13]
	s_wait_alu 0xfffe
	s_add_nc_u64 s[12:13], s[12:13], 8
.LBB103_11:                             ; =>This Inner Loop Header: Depth=1
	s_load_b64 s[16:17], s[12:13], 0x0
                                        ; implicit-def: $sgpr36_sgpr37
	s_wait_kmcnt 0x0
	s_or_b64 s[18:19], s[14:15], s[16:17]
	s_delay_alu instid0(SALU_CYCLE_1)
	s_mov_b32 s11, s19
	s_wait_alu 0xfffe
	s_cmp_lg_u64 s[10:11], 0
	s_mov_b32 s11, -1
	s_cbranch_scc0 .LBB103_13
; %bb.12:                               ;   in Loop: Header=BB103_11 Depth=1
	s_cvt_f32_u32 s11, s16
	s_cvt_f32_u32 s18, s17
	s_sub_nc_u64 s[20:21], 0, s[16:17]
	s_mov_b32 s23, s10
	s_mov_b32 s39, s10
	s_wait_alu 0xfffe
	s_fmamk_f32 s11, s18, 0x4f800000, s11
	s_wait_alu 0xfffe
	s_delay_alu instid0(SALU_CYCLE_2) | instskip(NEXT) | instid1(TRANS32_DEP_1)
	v_s_rcp_f32 s11, s11
	s_mul_f32 s11, s11, 0x5f7ffffc
	s_wait_alu 0xfffe
	s_delay_alu instid0(SALU_CYCLE_2) | instskip(NEXT) | instid1(SALU_CYCLE_3)
	s_mul_f32 s18, s11, 0x2f800000
	s_trunc_f32 s18, s18
	s_delay_alu instid0(SALU_CYCLE_3) | instskip(SKIP_2) | instid1(SALU_CYCLE_1)
	s_fmamk_f32 s11, s18, 0xcf800000, s11
	s_cvt_u32_f32 s19, s18
	s_wait_alu 0xfffe
	s_cvt_u32_f32 s18, s11
	s_delay_alu instid0(SALU_CYCLE_3) | instskip(NEXT) | instid1(SALU_CYCLE_1)
	s_mul_u64 s[36:37], s[20:21], s[18:19]
	s_mul_hi_u32 s41, s18, s37
	s_mul_i32 s40, s18, s37
	s_mul_hi_u32 s22, s18, s36
	s_mul_i32 s33, s19, s36
	s_add_nc_u64 s[22:23], s[22:23], s[40:41]
	s_mul_hi_u32 s11, s19, s36
	s_mul_hi_u32 s42, s19, s37
	s_add_co_u32 s22, s22, s33
	s_wait_alu 0xfffe
	s_add_co_ci_u32 s38, s23, s11
	s_mul_i32 s36, s19, s37
	s_add_co_ci_u32 s37, s42, 0
	s_delay_alu instid0(SALU_CYCLE_1)
	s_add_nc_u64 s[22:23], s[38:39], s[36:37]
	s_mov_b32 s37, s10
	s_add_co_u32 s18, s18, s22
	s_cselect_b32 s11, -1, 0
	s_wait_alu 0xfffe
	s_cmp_lg_u32 s11, 0
	s_add_co_ci_u32 s19, s19, s23
	s_mov_b32 s23, s10
	s_mul_u64 s[20:21], s[20:21], s[18:19]
	s_delay_alu instid0(SALU_CYCLE_1)
	s_mul_hi_u32 s39, s18, s21
	s_mul_i32 s38, s18, s21
	s_mul_hi_u32 s22, s18, s20
	s_mul_i32 s33, s19, s20
	s_add_nc_u64 s[22:23], s[22:23], s[38:39]
	s_mul_hi_u32 s11, s19, s20
	s_mul_hi_u32 s40, s19, s21
	s_mul_i32 s20, s19, s21
	s_add_co_u32 s21, s22, s33
	s_wait_alu 0xfffe
	s_add_co_ci_u32 s36, s23, s11
	s_add_co_ci_u32 s21, s40, 0
	s_mov_b32 s23, s10
	s_add_nc_u64 s[20:21], s[36:37], s[20:21]
	s_delay_alu instid0(SALU_CYCLE_1)
	s_add_co_u32 s11, s18, s20
	s_cselect_b32 s18, -1, 0
	s_wait_alu 0xfffe
	s_mul_hi_u32 s22, s14, s11
	s_cmp_lg_u32 s18, 0
	s_mul_hi_u32 s33, s15, s11
	s_add_co_ci_u32 s20, s19, s21
	s_mul_i32 s11, s15, s11
	s_mul_hi_u32 s19, s14, s20
	s_mul_i32 s18, s14, s20
	s_mul_hi_u32 s21, s15, s20
	s_add_nc_u64 s[18:19], s[22:23], s[18:19]
	s_mul_i32 s20, s15, s20
	s_wait_alu 0xfffe
	s_add_co_u32 s11, s18, s11
	s_add_co_ci_u32 s36, s19, s33
	s_add_co_ci_u32 s21, s21, 0
	s_delay_alu instid0(SALU_CYCLE_1) | instskip(NEXT) | instid1(SALU_CYCLE_1)
	s_add_nc_u64 s[18:19], s[36:37], s[20:21]
	s_mul_u64 s[20:21], s[16:17], s[18:19]
	s_delay_alu instid0(SALU_CYCLE_1)
	s_sub_co_u32 s11, s14, s20
	s_cselect_b32 s20, -1, 0
	s_sub_co_i32 s22, s15, s21
	s_cmp_lg_u32 s20, 0
	s_sub_co_ci_u32 s22, s22, s17
	s_wait_alu 0xfffe
	s_sub_co_u32 s23, s11, s16
	s_cselect_b32 s33, -1, 0
	s_delay_alu instid0(SALU_CYCLE_1) | instskip(SKIP_1) | instid1(SALU_CYCLE_1)
	s_cmp_lg_u32 s33, 0
	s_sub_co_ci_u32 s22, s22, 0
	s_cmp_ge_u32 s22, s17
	s_cselect_b32 s33, -1, 0
	s_cmp_ge_u32 s23, s16
	s_cselect_b32 s36, -1, 0
	s_cmp_eq_u32 s22, s17
	s_add_nc_u64 s[22:23], s[18:19], 1
	s_cselect_b32 s33, s36, s33
	s_add_nc_u64 s[36:37], s[18:19], 2
	s_cmp_lg_u32 s33, 0
	s_cselect_b32 s22, s36, s22
	s_cselect_b32 s23, s37, s23
	s_cmp_lg_u32 s20, 0
	s_sub_co_ci_u32 s20, s15, s21
	s_delay_alu instid0(SALU_CYCLE_1)
	s_cmp_ge_u32 s20, s17
	s_cselect_b32 s21, -1, 0
	s_cmp_ge_u32 s11, s16
	s_cselect_b32 s11, -1, 0
	s_cmp_eq_u32 s20, s17
	s_wait_alu 0xfffe
	s_cselect_b32 s11, s11, s21
	s_wait_alu 0xfffe
	s_cmp_lg_u32 s11, 0
	s_mov_b32 s11, 0
	s_cselect_b32 s37, s23, s19
	s_cselect_b32 s36, s22, s18
.LBB103_13:                             ;   in Loop: Header=BB103_11 Depth=1
	s_wait_alu 0xfffe
	s_and_not1_b32 vcc_lo, exec_lo, s11
	s_cbranch_vccnz .LBB103_15
; %bb.14:                               ;   in Loop: Header=BB103_11 Depth=1
	v_cvt_f32_u32_e32 v1, s16
	s_sub_co_i32 s18, 0, s16
	s_mov_b32 s37, s10
	s_delay_alu instid0(VALU_DEP_1) | instskip(NEXT) | instid1(TRANS32_DEP_1)
	v_rcp_iflag_f32_e32 v1, v1
	v_mul_f32_e32 v1, 0x4f7ffffe, v1
	s_delay_alu instid0(VALU_DEP_1) | instskip(NEXT) | instid1(VALU_DEP_1)
	v_cvt_u32_f32_e32 v1, v1
	v_readfirstlane_b32 s11, v1
	s_mul_i32 s18, s18, s11
	s_delay_alu instid0(SALU_CYCLE_1) | instskip(NEXT) | instid1(SALU_CYCLE_1)
	s_mul_hi_u32 s18, s11, s18
	s_add_co_i32 s11, s11, s18
	s_wait_alu 0xfffe
	s_mul_hi_u32 s11, s14, s11
	s_wait_alu 0xfffe
	s_mul_i32 s18, s11, s16
	s_add_co_i32 s19, s11, 1
	s_sub_co_i32 s18, s14, s18
	s_delay_alu instid0(SALU_CYCLE_1)
	s_sub_co_i32 s20, s18, s16
	s_cmp_ge_u32 s18, s16
	s_cselect_b32 s11, s19, s11
	s_cselect_b32 s18, s20, s18
	s_wait_alu 0xfffe
	s_add_co_i32 s19, s11, 1
	s_cmp_ge_u32 s18, s16
	s_cselect_b32 s36, s19, s11
.LBB103_15:                             ;   in Loop: Header=BB103_11 Depth=1
	s_load_b64 s[18:19], s[12:13], 0xc8
	s_mul_u64 s[16:17], s[36:37], s[16:17]
	s_add_co_i32 s5, s5, -1
	s_wait_alu 0xfffe
	s_sub_nc_u64 s[14:15], s[14:15], s[16:17]
	s_cmp_gt_u32 s5, 2
	s_add_nc_u64 s[12:13], s[12:13], -8
	s_wait_kmcnt 0x0
	s_mul_u64 s[14:15], s[18:19], s[14:15]
	s_delay_alu instid0(SALU_CYCLE_1)
	s_add_nc_u64 s[30:31], s[14:15], s[30:31]
	s_cbranch_scc0 .LBB103_17
; %bb.16:                               ;   in Loop: Header=BB103_11 Depth=1
	s_mov_b64 s[14:15], s[36:37]
	s_branch .LBB103_11
.LBB103_17:
	s_clause 0x1
	s_load_b64 s[38:39], s[0:1], 0xd0
	s_load_b32 s5, s[0:1], 0x4d8
	s_mov_b64 s[10:11], 0
	s_wait_kmcnt 0x0
	s_cmp_lt_i32 s5, 2
	s_cbranch_scc1 .LBB103_25
; %bb.18:
	s_mov_b32 s12, 0
	s_add_co_i32 s10, s5, -1
	s_wait_alu 0xfffe
	s_mov_b32 s11, s12
	s_add_nc_u64 s[14:15], s[0:1], 0x340
	s_wait_alu 0xfffe
	s_lshl_b64 s[10:11], s[10:11], 3
	s_add_co_i32 s5, s5, 1
	s_wait_alu 0xfffe
	s_add_nc_u64 s[10:11], s[14:15], s[10:11]
	s_wait_alu 0xfffe
	s_add_nc_u64 s[14:15], s[10:11], 8
	s_mov_b64 s[10:11], 0
.LBB103_19:                             ; =>This Inner Loop Header: Depth=1
	s_load_b64 s[16:17], s[14:15], 0x0
	s_wait_kmcnt 0x0
	s_or_b64 s[18:19], s[2:3], s[16:17]
	s_delay_alu instid0(SALU_CYCLE_1)
	s_mov_b32 s13, s19
                                        ; implicit-def: $sgpr18_sgpr19
	s_wait_alu 0xfffe
	s_cmp_lg_u64 s[12:13], 0
	s_mov_b32 s13, -1
	s_cbranch_scc0 .LBB103_21
; %bb.20:                               ;   in Loop: Header=BB103_19 Depth=1
	s_cvt_f32_u32 s13, s16
	s_cvt_f32_u32 s18, s17
	s_sub_nc_u64 s[20:21], 0, s[16:17]
	s_mov_b32 s23, s12
	s_mov_b32 s43, s12
	s_wait_alu 0xfffe
	s_fmamk_f32 s13, s18, 0x4f800000, s13
	s_wait_alu 0xfffe
	s_delay_alu instid0(SALU_CYCLE_2) | instskip(NEXT) | instid1(TRANS32_DEP_1)
	v_s_rcp_f32 s13, s13
	s_mul_f32 s13, s13, 0x5f7ffffc
	s_wait_alu 0xfffe
	s_delay_alu instid0(SALU_CYCLE_2) | instskip(NEXT) | instid1(SALU_CYCLE_3)
	s_mul_f32 s18, s13, 0x2f800000
	s_trunc_f32 s18, s18
	s_delay_alu instid0(SALU_CYCLE_3) | instskip(SKIP_2) | instid1(SALU_CYCLE_1)
	s_fmamk_f32 s13, s18, 0xcf800000, s13
	s_cvt_u32_f32 s19, s18
	s_wait_alu 0xfffe
	s_cvt_u32_f32 s18, s13
	s_delay_alu instid0(SALU_CYCLE_3) | instskip(NEXT) | instid1(SALU_CYCLE_1)
	s_mul_u64 s[40:41], s[20:21], s[18:19]
	s_mul_hi_u32 s45, s18, s41
	s_mul_i32 s44, s18, s41
	s_mul_hi_u32 s22, s18, s40
	s_mul_i32 s33, s19, s40
	s_add_nc_u64 s[22:23], s[22:23], s[44:45]
	s_mul_hi_u32 s13, s19, s40
	s_mul_hi_u32 s46, s19, s41
	s_add_co_u32 s22, s22, s33
	s_wait_alu 0xfffe
	s_add_co_ci_u32 s42, s23, s13
	s_mul_i32 s40, s19, s41
	s_add_co_ci_u32 s41, s46, 0
	s_delay_alu instid0(SALU_CYCLE_1)
	s_add_nc_u64 s[22:23], s[42:43], s[40:41]
	s_mov_b32 s41, s12
	s_add_co_u32 s18, s18, s22
	s_cselect_b32 s13, -1, 0
	s_wait_alu 0xfffe
	s_cmp_lg_u32 s13, 0
	s_add_co_ci_u32 s19, s19, s23
	s_mov_b32 s23, s12
	s_mul_u64 s[20:21], s[20:21], s[18:19]
	s_delay_alu instid0(SALU_CYCLE_1)
	s_mul_hi_u32 s43, s18, s21
	s_mul_i32 s42, s18, s21
	s_mul_hi_u32 s22, s18, s20
	s_mul_i32 s33, s19, s20
	s_add_nc_u64 s[22:23], s[22:23], s[42:43]
	s_mul_hi_u32 s13, s19, s20
	s_mul_hi_u32 s44, s19, s21
	s_mul_i32 s20, s19, s21
	s_add_co_u32 s21, s22, s33
	s_wait_alu 0xfffe
	s_add_co_ci_u32 s40, s23, s13
	s_add_co_ci_u32 s21, s44, 0
	s_mov_b32 s23, s12
	s_add_nc_u64 s[20:21], s[40:41], s[20:21]
	s_delay_alu instid0(SALU_CYCLE_1)
	s_add_co_u32 s13, s18, s20
	s_cselect_b32 s18, -1, 0
	s_wait_alu 0xfffe
	s_mul_hi_u32 s22, s2, s13
	s_cmp_lg_u32 s18, 0
	s_mul_hi_u32 s33, s3, s13
	s_add_co_ci_u32 s20, s19, s21
	s_mul_i32 s13, s3, s13
	s_mul_hi_u32 s19, s2, s20
	s_mul_i32 s18, s2, s20
	s_mul_hi_u32 s21, s3, s20
	s_add_nc_u64 s[18:19], s[22:23], s[18:19]
	s_mul_i32 s20, s3, s20
	s_wait_alu 0xfffe
	s_add_co_u32 s13, s18, s13
	s_add_co_ci_u32 s40, s19, s33
	s_add_co_ci_u32 s21, s21, 0
	s_delay_alu instid0(SALU_CYCLE_1) | instskip(NEXT) | instid1(SALU_CYCLE_1)
	s_add_nc_u64 s[18:19], s[40:41], s[20:21]
	s_mul_u64 s[20:21], s[16:17], s[18:19]
	s_delay_alu instid0(SALU_CYCLE_1)
	s_sub_co_u32 s13, s2, s20
	s_cselect_b32 s20, -1, 0
	s_sub_co_i32 s22, s3, s21
	s_cmp_lg_u32 s20, 0
	s_sub_co_ci_u32 s22, s22, s17
	s_wait_alu 0xfffe
	s_sub_co_u32 s23, s13, s16
	s_cselect_b32 s33, -1, 0
	s_delay_alu instid0(SALU_CYCLE_1) | instskip(SKIP_1) | instid1(SALU_CYCLE_1)
	s_cmp_lg_u32 s33, 0
	s_sub_co_ci_u32 s22, s22, 0
	s_cmp_ge_u32 s22, s17
	s_cselect_b32 s33, -1, 0
	s_cmp_ge_u32 s23, s16
	s_cselect_b32 s40, -1, 0
	s_cmp_eq_u32 s22, s17
	s_add_nc_u64 s[22:23], s[18:19], 1
	s_cselect_b32 s33, s40, s33
	s_add_nc_u64 s[40:41], s[18:19], 2
	s_cmp_lg_u32 s33, 0
	s_cselect_b32 s22, s40, s22
	s_cselect_b32 s23, s41, s23
	s_cmp_lg_u32 s20, 0
	s_sub_co_ci_u32 s20, s3, s21
	s_delay_alu instid0(SALU_CYCLE_1)
	s_cmp_ge_u32 s20, s17
	s_cselect_b32 s21, -1, 0
	s_cmp_ge_u32 s13, s16
	s_cselect_b32 s13, -1, 0
	s_cmp_eq_u32 s20, s17
	s_wait_alu 0xfffe
	s_cselect_b32 s13, s13, s21
	s_wait_alu 0xfffe
	s_cmp_lg_u32 s13, 0
	s_mov_b32 s13, 0
	s_cselect_b32 s19, s23, s19
	s_cselect_b32 s18, s22, s18
.LBB103_21:                             ;   in Loop: Header=BB103_19 Depth=1
	s_wait_alu 0xfffe
	s_and_not1_b32 vcc_lo, exec_lo, s13
	s_cbranch_vccnz .LBB103_23
; %bb.22:                               ;   in Loop: Header=BB103_19 Depth=1
	v_cvt_f32_u32_e32 v1, s16
	s_sub_co_i32 s18, 0, s16
	s_delay_alu instid0(VALU_DEP_1) | instskip(NEXT) | instid1(TRANS32_DEP_1)
	v_rcp_iflag_f32_e32 v1, v1
	v_mul_f32_e32 v1, 0x4f7ffffe, v1
	s_delay_alu instid0(VALU_DEP_1) | instskip(NEXT) | instid1(VALU_DEP_1)
	v_cvt_u32_f32_e32 v1, v1
	v_readfirstlane_b32 s13, v1
	s_mul_i32 s18, s18, s13
	s_delay_alu instid0(SALU_CYCLE_1) | instskip(NEXT) | instid1(SALU_CYCLE_1)
	s_mul_hi_u32 s18, s13, s18
	s_add_co_i32 s13, s13, s18
	s_wait_alu 0xfffe
	s_mul_hi_u32 s13, s2, s13
	s_wait_alu 0xfffe
	s_mul_i32 s18, s13, s16
	s_add_co_i32 s19, s13, 1
	s_sub_co_i32 s18, s2, s18
	s_delay_alu instid0(SALU_CYCLE_1)
	s_sub_co_i32 s20, s18, s16
	s_cmp_ge_u32 s18, s16
	s_cselect_b32 s13, s19, s13
	s_cselect_b32 s18, s20, s18
	s_wait_alu 0xfffe
	s_add_co_i32 s19, s13, 1
	s_cmp_ge_u32 s18, s16
	s_cselect_b32 s18, s19, s13
	s_mov_b32 s19, s12
.LBB103_23:                             ;   in Loop: Header=BB103_19 Depth=1
	s_load_b64 s[20:21], s[14:15], 0xc8
	s_mul_u64 s[16:17], s[18:19], s[16:17]
	s_add_co_i32 s5, s5, -1
	s_wait_alu 0xfffe
	s_sub_nc_u64 s[2:3], s[2:3], s[16:17]
	s_cmp_gt_u32 s5, 2
	s_add_nc_u64 s[14:15], s[14:15], -8
	s_wait_kmcnt 0x0
	s_wait_alu 0xfffe
	s_mul_u64 s[2:3], s[20:21], s[2:3]
	s_wait_alu 0xfffe
	s_add_nc_u64 s[10:11], s[2:3], s[10:11]
	s_cbranch_scc0 .LBB103_26
; %bb.24:                               ;   in Loop: Header=BB103_19 Depth=1
	s_mov_b64 s[2:3], s[18:19]
	s_branch .LBB103_19
.LBB103_25:
	s_mov_b64 s[18:19], s[2:3]
.LBB103_26:
	s_load_b64 s[40:41], s[8:9], 0xd0
	v_cmp_eq_u32_e64 s2, 0, v0
	s_and_saveexec_b32 s3, s2
; %bb.27:
	v_mov_b32_e32 v1, 0
	s_delay_alu instid0(VALU_DEP_1)
	v_mov_b32_e32 v2, v1
	ds_store_b64 v1, v[1:2] offset:5136
; %bb.28:
	s_wait_alu 0xfffe
	s_or_b32 exec_lo, exec_lo, s3
	v_dual_mov_b32 v1, 0 :: v_dual_mov_b32 v36, s25
	s_wait_dscnt 0x0
	s_barrier_signal -1
	s_barrier_wait -1
	global_inv scope:SCOPE_SE
	s_wait_loadcnt 0x0
	s_barrier_signal -1
	s_barrier_wait -1
	global_inv scope:SCOPE_SE
	ds_load_b64 v[1:2], v1 offset:5136
	s_load_b32 s3, s[0:1], 0x4f8
	v_mov_b32_e32 v35, s24
	s_wait_dscnt 0x0
	v_cmp_gt_i64_e32 vcc_lo, 1, v[1:2]
	s_wait_kmcnt 0x0
	s_bitcmp1_b32 s3, 0
	s_cselect_b32 s3, -1, 0
	s_wait_alu 0xfffe
	s_or_b32 s3, s3, vcc_lo
	s_wait_alu 0xfffe
	s_and_not1_b32 vcc_lo, exec_lo, s3
	s_cbranch_vccnz .LBB103_30
; %bb.29:
	v_not_b32_e32 v1, v1
	v_not_b32_e32 v2, v2
	s_delay_alu instid0(VALU_DEP_2) | instskip(NEXT) | instid1(VALU_DEP_1)
	v_add_co_u32 v1, vcc_lo, s24, v1
	v_add_co_ci_u32_e64 v2, null, s25, v2, vcc_lo
	s_delay_alu instid0(VALU_DEP_1) | instskip(NEXT) | instid1(VALU_DEP_1)
	v_lshrrev_b64 v[1:2], 1, v[1:2]
	v_add_co_u32 v35, vcc_lo, v1, 1
	s_wait_alu 0xfffd
	s_delay_alu instid0(VALU_DEP_2)
	v_add_co_ci_u32_e64 v36, null, 0, v2, vcc_lo
.LBB103_30:
	s_clause 0x1
	s_load_b64 s[12:13], s[0:1], 0x410
	s_load_b64 s[8:9], s[0:1], 0x340
	s_and_saveexec_b32 s3, s2
	s_cbranch_execz .LBB103_32
; %bb.31:
	v_dual_mov_b32 v1, 0 :: v_dual_mov_b32 v4, s25
	s_delay_alu instid0(VALU_DEP_1)
	v_dual_mov_b32 v3, s24 :: v_dual_mov_b32 v2, v1
	ds_store_b32 v1, v1 offset:5144
	ds_store_b128 v1, v[1:4] offset:5120
.LBB103_32:
	s_wait_alu 0xfffe
	s_or_b32 exec_lo, exec_lo, s3
	v_lshlrev_b32_e32 v49, 5, v0
	s_wait_kmcnt 0x0
	s_mul_u64 s[12:13], s[12:13], s[18:19]
	s_clause 0x1
	s_load_b64 s[46:47], s[0:1], 0x0
	s_load_b64 s[42:43], s[0:1], 0x1a0
	s_lshl_b64 s[12:13], s[12:13], 3
	s_wait_loadcnt_dscnt 0x0
	v_or_b32_e32 v12, 8, v49
	s_wait_alu 0xfffe
	s_add_nc_u64 s[14:15], s[8:9], s[12:13]
	s_barrier_signal -1
	s_barrier_wait -1
	global_inv scope:SCOPE_SE
	v_mad_co_u64_u32 v[27:28], null, s28, v12, s[14:15]
	s_load_b32 s5, s[6:7], 0xc
	v_mbcnt_lo_u32_b32 v45, -1, 0
	v_mad_co_u64_u32 v[2:3], null, s28, v0, 0
	v_cmp_gt_u32_e32 vcc_lo, 32, v0
	s_lshl_b64 s[48:49], s[10:11], 3
	v_mov_b32_e32 v8, v28
	v_or_b32_e32 v9, 24, v49
	v_or_b32_e32 v11, 16, v49
	v_lshlrev_b64_e64 v[6:7], v45, -1
	v_cmp_gt_i32_e64 s3, 4, v45
	v_mad_co_u64_u32 v[3:4], null, s29, v0, v[3:4]
	v_mad_co_u64_u32 v[23:24], null, s28, v9, s[14:15]
	;; [unrolled: 1-line block ×3, first 2 shown]
	v_lshlrev_b32_e32 v46, 3, v0
	v_lshlrev_b32_e32 v21, 2, v0
	v_not_b32_e32 v48, v6
	s_wait_kmcnt 0x0
	s_and_b32 s44, s5, 0xffff
	v_mov_b32_e32 v6, v24
	s_and_b32 s33, vcc_lo, s3
	v_mov_b32_e32 v7, v26
	s_bfe_u32 s5, s5, 0xb0005
	s_cmp_gt_u32 s44, 31
	v_lshlrev_b64_e32 v[4:5], 3, v[2:3]
	s_cselect_b32 s83, -1, 0
	s_cmp_lt_u32 ttmp9, s4
	v_mad_co_u64_u32 v[9:10], null, s29, v9, v[6:7]
	s_cselect_b32 s52, 12, 18
	s_add_co_i32 s4, s5, -1
	s_bfe_u32 s84, s44, 0x30005
	s_and_b32 s4, s4, 0xffff
	v_dual_mov_b32 v16, 0 :: v_dual_add_nc_u32 v47, 0xc00, v46
	s_cmp_gt_u32 s4, 6
	v_lshlrev_b64_e32 v[2:3], 5, v[2:3]
	v_mad_co_u64_u32 v[6:7], null, s29, v11, v[7:8]
	s_add_nc_u64 s[50:51], s[14:15], s[48:49]
	s_cselect_b32 s85, -1, 0
	s_and_b32 s86, s5, 0x7f8
	s_add_nc_u64 s[4:5], s[12:13], s[48:49]
	v_mad_co_u64_u32 v[7:8], null, s29, v12, v[8:9]
	v_add_co_u32 v19, vcc_lo, s50, v4
	s_cmp_lg_u32 s84, 0
	s_add_nc_u64 s[60:61], s[8:9], s[4:5]
	s_add_nc_u64 s[4:5], s[8:9], s[48:49]
	v_dual_mov_b32 v1, v16 :: v_dual_mov_b32 v22, v16
	s_wait_alu 0xfffd
	v_add_co_ci_u32_e64 v20, null, s51, v5, vcc_lo
	s_cselect_b32 s87, -1, 0
	s_lshl_b64 s[62:63], s[28:29], 3
	s_lshl_b64 s[64:65], s[28:29], 5
	v_add_co_u32 v29, vcc_lo, s14, v2
	s_add_nc_u64 s[4:5], s[4:5], s[12:13]
	s_mov_b32 s53, 0
	s_wait_alu 0xfffd
	v_add_co_ci_u32_e64 v30, null, s15, v3, vcc_lo
	v_add_co_u32 v17, vcc_lo, s4, v4
	v_mul_lo_u32 v52, 0, s62
	v_mul_lo_u32 v53, 0, s64
	s_movk_i32 s10, 0x3e0
	v_cmp_gt_u64_e64 s0, s[24:25], v[0:1]
	v_cmp_lt_u64_e64 s82, 0x180, s[24:25]
	s_mov_b32 s45, s53
	v_mov_b32_e32 v24, v9
	v_dual_mov_b32 v26, v6 :: v_dual_mov_b32 v31, 0
	v_dual_mov_b32 v28, v7 :: v_dual_mov_b32 v33, 0
	s_wait_alu 0xfffd
	v_add_co_ci_u32_e64 v18, null, s5, v5, vcc_lo
	v_mov_b32_e32 v5, 0
	v_cmp_eq_u32_e64 s1, 0, v45
	v_cmp_gt_u32_e64 s3, 2, v0
	s_wait_alu 0xfffe
	v_and_or_b32 v50, v0, s10, 0xc00
	v_lshl_or_b32 v51, v45, 3, 0xc00
	v_mov_b32_e32 v6, 0
	v_mov_b32_e32 v32, 0
	;; [unrolled: 1-line block ×4, first 2 shown]
	s_add_nc_u64 s[56:57], s[44:45], -1
	s_mul_u64 s[8:9], s[28:29], s[44:45]
	s_add_nc_u64 s[58:59], s[56:57], s[24:25]
	s_lshl_b32 s88, s44, 3
	s_lshl_b64 s[54:55], s[8:9], 3
	s_mov_b32 s89, 62
	s_add_nc_u64 s[66:67], s[6:7], s[52:53]
	s_mov_b32 s91, 0x4f800000
	s_mov_b32 s90, 0
	;; [unrolled: 1-line block ×3, first 2 shown]
                                        ; implicit-def: $sgpr96
                                        ; implicit-def: $sgpr98
                                        ; implicit-def: $sgpr93
                                        ; implicit-def: $sgpr95
                                        ; implicit-def: $sgpr97
                                        ; implicit-def: $sgpr94
	s_branch .LBB103_36
.LBB103_33:                             ;   in Loop: Header=BB103_36 Depth=1
	s_wait_alu 0xfffe
	s_or_b32 exec_lo, exec_lo, s7
	s_delay_alu instid0(SALU_CYCLE_1)
	s_and_b32 s5, s5, exec_lo
	s_and_not1_b32 s22, s22, exec_lo
	s_and_not1_b32 s21, s21, exec_lo
	s_or_not1_b32 s19, s6, exec_lo
.LBB103_34:                             ;   in Loop: Header=BB103_36 Depth=1
	s_wait_alu 0xfffe
	s_or_b32 exec_lo, exec_lo, s4
	s_delay_alu instid0(SALU_CYCLE_1)
	s_and_not1_b32 s4, s94, exec_lo
	s_and_b32 s5, s5, exec_lo
	s_and_not1_b32 s6, s95, exec_lo
	s_wait_alu 0xfffe
	s_or_b32 s94, s4, s5
	s_and_not1_b32 s4, s97, exec_lo
	s_and_b32 s5, s22, exec_lo
	s_and_b32 s7, s21, exec_lo
	s_wait_alu 0xfffe
	s_or_b32 s97, s4, s5
	s_or_b32 s95, s6, s7
	s_or_not1_b32 s19, s19, exec_lo
.LBB103_35:                             ;   in Loop: Header=BB103_36 Depth=1
	s_or_b32 exec_lo, exec_lo, s18
	s_delay_alu instid0(SALU_CYCLE_1)
	s_and_b32 s4, exec_lo, s19
	v_dual_mov_b32 v36, v12 :: v_dual_mov_b32 v35, v11
	s_wait_alu 0xfffe
	s_or_b32 s90, s4, s90
	s_and_not1_b32 s4, s93, exec_lo
	s_and_b32 s5, s94, exec_lo
	s_and_not1_b32 s6, s98, exec_lo
	s_wait_alu 0xfffe
	s_or_b32 s93, s4, s5
	s_and_b32 s4, s97, exec_lo
	s_and_not1_b32 s5, s96, exec_lo
	s_and_b32 s7, s95, exec_lo
	s_wait_alu 0xfffe
	s_or_b32 s98, s6, s4
	s_or_b32 s96, s5, s7
	s_and_not1_b32 exec_lo, exec_lo, s90
	s_cbranch_execz .LBB103_293
.LBB103_36:                             ; =>This Loop Header: Depth=1
                                        ;     Child Loop BB103_42 Depth 2
                                        ;     Child Loop BB103_55 Depth 2
	;; [unrolled: 1-line block ×16, first 2 shown]
	ds_load_b128 v[7:10], v16 offset:5120
	s_wait_dscnt 0x0
	v_readfirstlane_b32 s69, v8
	v_readfirstlane_b32 s68, v7
	s_cmp_lg_u64 s[68:69], 0
	s_cbranch_scc1 .LBB103_63
; %bb.37:                               ;   in Loop: Header=BB103_36 Depth=1
	s_and_b32 vcc_lo, exec_lo, s82
	s_wait_alu 0xfffe
	s_cbranch_vccz .LBB103_50
; %bb.38:                               ;   in Loop: Header=BB103_36 Depth=1
	v_cmp_gt_u64_e32 vcc_lo, 0x181, v[9:10]
	s_mov_b32 s6, 0
	s_mov_b32 s4, 0
	s_cbranch_vccz .LBB103_51
; %bb.39:                               ;   in Loop: Header=BB103_36 Depth=1
	s_and_saveexec_b32 s7, s0
	s_cbranch_execz .LBB103_160
; %bb.40:                               ;   in Loop: Header=BB103_36 Depth=1
	global_load_u16 v3, v16, s[66:67]
	global_load_b64 v[7:8], v[19:20], off
	s_mov_b32 s8, 0
	s_wait_loadcnt 0x1
	v_and_b32_e32 v13, 0xffff, v3
	s_delay_alu instid0(VALU_DEP_1) | instskip(SKIP_2) | instid1(VALU_DEP_3)
	v_add_nc_u32_e32 v9, v0, v13
	v_mul_lo_u32 v11, v13, s63
	v_mul_hi_u32 v12, v13, s62
	v_mad_co_u64_u32 v[3:4], null, s62, v9, s[60:61]
	s_delay_alu instid0(VALU_DEP_1) | instskip(NEXT) | instid1(VALU_DEP_4)
	v_mad_co_u64_u32 v[9:10], null, s63, v9, v[4:5]
	v_add_nc_u32_e32 v4, v11, v52
	s_delay_alu instid0(VALU_DEP_1)
	v_dual_mov_b32 v4, v9 :: v_dual_add_nc_u32 v15, v4, v12
	v_mul_lo_u32 v14, v13, s62
	v_dual_mov_b32 v10, v1 :: v_dual_mov_b32 v9, v0
	s_branch .LBB103_42
.LBB103_41:                             ;   in Loop: Header=BB103_42 Depth=2
	s_wait_alu 0xfffe
	s_or_b32 exec_lo, exec_lo, s5
	v_add_co_u32 v3, vcc_lo, v3, v14
	s_wait_alu 0xfffd
	v_add_co_ci_u32_e64 v4, null, v4, v15, vcc_lo
	v_dual_mov_b32 v7, v11 :: v_dual_mov_b32 v8, v12
	s_and_not1_b32 exec_lo, exec_lo, s8
	s_cbranch_execz .LBB103_160
.LBB103_42:                             ;   Parent Loop BB103_36 Depth=1
                                        ; =>  This Inner Loop Header: Depth=2
	s_delay_alu instid0(VALU_DEP_1)
	v_add_co_u32 v9, vcc_lo, v9, v13
	v_mov_b32_e32 v11, 0
	s_wait_alu 0xfffd
	v_add_co_ci_u32_e64 v10, null, 0, v10, vcc_lo
	v_mov_b32_e32 v12, 0
	s_mov_b32 s5, exec_lo
	s_delay_alu instid0(VALU_DEP_2)
	v_cmp_le_u64_e32 vcc_lo, s[24:25], v[9:10]
	v_cmpx_gt_u64_e64 s[24:25], v[9:10]
	s_cbranch_execz .LBB103_44
; %bb.43:                               ;   in Loop: Header=BB103_42 Depth=2
	global_load_b64 v[11:12], v[3:4], off
.LBB103_44:                             ;   in Loop: Header=BB103_42 Depth=2
	s_wait_alu 0xfffe
	s_or_b32 exec_lo, exec_lo, s5
	s_wait_loadcnt_dscnt 0x0
	v_xor_b32_e32 v37, 0x80000000, v8
	s_delay_alu instid0(VALU_DEP_1) | instskip(SKIP_1) | instid1(VALU_DEP_1)
	v_and_b32_e32 v38, v37, v34
	v_and_b32_e32 v37, v7, v33
	v_cmp_eq_u64_e64 s4, v[37:38], v[31:32]
	v_mov_b32_e32 v37, 0
	s_cmp_lg_u32 s4, 0
	s_cselect_b32 s5, -1, 0
	s_wait_alu 0xfffe
	s_and_b32 s5, s1, s5
	s_wait_alu 0xfffe
	s_and_saveexec_b32 s9, s5
	s_cbranch_execz .LBB103_48
; %bb.45:                               ;   in Loop: Header=BB103_42 Depth=2
	s_mov_b32 s12, exec_lo
	s_bcnt1_i32_b32 s10, s4
	s_wait_alu 0xfffe
	v_mbcnt_lo_u32_b32 v37, s12, 0
	s_mov_b32 s11, exec_lo
                                        ; implicit-def: $vgpr38
	s_delay_alu instid0(VALU_DEP_1)
	v_cmpx_eq_u32_e32 0, v37
; %bb.46:                               ;   in Loop: Header=BB103_42 Depth=2
	s_bcnt1_i32_b32 s5, s12
	s_wait_alu 0xfffe
	s_mul_i32 s5, s10, s5
	s_wait_alu 0xfffe
	v_mov_b32_e32 v38, s5
	ds_add_rtn_u32 v38, v16, v38 offset:5144
; %bb.47:                               ;   in Loop: Header=BB103_42 Depth=2
	s_or_b32 exec_lo, exec_lo, s11
	s_wait_dscnt 0x0
	v_readfirstlane_b32 s5, v38
	s_wait_alu 0xf1ff
	s_delay_alu instid0(VALU_DEP_1)
	v_mad_u32_u24 v37, s10, v37, s5
.LBB103_48:                             ;   in Loop: Header=BB103_42 Depth=2
	s_wait_alu 0xfffe
	s_or_b32 exec_lo, exec_lo, s9
	ds_bpermute_b32 v37, v16, v37
	s_and_b32 s5, exec_lo, vcc_lo
	s_wait_alu 0xfffe
	s_or_b32 s8, s5, s8
	s_and_saveexec_b32 s5, s4
	s_cbranch_execz .LBB103_41
; %bb.49:                               ;   in Loop: Header=BB103_42 Depth=2
	v_and_b32_e32 v38, s4, v48
	s_delay_alu instid0(VALU_DEP_1) | instskip(NEXT) | instid1(VALU_DEP_1)
	v_bcnt_u32_b32 v38, v38, 0
	v_lshlrev_b32_e32 v38, 3, v38
	s_wait_dscnt 0x0
	s_delay_alu instid0(VALU_DEP_1)
	v_lshl_add_u32 v37, v37, 3, v38
	ds_store_b64 v37, v[7:8]
	s_branch .LBB103_41
.LBB103_50:                             ;   in Loop: Header=BB103_36 Depth=1
	s_mov_b32 s6, -1
	s_mov_b32 s4, 0
.LBB103_51:                             ;   in Loop: Header=BB103_36 Depth=1
	s_wait_alu 0xfffe
	s_and_b32 vcc_lo, exec_lo, s6
	s_wait_alu 0xfffe
	s_cbranch_vccz .LBB103_61
.LBB103_52:                             ;   in Loop: Header=BB103_36 Depth=1
	s_and_saveexec_b32 s5, s0
	s_cbranch_execz .LBB103_58
; %bb.53:                               ;   in Loop: Header=BB103_36 Depth=1
	global_load_u16 v7, v16, s[66:67]
	global_load_b64 v[3:4], v[19:20], off
	s_mov_b32 s6, exec_lo
	s_wait_loadcnt 0x1
	v_and_b32_e32 v37, 0xffff, v7
	v_mov_b32_e32 v7, v0
	s_delay_alu instid0(VALU_DEP_2) | instskip(NEXT) | instid1(VALU_DEP_1)
	v_add_nc_u32_e32 v15, v37, v0
	v_cmpx_gt_u64_e64 s[24:25], v[15:16]
	s_cbranch_execz .LBB103_57
; %bb.54:                               ;   in Loop: Header=BB103_36 Depth=1
	v_mul_lo_u32 v10, v37, s63
	v_mad_co_u64_u32 v[7:8], null, s62, v15, s[60:61]
	v_mul_hi_u32 v11, v37, s62
	v_mul_lo_u32 v38, v37, s62
	s_mov_b32 s7, 0
	v_dual_mov_b32 v14, v1 :: v_dual_mov_b32 v13, v0
	v_add_nc_u32_e32 v12, v10, v52
	v_mad_co_u64_u32 v[8:9], null, s63, v15, v[8:9]
	v_dual_mov_b32 v9, v15 :: v_dual_mov_b32 v10, v16
	s_delay_alu instid0(VALU_DEP_3)
	v_add_nc_u32_e32 v15, v12, v11
.LBB103_55:                             ;   Parent Loop BB103_36 Depth=1
                                        ; =>  This Inner Loop Header: Depth=2
	global_load_b64 v[11:12], v[7:8], off
	v_dual_mov_b32 v40, v10 :: v_dual_mov_b32 v39, v9
	v_lshlrev_b32_e32 v13, 3, v13
	s_delay_alu instid0(VALU_DEP_2) | instskip(SKIP_1) | instid1(VALU_DEP_3)
	v_add_co_u32 v9, vcc_lo, v39, v37
	s_wait_alu 0xfffd
	v_add_co_ci_u32_e64 v10, null, 0, v40, vcc_lo
	v_add_co_u32 v7, vcc_lo, v7, v38
	s_wait_loadcnt 0x1
	ds_store_b64 v13, v[3:4]
	v_cmp_le_u64_e64 s4, s[24:25], v[9:10]
	s_wait_alu 0xfffd
	v_add_co_ci_u32_e64 v8, null, v8, v15, vcc_lo
	v_dual_mov_b32 v13, v39 :: v_dual_mov_b32 v14, v40
	s_wait_alu 0xfffe
	s_delay_alu instid0(VALU_DEP_3)
	s_or_b32 s7, s4, s7
	s_wait_loadcnt 0x0
	v_dual_mov_b32 v3, v11 :: v_dual_mov_b32 v4, v12
	s_wait_alu 0xfffe
	s_and_not1_b32 exec_lo, exec_lo, s7
	s_cbranch_execnz .LBB103_55
; %bb.56:                               ;   in Loop: Header=BB103_36 Depth=1
	s_or_b32 exec_lo, exec_lo, s7
	v_sub_nc_u32_e32 v7, v9, v37
	v_dual_mov_b32 v3, v11 :: v_dual_mov_b32 v4, v12
.LBB103_57:                             ;   in Loop: Header=BB103_36 Depth=1
	s_wait_alu 0xfffe
	s_or_b32 exec_lo, exec_lo, s6
	s_delay_alu instid0(VALU_DEP_2)
	v_lshlrev_b32_e32 v7, 3, v7
	s_wait_loadcnt 0x0
	ds_store_b64 v7, v[3:4]
.LBB103_58:                             ;   in Loop: Header=BB103_36 Depth=1
	s_wait_alu 0xfffe
	s_or_b32 exec_lo, exec_lo, s5
	s_wait_loadcnt_dscnt 0x0
	s_barrier_signal -1
	s_barrier_wait -1
	global_inv scope:SCOPE_SE
	s_and_saveexec_b32 s4, s2
; %bb.59:                               ;   in Loop: Header=BB103_36 Depth=1
	v_dual_mov_b32 v3, s24 :: v_dual_mov_b32 v4, s25
	ds_store_b64 v16, v[3:4] offset:5120
; %bb.60:                               ;   in Loop: Header=BB103_36 Depth=1
	s_wait_alu 0xfffe
	s_or_b32 exec_lo, exec_lo, s4
	s_wait_loadcnt_dscnt 0x0
	s_barrier_signal -1
	s_mov_b32 s4, -1
	s_barrier_wait -1
.LBB103_61:                             ;   in Loop: Header=BB103_36 Depth=1
	s_wait_alu 0xfffe
	s_and_b32 vcc_lo, exec_lo, s4
	s_mov_b64 s[68:69], 0
	s_wait_alu 0xfffe
	s_cbranch_vccz .LBB103_63
; %bb.62:                               ;   in Loop: Header=BB103_36 Depth=1
	s_wait_loadcnt 0x0
	global_inv scope:SCOPE_SE
	ds_load_b64 v[3:4], v16 offset:5120
	s_wait_dscnt 0x0
	v_readfirstlane_b32 s68, v3
.LBB103_63:                             ;   in Loop: Header=BB103_36 Depth=1
	s_delay_alu instid0(VALU_DEP_1)
	s_cmp_lt_i32 s68, 1
	s_mov_b32 s4, -1
                                        ; implicit-def: $vgpr13_vgpr14
                                        ; implicit-def: $vgpr9_vgpr10
	s_cbranch_scc1 .LBB103_73
; %bb.64:                               ;   in Loop: Header=BB103_36 Depth=1
	s_wait_alu 0xfffe
	s_and_b32 vcc_lo, exec_lo, s4
	s_wait_alu 0xfffe
	s_cbranch_vccnz .LBB103_87
.LBB103_65:                             ;   in Loop: Header=BB103_36 Depth=1
	s_lshl_b32 s4, s92, 7
	s_and_saveexec_b32 s5, s1
	s_cbranch_execz .LBB103_67
.LBB103_66:                             ;   in Loop: Header=BB103_36 Depth=1
	s_wait_alu 0xfffe
	v_lshl_add_u32 v3, s4, 3, v50
	ds_store_b128 v3, v[7:10]
	ds_store_b128 v3, v[11:14] offset:16
.LBB103_67:                             ;   in Loop: Header=BB103_36 Depth=1
	s_wait_alu 0xfffe
	s_or_b32 exec_lo, exec_lo, s5
	s_wait_loadcnt_dscnt 0x0
	s_barrier_signal -1
	s_barrier_wait -1
	global_inv scope:SCOPE_SE
	s_and_saveexec_b32 s5, s33
	s_cbranch_execz .LBB103_101
; %bb.68:                               ;   in Loop: Header=BB103_36 Depth=1
	v_mov_b32_e32 v3, 0
	v_mov_b32_e32 v4, 0
	s_and_not1_b32 vcc_lo, exec_lo, s83
	s_wait_alu 0xfffe
	s_cbranch_vccnz .LBB103_100
; %bb.69:                               ;   in Loop: Header=BB103_36 Depth=1
	v_mov_b32_e32 v3, 0
	v_mov_b32_e32 v4, 0
	s_and_not1_b32 vcc_lo, exec_lo, s85
	s_wait_alu 0xfffe
	s_cbranch_vccnz .LBB103_97
; %bb.70:                               ;   in Loop: Header=BB103_36 Depth=1
	v_lshl_add_u32 v7, s92, 10, v51
	s_mov_b32 s6, 0
.LBB103_71:                             ;   Parent Loop BB103_36 Depth=1
                                        ; =>  This Inner Loop Header: Depth=2
	ds_load_2addr_b64 v[8:11], v7 offset1:4
	ds_load_2addr_b64 v[12:15], v7 offset0:8 offset1:12
	ds_load_2addr_b64 v[37:40], v7 offset0:16 offset1:20
	s_wait_alu 0xfffe
	s_add_co_i32 s6, s6, 8
	s_wait_alu 0xfffe
	s_cmp_eq_u32 s86, s6
	s_wait_dscnt 0x2
	v_add_co_u32 v3, vcc_lo, v8, v3
	s_wait_alu 0xfffd
	v_add_co_ci_u32_e64 v4, null, v9, v4, vcc_lo
	s_delay_alu instid0(VALU_DEP_2) | instskip(SKIP_1) | instid1(VALU_DEP_2)
	v_add_co_u32 v3, vcc_lo, v10, v3
	s_wait_alu 0xfffd
	v_add_co_ci_u32_e64 v4, null, v11, v4, vcc_lo
	ds_load_2addr_b64 v[8:11], v7 offset0:24 offset1:28
	s_wait_dscnt 0x2
	v_add_co_u32 v3, vcc_lo, v12, v3
	s_wait_alu 0xfffd
	v_add_co_ci_u32_e64 v4, null, v13, v4, vcc_lo
	v_add_nc_u32_e32 v7, 0x100, v7
	s_delay_alu instid0(VALU_DEP_3) | instskip(SKIP_1) | instid1(VALU_DEP_3)
	v_add_co_u32 v3, vcc_lo, v14, v3
	s_wait_alu 0xfffd
	v_add_co_ci_u32_e64 v4, null, v15, v4, vcc_lo
	s_wait_dscnt 0x1
	s_delay_alu instid0(VALU_DEP_2) | instskip(SKIP_1) | instid1(VALU_DEP_2)
	v_add_co_u32 v3, vcc_lo, v37, v3
	s_wait_alu 0xfffd
	v_add_co_ci_u32_e64 v4, null, v38, v4, vcc_lo
	s_delay_alu instid0(VALU_DEP_2) | instskip(SKIP_1) | instid1(VALU_DEP_2)
	v_add_co_u32 v3, vcc_lo, v39, v3
	s_wait_alu 0xfffd
	v_add_co_ci_u32_e64 v4, null, v40, v4, vcc_lo
	s_wait_dscnt 0x0
	s_delay_alu instid0(VALU_DEP_2) | instskip(SKIP_1) | instid1(VALU_DEP_2)
	v_add_co_u32 v3, vcc_lo, v8, v3
	s_wait_alu 0xfffd
	v_add_co_ci_u32_e64 v4, null, v9, v4, vcc_lo
	s_delay_alu instid0(VALU_DEP_2) | instskip(SKIP_1) | instid1(VALU_DEP_2)
	v_add_co_u32 v3, vcc_lo, v10, v3
	s_wait_alu 0xfffd
	v_add_co_ci_u32_e64 v4, null, v11, v4, vcc_lo
	s_cbranch_scc0 .LBB103_71
; %bb.72:                               ;   in Loop: Header=BB103_36 Depth=1
	s_mov_b32 s6, s86
	s_and_not1_b32 vcc_lo, exec_lo, s87
	s_wait_alu 0xfffe
	s_cbranch_vccz .LBB103_98
	s_branch .LBB103_100
.LBB103_73:                             ;   in Loop: Header=BB103_36 Depth=1
	global_load_u16 v3, v16, s[66:67]
	s_mov_b32 s5, s25
	s_wait_loadcnt 0x0
	v_readfirstlane_b32 s4, v3
	s_wait_alu 0xfffe
	s_and_b32 s6, 0xffff, s4
	s_mov_b32 s4, s53
	s_wait_alu 0xfffe
	s_lshl_b32 s70, s6, 2
	s_cmp_lg_u64 s[4:5], 0
	s_cbranch_scc0 .LBB103_96
; %bb.74:                               ;   in Loop: Header=BB103_36 Depth=1
	s_wait_alu 0xfffe
	s_cvt_f32_u32 s4, s70
	s_mov_b32 s71, s53
	s_wait_alu 0xfffe
	s_sub_nc_u64 s[6:7], 0, s[70:71]
	s_fmamk_f32 s4, s91, 0x0, s4
	s_wait_alu 0xfffe
	s_delay_alu instid0(SALU_CYCLE_2) | instskip(NEXT) | instid1(TRANS32_DEP_1)
	v_s_rcp_f32 s4, s4
	s_mul_f32 s4, s4, 0x5f7ffffc
	s_wait_alu 0xfffe
	s_delay_alu instid0(SALU_CYCLE_2) | instskip(SKIP_1) | instid1(SALU_CYCLE_2)
	s_mul_f32 s5, s4, 0x2f800000
	s_wait_alu 0xfffe
	s_trunc_f32 s5, s5
	s_wait_alu 0xfffe
	s_delay_alu instid0(SALU_CYCLE_2) | instskip(SKIP_2) | instid1(SALU_CYCLE_1)
	s_fmamk_f32 s4, s5, 0xcf800000, s4
	s_cvt_u32_f32 s5, s5
	s_wait_alu 0xfffe
	s_cvt_u32_f32 s4, s4
	s_wait_alu 0xfffe
	s_delay_alu instid0(SALU_CYCLE_2)
	s_mul_u64 s[8:9], s[6:7], s[4:5]
	s_wait_alu 0xfffe
	s_mul_hi_u32 s11, s4, s9
	s_mul_i32 s10, s4, s9
	s_mul_hi_u32 s52, s4, s8
	s_mul_i32 s13, s5, s8
	s_wait_alu 0xfffe
	s_add_nc_u64 s[10:11], s[52:53], s[10:11]
	s_mul_hi_u32 s12, s5, s8
	s_mul_hi_u32 s14, s5, s9
	s_mul_i32 s8, s5, s9
	s_wait_alu 0xfffe
	s_add_co_u32 s9, s10, s13
	s_add_co_ci_u32 s52, s11, s12
	s_add_co_ci_u32 s9, s14, 0
	s_wait_alu 0xfffe
	s_add_nc_u64 s[8:9], s[52:53], s[8:9]
	s_wait_alu 0xfffe
	s_add_co_u32 s4, s4, s8
	s_cselect_b32 s8, -1, 0
	s_wait_alu 0xfffe
	s_cmp_lg_u32 s8, 0
	s_add_co_ci_u32 s5, s5, s9
	s_wait_alu 0xfffe
	s_mul_u64 s[6:7], s[6:7], s[4:5]
	s_wait_alu 0xfffe
	s_mul_hi_u32 s9, s4, s7
	s_mul_i32 s8, s4, s7
	s_mul_hi_u32 s52, s4, s6
	s_mul_i32 s11, s5, s6
	s_wait_alu 0xfffe
	s_add_nc_u64 s[8:9], s[52:53], s[8:9]
	s_mul_hi_u32 s10, s5, s6
	s_mul_hi_u32 s12, s5, s7
	s_mul_i32 s6, s5, s7
	s_wait_alu 0xfffe
	s_add_co_u32 s7, s8, s11
	s_add_co_ci_u32 s52, s9, s10
	s_add_co_ci_u32 s7, s12, 0
	s_wait_alu 0xfffe
	s_add_nc_u64 s[6:7], s[52:53], s[6:7]
	s_wait_alu 0xfffe
	s_add_co_u32 s4, s4, s6
	s_cselect_b32 s6, -1, 0
	s_wait_alu 0xfffe
	s_mul_hi_u32 s52, s24, s4
	s_cmp_lg_u32 s6, 0
	s_mul_hi_u32 s8, s25, s4
	s_add_co_ci_u32 s6, s5, s7
	s_mul_i32 s7, s25, s4
	s_wait_alu 0xfffe
	s_mul_hi_u32 s5, s24, s6
	s_mul_i32 s4, s24, s6
	s_mul_hi_u32 s9, s25, s6
	s_wait_alu 0xfffe
	s_add_nc_u64 s[4:5], s[52:53], s[4:5]
	s_mul_i32 s6, s25, s6
	s_wait_alu 0xfffe
	s_add_co_u32 s4, s4, s7
	s_add_co_ci_u32 s52, s5, s8
	s_add_co_ci_u32 s7, s9, 0
	s_wait_alu 0xfffe
	s_add_nc_u64 s[4:5], s[52:53], s[6:7]
	s_wait_alu 0xfffe
	s_mul_u64 s[4:5], s[70:71], s[4:5]
	s_wait_alu 0xfffe
	s_sub_co_u32 s4, s24, s4
	s_cselect_b32 s6, -1, 0
	s_wait_alu 0xfffe
	s_cmp_lg_u32 s6, 0
	s_sub_co_ci_u32 s5, s25, s5
	s_sub_co_u32 s6, s4, s70
	s_cselect_b32 s7, -1, 0
	s_wait_alu 0xfffe
	s_cmp_lg_u32 s7, 0
	s_sub_co_ci_u32 s7, s5, 0
	;; [unrolled: 5-line block ×3, first 2 shown]
	s_cmp_ge_u32 s6, s70
	s_cselect_b32 s10, -1, 0
	s_cmp_eq_u32 s7, 0
	s_wait_alu 0xfffe
	s_cselect_b32 s10, s10, -1
	s_wait_alu 0xfffe
	s_cmp_lg_u32 s10, 0
	s_cselect_b32 s7, s9, s7
	s_cselect_b32 s6, s8, s6
	s_cmp_ge_u32 s4, s70
	s_cselect_b32 s8, -1, 0
	s_cmp_eq_u32 s5, 0
	s_wait_alu 0xfffe
	s_cselect_b32 s8, s8, -1
	s_wait_alu 0xfffe
	s_cmp_lg_u32 s8, 0
	s_cselect_b32 s5, s7, s5
	s_cselect_b32 s4, s6, s4
	s_cbranch_execnz .LBB103_76
.LBB103_75:                             ;   in Loop: Header=BB103_36 Depth=1
	s_wait_alu 0xfffe
	v_cvt_f32_u32_e32 v4, s70
	s_sub_co_i32 s5, 0, s70
	s_delay_alu instid0(VALU_DEP_1) | instskip(NEXT) | instid1(TRANS32_DEP_1)
	v_rcp_iflag_f32_e32 v4, v4
	v_mul_f32_e32 v4, 0x4f7ffffe, v4
	s_delay_alu instid0(VALU_DEP_1) | instskip(NEXT) | instid1(VALU_DEP_1)
	v_cvt_u32_f32_e32 v4, v4
	v_readfirstlane_b32 s4, v4
	s_wait_alu 0xfffe
	s_mul_i32 s5, s5, s4
	s_wait_alu 0xfffe
	s_mul_hi_u32 s5, s4, s5
	s_wait_alu 0xfffe
	s_add_co_i32 s4, s4, s5
	s_wait_alu 0xfffe
	s_mul_hi_u32 s4, s24, s4
	s_wait_alu 0xfffe
	s_mul_i32 s4, s4, s70
	s_wait_alu 0xfffe
	s_sub_co_i32 s4, s24, s4
	s_wait_alu 0xfffe
	s_sub_co_i32 s5, s4, s70
	s_cmp_ge_u32 s4, s70
	s_wait_alu 0xfffe
	s_cselect_b32 s4, s5, s4
	s_wait_alu 0xfffe
	s_sub_co_i32 s5, s4, s70
	s_cmp_ge_u32 s4, s70
	s_wait_alu 0xfffe
	s_cselect_b32 s52, s5, s4
	s_wait_alu 0xfffe
	s_mov_b64 s[4:5], s[52:53]
.LBB103_76:                             ;   in Loop: Header=BB103_36 Depth=1
	v_mov_b32_e32 v7, 0
	v_dual_mov_b32 v11, 0 :: v_dual_mov_b32 v8, 0
	v_dual_mov_b32 v9, 0 :: v_dual_mov_b32 v12, 0
	;; [unrolled: 1-line block ×3, first 2 shown]
	v_mov_b32_e32 v14, 0
	v_and_b32_e32 v54, 0xffff, v3
	s_wait_alu 0xfffe
	s_sub_nc_u64 s[72:73], s[24:25], s[4:5]
	s_mov_b32 s69, exec_lo
	s_wait_alu 0xfffe
	v_cmpx_gt_u64_e64 s[72:73], v[21:22]
	s_cbranch_execz .LBB103_80
; %bb.77:                               ;   in Loop: Header=BB103_36 Depth=1
	v_mul_lo_u32 v3, v54, s65
	v_mul_hi_u32 v7, v54, s64
	v_mul_lo_u32 v55, v54, s64
	v_mov_b32_e32 v38, v28
	v_mov_b32_e32 v40, v26
	;; [unrolled: 1-line block ×3, first 2 shown]
	v_dual_mov_b32 v44, v22 :: v_dual_mov_b32 v39, v25
	v_dual_mov_b32 v3, v29 :: v_dual_add_nc_u32 v8, v3, v53
	v_dual_mov_b32 v4, v30 :: v_dual_mov_b32 v37, v27
	s_delay_alu instid0(VALU_DEP_2)
	v_dual_mov_b32 v41, v23 :: v_dual_add_nc_u32 v56, v8, v7
	v_mov_b32_e32 v43, v21
	s_mov_b64 s[74:75], 0
	s_mov_b32 s71, 0
	s_mov_b64 s[76:77], 0
	s_mov_b64 s[78:79], 0
	s_mov_b64 s[80:81], 0
.LBB103_78:                             ;   Parent Loop BB103_36 Depth=1
                                        ; =>  This Inner Loop Header: Depth=2
	v_add_co_u32 v7, vcc_lo, v3, s48
	s_wait_alu 0xfffd
	v_add_co_ci_u32_e64 v8, null, s49, v4, vcc_lo
	v_add_co_u32 v9, vcc_lo, v37, s48
	s_wait_alu 0xfffd
	v_add_co_ci_u32_e64 v10, null, s49, v38, vcc_lo
	;; [unrolled: 3-line block ×4, first 2 shown]
	global_load_b64 v[7:8], v[7:8], off
	global_load_b64 v[9:10], v[9:10], off
	;; [unrolled: 1-line block ×4, first 2 shown]
	v_mov_b32_e32 v58, v16
	v_mov_b32_e32 v60, v16
	;; [unrolled: 1-line block ×3, first 2 shown]
	v_add_co_u32 v43, vcc_lo, v43, s70
	s_wait_alu 0xfffd
	v_add_co_ci_u32_e64 v44, null, 0, v44, vcc_lo
	v_add_co_u32 v41, vcc_lo, v41, v55
	s_wait_alu 0xfffd
	v_add_co_ci_u32_e64 v42, null, v42, v56, vcc_lo
	;; [unrolled: 3-line block ×5, first 2 shown]
	v_cmp_le_u64_e32 vcc_lo, s[72:73], v[43:44]
	s_wait_loadcnt 0x3
	v_xor_b32_e32 v8, 0x80000000, v8
	s_wait_loadcnt 0x2
	v_xor_b32_e32 v10, 0x80000000, v10
	;; [unrolled: 2-line block ×3, first 2 shown]
	v_and_b32_e32 v63, v7, v33
	s_wait_loadcnt 0x0
	v_xor_b32_e32 v14, 0x80000000, v14
	v_and_b32_e32 v64, v8, v34
	v_lshrrev_b64 v[7:8], s89, v[7:8]
	v_and_b32_e32 v65, v9, v33
	v_lshrrev_b64 v[8:9], s89, v[9:10]
	;; [unrolled: 2-line block ×4, first 2 shown]
	v_and_b32_e32 v15, 3, v7
	v_and_b32_e32 v57, 3, v8
	;; [unrolled: 1-line block ×4, first 2 shown]
	v_cmp_eq_u64_e64 s4, v[63:64], v[31:32]
	v_cmp_eq_u64_e64 s8, 0, v[15:16]
	v_and_b32_e32 v69, v13, v33
	v_and_b32_e32 v70, v14, v34
	;; [unrolled: 1-line block ×3, first 2 shown]
	v_cmp_eq_u64_e64 s5, v[65:66], v[31:32]
	v_cmp_eq_u64_e64 s9, 0, v[57:58]
	;; [unrolled: 1-line block ×6, first 2 shown]
	s_and_b32 s8, s4, s8
	v_cmp_eq_u64_e64 s12, 1, v[15:16]
	s_wait_alu 0xfffe
	v_cndmask_b32_e64 v7, 0, 1, s8
	s_and_b32 s8, s5, s9
	v_cmp_eq_u64_e64 s13, 1, v[57:58]
	s_wait_alu 0xfffe
	v_cndmask_b32_e64 v8, 0, 1, s8
	;; [unrolled: 4-line block ×4, first 2 shown]
	s_and_b32 s8, s4, s12
	v_cmp_eq_u64_e64 s16, 2, v[15:16]
	v_cmp_eq_u64_e64 s20, 3, v[15:16]
	s_wait_alu 0xfffe
	v_cndmask_b32_e64 v11, 0, 1, s8
	s_and_b32 s8, s5, s13
	v_cmp_eq_u64_e64 s21, 3, v[57:58]
	s_wait_alu 0xfffe
	v_cndmask_b32_e64 v12, 0, 1, s8
	s_and_b32 s8, s6, s14
	v_cmp_eq_u64_e64 s17, 2, v[57:58]
	v_cmp_eq_u64_e64 s22, 3, v[59:60]
	s_wait_alu 0xfffe
	v_cndmask_b32_e64 v13, 0, 1, s8
	s_and_b32 s8, s7, s15
	v_cmp_eq_u64_e64 s18, 2, v[59:60]
	v_cmp_eq_u64_e64 s23, 3, v[61:62]
	s_wait_alu 0xfffe
	v_cndmask_b32_e64 v14, 0, 1, s8
	s_and_b32 s8, s4, s16
	s_and_b32 s4, s4, s20
	v_cmp_eq_u64_e64 s19, 2, v[61:62]
	s_wait_alu 0xfffe
	v_cndmask_b32_e64 v60, 0, 1, s4
	s_and_b32 s4, s5, s21
	v_cndmask_b32_e64 v15, 0, 1, s8
	s_and_b32 s8, s5, s17
	s_wait_alu 0xfffe
	v_cndmask_b32_e64 v61, 0, 1, s4
	s_and_b32 s4, s6, s22
	v_cndmask_b32_e64 v57, 0, 1, s8
	s_and_b32 s8, s6, s18
	;; [unrolled: 5-line block ×3, first 2 shown]
	s_wait_alu 0xfffe
	v_cndmask_b32_e64 v63, 0, 1, s4
	v_cmp_ne_u32_e64 s4, 0, v7
	v_cmp_ne_u32_e64 s5, 0, v8
	v_cndmask_b32_e64 v59, 0, 1, s8
	v_cmp_ne_u32_e64 s6, 0, v9
	v_cmp_ne_u32_e64 s8, 0, v11
	;; [unrolled: 1-line block ×7, first 2 shown]
	s_bcnt1_i32_b32 s4, s4
	s_bcnt1_i32_b32 s5, s5
	v_cmp_ne_u32_e64 s11, 0, v14
	v_cmp_ne_u32_e64 s14, 0, v58
	v_cmp_ne_u32_e64 s16, 0, v60
	v_cmp_ne_u32_e64 s17, 0, v61
	s_bcnt1_i32_b32 s6, s6
	s_bcnt1_i32_b32 s8, s8
	;; [unrolled: 1-line block ×3, first 2 shown]
	s_wait_alu 0xfffe
	s_add_co_i32 s4, s5, s4
	v_cmp_ne_u32_e64 s15, 0, v59
	v_cmp_ne_u32_e64 s18, 0, v62
	s_bcnt1_i32_b32 s7, s7
	s_bcnt1_i32_b32 s10, s10
	;; [unrolled: 1-line block ×4, first 2 shown]
	s_add_co_i32 s5, s9, s8
	s_wait_alu 0xfffe
	s_add_co_i32 s4, s4, s6
	v_cmp_ne_u32_e64 s19, 0, v63
	s_bcnt1_i32_b32 s11, s11
	s_bcnt1_i32_b32 s14, s14
	;; [unrolled: 1-line block ×4, first 2 shown]
	s_add_co_i32 s8, s13, s12
	s_add_co_i32 s5, s5, s10
	s_wait_alu 0xfffe
	s_add_co_i32 s52, s4, s7
	s_bcnt1_i32_b32 s15, s15
	s_bcnt1_i32_b32 s18, s18
	s_add_co_i32 s9, s17, s16
	s_add_co_i32 s6, s8, s14
	s_wait_alu 0xfffe
	s_add_nc_u64 s[80:81], s[80:81], s[52:53]
	s_add_co_i32 s52, s5, s11
	s_bcnt1_i32_b32 s19, s19
	s_add_co_i32 s8, s9, s18
	s_wait_alu 0xfffe
	s_add_nc_u64 s[78:79], s[78:79], s[52:53]
	s_add_co_i32 s52, s6, s15
	v_mov_b32_e32 v7, s80
	s_wait_alu 0xfffe
	s_add_nc_u64 s[76:77], s[76:77], s[52:53]
	s_add_co_i32 s52, s8, s19
	v_mov_b32_e32 v9, s78
	s_wait_alu 0xfffe
	s_add_nc_u64 s[74:75], s[74:75], s[52:53]
	v_mov_b32_e32 v11, s76
	s_wait_alu 0xfffe
	v_dual_mov_b32 v13, s74 :: v_dual_mov_b32 v8, s81
	v_mov_b32_e32 v10, s79
	v_mov_b32_e32 v12, s77
	;; [unrolled: 1-line block ×3, first 2 shown]
	s_or_b32 s71, vcc_lo, s71
	s_wait_alu 0xfffe
	s_and_not1_b32 exec_lo, exec_lo, s71
	s_cbranch_execnz .LBB103_78
; %bb.79:                               ;   in Loop: Header=BB103_36 Depth=1
	s_or_b32 exec_lo, exec_lo, s71
.LBB103_80:                             ;   in Loop: Header=BB103_36 Depth=1
	s_delay_alu instid0(SALU_CYCLE_1)
	s_or_b32 exec_lo, exec_lo, s69
	v_add_co_u32 v3, s4, s72, v0
	s_wait_alu 0xf1ff
	v_add_co_ci_u32_e64 v4, null, s73, 0, s4
	s_mov_b32 s8, exec_lo
	v_cmpx_gt_u64_e64 s[24:25], v[3:4]
	s_cbranch_execz .LBB103_86
; %bb.81:                               ;   in Loop: Header=BB103_36 Depth=1
	v_mul_lo_u32 v15, v4, s28
	v_mul_lo_u32 v39, v3, s29
	v_mad_co_u64_u32 v[37:38], null, v3, s28, 0
	s_mov_b32 s9, 0
	v_add3_u32 v38, v38, v39, v15
	s_delay_alu instid0(VALU_DEP_1) | instskip(NEXT) | instid1(VALU_DEP_1)
	v_lshlrev_b64_e32 v[37:38], 3, v[37:38]
	v_add_co_u32 v37, vcc_lo, s50, v37
	s_wait_alu 0xfffd
	s_delay_alu instid0(VALU_DEP_2)
	v_add_co_ci_u32_e64 v38, null, s51, v38, vcc_lo
	global_load_b64 v[39:40], v[37:38], off
	s_branch .LBB103_83
.LBB103_82:                             ;   in Loop: Header=BB103_83 Depth=2
	s_wait_alu 0xfffe
	s_or_b32 exec_lo, exec_lo, s5
	s_wait_loadcnt 0x0
	v_xor_b32_e32 v40, 0x80000000, v40
	s_and_b32 s6, exec_lo, vcc_lo
	s_wait_alu 0xfffe
	s_or_b32 s9, s6, s9
	s_delay_alu instid0(VALU_DEP_1) | instskip(SKIP_2) | instid1(VALU_DEP_3)
	v_lshrrev_b64 v[41:42], s89, v[39:40]
	v_and_b32_e32 v39, v39, v33
	v_and_b32_e32 v40, v40, v34
	;; [unrolled: 1-line block ×3, first 2 shown]
	s_delay_alu instid0(VALU_DEP_2) | instskip(NEXT) | instid1(VALU_DEP_2)
	v_cmp_eq_u64_e64 s4, v[39:40], v[31:32]
	v_cmp_eq_u64_e64 s5, 0, v[15:16]
	v_cmp_eq_u64_e32 vcc_lo, 1, v[15:16]
	v_cmp_eq_u64_e64 s6, 2, v[15:16]
	v_cmp_eq_u64_e64 s7, 3, v[15:16]
	s_and_b32 s5, s4, s5
	s_wait_alu 0xfffe
	v_cndmask_b32_e64 v15, 0, 1, s5
	s_and_b32 s5, s4, vcc_lo
	s_wait_alu 0xfffe
	v_cndmask_b32_e64 v39, 0, 1, s5
	s_and_b32 s5, s4, s6
	s_and_b32 s4, s4, s7
	s_wait_alu 0xfffe
	v_cndmask_b32_e64 v40, 0, 1, s5
	v_cmp_ne_u32_e32 vcc_lo, 0, v15
	v_cndmask_b32_e64 v41, 0, 1, s4
	v_cmp_ne_u32_e64 s4, 0, v39
	s_delay_alu instid0(VALU_DEP_4)
	v_cmp_ne_u32_e64 s5, 0, v40
	s_bcnt1_i32_b32 s7, vcc_lo
	v_cmp_ne_u32_e64 s6, 0, v41
	s_bcnt1_i32_b32 s4, s4
	s_wait_alu 0xfffe
	v_add_co_u32 v7, vcc_lo, v7, s7
	s_bcnt1_i32_b32 s5, s5
	s_wait_alu 0xfffd
	v_add_co_ci_u32_e64 v8, null, 0, v8, vcc_lo
	v_add_co_u32 v9, vcc_lo, v9, s4
	s_wait_alu 0xfffd
	v_add_co_ci_u32_e64 v10, null, 0, v10, vcc_lo
	s_wait_alu 0xfffe
	v_add_co_u32 v11, vcc_lo, v11, s5
	s_bcnt1_i32_b32 s4, s6
	s_wait_alu 0xfffd
	v_add_co_ci_u32_e64 v12, null, 0, v12, vcc_lo
	s_wait_alu 0xfffe
	v_add_co_u32 v13, vcc_lo, v13, s4
	v_mov_b32_e32 v40, v38
	s_wait_alu 0xfffd
	v_add_co_ci_u32_e64 v14, null, 0, v14, vcc_lo
	v_mov_b32_e32 v39, v37
	s_and_not1_b32 exec_lo, exec_lo, s9
	s_cbranch_execz .LBB103_85
.LBB103_83:                             ;   Parent Loop BB103_36 Depth=1
                                        ; =>  This Inner Loop Header: Depth=2
	v_add_co_u32 v3, vcc_lo, v3, v54
	v_mov_b32_e32 v37, 0
	s_wait_alu 0xfffd
	v_add_co_ci_u32_e64 v4, null, 0, v4, vcc_lo
	v_mov_b32_e32 v38, 0
	s_mov_b32 s5, exec_lo
	s_delay_alu instid0(VALU_DEP_2)
	v_cmp_le_u64_e32 vcc_lo, s[24:25], v[3:4]
	v_cmpx_gt_u64_e64 s[24:25], v[3:4]
	s_cbranch_execz .LBB103_82
; %bb.84:                               ;   in Loop: Header=BB103_83 Depth=2
	v_mul_lo_u32 v15, v4, s28
	v_mul_lo_u32 v41, v3, s29
	v_mad_co_u64_u32 v[37:38], null, v3, s28, 0
	s_delay_alu instid0(VALU_DEP_1) | instskip(NEXT) | instid1(VALU_DEP_1)
	v_add3_u32 v38, v38, v41, v15
	v_lshlrev_b64_e32 v[37:38], 3, v[37:38]
	s_delay_alu instid0(VALU_DEP_1) | instskip(SKIP_1) | instid1(VALU_DEP_2)
	v_add_co_u32 v37, s4, s50, v37
	s_wait_alu 0xf1ff
	v_add_co_ci_u32_e64 v38, null, s51, v38, s4
	global_load_b64 v[37:38], v[37:38], off
	s_branch .LBB103_82
.LBB103_85:                             ;   in Loop: Header=BB103_36 Depth=1
	s_or_b32 exec_lo, exec_lo, s9
.LBB103_86:                             ;   in Loop: Header=BB103_36 Depth=1
	s_wait_alu 0xfffe
	s_or_b32 exec_lo, exec_lo, s8
	s_branch .LBB103_65
.LBB103_87:                             ;   in Loop: Header=BB103_36 Depth=1
	global_load_u16 v3, v16, s[66:67]
	v_mov_b32_e32 v7, 0
	v_mov_b32_e32 v9, 0
	v_mov_b32_e32 v11, 0
	v_dual_mov_b32 v13, 0 :: v_dual_mov_b32 v10, 0
	v_mov_b32_e32 v12, 0
	v_mov_b32_e32 v14, 0
	s_mov_b32 s80, exec_lo
	s_wait_loadcnt 0x0
	v_dual_mov_b32 v8, 0 :: v_dual_and_b32 v39, 0xffff, v3
	v_readfirstlane_b32 s4, v3
	s_and_b32 s69, 0xffff, s4
	s_delay_alu instid0(SALU_CYCLE_1) | instskip(SKIP_4) | instid1(SALU_CYCLE_1)
	s_lshl_b32 s79, s69, 2
	s_wait_alu 0xfffe
	s_cvt_f32_u32 s4, s79
	s_sub_co_i32 s5, 0, s79
	s_wait_alu 0xfffe
	v_rcp_iflag_f32_e32 v4, s4
	s_delay_alu instid0(TRANS32_DEP_1) | instskip(SKIP_2) | instid1(SALU_CYCLE_2)
	v_readfirstlane_b32 s4, v4
	s_mul_f32 s4, s4, 0x4f7ffffe
	s_wait_alu 0xfffe
	s_cvt_u32_f32 s4, s4
	s_wait_alu 0xfffe
	s_delay_alu instid0(SALU_CYCLE_2)
	s_mul_i32 s5, s5, s4
	s_wait_alu 0xfffe
	s_mul_hi_u32 s5, s4, s5
	s_wait_alu 0xfffe
	s_add_co_i32 s4, s4, s5
	s_wait_alu 0xfffe
	s_mul_hi_u32 s4, s68, s4
	s_wait_alu 0xfffe
	s_mul_i32 s5, s4, s79
	s_add_co_i32 s6, s4, 1
	s_wait_alu 0xfffe
	s_sub_co_i32 s5, s68, s5
	s_wait_alu 0xfffe
	s_sub_co_i32 s7, s5, s79
	s_cmp_ge_u32 s5, s79
	s_cselect_b32 s4, s6, s4
	s_wait_alu 0xfffe
	s_cselect_b32 s5, s7, s5
	s_add_co_i32 s6, s4, 1
	s_wait_alu 0xfffe
	s_cmp_ge_u32 s5, s79
	s_cselect_b32 s78, s6, s4
	s_wait_alu 0xfffe
	v_mul_hi_u32 v4, s78, v39
	v_mul_lo_u32 v3, s78, v39
	s_delay_alu instid0(VALU_DEP_1) | instskip(NEXT) | instid1(VALU_DEP_1)
	v_lshlrev_b64_e32 v[3:4], 2, v[3:4]
	v_cmpx_gt_u64_e64 v[3:4], v[21:22]
	s_cbranch_execz .LBB103_91
; %bb.88:                               ;   in Loop: Header=BB103_36 Depth=1
	v_mov_b32_e32 v38, v22
	v_dual_mov_b32 v40, v49 :: v_dual_mov_b32 v37, v21
	s_lshl_b32 s81, s69, 5
	s_mov_b64 s[70:71], 0
	s_mov_b32 s99, 0
	s_mov_b64 s[72:73], 0
	s_mov_b64 s[74:75], 0
	s_mov_b64 s[76:77], 0
.LBB103_89:                             ;   Parent Loop BB103_36 Depth=1
                                        ; =>  This Inner Loop Header: Depth=2
	ds_load_b128 v[7:10], v40
	ds_load_b128 v[11:14], v40 offset:16
	v_dual_mov_b32 v42, v16 :: v_dual_mov_b32 v55, v16
	v_add_co_u32 v37, vcc_lo, v37, s79
	s_wait_alu 0xfffd
	v_add_co_ci_u32_e64 v38, null, 0, v38, vcc_lo
	s_delay_alu instid0(VALU_DEP_1)
	v_cmp_ge_u64_e32 vcc_lo, v[37:38], v[3:4]
	s_wait_dscnt 0x1
	v_xor_b32_e32 v8, 0x80000000, v8
	v_xor_b32_e32 v10, 0x80000000, v10
	s_wait_dscnt 0x0
	v_xor_b32_e32 v12, 0x80000000, v12
	v_and_b32_e32 v56, v7, v33
	v_xor_b32_e32 v14, 0x80000000, v14
	v_and_b32_e32 v57, v8, v34
	v_lshrrev_b64 v[7:8], s89, v[7:8]
	v_and_b32_e32 v58, v9, v33
	v_lshrrev_b64 v[8:9], s89, v[9:10]
	v_dual_mov_b32 v44, v16 :: v_dual_and_b32 v59, v10, v34
	v_lshrrev_b64 v[9:10], s89, v[11:12]
	v_and_b32_e32 v60, v11, v33
	v_lshrrev_b64 v[10:11], s89, v[13:14]
	v_and_b32_e32 v15, 3, v7
	v_and_b32_e32 v41, 3, v8
	;; [unrolled: 1-line block ×4, first 2 shown]
	v_cmp_eq_u64_e64 s4, v[56:57], v[31:32]
	v_cmp_eq_u64_e64 s8, 0, v[15:16]
	v_and_b32_e32 v62, v13, v33
	v_and_b32_e32 v63, v14, v34
	;; [unrolled: 1-line block ×3, first 2 shown]
	v_cmp_eq_u64_e64 s5, v[58:59], v[31:32]
	v_cmp_eq_u64_e64 s9, 0, v[41:42]
	;; [unrolled: 1-line block ×6, first 2 shown]
	s_and_b32 s8, s4, s8
	v_cmp_eq_u64_e64 s12, 1, v[15:16]
	s_wait_alu 0xfffe
	v_cndmask_b32_e64 v7, 0, 1, s8
	s_and_b32 s8, s5, s9
	v_cmp_eq_u64_e64 s13, 1, v[41:42]
	s_wait_alu 0xfffe
	v_cndmask_b32_e64 v8, 0, 1, s8
	;; [unrolled: 4-line block ×4, first 2 shown]
	s_and_b32 s8, s4, s12
	v_cmp_eq_u64_e64 s16, 2, v[15:16]
	v_cmp_eq_u64_e64 s20, 3, v[15:16]
	s_wait_alu 0xfffe
	v_cndmask_b32_e64 v11, 0, 1, s8
	s_and_b32 s8, s5, s13
	v_cmp_eq_u64_e64 s21, 3, v[41:42]
	s_wait_alu 0xfffe
	v_cndmask_b32_e64 v12, 0, 1, s8
	s_and_b32 s8, s6, s14
	v_cmp_eq_u64_e64 s17, 2, v[41:42]
	v_cmp_eq_u64_e64 s22, 3, v[43:44]
	s_wait_alu 0xfffe
	v_cndmask_b32_e64 v13, 0, 1, s8
	s_and_b32 s8, s7, s15
	v_cmp_eq_u64_e64 s18, 2, v[43:44]
	v_cmp_eq_u64_e64 s23, 3, v[54:55]
	s_wait_alu 0xfffe
	v_cndmask_b32_e64 v14, 0, 1, s8
	s_and_b32 s8, s4, s16
	s_and_b32 s4, s4, s20
	v_cmp_eq_u64_e64 s19, 2, v[54:55]
	s_wait_alu 0xfffe
	v_cndmask_b32_e64 v44, 0, 1, s4
	s_and_b32 s4, s5, s21
	v_cndmask_b32_e64 v15, 0, 1, s8
	s_and_b32 s8, s5, s17
	s_wait_alu 0xfffe
	v_cndmask_b32_e64 v54, 0, 1, s4
	s_and_b32 s4, s6, s22
	v_cndmask_b32_e64 v41, 0, 1, s8
	s_and_b32 s8, s6, s18
	s_wait_alu 0xfffe
	v_cndmask_b32_e64 v55, 0, 1, s4
	s_and_b32 s4, s7, s23
	v_cndmask_b32_e64 v42, 0, 1, s8
	s_and_b32 s8, s7, s19
	s_wait_alu 0xfffe
	v_cndmask_b32_e64 v56, 0, 1, s4
	v_cmp_ne_u32_e64 s4, 0, v7
	v_cmp_ne_u32_e64 s5, 0, v8
	v_cndmask_b32_e64 v43, 0, 1, s8
	v_cmp_ne_u32_e64 s6, 0, v9
	v_cmp_ne_u32_e64 s8, 0, v11
	;; [unrolled: 1-line block ×7, first 2 shown]
	s_bcnt1_i32_b32 s4, s4
	s_bcnt1_i32_b32 s5, s5
	v_cmp_ne_u32_e64 s11, 0, v14
	v_cmp_ne_u32_e64 s14, 0, v42
	;; [unrolled: 1-line block ×4, first 2 shown]
	s_bcnt1_i32_b32 s6, s6
	s_bcnt1_i32_b32 s8, s8
	;; [unrolled: 1-line block ×3, first 2 shown]
	s_wait_alu 0xfffe
	s_add_co_i32 s4, s5, s4
	v_cmp_ne_u32_e64 s15, 0, v43
	v_cmp_ne_u32_e64 s18, 0, v55
	s_bcnt1_i32_b32 s7, s7
	s_bcnt1_i32_b32 s10, s10
	;; [unrolled: 1-line block ×4, first 2 shown]
	s_add_co_i32 s5, s9, s8
	s_wait_alu 0xfffe
	s_add_co_i32 s4, s4, s6
	v_cmp_ne_u32_e64 s19, 0, v56
	s_bcnt1_i32_b32 s11, s11
	s_bcnt1_i32_b32 s14, s14
	s_bcnt1_i32_b32 s16, s16
	s_bcnt1_i32_b32 s17, s17
	s_add_co_i32 s8, s13, s12
	s_add_co_i32 s5, s5, s10
	s_wait_alu 0xfffe
	s_add_co_i32 s52, s4, s7
	s_bcnt1_i32_b32 s15, s15
	s_bcnt1_i32_b32 s18, s18
	s_add_co_i32 s9, s17, s16
	s_add_co_i32 s6, s8, s14
	s_wait_alu 0xfffe
	s_add_nc_u64 s[76:77], s[76:77], s[52:53]
	s_add_co_i32 s52, s5, s11
	s_bcnt1_i32_b32 s19, s19
	s_add_co_i32 s8, s9, s18
	s_wait_alu 0xfffe
	s_add_nc_u64 s[74:75], s[74:75], s[52:53]
	s_add_co_i32 s52, s6, s15
	v_dual_mov_b32 v7, s76 :: v_dual_add_nc_u32 v40, s81, v40
	s_wait_alu 0xfffe
	s_add_nc_u64 s[72:73], s[72:73], s[52:53]
	s_add_co_i32 s52, s8, s19
	v_mov_b32_e32 v9, s74
	s_wait_alu 0xfffe
	s_add_nc_u64 s[70:71], s[70:71], s[52:53]
	v_mov_b32_e32 v11, s72
	s_wait_alu 0xfffe
	v_dual_mov_b32 v13, s70 :: v_dual_mov_b32 v8, s77
	v_mov_b32_e32 v10, s75
	v_mov_b32_e32 v12, s73
	;; [unrolled: 1-line block ×3, first 2 shown]
	s_or_b32 s99, vcc_lo, s99
	s_delay_alu instid0(SALU_CYCLE_1)
	s_and_not1_b32 exec_lo, exec_lo, s99
	s_cbranch_execnz .LBB103_89
; %bb.90:                               ;   in Loop: Header=BB103_36 Depth=1
	s_or_b32 exec_lo, exec_lo, s99
.LBB103_91:                             ;   in Loop: Header=BB103_36 Depth=1
	s_delay_alu instid0(SALU_CYCLE_1)
	s_or_b32 exec_lo, exec_lo, s80
	v_add_co_u32 v3, vcc_lo, v3, v0
	s_wait_alu 0xfffd
	v_add_co_ci_u32_e64 v4, null, 0, v4, vcc_lo
	s_and_b32 s52, s68, 0x7fffffff
	s_mov_b32 s9, exec_lo
	s_wait_alu 0xfffe
	v_cmpx_gt_u64_e64 s[52:53], v[3:4]
	s_cbranch_execz .LBB103_95
; %bb.92:                               ;   in Loop: Header=BB103_36 Depth=1
	s_mul_i32 s78, s78, s69
	s_lshl_b32 s11, s69, 3
	s_wait_alu 0xfffe
	v_lshl_add_u32 v37, s78, 5, v46
	s_mov_b32 s10, 0
.LBB103_93:                             ;   Parent Loop BB103_36 Depth=1
                                        ; =>  This Inner Loop Header: Depth=2
	ds_load_b64 v[40:41], v37
	v_add_co_u32 v3, vcc_lo, v3, v39
	s_wait_alu 0xfffd
	v_add_co_ci_u32_e64 v4, null, 0, v4, vcc_lo
	v_add_nc_u32_e32 v37, s11, v37
	s_delay_alu instid0(VALU_DEP_2) | instskip(SKIP_3) | instid1(VALU_DEP_2)
	v_cmp_le_u64_e32 vcc_lo, s[52:53], v[3:4]
	s_wait_dscnt 0x0
	v_xor_b32_e32 v41, 0x80000000, v41
	v_and_b32_e32 v42, v40, v33
	v_and_b32_e32 v43, v41, v34
	v_lshrrev_b64 v[40:41], s89, v[40:41]
	s_delay_alu instid0(VALU_DEP_2) | instskip(NEXT) | instid1(VALU_DEP_2)
	v_cmp_eq_u64_e64 s4, v[42:43], v[31:32]
	v_and_b32_e32 v15, 3, v40
	s_delay_alu instid0(VALU_DEP_1)
	v_cmp_eq_u64_e64 s5, 0, v[15:16]
	v_cmp_eq_u64_e64 s6, 1, v[15:16]
	;; [unrolled: 1-line block ×4, first 2 shown]
	s_and_b32 s5, s4, s5
	s_wait_alu 0xfffe
	v_cndmask_b32_e64 v15, 0, 1, s5
	s_and_b32 s5, s4, s6
	s_wait_alu 0xfffe
	v_cndmask_b32_e64 v38, 0, 1, s5
	s_and_b32 s5, s4, s7
	s_and_b32 s4, s4, s8
	s_wait_alu 0xfffe
	v_cndmask_b32_e64 v40, 0, 1, s5
	v_cndmask_b32_e64 v41, 0, 1, s4
	v_cmp_ne_u32_e64 s4, 0, v15
	v_cmp_ne_u32_e64 s5, 0, v38
	s_delay_alu instid0(VALU_DEP_4) | instskip(NEXT) | instid1(VALU_DEP_4)
	v_cmp_ne_u32_e64 s6, 0, v40
	v_cmp_ne_u32_e64 s7, 0, v41
	s_bcnt1_i32_b32 s4, s4
	s_bcnt1_i32_b32 s5, s5
	s_wait_alu 0xfffe
	v_add_co_u32 v7, s4, v7, s4
	s_bcnt1_i32_b32 s6, s6
	v_add_co_ci_u32_e64 v8, null, 0, v8, s4
	v_add_co_u32 v9, s4, v9, s5
	s_bcnt1_i32_b32 s7, s7
	v_add_co_ci_u32_e64 v10, null, 0, v10, s4
	s_wait_alu 0xfffe
	v_add_co_u32 v11, s4, v11, s6
	s_wait_alu 0xf1ff
	v_add_co_ci_u32_e64 v12, null, 0, v12, s4
	v_add_co_u32 v13, s4, v13, s7
	s_wait_alu 0xf1ff
	v_add_co_ci_u32_e64 v14, null, 0, v14, s4
	s_or_b32 s10, vcc_lo, s10
	s_wait_alu 0xfffe
	s_and_not1_b32 exec_lo, exec_lo, s10
	s_cbranch_execnz .LBB103_93
; %bb.94:                               ;   in Loop: Header=BB103_36 Depth=1
	s_or_b32 exec_lo, exec_lo, s10
.LBB103_95:                             ;   in Loop: Header=BB103_36 Depth=1
	s_wait_alu 0xfffe
	s_or_b32 exec_lo, exec_lo, s9
	s_lshl_b32 s4, s92, 7
	s_and_saveexec_b32 s5, s1
	s_cbranch_execnz .LBB103_66
	s_branch .LBB103_67
.LBB103_96:                             ;   in Loop: Header=BB103_36 Depth=1
                                        ; implicit-def: $sgpr4_sgpr5
	s_branch .LBB103_75
.LBB103_97:                             ;   in Loop: Header=BB103_36 Depth=1
	s_mov_b32 s6, 0
	s_and_not1_b32 vcc_lo, exec_lo, s87
	s_wait_alu 0xfffe
	s_cbranch_vccnz .LBB103_100
.LBB103_98:                             ;   in Loop: Header=BB103_36 Depth=1
	s_lshl_b32 s7, s92, 10
	s_lshl_b32 s6, s6, 5
	s_wait_alu 0xfffe
	v_add3_u32 v7, s7, s6, v51
	s_mov_b32 s6, s84
.LBB103_99:                             ;   Parent Loop BB103_36 Depth=1
                                        ; =>  This Inner Loop Header: Depth=2
	ds_load_b64 v[8:9], v7
	v_add_nc_u32_e32 v7, 32, v7
	s_wait_alu 0xfffe
	s_add_co_i32 s6, s6, -1
	s_wait_alu 0xfffe
	s_cmp_lg_u32 s6, 0
	s_wait_dscnt 0x0
	v_add_co_u32 v3, vcc_lo, v8, v3
	s_wait_alu 0xfffd
	v_add_co_ci_u32_e64 v4, null, v9, v4, vcc_lo
	s_cbranch_scc1 .LBB103_99
.LBB103_100:                            ;   in Loop: Header=BB103_36 Depth=1
	v_add_lshl_u32 v7, s4, v45, 3
	ds_store_b64 v7, v[3:4] offset:3072
.LBB103_101:                            ;   in Loop: Header=BB103_36 Depth=1
	s_wait_alu 0xfffe
	s_or_b32 exec_lo, exec_lo, s5
	s_lshl_b32 s4, s4, 3
	s_wait_loadcnt_dscnt 0x0
	s_wait_alu 0xfffe
	v_mov_b32_e32 v3, s4
	s_barrier_signal -1
	s_barrier_wait -1
	global_inv scope:SCOPE_SE
	v_cmp_eq_u64_e32 vcc_lo, 1, v[35:36]
	ds_load_b128 v[7:10], v3 offset:3072
	ds_load_b128 v[11:14], v3 offset:3088
	s_lshl_b64 s[8:9], 3, s89
	s_mov_b32 s19, -1
	s_wait_alu 0xfffe
	s_not_b64 s[12:13], s[8:9]
                                        ; implicit-def: $sgpr22
                                        ; implicit-def: $sgpr21
	s_wait_dscnt 0x1
	v_cmp_eq_u64_e64 s4, 1, v[7:8]
	s_wait_dscnt 0x0
	v_readfirstlane_b32 s10, v11
	v_readfirstlane_b32 s11, v12
	;; [unrolled: 1-line block ×4, first 2 shown]
	s_and_b32 s20, s4, vcc_lo
	s_mov_b32 s4, -1
	s_and_saveexec_b32 s18, s20
	s_cbranch_execz .LBB103_133
; %bb.102:                              ;   in Loop: Header=BB103_36 Depth=1
	ds_load_b64 v[3:4], v16 offset:5120
	s_wait_loadcnt_dscnt 0x0
	s_barrier_signal -1
	s_barrier_wait -1
	global_inv scope:SCOPE_SE
	v_readfirstlane_b32 s4, v3
	v_readfirstlane_b32 s5, v4
	s_and_saveexec_b32 s14, s3
; %bb.103:                              ;   in Loop: Header=BB103_36 Depth=1
	v_mov_b32_e32 v15, v16
	ds_store_b64 v47, v[15:16]
; %bb.104:                              ;   in Loop: Header=BB103_36 Depth=1
	s_wait_alu 0xfffe
	s_or_b32 exec_lo, exec_lo, s14
	v_and_b32_e32 v32, s13, v32
	v_and_b32_e32 v31, s12, v31
	v_or_b32_e32 v34, s9, v34
	v_or_b32_e32 v33, s8, v33
	s_mov_b32 s21, -1
	s_mov_b32 s22, 0
	s_cmp_eq_u64 s[4:5], 0
	s_mov_b32 s16, 0
	s_mov_b32 s17, -1
	s_wait_loadcnt_dscnt 0x0
	s_barrier_signal -1
	s_barrier_wait -1
	global_inv scope:SCOPE_SE
                                        ; implicit-def: $vgpr5_vgpr6
	s_cbranch_scc1 .LBB103_118
; %bb.105:                              ;   in Loop: Header=BB103_36 Depth=1
	s_add_nc_u64 s[14:15], s[4:5], s[56:57]
	s_mov_b32 s16, s53
	s_wait_alu 0xfffe
	s_mov_b32 s17, s15
	s_wait_alu 0xfffe
	s_cmp_lg_u64 s[16:17], 0
	s_cbranch_scc0 .LBB103_159
; %bb.106:                              ;   in Loop: Header=BB103_36 Depth=1
	s_cvt_f32_u32 s16, s44
	s_sub_nc_u64 s[68:69], 0, s[44:45]
	s_wait_alu 0xfffe
	s_delay_alu instid0(SALU_CYCLE_1) | instskip(SKIP_1) | instid1(SALU_CYCLE_2)
	s_fmamk_f32 s16, s91, 0x0, s16
	s_wait_alu 0xfffe
	v_s_rcp_f32 s16, s16
	s_delay_alu instid0(TRANS32_DEP_1) | instskip(SKIP_1) | instid1(SALU_CYCLE_2)
	s_mul_f32 s16, s16, 0x5f7ffffc
	s_wait_alu 0xfffe
	s_mul_f32 s17, s16, 0x2f800000
	s_wait_alu 0xfffe
	s_delay_alu instid0(SALU_CYCLE_2) | instskip(SKIP_1) | instid1(SALU_CYCLE_2)
	s_trunc_f32 s17, s17
	s_wait_alu 0xfffe
	s_fmamk_f32 s16, s17, 0xcf800000, s16
	s_cvt_u32_f32 s17, s17
	s_wait_alu 0xfffe
	s_delay_alu instid0(SALU_CYCLE_1) | instskip(SKIP_1) | instid1(SALU_CYCLE_2)
	s_cvt_u32_f32 s16, s16
	s_wait_alu 0xfffe
	s_mul_u64 s[70:71], s[68:69], s[16:17]
	s_wait_alu 0xfffe
	s_mul_hi_u32 s73, s16, s71
	s_mul_i32 s72, s16, s71
	s_mul_hi_u32 s52, s16, s70
	s_mul_i32 s74, s17, s70
	s_wait_alu 0xfffe
	s_add_nc_u64 s[72:73], s[52:53], s[72:73]
	s_mul_hi_u32 s23, s17, s70
	s_mul_hi_u32 s75, s17, s71
	s_wait_alu 0xfffe
	s_add_co_u32 s52, s72, s74
	s_add_co_ci_u32 s52, s73, s23
	s_mul_i32 s70, s17, s71
	s_add_co_ci_u32 s71, s75, 0
	s_wait_alu 0xfffe
	s_add_nc_u64 s[70:71], s[52:53], s[70:71]
	s_wait_alu 0xfffe
	s_add_co_u32 s16, s16, s70
	s_cselect_b32 s23, -1, 0
	s_delay_alu instid0(SALU_CYCLE_1) | instskip(SKIP_3) | instid1(SALU_CYCLE_1)
	s_cmp_lg_u32 s23, 0
	s_add_co_ci_u32 s17, s17, s71
	s_wait_alu 0xfffe
	s_mul_u64 s[68:69], s[68:69], s[16:17]
	s_mul_hi_u32 s71, s16, s69
	s_mul_i32 s70, s16, s69
	s_mul_hi_u32 s52, s16, s68
	s_mul_i32 s72, s17, s68
	s_wait_alu 0xfffe
	s_add_nc_u64 s[70:71], s[52:53], s[70:71]
	s_mul_hi_u32 s23, s17, s68
	s_mul_hi_u32 s73, s17, s69
	s_wait_alu 0xfffe
	s_add_co_u32 s52, s70, s72
	s_add_co_ci_u32 s52, s71, s23
	s_mul_i32 s68, s17, s69
	s_add_co_ci_u32 s69, s73, 0
	s_wait_alu 0xfffe
	s_add_nc_u64 s[68:69], s[52:53], s[68:69]
	s_delay_alu instid0(SALU_CYCLE_1)
	s_add_co_u32 s16, s16, s68
	s_cselect_b32 s23, -1, 0
	s_wait_alu 0xfffe
	s_mul_hi_u32 s52, s14, s16
	s_cmp_lg_u32 s23, 0
	s_mul_hi_u32 s23, s15, s16
	s_add_co_ci_u32 s68, s17, s69
	s_mul_i32 s69, s15, s16
	s_mul_hi_u32 s17, s14, s68
	s_mul_i32 s16, s14, s68
	s_mul_hi_u32 s70, s15, s68
	s_wait_alu 0xfffe
	s_add_nc_u64 s[16:17], s[52:53], s[16:17]
	s_mul_i32 s68, s15, s68
	s_wait_alu 0xfffe
	s_add_co_u32 s16, s16, s69
	s_add_co_ci_u32 s52, s17, s23
	s_add_co_ci_u32 s69, s70, 0
	s_wait_alu 0xfffe
	s_add_nc_u64 s[16:17], s[52:53], s[68:69]
	s_wait_alu 0xfffe
	s_mul_u64 s[16:17], s[44:45], s[16:17]
	s_wait_alu 0xfffe
	s_sub_co_u32 s16, s14, s16
	s_cselect_b32 s23, -1, 0
	s_delay_alu instid0(SALU_CYCLE_1)
	s_cmp_lg_u32 s23, 0
	s_sub_co_ci_u32 s17, s15, s17
	s_wait_alu 0xfffe
	s_sub_co_u32 s23, s16, s44
	s_cselect_b32 s52, -1, 0
	s_wait_alu 0xfffe
	s_cmp_lg_u32 s52, 0
	s_sub_co_ci_u32 s52, s17, 0
	s_sub_co_u32 s68, s23, s44
	s_cselect_b32 s69, -1, 0
	s_delay_alu instid0(SALU_CYCLE_1)
	s_cmp_lg_u32 s69, 0
	s_wait_alu 0xfffe
	s_sub_co_ci_u32 s69, s52, 0
	s_cmp_ge_u32 s23, s44
	s_cselect_b32 s70, -1, 0
	s_cmp_eq_u32 s52, 0
	s_wait_alu 0xfffe
	s_cselect_b32 s70, s70, -1
	s_wait_alu 0xfffe
	s_cmp_lg_u32 s70, 0
	s_cselect_b32 s52, s69, s52
	s_cselect_b32 s23, s68, s23
	s_cmp_ge_u32 s16, s44
	s_cselect_b32 s68, -1, 0
	s_cmp_eq_u32 s17, 0
	s_cselect_b32 s68, s68, -1
	s_delay_alu instid0(SALU_CYCLE_1)
	s_cmp_lg_u32 s68, 0
	s_wait_alu 0xfffe
	s_cselect_b32 s17, s52, s17
	s_cselect_b32 s16, s23, s16
	s_cbranch_execnz .LBB103_108
.LBB103_107:                            ;   in Loop: Header=BB103_36 Depth=1
	v_cvt_f32_u32_e32 v3, s44
	s_sub_co_i32 s17, 0, s44
	s_delay_alu instid0(VALU_DEP_1) | instskip(NEXT) | instid1(TRANS32_DEP_1)
	v_rcp_iflag_f32_e32 v3, v3
	v_mul_f32_e32 v3, 0x4f7ffffe, v3
	s_delay_alu instid0(VALU_DEP_1) | instskip(NEXT) | instid1(VALU_DEP_1)
	v_cvt_u32_f32_e32 v3, v3
	v_readfirstlane_b32 s16, v3
	s_wait_alu 0xfffe
	s_mul_i32 s17, s17, s16
	s_wait_alu 0xfffe
	s_mul_hi_u32 s17, s16, s17
	s_wait_alu 0xfffe
	s_add_co_i32 s16, s16, s17
	s_wait_alu 0xfffe
	s_mul_hi_u32 s16, s14, s16
	s_wait_alu 0xfffe
	s_mul_i32 s16, s16, s44
	s_wait_alu 0xfffe
	s_sub_co_i32 s16, s14, s16
	s_wait_alu 0xfffe
	s_sub_co_i32 s17, s16, s44
	s_cmp_ge_u32 s16, s44
	s_wait_alu 0xfffe
	s_cselect_b32 s16, s17, s16
	s_wait_alu 0xfffe
	s_sub_co_i32 s17, s16, s44
	s_cmp_ge_u32 s16, s44
	s_wait_alu 0xfffe
	s_cselect_b32 s52, s17, s16
	s_wait_alu 0xfffe
	s_mov_b64 s[16:17], s[52:53]
.LBB103_108:                            ;   in Loop: Header=BB103_36 Depth=1
	s_wait_alu 0xfffe
	s_sub_nc_u64 s[14:15], s[14:15], s[16:17]
	s_mov_b32 s17, 0
	s_mov_b32 s16, 0
	s_mov_b32 s23, exec_lo
                                        ; implicit-def: $vgpr5_vgpr6
	s_wait_alu 0xfffe
	v_cmpx_gt_u64_e64 s[14:15], v[0:1]
	s_cbranch_execz .LBB103_117
; %bb.109:                              ;   in Loop: Header=BB103_36 Depth=1
	v_dual_mov_b32 v13, v46 :: v_dual_mov_b32 v12, v1
	v_mov_b32_e32 v11, v0
                                        ; implicit-def: $sgpr52
	s_branch .LBB103_112
.LBB103_110:                            ;   in Loop: Header=BB103_112 Depth=2
	s_or_b32 exec_lo, exec_lo, s68
	s_wait_loadcnt_dscnt 0x0
	s_barrier_signal -1
	s_barrier_wait -1
	global_inv scope:SCOPE_SE
	ds_load_b128 v[3:6], v16 offset:3072
	s_mov_b32 s68, -1
	s_mov_b32 s69, -1
	s_wait_loadcnt_dscnt 0x0
	s_barrier_signal -1
	s_barrier_wait -1
	global_inv scope:SCOPE_SE
	v_cmp_ne_u64_e32 vcc_lo, 0, v[3:4]
	s_cbranch_vccz .LBB103_115
.LBB103_111:                            ;   in Loop: Header=BB103_112 Depth=2
	s_and_b32 s68, exec_lo, s68
	s_delay_alu instid0(SALU_CYCLE_1)
	s_or_b32 s16, s68, s16
	s_wait_alu 0xfffe
	s_and_not1_b32 s52, s52, exec_lo
	s_and_b32 s68, s69, exec_lo
	s_wait_alu 0xfffe
	s_or_b32 s52, s52, s68
	s_and_not1_b32 exec_lo, exec_lo, s16
	s_cbranch_execz .LBB103_116
.LBB103_112:                            ;   Parent Loop BB103_36 Depth=1
                                        ; =>  This Inner Loop Header: Depth=2
	s_mov_b32 s68, exec_lo
	s_delay_alu instid0(VALU_DEP_1)
	v_cmpx_gt_u64_e64 s[4:5], v[11:12]
	s_cbranch_execz .LBB103_110
; %bb.113:                              ;   in Loop: Header=BB103_112 Depth=2
	ds_load_b64 v[4:5], v13
	s_wait_dscnt 0x0
	v_xor_b32_e32 v3, 0x80000000, v5
	v_and_b32_e32 v14, v4, v33
	s_delay_alu instid0(VALU_DEP_2) | instskip(NEXT) | instid1(VALU_DEP_1)
	v_and_b32_e32 v15, v3, v34
	v_cmp_eq_u64_e32 vcc_lo, v[14:15], v[31:32]
	s_and_b32 exec_lo, exec_lo, vcc_lo
	s_cbranch_execz .LBB103_110
; %bb.114:                              ;   in Loop: Header=BB103_112 Depth=2
	v_mov_b32_e32 v3, v16
	ds_store_b128 v16, v[2:5] offset:3072
	s_branch .LBB103_110
.LBB103_115:                            ;   in Loop: Header=BB103_112 Depth=2
	v_add_co_u32 v11, vcc_lo, v11, s44
	s_wait_alu 0xfffd
	v_add_co_ci_u32_e64 v12, null, 0, v12, vcc_lo
	v_add_nc_u32_e32 v13, s88, v13
	s_mov_b32 s69, 0
	s_delay_alu instid0(VALU_DEP_2)
	v_cmp_le_u64_e32 vcc_lo, s[14:15], v[11:12]
	s_or_not1_b32 s68, vcc_lo, exec_lo
	s_branch .LBB103_111
.LBB103_116:                            ;   in Loop: Header=BB103_36 Depth=1
	s_or_b32 exec_lo, exec_lo, s16
	s_wait_alu 0xfffe
	s_and_b32 s16, s52, exec_lo
.LBB103_117:                            ;   in Loop: Header=BB103_36 Depth=1
	s_or_b32 exec_lo, exec_lo, s23
.LBB103_118:                            ;   in Loop: Header=BB103_36 Depth=1
	s_wait_alu 0xfffe
	s_and_b32 vcc_lo, exec_lo, s17
	s_wait_alu 0xfffe
	s_cbranch_vccz .LBB103_132
; %bb.119:                              ;   in Loop: Header=BB103_36 Depth=1
	s_mov_b32 s4, s53
	s_mov_b32 s5, s59
	s_wait_alu 0xfffe
	s_cmp_lg_u64 s[4:5], 0
	s_cbranch_scc0 .LBB103_163
; %bb.120:                              ;   in Loop: Header=BB103_36 Depth=1
	s_cvt_f32_u32 s4, s44
	s_sub_nc_u64 s[14:15], 0, s[44:45]
	s_wait_alu 0xfffe
	s_delay_alu instid0(SALU_CYCLE_1) | instskip(SKIP_1) | instid1(SALU_CYCLE_2)
	s_fmamk_f32 s4, s91, 0x0, s4
	s_wait_alu 0xfffe
	v_s_rcp_f32 s4, s4
	s_delay_alu instid0(TRANS32_DEP_1) | instskip(SKIP_1) | instid1(SALU_CYCLE_2)
	s_mul_f32 s4, s4, 0x5f7ffffc
	s_wait_alu 0xfffe
	s_mul_f32 s5, s4, 0x2f800000
	s_wait_alu 0xfffe
	s_delay_alu instid0(SALU_CYCLE_2) | instskip(SKIP_1) | instid1(SALU_CYCLE_2)
	s_trunc_f32 s5, s5
	s_wait_alu 0xfffe
	s_fmamk_f32 s4, s5, 0xcf800000, s4
	s_cvt_u32_f32 s5, s5
	s_wait_alu 0xfffe
	s_delay_alu instid0(SALU_CYCLE_1) | instskip(SKIP_1) | instid1(SALU_CYCLE_2)
	s_cvt_u32_f32 s4, s4
	s_wait_alu 0xfffe
	s_mul_u64 s[22:23], s[14:15], s[4:5]
	s_delay_alu instid0(SALU_CYCLE_1)
	s_mul_hi_u32 s69, s4, s23
	s_mul_i32 s68, s4, s23
	s_mul_hi_u32 s52, s4, s22
	s_mul_i32 s21, s5, s22
	s_wait_alu 0xfffe
	s_add_nc_u64 s[68:69], s[52:53], s[68:69]
	s_mul_hi_u32 s17, s5, s22
	s_mul_hi_u32 s70, s5, s23
	s_add_co_u32 s21, s68, s21
	s_wait_alu 0xfffe
	s_add_co_ci_u32 s52, s69, s17
	s_mul_i32 s22, s5, s23
	s_add_co_ci_u32 s23, s70, 0
	s_wait_alu 0xfffe
	s_add_nc_u64 s[22:23], s[52:53], s[22:23]
	s_delay_alu instid0(SALU_CYCLE_1)
	s_add_co_u32 s4, s4, s22
	s_cselect_b32 s17, -1, 0
	s_wait_alu 0xfffe
	s_cmp_lg_u32 s17, 0
	s_add_co_ci_u32 s5, s5, s23
	s_wait_alu 0xfffe
	s_mul_u64 s[14:15], s[14:15], s[4:5]
	s_wait_alu 0xfffe
	s_mul_hi_u32 s23, s4, s15
	s_mul_i32 s22, s4, s15
	s_mul_hi_u32 s52, s4, s14
	s_mul_i32 s21, s5, s14
	s_wait_alu 0xfffe
	s_add_nc_u64 s[22:23], s[52:53], s[22:23]
	s_mul_hi_u32 s17, s5, s14
	s_mul_hi_u32 s68, s5, s15
	s_mul_i32 s14, s5, s15
	s_add_co_u32 s15, s22, s21
	s_wait_alu 0xfffe
	s_add_co_ci_u32 s52, s23, s17
	s_add_co_ci_u32 s15, s68, 0
	s_wait_alu 0xfffe
	s_add_nc_u64 s[14:15], s[52:53], s[14:15]
	s_wait_alu 0xfffe
	s_add_co_u32 s4, s4, s14
	s_cselect_b32 s14, -1, 0
	s_wait_alu 0xfffe
	s_mul_hi_u32 s52, s58, s4
	s_cmp_lg_u32 s14, 0
	s_mul_hi_u32 s17, s59, s4
	s_add_co_ci_u32 s14, s5, s15
	s_mul_i32 s15, s59, s4
	s_wait_alu 0xfffe
	s_mul_hi_u32 s5, s58, s14
	s_mul_i32 s4, s58, s14
	s_mul_hi_u32 s21, s59, s14
	s_wait_alu 0xfffe
	s_add_nc_u64 s[4:5], s[52:53], s[4:5]
	s_mul_i32 s14, s59, s14
	s_wait_alu 0xfffe
	s_add_co_u32 s4, s4, s15
	s_add_co_ci_u32 s52, s5, s17
	s_add_co_ci_u32 s15, s21, 0
	s_wait_alu 0xfffe
	s_add_nc_u64 s[4:5], s[52:53], s[14:15]
	s_wait_alu 0xfffe
	s_mul_u64 s[4:5], s[44:45], s[4:5]
	s_wait_alu 0xfffe
	s_sub_co_u32 s4, s58, s4
	s_cselect_b32 s14, -1, 0
	s_wait_alu 0xfffe
	s_cmp_lg_u32 s14, 0
	s_sub_co_ci_u32 s5, s59, s5
	s_sub_co_u32 s14, s4, s44
	s_cselect_b32 s15, -1, 0
	s_wait_alu 0xfffe
	s_cmp_lg_u32 s15, 0
	s_sub_co_ci_u32 s15, s5, 0
	s_sub_co_u32 s17, s14, s44
	s_cselect_b32 s21, -1, 0
	s_delay_alu instid0(SALU_CYCLE_1)
	s_cmp_lg_u32 s21, 0
	s_wait_alu 0xfffe
	s_sub_co_ci_u32 s21, s15, 0
	s_cmp_ge_u32 s14, s44
	s_cselect_b32 s22, -1, 0
	s_cmp_eq_u32 s15, 0
	s_cselect_b32 s22, s22, -1
	s_delay_alu instid0(SALU_CYCLE_1)
	s_cmp_lg_u32 s22, 0
	s_cselect_b32 s15, s21, s15
	s_cselect_b32 s14, s17, s14
	s_cmp_ge_u32 s4, s44
	s_cselect_b32 s17, -1, 0
	s_cmp_eq_u32 s5, 0
	s_wait_alu 0xfffe
	s_cselect_b32 s17, s17, -1
	s_wait_alu 0xfffe
	s_cmp_lg_u32 s17, 0
	s_cselect_b32 s5, s15, s5
	s_cselect_b32 s4, s14, s4
	s_cbranch_execnz .LBB103_122
.LBB103_121:                            ;   in Loop: Header=BB103_36 Depth=1
	v_cvt_f32_u32_e32 v3, s44
	s_sub_co_i32 s5, 0, s44
	s_delay_alu instid0(VALU_DEP_1) | instskip(NEXT) | instid1(TRANS32_DEP_1)
	v_rcp_iflag_f32_e32 v3, v3
	v_mul_f32_e32 v3, 0x4f7ffffe, v3
	s_delay_alu instid0(VALU_DEP_1) | instskip(NEXT) | instid1(VALU_DEP_1)
	v_cvt_u32_f32_e32 v3, v3
	v_readfirstlane_b32 s4, v3
	s_wait_alu 0xfffe
	s_mul_i32 s5, s5, s4
	s_wait_alu 0xfffe
	s_mul_hi_u32 s5, s4, s5
	s_wait_alu 0xfffe
	s_add_co_i32 s4, s4, s5
	s_wait_alu 0xfffe
	s_mul_hi_u32 s4, s58, s4
	s_wait_alu 0xfffe
	s_mul_i32 s4, s4, s44
	s_wait_alu 0xfffe
	s_sub_co_i32 s4, s58, s4
	s_wait_alu 0xfffe
	s_sub_co_i32 s5, s4, s44
	s_cmp_ge_u32 s4, s44
	s_wait_alu 0xfffe
	s_cselect_b32 s4, s5, s4
	s_wait_alu 0xfffe
	s_sub_co_i32 s5, s4, s44
	s_cmp_ge_u32 s4, s44
	s_wait_alu 0xfffe
	s_cselect_b32 s52, s5, s4
	s_wait_alu 0xfffe
	s_mov_b64 s[4:5], s[52:53]
.LBB103_122:                            ;   in Loop: Header=BB103_36 Depth=1
	s_wait_alu 0xfffe
	s_sub_nc_u64 s[14:15], s[58:59], s[4:5]
	s_mov_b32 s5, exec_lo
                                        ; implicit-def: $vgpr5_vgpr6
	s_wait_alu 0xfffe
	v_cmpx_gt_u64_e64 s[14:15], v[0:1]
	s_cbranch_execz .LBB103_131
; %bb.123:                              ;   in Loop: Header=BB103_36 Depth=1
	v_dual_mov_b32 v11, v17 :: v_dual_mov_b32 v12, v18
	v_dual_mov_b32 v14, v1 :: v_dual_mov_b32 v13, v0
	s_mov_b32 s21, 0
                                        ; implicit-def: $sgpr17
	s_branch .LBB103_126
.LBB103_124:                            ;   in Loop: Header=BB103_126 Depth=2
	s_wait_alu 0xfffe
	s_or_b32 exec_lo, exec_lo, s4
	s_wait_loadcnt_dscnt 0x0
	s_barrier_signal -1
	s_barrier_wait -1
	global_inv scope:SCOPE_SE
	ds_load_b128 v[3:6], v16 offset:3072
	s_mov_b32 s4, -1
	s_mov_b32 s22, -1
	s_wait_loadcnt_dscnt 0x0
	s_barrier_signal -1
	s_barrier_wait -1
	global_inv scope:SCOPE_SE
	v_cmp_ne_u64_e32 vcc_lo, 0, v[3:4]
	s_cbranch_vccz .LBB103_129
.LBB103_125:                            ;   in Loop: Header=BB103_126 Depth=2
	s_wait_alu 0xfffe
	s_and_b32 s4, exec_lo, s4
	s_wait_alu 0xfffe
	s_or_b32 s21, s4, s21
	s_and_not1_b32 s4, s17, exec_lo
	s_and_b32 s17, s22, exec_lo
	s_wait_alu 0xfffe
	s_or_b32 s17, s4, s17
	s_and_not1_b32 exec_lo, exec_lo, s21
	s_cbranch_execz .LBB103_130
.LBB103_126:                            ;   Parent Loop BB103_36 Depth=1
                                        ; =>  This Inner Loop Header: Depth=2
	s_mov_b32 s4, exec_lo
	s_delay_alu instid0(VALU_DEP_1)
	v_cmpx_gt_u64_e64 s[24:25], v[13:14]
	s_cbranch_execz .LBB103_124
; %bb.127:                              ;   in Loop: Header=BB103_126 Depth=2
	global_load_b64 v[4:5], v[11:12], off
	s_wait_loadcnt 0x0
	v_xor_b32_e32 v3, 0x80000000, v5
	v_and_b32_e32 v37, v4, v33
	s_delay_alu instid0(VALU_DEP_2) | instskip(NEXT) | instid1(VALU_DEP_1)
	v_and_b32_e32 v38, v3, v34
	v_cmp_eq_u64_e32 vcc_lo, v[37:38], v[31:32]
	s_and_b32 exec_lo, exec_lo, vcc_lo
	s_cbranch_execz .LBB103_124
; %bb.128:                              ;   in Loop: Header=BB103_126 Depth=2
	v_mov_b32_e32 v3, v16
	ds_store_b128 v16, v[2:5] offset:3072
	s_branch .LBB103_124
.LBB103_129:                            ;   in Loop: Header=BB103_126 Depth=2
	v_add_co_u32 v13, vcc_lo, v13, s44
	s_wait_alu 0xfffd
	v_add_co_ci_u32_e64 v14, null, 0, v14, vcc_lo
	v_add_co_u32 v11, s4, v11, s54
	s_wait_alu 0xf1fe
	v_add_co_ci_u32_e64 v12, null, s55, v12, s4
	s_delay_alu instid0(VALU_DEP_3)
	v_cmp_le_u64_e32 vcc_lo, s[14:15], v[13:14]
	s_mov_b32 s22, 0
	s_or_not1_b32 s4, vcc_lo, exec_lo
	s_branch .LBB103_125
.LBB103_130:                            ;   in Loop: Header=BB103_36 Depth=1
	s_or_b32 exec_lo, exec_lo, s21
	s_delay_alu instid0(SALU_CYCLE_1)
	s_and_not1_b32 s4, s16, exec_lo
	s_wait_alu 0xfffe
	s_and_b32 s14, s17, exec_lo
	s_wait_alu 0xfffe
	s_or_b32 s16, s4, s14
.LBB103_131:                            ;   in Loop: Header=BB103_36 Depth=1
	s_or_b32 exec_lo, exec_lo, s5
	s_mov_b32 s21, 0
	s_mov_b32 s22, -1
.LBB103_132:                            ;   in Loop: Header=BB103_36 Depth=1
	s_wait_alu 0xfffe
	s_or_not1_b32 s4, s16, exec_lo
.LBB103_133:                            ;   in Loop: Header=BB103_36 Depth=1
	s_or_b32 exec_lo, exec_lo, s18
	s_delay_alu instid0(SALU_CYCLE_1)
	s_and_not1_b32 s5, s97, exec_lo
	s_and_b32 s14, s22, exec_lo
	s_and_not1_b32 s15, s95, exec_lo
	s_and_b32 s16, s21, exec_lo
	s_and_not1_b32 s94, s94, exec_lo
	s_wait_alu 0xfffe
	s_or_b32 s97, s5, s14
	s_or_b32 s95, s15, s16
                                        ; implicit-def: $vgpr11_vgpr12
	s_and_saveexec_b32 s18, s4
	s_cbranch_execz .LBB103_35
; %bb.134:                              ;   in Loop: Header=BB103_36 Depth=1
	v_mov_b32_e32 v11, 1
	v_dual_mov_b32 v12, 0 :: v_dual_mov_b32 v37, 1
	s_xor_b32 s14, s20, -1
	s_mov_b32 s5, 0
	s_wait_alu 0xfffe
	s_and_saveexec_b32 s4, s14
	s_cbranch_execz .LBB103_143
; %bb.135:                              ;   in Loop: Header=BB103_36 Depth=1
	s_mov_b32 s5, exec_lo
	v_cmpx_le_u64_e64 v[35:36], v[7:8]
	s_wait_alu 0xfffe
	s_xor_b32 s5, exec_lo, s5
	s_cbranch_execz .LBB103_140
; %bb.136:                              ;   in Loop: Header=BB103_36 Depth=1
	ds_load_b64 v[3:4], v16 offset:5120
	v_and_b32_e32 v32, s13, v32
	v_and_b32_e32 v31, s12, v31
	v_or_b32_e32 v34, s9, v34
	v_or_b32_e32 v33, s8, v33
	s_wait_dscnt 0x0
	v_cmp_ne_u64_e32 vcc_lo, 0, v[3:4]
	s_cbranch_vccnz .LBB103_140
; %bb.137:                              ;   in Loop: Header=BB103_36 Depth=1
	s_and_saveexec_b32 s14, s2
; %bb.138:                              ;   in Loop: Header=BB103_36 Depth=1
	ds_store_b64 v16, v[7:8] offset:5128
; %bb.139:                              ;   in Loop: Header=BB103_36 Depth=1
	s_wait_alu 0xfffe
	s_or_b32 exec_lo, exec_lo, s14
	s_wait_loadcnt_dscnt 0x0
	s_barrier_signal -1
	s_barrier_wait -1
	global_inv scope:SCOPE_SE
.LBB103_140:                            ;   in Loop: Header=BB103_36 Depth=1
	s_wait_alu 0xfffe
	s_or_saveexec_b32 s5, s5
	v_mov_b32_e32 v37, 8
	s_mov_b32 s14, 0
	s_wait_alu 0xfffe
	s_xor_b32 exec_lo, exec_lo, s5
; %bb.141:                              ;   in Loop: Header=BB103_36 Depth=1
	v_sub_co_u32 v35, vcc_lo, v35, v7
	s_wait_alu 0xfffd
	v_sub_co_ci_u32_e64 v36, null, v36, v8, vcc_lo
	v_mov_b32_e32 v37, 0
	s_mov_b32 s14, exec_lo
; %bb.142:                              ;   in Loop: Header=BB103_36 Depth=1
	s_or_b32 exec_lo, exec_lo, s5
	s_delay_alu instid0(VALU_DEP_2)
	v_dual_mov_b32 v11, v35 :: v_dual_mov_b32 v12, v36
	s_wait_alu 0xfffe
	s_and_b32 s5, s14, exec_lo
.LBB103_143:                            ;   in Loop: Header=BB103_36 Depth=1
	s_wait_alu 0xfffe
	s_or_b32 exec_lo, exec_lo, s4
	s_mov_b32 s19, -1
	s_mov_b32 s4, -1
                                        ; implicit-def: $sgpr21
                                        ; implicit-def: $sgpr22
	s_and_saveexec_b32 s14, s5
	s_wait_alu 0xfffe
	s_xor_b32 s20, exec_lo, s14
	s_cbranch_execz .LBB103_288
; %bb.144:                              ;   in Loop: Header=BB103_36 Depth=1
	v_cmp_eq_u64_e32 vcc_lo, 1, v[9:10]
	v_cmp_eq_u64_e64 s4, 1, v[11:12]
                                        ; implicit-def: $sgpr22
                                        ; implicit-def: $sgpr21
	s_and_b32 s68, vcc_lo, s4
	s_mov_b32 s4, -1
	s_and_saveexec_b32 s23, s68
	s_cbranch_execz .LBB103_181
; %bb.145:                              ;   in Loop: Header=BB103_36 Depth=1
	ds_load_b64 v[3:4], v16 offset:5120
	s_wait_loadcnt_dscnt 0x0
	s_barrier_signal -1
	s_barrier_wait -1
	global_inv scope:SCOPE_SE
	v_readfirstlane_b32 s4, v3
	v_readfirstlane_b32 s5, v4
	s_and_saveexec_b32 s14, s3
; %bb.146:                              ;   in Loop: Header=BB103_36 Depth=1
	v_mov_b32_e32 v15, v16
	ds_store_b64 v47, v[15:16]
; %bb.147:                              ;   in Loop: Header=BB103_36 Depth=1
	s_wait_alu 0xfffe
	s_or_b32 exec_lo, exec_lo, s14
	v_and_b32_e32 v3, s13, v32
	v_and_b32_e32 v4, s12, v31
	s_lshl_b64 s[14:15], 1, s89
	v_or_b32_e32 v34, s9, v34
	v_or_b32_e32 v33, s8, v33
	s_wait_alu 0xfffe
	v_or_b32_e32 v32, s15, v3
	v_or_b32_e32 v31, s14, v4
	s_mov_b32 s21, -1
	s_mov_b32 s22, 0
	s_cmp_eq_u64 s[4:5], 0
	s_mov_b32 s16, 0
	s_mov_b32 s17, -1
	s_wait_loadcnt_dscnt 0x0
	s_barrier_signal -1
	s_barrier_wait -1
	global_inv scope:SCOPE_SE
                                        ; implicit-def: $vgpr5_vgpr6
	s_cbranch_scc1 .LBB103_166
; %bb.148:                              ;   in Loop: Header=BB103_36 Depth=1
	s_add_nc_u64 s[14:15], s[4:5], s[56:57]
	s_mov_b32 s16, s53
	s_wait_alu 0xfffe
	s_mov_b32 s17, s15
	s_wait_alu 0xfffe
	s_cmp_lg_u64 s[16:17], 0
	s_cbranch_scc0 .LBB103_208
; %bb.149:                              ;   in Loop: Header=BB103_36 Depth=1
	s_cvt_f32_u32 s16, s44
	s_sub_nc_u64 s[70:71], 0, s[44:45]
	s_wait_alu 0xfffe
	s_delay_alu instid0(SALU_CYCLE_1) | instskip(SKIP_1) | instid1(SALU_CYCLE_2)
	s_fmamk_f32 s16, s91, 0x0, s16
	s_wait_alu 0xfffe
	v_s_rcp_f32 s16, s16
	s_delay_alu instid0(TRANS32_DEP_1) | instskip(SKIP_1) | instid1(SALU_CYCLE_2)
	s_mul_f32 s16, s16, 0x5f7ffffc
	s_wait_alu 0xfffe
	s_mul_f32 s17, s16, 0x2f800000
	s_wait_alu 0xfffe
	s_delay_alu instid0(SALU_CYCLE_2) | instskip(SKIP_1) | instid1(SALU_CYCLE_2)
	s_trunc_f32 s17, s17
	s_wait_alu 0xfffe
	s_fmamk_f32 s16, s17, 0xcf800000, s16
	s_cvt_u32_f32 s17, s17
	s_wait_alu 0xfffe
	s_delay_alu instid0(SALU_CYCLE_1) | instskip(SKIP_1) | instid1(SALU_CYCLE_2)
	s_cvt_u32_f32 s16, s16
	s_wait_alu 0xfffe
	s_mul_u64 s[72:73], s[70:71], s[16:17]
	s_wait_alu 0xfffe
	s_mul_hi_u32 s75, s16, s73
	s_mul_i32 s74, s16, s73
	s_mul_hi_u32 s52, s16, s72
	s_mul_i32 s76, s17, s72
	s_wait_alu 0xfffe
	s_add_nc_u64 s[74:75], s[52:53], s[74:75]
	s_mul_hi_u32 s69, s17, s72
	s_mul_hi_u32 s77, s17, s73
	s_wait_alu 0xfffe
	s_add_co_u32 s52, s74, s76
	s_add_co_ci_u32 s52, s75, s69
	s_mul_i32 s72, s17, s73
	s_add_co_ci_u32 s73, s77, 0
	s_wait_alu 0xfffe
	s_add_nc_u64 s[72:73], s[52:53], s[72:73]
	s_wait_alu 0xfffe
	s_add_co_u32 s16, s16, s72
	s_cselect_b32 s52, -1, 0
	s_wait_alu 0xfffe
	s_cmp_lg_u32 s52, 0
	s_add_co_ci_u32 s17, s17, s73
	s_wait_alu 0xfffe
	s_mul_u64 s[70:71], s[70:71], s[16:17]
	s_wait_alu 0xfffe
	s_mul_hi_u32 s73, s16, s71
	s_mul_i32 s72, s16, s71
	s_mul_hi_u32 s52, s16, s70
	s_mul_i32 s74, s17, s70
	s_wait_alu 0xfffe
	s_add_nc_u64 s[72:73], s[52:53], s[72:73]
	s_mul_hi_u32 s69, s17, s70
	s_mul_hi_u32 s75, s17, s71
	s_wait_alu 0xfffe
	s_add_co_u32 s52, s72, s74
	s_add_co_ci_u32 s52, s73, s69
	s_mul_i32 s70, s17, s71
	s_add_co_ci_u32 s71, s75, 0
	s_wait_alu 0xfffe
	s_add_nc_u64 s[70:71], s[52:53], s[70:71]
	s_wait_alu 0xfffe
	s_add_co_u32 s16, s16, s70
	s_cselect_b32 s69, -1, 0
	s_wait_alu 0xfffe
	s_mul_hi_u32 s52, s14, s16
	s_cmp_lg_u32 s69, 0
	s_mul_hi_u32 s69, s15, s16
	s_add_co_ci_u32 s70, s17, s71
	s_mul_i32 s71, s15, s16
	s_wait_alu 0xfffe
	s_mul_hi_u32 s17, s14, s70
	s_mul_i32 s16, s14, s70
	s_mul_hi_u32 s72, s15, s70
	s_wait_alu 0xfffe
	s_add_nc_u64 s[16:17], s[52:53], s[16:17]
	s_mul_i32 s70, s15, s70
	s_wait_alu 0xfffe
	s_add_co_u32 s16, s16, s71
	s_add_co_ci_u32 s52, s17, s69
	s_add_co_ci_u32 s71, s72, 0
	s_wait_alu 0xfffe
	s_add_nc_u64 s[16:17], s[52:53], s[70:71]
	s_wait_alu 0xfffe
	s_mul_u64 s[16:17], s[44:45], s[16:17]
	s_wait_alu 0xfffe
	s_sub_co_u32 s16, s14, s16
	s_cselect_b32 s52, -1, 0
	s_wait_alu 0xfffe
	s_cmp_lg_u32 s52, 0
	s_sub_co_ci_u32 s17, s15, s17
	s_sub_co_u32 s52, s16, s44
	s_cselect_b32 s69, -1, 0
	s_delay_alu instid0(SALU_CYCLE_1)
	s_cmp_lg_u32 s69, 0
	s_wait_alu 0xfffe
	s_sub_co_ci_u32 s69, s17, 0
	s_sub_co_u32 s70, s52, s44
	s_cselect_b32 s71, -1, 0
	s_wait_alu 0xfffe
	s_cmp_lg_u32 s71, 0
	s_sub_co_ci_u32 s71, s69, 0
	s_cmp_ge_u32 s52, s44
	s_cselect_b32 s72, -1, 0
	s_cmp_eq_u32 s69, 0
	s_wait_alu 0xfffe
	s_cselect_b32 s72, s72, -1
	s_wait_alu 0xfffe
	s_cmp_lg_u32 s72, 0
	s_cselect_b32 s69, s71, s69
	s_cselect_b32 s52, s70, s52
	s_cmp_ge_u32 s16, s44
	s_cselect_b32 s70, -1, 0
	s_cmp_eq_u32 s17, 0
	s_wait_alu 0xfffe
	s_cselect_b32 s70, s70, -1
	s_wait_alu 0xfffe
	s_cmp_lg_u32 s70, 0
	s_cselect_b32 s17, s69, s17
	s_cselect_b32 s16, s52, s16
	s_cbranch_execnz .LBB103_151
.LBB103_150:                            ;   in Loop: Header=BB103_36 Depth=1
	v_cvt_f32_u32_e32 v3, s44
	s_sub_co_i32 s17, 0, s44
	s_delay_alu instid0(VALU_DEP_1) | instskip(NEXT) | instid1(TRANS32_DEP_1)
	v_rcp_iflag_f32_e32 v3, v3
	v_mul_f32_e32 v3, 0x4f7ffffe, v3
	s_delay_alu instid0(VALU_DEP_1) | instskip(NEXT) | instid1(VALU_DEP_1)
	v_cvt_u32_f32_e32 v3, v3
	v_readfirstlane_b32 s16, v3
	s_wait_alu 0xfffe
	s_mul_i32 s17, s17, s16
	s_wait_alu 0xfffe
	s_mul_hi_u32 s17, s16, s17
	s_wait_alu 0xfffe
	s_add_co_i32 s16, s16, s17
	s_wait_alu 0xfffe
	s_mul_hi_u32 s16, s14, s16
	s_wait_alu 0xfffe
	s_mul_i32 s16, s16, s44
	s_wait_alu 0xfffe
	s_sub_co_i32 s16, s14, s16
	s_wait_alu 0xfffe
	s_sub_co_i32 s17, s16, s44
	s_cmp_ge_u32 s16, s44
	s_wait_alu 0xfffe
	s_cselect_b32 s16, s17, s16
	s_wait_alu 0xfffe
	s_sub_co_i32 s17, s16, s44
	s_cmp_ge_u32 s16, s44
	s_wait_alu 0xfffe
	s_cselect_b32 s52, s17, s16
	s_wait_alu 0xfffe
	s_mov_b64 s[16:17], s[52:53]
.LBB103_151:                            ;   in Loop: Header=BB103_36 Depth=1
	s_wait_alu 0xfffe
	s_sub_nc_u64 s[14:15], s[14:15], s[16:17]
	s_mov_b32 s17, 0
	s_mov_b32 s16, 0
	s_mov_b32 s52, exec_lo
                                        ; implicit-def: $vgpr5_vgpr6
	s_wait_alu 0xfffe
	v_cmpx_gt_u64_e64 s[14:15], v[0:1]
	s_cbranch_execz .LBB103_165
; %bb.152:                              ;   in Loop: Header=BB103_36 Depth=1
	v_dual_mov_b32 v13, v46 :: v_dual_mov_b32 v8, v1
	v_mov_b32_e32 v7, v0
                                        ; implicit-def: $sgpr69
	s_branch .LBB103_155
.LBB103_153:                            ;   in Loop: Header=BB103_155 Depth=2
	s_wait_alu 0xfffe
	s_or_b32 exec_lo, exec_lo, s70
	s_wait_loadcnt_dscnt 0x0
	s_barrier_signal -1
	s_barrier_wait -1
	global_inv scope:SCOPE_SE
	ds_load_b128 v[3:6], v16 offset:3072
	s_mov_b32 s70, -1
	s_mov_b32 s71, -1
	s_wait_loadcnt_dscnt 0x0
	s_barrier_signal -1
	s_barrier_wait -1
	global_inv scope:SCOPE_SE
	v_cmp_ne_u64_e32 vcc_lo, 0, v[3:4]
	s_cbranch_vccz .LBB103_158
.LBB103_154:                            ;   in Loop: Header=BB103_155 Depth=2
	s_wait_alu 0xfffe
	s_and_b32 s70, exec_lo, s70
	s_wait_alu 0xfffe
	s_or_b32 s16, s70, s16
	s_and_not1_b32 s69, s69, exec_lo
	s_and_b32 s70, s71, exec_lo
	s_wait_alu 0xfffe
	s_or_b32 s69, s69, s70
	s_and_not1_b32 exec_lo, exec_lo, s16
	s_cbranch_execz .LBB103_164
.LBB103_155:                            ;   Parent Loop BB103_36 Depth=1
                                        ; =>  This Inner Loop Header: Depth=2
	s_mov_b32 s70, exec_lo
	s_delay_alu instid0(VALU_DEP_1)
	v_cmpx_gt_u64_e64 s[4:5], v[7:8]
	s_cbranch_execz .LBB103_153
; %bb.156:                              ;   in Loop: Header=BB103_155 Depth=2
	ds_load_b64 v[4:5], v13
	s_wait_dscnt 0x0
	v_xor_b32_e32 v3, 0x80000000, v5
	v_and_b32_e32 v14, v4, v33
	s_delay_alu instid0(VALU_DEP_2) | instskip(NEXT) | instid1(VALU_DEP_1)
	v_and_b32_e32 v15, v3, v34
	v_cmp_eq_u64_e32 vcc_lo, v[14:15], v[31:32]
	s_and_b32 exec_lo, exec_lo, vcc_lo
	s_cbranch_execz .LBB103_153
; %bb.157:                              ;   in Loop: Header=BB103_155 Depth=2
	v_mov_b32_e32 v3, v16
	ds_store_b128 v16, v[2:5] offset:3072
	s_branch .LBB103_153
.LBB103_158:                            ;   in Loop: Header=BB103_155 Depth=2
	v_add_co_u32 v7, vcc_lo, v7, s44
	s_wait_alu 0xfffd
	v_add_co_ci_u32_e64 v8, null, 0, v8, vcc_lo
	v_add_nc_u32_e32 v13, s88, v13
	s_mov_b32 s71, 0
	s_delay_alu instid0(VALU_DEP_2)
	v_cmp_le_u64_e32 vcc_lo, s[14:15], v[7:8]
	s_or_not1_b32 s70, vcc_lo, exec_lo
	s_branch .LBB103_154
.LBB103_159:                            ;   in Loop: Header=BB103_36 Depth=1
                                        ; implicit-def: $sgpr16_sgpr17
	s_branch .LBB103_107
.LBB103_160:                            ;   in Loop: Header=BB103_36 Depth=1
	s_wait_alu 0xfffe
	s_or_b32 exec_lo, exec_lo, s7
	s_wait_loadcnt_dscnt 0x0
	s_barrier_signal -1
	s_barrier_wait -1
	global_inv scope:SCOPE_SE
	s_and_saveexec_b32 s4, s2
	s_cbranch_execz .LBB103_162
; %bb.161:                              ;   in Loop: Header=BB103_36 Depth=1
	ds_load_b32 v3, v16 offset:5144
	s_wait_dscnt 0x0
	v_ashrrev_i32_e32 v4, 31, v3
	ds_store_b64 v16, v[3:4] offset:5120
.LBB103_162:                            ;   in Loop: Header=BB103_36 Depth=1
	s_wait_alu 0xfffe
	s_or_b32 exec_lo, exec_lo, s4
	s_wait_loadcnt_dscnt 0x0
	s_barrier_signal -1
	s_mov_b32 s4, -1
	s_barrier_wait -1
	s_and_b32 vcc_lo, exec_lo, s6
	s_wait_alu 0xfffe
	s_cbranch_vccnz .LBB103_52
	s_branch .LBB103_61
.LBB103_163:                            ;   in Loop: Header=BB103_36 Depth=1
                                        ; implicit-def: $sgpr4_sgpr5
	s_branch .LBB103_121
.LBB103_164:                            ;   in Loop: Header=BB103_36 Depth=1
	s_or_b32 exec_lo, exec_lo, s16
	s_delay_alu instid0(SALU_CYCLE_1)
	s_and_b32 s16, s69, exec_lo
.LBB103_165:                            ;   in Loop: Header=BB103_36 Depth=1
	s_or_b32 exec_lo, exec_lo, s52
.LBB103_166:                            ;   in Loop: Header=BB103_36 Depth=1
	s_wait_alu 0xfffe
	s_and_b32 vcc_lo, exec_lo, s17
	s_wait_alu 0xfffe
	s_cbranch_vccz .LBB103_180
; %bb.167:                              ;   in Loop: Header=BB103_36 Depth=1
	s_mov_b32 s4, s53
	s_mov_b32 s5, s59
	s_wait_alu 0xfffe
	s_cmp_lg_u64 s[4:5], 0
	s_cbranch_scc0 .LBB103_209
; %bb.168:                              ;   in Loop: Header=BB103_36 Depth=1
	s_cvt_f32_u32 s4, s44
	s_sub_nc_u64 s[14:15], 0, s[44:45]
	s_wait_alu 0xfffe
	s_delay_alu instid0(SALU_CYCLE_1) | instskip(SKIP_1) | instid1(SALU_CYCLE_2)
	s_fmamk_f32 s4, s91, 0x0, s4
	s_wait_alu 0xfffe
	v_s_rcp_f32 s4, s4
	s_delay_alu instid0(TRANS32_DEP_1) | instskip(SKIP_1) | instid1(SALU_CYCLE_2)
	s_mul_f32 s4, s4, 0x5f7ffffc
	s_wait_alu 0xfffe
	s_mul_f32 s5, s4, 0x2f800000
	s_wait_alu 0xfffe
	s_delay_alu instid0(SALU_CYCLE_2) | instskip(SKIP_1) | instid1(SALU_CYCLE_2)
	s_trunc_f32 s5, s5
	s_wait_alu 0xfffe
	s_fmamk_f32 s4, s5, 0xcf800000, s4
	s_cvt_u32_f32 s5, s5
	s_wait_alu 0xfffe
	s_delay_alu instid0(SALU_CYCLE_1) | instskip(SKIP_1) | instid1(SALU_CYCLE_2)
	s_cvt_u32_f32 s4, s4
	s_wait_alu 0xfffe
	s_mul_u64 s[70:71], s[14:15], s[4:5]
	s_wait_alu 0xfffe
	s_mul_hi_u32 s73, s4, s71
	s_mul_i32 s72, s4, s71
	s_mul_hi_u32 s52, s4, s70
	s_mul_i32 s21, s5, s70
	s_wait_alu 0xfffe
	s_add_nc_u64 s[72:73], s[52:53], s[72:73]
	s_mul_hi_u32 s17, s5, s70
	s_mul_hi_u32 s22, s5, s71
	s_wait_alu 0xfffe
	s_add_co_u32 s21, s72, s21
	s_add_co_ci_u32 s52, s73, s17
	s_mul_i32 s70, s5, s71
	s_add_co_ci_u32 s71, s22, 0
	s_wait_alu 0xfffe
	s_add_nc_u64 s[70:71], s[52:53], s[70:71]
	s_wait_alu 0xfffe
	s_add_co_u32 s4, s4, s70
	s_cselect_b32 s17, -1, 0
	s_wait_alu 0xfffe
	s_cmp_lg_u32 s17, 0
	s_add_co_ci_u32 s5, s5, s71
	s_wait_alu 0xfffe
	s_mul_u64 s[14:15], s[14:15], s[4:5]
	s_wait_alu 0xfffe
	s_mul_hi_u32 s71, s4, s15
	s_mul_i32 s70, s4, s15
	s_mul_hi_u32 s52, s4, s14
	s_mul_i32 s21, s5, s14
	s_wait_alu 0xfffe
	s_add_nc_u64 s[70:71], s[52:53], s[70:71]
	s_mul_hi_u32 s17, s5, s14
	s_mul_hi_u32 s22, s5, s15
	s_mul_i32 s14, s5, s15
	s_wait_alu 0xfffe
	s_add_co_u32 s15, s70, s21
	s_add_co_ci_u32 s52, s71, s17
	s_add_co_ci_u32 s15, s22, 0
	s_wait_alu 0xfffe
	s_add_nc_u64 s[14:15], s[52:53], s[14:15]
	s_wait_alu 0xfffe
	s_add_co_u32 s4, s4, s14
	s_cselect_b32 s14, -1, 0
	s_wait_alu 0xfffe
	s_mul_hi_u32 s52, s58, s4
	s_cmp_lg_u32 s14, 0
	s_mul_hi_u32 s17, s59, s4
	s_add_co_ci_u32 s14, s5, s15
	s_mul_i32 s15, s59, s4
	s_wait_alu 0xfffe
	s_mul_hi_u32 s5, s58, s14
	s_mul_i32 s4, s58, s14
	s_mul_hi_u32 s21, s59, s14
	s_wait_alu 0xfffe
	s_add_nc_u64 s[4:5], s[52:53], s[4:5]
	s_mul_i32 s14, s59, s14
	s_wait_alu 0xfffe
	s_add_co_u32 s4, s4, s15
	s_add_co_ci_u32 s52, s5, s17
	s_add_co_ci_u32 s15, s21, 0
	s_wait_alu 0xfffe
	s_add_nc_u64 s[4:5], s[52:53], s[14:15]
	s_wait_alu 0xfffe
	s_mul_u64 s[4:5], s[44:45], s[4:5]
	s_wait_alu 0xfffe
	s_sub_co_u32 s4, s58, s4
	s_cselect_b32 s14, -1, 0
	s_wait_alu 0xfffe
	s_cmp_lg_u32 s14, 0
	s_sub_co_ci_u32 s5, s59, s5
	s_sub_co_u32 s14, s4, s44
	s_cselect_b32 s15, -1, 0
	s_wait_alu 0xfffe
	s_cmp_lg_u32 s15, 0
	s_sub_co_ci_u32 s15, s5, 0
	s_sub_co_u32 s17, s14, s44
	s_cselect_b32 s21, -1, 0
	s_delay_alu instid0(SALU_CYCLE_1)
	s_cmp_lg_u32 s21, 0
	s_wait_alu 0xfffe
	s_sub_co_ci_u32 s21, s15, 0
	s_cmp_ge_u32 s14, s44
	s_cselect_b32 s22, -1, 0
	s_cmp_eq_u32 s15, 0
	s_cselect_b32 s22, s22, -1
	s_delay_alu instid0(SALU_CYCLE_1)
	s_cmp_lg_u32 s22, 0
	s_cselect_b32 s15, s21, s15
	s_cselect_b32 s14, s17, s14
	s_cmp_ge_u32 s4, s44
	s_cselect_b32 s17, -1, 0
	s_cmp_eq_u32 s5, 0
	s_wait_alu 0xfffe
	s_cselect_b32 s17, s17, -1
	s_wait_alu 0xfffe
	s_cmp_lg_u32 s17, 0
	s_cselect_b32 s5, s15, s5
	s_cselect_b32 s4, s14, s4
	s_cbranch_execnz .LBB103_170
.LBB103_169:                            ;   in Loop: Header=BB103_36 Depth=1
	v_cvt_f32_u32_e32 v3, s44
	s_sub_co_i32 s5, 0, s44
	s_delay_alu instid0(VALU_DEP_1) | instskip(NEXT) | instid1(TRANS32_DEP_1)
	v_rcp_iflag_f32_e32 v3, v3
	v_mul_f32_e32 v3, 0x4f7ffffe, v3
	s_delay_alu instid0(VALU_DEP_1) | instskip(NEXT) | instid1(VALU_DEP_1)
	v_cvt_u32_f32_e32 v3, v3
	v_readfirstlane_b32 s4, v3
	s_wait_alu 0xfffe
	s_mul_i32 s5, s5, s4
	s_wait_alu 0xfffe
	s_mul_hi_u32 s5, s4, s5
	s_wait_alu 0xfffe
	s_add_co_i32 s4, s4, s5
	s_wait_alu 0xfffe
	s_mul_hi_u32 s4, s58, s4
	s_wait_alu 0xfffe
	s_mul_i32 s4, s4, s44
	s_wait_alu 0xfffe
	s_sub_co_i32 s4, s58, s4
	s_wait_alu 0xfffe
	s_sub_co_i32 s5, s4, s44
	s_cmp_ge_u32 s4, s44
	s_wait_alu 0xfffe
	s_cselect_b32 s4, s5, s4
	s_wait_alu 0xfffe
	s_sub_co_i32 s5, s4, s44
	s_cmp_ge_u32 s4, s44
	s_wait_alu 0xfffe
	s_cselect_b32 s52, s5, s4
	s_wait_alu 0xfffe
	s_mov_b64 s[4:5], s[52:53]
.LBB103_170:                            ;   in Loop: Header=BB103_36 Depth=1
	s_wait_alu 0xfffe
	s_sub_nc_u64 s[14:15], s[58:59], s[4:5]
	s_mov_b32 s5, exec_lo
                                        ; implicit-def: $vgpr5_vgpr6
	s_wait_alu 0xfffe
	v_cmpx_gt_u64_e64 s[14:15], v[0:1]
	s_cbranch_execz .LBB103_179
; %bb.171:                              ;   in Loop: Header=BB103_36 Depth=1
	v_dual_mov_b32 v7, v17 :: v_dual_mov_b32 v8, v18
	v_dual_mov_b32 v14, v1 :: v_dual_mov_b32 v13, v0
	s_mov_b32 s17, 0
                                        ; implicit-def: $sgpr21
	s_branch .LBB103_174
.LBB103_172:                            ;   in Loop: Header=BB103_174 Depth=2
	s_wait_alu 0xfffe
	s_or_b32 exec_lo, exec_lo, s4
	s_wait_loadcnt_dscnt 0x0
	s_barrier_signal -1
	s_barrier_wait -1
	global_inv scope:SCOPE_SE
	ds_load_b128 v[3:6], v16 offset:3072
	s_mov_b32 s4, -1
	s_mov_b32 s22, -1
	s_wait_loadcnt_dscnt 0x0
	s_barrier_signal -1
	s_barrier_wait -1
	global_inv scope:SCOPE_SE
	v_cmp_eq_u64_e32 vcc_lo, 0, v[3:4]
	s_cbranch_vccnz .LBB103_177
.LBB103_173:                            ;   in Loop: Header=BB103_174 Depth=2
	s_wait_alu 0xfffe
	s_and_b32 s4, exec_lo, s4
	s_wait_alu 0xfffe
	s_or_b32 s17, s4, s17
	s_and_not1_b32 s4, s21, exec_lo
	s_and_b32 s21, s22, exec_lo
	s_wait_alu 0xfffe
	s_or_b32 s21, s4, s21
	s_and_not1_b32 exec_lo, exec_lo, s17
	s_cbranch_execz .LBB103_178
.LBB103_174:                            ;   Parent Loop BB103_36 Depth=1
                                        ; =>  This Inner Loop Header: Depth=2
	s_mov_b32 s4, exec_lo
	s_delay_alu instid0(VALU_DEP_1)
	v_cmpx_gt_u64_e64 s[24:25], v[13:14]
	s_cbranch_execz .LBB103_172
; %bb.175:                              ;   in Loop: Header=BB103_174 Depth=2
	global_load_b64 v[4:5], v[7:8], off
	s_wait_loadcnt 0x0
	v_xor_b32_e32 v3, 0x80000000, v5
	v_and_b32_e32 v35, v4, v33
	s_delay_alu instid0(VALU_DEP_2) | instskip(NEXT) | instid1(VALU_DEP_1)
	v_and_b32_e32 v36, v3, v34
	v_cmp_eq_u64_e32 vcc_lo, v[35:36], v[31:32]
	s_and_b32 exec_lo, exec_lo, vcc_lo
	s_cbranch_execz .LBB103_172
; %bb.176:                              ;   in Loop: Header=BB103_174 Depth=2
	v_mov_b32_e32 v3, v16
	ds_store_b128 v16, v[2:5] offset:3072
	s_branch .LBB103_172
.LBB103_177:                            ;   in Loop: Header=BB103_174 Depth=2
	v_add_co_u32 v13, vcc_lo, v13, s44
	s_wait_alu 0xfffd
	v_add_co_ci_u32_e64 v14, null, 0, v14, vcc_lo
	v_add_co_u32 v7, s4, v7, s54
	s_wait_alu 0xf1fe
	v_add_co_ci_u32_e64 v8, null, s55, v8, s4
	s_delay_alu instid0(VALU_DEP_3)
	v_cmp_le_u64_e32 vcc_lo, s[14:15], v[13:14]
	s_mov_b32 s22, 0
	s_or_not1_b32 s4, vcc_lo, exec_lo
	s_branch .LBB103_173
.LBB103_178:                            ;   in Loop: Header=BB103_36 Depth=1
	s_or_b32 exec_lo, exec_lo, s17
	s_delay_alu instid0(SALU_CYCLE_1)
	s_and_not1_b32 s4, s16, exec_lo
	s_and_b32 s14, s21, exec_lo
	s_wait_alu 0xfffe
	s_or_b32 s16, s4, s14
.LBB103_179:                            ;   in Loop: Header=BB103_36 Depth=1
	s_or_b32 exec_lo, exec_lo, s5
	s_mov_b32 s21, 0
	s_mov_b32 s22, -1
.LBB103_180:                            ;   in Loop: Header=BB103_36 Depth=1
	s_wait_alu 0xfffe
	s_or_not1_b32 s4, s16, exec_lo
.LBB103_181:                            ;   in Loop: Header=BB103_36 Depth=1
	s_or_b32 exec_lo, exec_lo, s23
	s_mov_b32 s5, 0
	s_wait_alu 0xfffe
	s_and_saveexec_b32 s23, s4
	s_cbranch_execz .LBB103_287
; %bb.182:                              ;   in Loop: Header=BB103_36 Depth=1
	v_mov_b32_e32 v7, 1
	v_dual_mov_b32 v8, 0 :: v_dual_mov_b32 v37, 1
	s_xor_b32 s14, s68, -1
	s_wait_alu 0xfffe
	s_and_saveexec_b32 s4, s14
	s_cbranch_execz .LBB103_192
; %bb.183:                              ;   in Loop: Header=BB103_36 Depth=1
	s_mov_b32 s5, exec_lo
	v_cmpx_le_u64_e64 v[11:12], v[9:10]
	s_wait_alu 0xfffe
	s_xor_b32 s5, exec_lo, s5
	s_cbranch_execz .LBB103_189
; %bb.184:                              ;   in Loop: Header=BB103_36 Depth=1
	ds_load_b64 v[3:4], v16 offset:5120
	v_and_b32_e32 v7, s13, v32
	v_and_b32_e32 v8, s12, v31
	s_lshl_b64 s[14:15], 1, s89
	v_or_b32_e32 v34, s9, v34
	v_or_b32_e32 v33, s8, v33
	s_wait_alu 0xfffe
	v_or_b32_e32 v32, s15, v7
	v_or_b32_e32 v31, s14, v8
	s_wait_dscnt 0x0
	v_cmp_ne_u64_e32 vcc_lo, 0, v[3:4]
	s_cbranch_vccnz .LBB103_188
; %bb.185:                              ;   in Loop: Header=BB103_36 Depth=1
	s_and_saveexec_b32 s14, s2
; %bb.186:                              ;   in Loop: Header=BB103_36 Depth=1
	ds_store_b64 v16, v[9:10] offset:5128
; %bb.187:                              ;   in Loop: Header=BB103_36 Depth=1
	s_wait_alu 0xfffe
	s_or_b32 exec_lo, exec_lo, s14
	s_wait_loadcnt_dscnt 0x0
	s_barrier_signal -1
	s_barrier_wait -1
	global_inv scope:SCOPE_SE
.LBB103_188:                            ;   in Loop: Header=BB103_36 Depth=1
                                        ; implicit-def: $vgpr7_vgpr8_vgpr9_vgpr10
.LBB103_189:                            ;   in Loop: Header=BB103_36 Depth=1
	s_wait_alu 0xfffe
	s_or_saveexec_b32 s5, s5
	v_mov_b32_e32 v37, 8
	s_mov_b32 s14, 0
	s_wait_alu 0xfffe
	s_xor_b32 exec_lo, exec_lo, s5
; %bb.190:                              ;   in Loop: Header=BB103_36 Depth=1
	v_sub_co_u32 v11, vcc_lo, v11, v9
	s_wait_alu 0xfffd
	v_sub_co_ci_u32_e64 v12, null, v12, v10, vcc_lo
	v_mov_b32_e32 v37, 0
	s_mov_b32 s14, exec_lo
; %bb.191:                              ;   in Loop: Header=BB103_36 Depth=1
	s_or_b32 exec_lo, exec_lo, s5
	s_delay_alu instid0(VALU_DEP_2)
	v_dual_mov_b32 v7, v11 :: v_dual_mov_b32 v8, v12
	s_wait_alu 0xfffe
	s_and_b32 s5, s14, exec_lo
.LBB103_192:                            ;   in Loop: Header=BB103_36 Depth=1
	s_wait_alu 0xfffe
	s_or_b32 exec_lo, exec_lo, s4
	s_mov_b32 s4, -1
                                        ; implicit-def: $sgpr69
                                        ; implicit-def: $sgpr70
	s_and_saveexec_b32 s68, s5
	s_cbranch_execz .LBB103_286
; %bb.193:                              ;   in Loop: Header=BB103_36 Depth=1
	v_cmp_eq_u64_e32 vcc_lo, 1, v[7:8]
	s_cmp_eq_u64 s[10:11], 1
                                        ; implicit-def: $sgpr70
                                        ; implicit-def: $sgpr69
	s_cselect_b32 s4, -1, 0
	s_wait_alu 0xfffe
	s_and_b32 s71, s4, vcc_lo
	s_mov_b32 s4, -1
	s_wait_alu 0xfffe
	s_and_saveexec_b32 s72, s71
	s_cbranch_execz .LBB103_227
; %bb.194:                              ;   in Loop: Header=BB103_36 Depth=1
	ds_load_b64 v[3:4], v16 offset:5120
	s_wait_loadcnt_dscnt 0x0
	s_barrier_signal -1
	s_barrier_wait -1
	global_inv scope:SCOPE_SE
	v_readfirstlane_b32 s4, v3
	v_readfirstlane_b32 s5, v4
	s_and_saveexec_b32 s14, s3
; %bb.195:                              ;   in Loop: Header=BB103_36 Depth=1
	v_mov_b32_e32 v15, v16
	ds_store_b64 v47, v[15:16]
; %bb.196:                              ;   in Loop: Header=BB103_36 Depth=1
	s_wait_alu 0xfffe
	s_or_b32 exec_lo, exec_lo, s14
	v_and_b32_e32 v3, s13, v32
	v_and_b32_e32 v4, s12, v31
	s_lshl_b64 s[14:15], 2, s89
	v_or_b32_e32 v34, s9, v34
	v_or_b32_e32 v33, s8, v33
	s_wait_alu 0xfffe
	v_or_b32_e32 v32, s15, v3
	v_or_b32_e32 v31, s14, v4
	s_mov_b32 s69, -1
	s_mov_b32 s70, 0
	s_cmp_eq_u64 s[4:5], 0
	s_mov_b32 s16, 0
	s_mov_b32 s17, -1
	s_wait_loadcnt_dscnt 0x0
	s_barrier_signal -1
	s_barrier_wait -1
	global_inv scope:SCOPE_SE
                                        ; implicit-def: $vgpr5_vgpr6
	s_cbranch_scc1 .LBB103_212
; %bb.197:                              ;   in Loop: Header=BB103_36 Depth=1
	s_add_nc_u64 s[14:15], s[4:5], s[56:57]
	s_mov_b32 s16, s53
	s_wait_alu 0xfffe
	s_mov_b32 s17, s15
	s_wait_alu 0xfffe
	s_cmp_lg_u64 s[16:17], 0
	s_cbranch_scc0 .LBB103_253
; %bb.198:                              ;   in Loop: Header=BB103_36 Depth=1
	s_cvt_f32_u32 s16, s44
	s_sub_nc_u64 s[74:75], 0, s[44:45]
	s_wait_alu 0xfffe
	s_delay_alu instid0(SALU_CYCLE_1) | instskip(SKIP_1) | instid1(SALU_CYCLE_2)
	s_fmamk_f32 s16, s91, 0x0, s16
	s_wait_alu 0xfffe
	v_s_rcp_f32 s16, s16
	s_delay_alu instid0(TRANS32_DEP_1) | instskip(SKIP_1) | instid1(SALU_CYCLE_2)
	s_mul_f32 s16, s16, 0x5f7ffffc
	s_wait_alu 0xfffe
	s_mul_f32 s17, s16, 0x2f800000
	s_wait_alu 0xfffe
	s_delay_alu instid0(SALU_CYCLE_2) | instskip(SKIP_1) | instid1(SALU_CYCLE_2)
	s_trunc_f32 s17, s17
	s_wait_alu 0xfffe
	s_fmamk_f32 s16, s17, 0xcf800000, s16
	s_cvt_u32_f32 s17, s17
	s_wait_alu 0xfffe
	s_delay_alu instid0(SALU_CYCLE_1) | instskip(SKIP_1) | instid1(SALU_CYCLE_2)
	s_cvt_u32_f32 s16, s16
	s_wait_alu 0xfffe
	s_mul_u64 s[76:77], s[74:75], s[16:17]
	s_wait_alu 0xfffe
	s_mul_hi_u32 s79, s16, s77
	s_mul_i32 s78, s16, s77
	s_mul_hi_u32 s52, s16, s76
	s_mul_i32 s80, s17, s76
	s_wait_alu 0xfffe
	s_add_nc_u64 s[78:79], s[52:53], s[78:79]
	s_mul_hi_u32 s73, s17, s76
	s_mul_hi_u32 s81, s17, s77
	s_wait_alu 0xfffe
	s_add_co_u32 s52, s78, s80
	s_add_co_ci_u32 s52, s79, s73
	s_mul_i32 s76, s17, s77
	s_add_co_ci_u32 s77, s81, 0
	s_wait_alu 0xfffe
	s_add_nc_u64 s[76:77], s[52:53], s[76:77]
	s_wait_alu 0xfffe
	s_add_co_u32 s16, s16, s76
	s_cselect_b32 s52, -1, 0
	s_wait_alu 0xfffe
	s_cmp_lg_u32 s52, 0
	s_add_co_ci_u32 s17, s17, s77
	s_wait_alu 0xfffe
	s_mul_u64 s[74:75], s[74:75], s[16:17]
	s_wait_alu 0xfffe
	s_mul_hi_u32 s77, s16, s75
	s_mul_i32 s76, s16, s75
	s_mul_hi_u32 s52, s16, s74
	s_mul_i32 s78, s17, s74
	s_wait_alu 0xfffe
	s_add_nc_u64 s[76:77], s[52:53], s[76:77]
	s_mul_hi_u32 s73, s17, s74
	s_mul_hi_u32 s79, s17, s75
	s_wait_alu 0xfffe
	s_add_co_u32 s52, s76, s78
	s_add_co_ci_u32 s52, s77, s73
	s_mul_i32 s74, s17, s75
	s_add_co_ci_u32 s75, s79, 0
	s_wait_alu 0xfffe
	s_add_nc_u64 s[74:75], s[52:53], s[74:75]
	s_wait_alu 0xfffe
	s_add_co_u32 s16, s16, s74
	s_cselect_b32 s73, -1, 0
	s_wait_alu 0xfffe
	s_mul_hi_u32 s52, s14, s16
	s_cmp_lg_u32 s73, 0
	s_mul_hi_u32 s73, s15, s16
	s_add_co_ci_u32 s74, s17, s75
	s_mul_i32 s75, s15, s16
	s_wait_alu 0xfffe
	s_mul_hi_u32 s17, s14, s74
	s_mul_i32 s16, s14, s74
	s_mul_hi_u32 s76, s15, s74
	s_wait_alu 0xfffe
	s_add_nc_u64 s[16:17], s[52:53], s[16:17]
	s_mul_i32 s74, s15, s74
	s_wait_alu 0xfffe
	s_add_co_u32 s16, s16, s75
	s_add_co_ci_u32 s52, s17, s73
	s_add_co_ci_u32 s75, s76, 0
	s_wait_alu 0xfffe
	s_add_nc_u64 s[16:17], s[52:53], s[74:75]
	s_wait_alu 0xfffe
	s_mul_u64 s[16:17], s[44:45], s[16:17]
	s_wait_alu 0xfffe
	s_sub_co_u32 s16, s14, s16
	s_cselect_b32 s52, -1, 0
	s_wait_alu 0xfffe
	s_cmp_lg_u32 s52, 0
	s_sub_co_ci_u32 s17, s15, s17
	s_sub_co_u32 s52, s16, s44
	s_cselect_b32 s73, -1, 0
	s_wait_alu 0xfffe
	s_cmp_lg_u32 s73, 0
	s_sub_co_ci_u32 s73, s17, 0
	;; [unrolled: 5-line block ×3, first 2 shown]
	s_cmp_ge_u32 s52, s44
	s_cselect_b32 s76, -1, 0
	s_cmp_eq_u32 s73, 0
	s_wait_alu 0xfffe
	s_cselect_b32 s76, s76, -1
	s_wait_alu 0xfffe
	s_cmp_lg_u32 s76, 0
	s_cselect_b32 s73, s75, s73
	s_cselect_b32 s52, s74, s52
	s_cmp_ge_u32 s16, s44
	s_cselect_b32 s74, -1, 0
	s_cmp_eq_u32 s17, 0
	s_wait_alu 0xfffe
	s_cselect_b32 s74, s74, -1
	s_wait_alu 0xfffe
	s_cmp_lg_u32 s74, 0
	s_cselect_b32 s17, s73, s17
	s_cselect_b32 s16, s52, s16
	s_cbranch_execnz .LBB103_200
.LBB103_199:                            ;   in Loop: Header=BB103_36 Depth=1
	v_cvt_f32_u32_e32 v3, s44
	s_sub_co_i32 s17, 0, s44
	s_delay_alu instid0(VALU_DEP_1) | instskip(NEXT) | instid1(TRANS32_DEP_1)
	v_rcp_iflag_f32_e32 v3, v3
	v_mul_f32_e32 v3, 0x4f7ffffe, v3
	s_delay_alu instid0(VALU_DEP_1) | instskip(NEXT) | instid1(VALU_DEP_1)
	v_cvt_u32_f32_e32 v3, v3
	v_readfirstlane_b32 s16, v3
	s_wait_alu 0xfffe
	s_mul_i32 s17, s17, s16
	s_wait_alu 0xfffe
	s_mul_hi_u32 s17, s16, s17
	s_wait_alu 0xfffe
	s_add_co_i32 s16, s16, s17
	s_wait_alu 0xfffe
	s_mul_hi_u32 s16, s14, s16
	s_wait_alu 0xfffe
	s_mul_i32 s16, s16, s44
	s_wait_alu 0xfffe
	s_sub_co_i32 s16, s14, s16
	s_wait_alu 0xfffe
	s_sub_co_i32 s17, s16, s44
	s_cmp_ge_u32 s16, s44
	s_wait_alu 0xfffe
	s_cselect_b32 s16, s17, s16
	s_wait_alu 0xfffe
	s_sub_co_i32 s17, s16, s44
	s_cmp_ge_u32 s16, s44
	s_wait_alu 0xfffe
	s_cselect_b32 s52, s17, s16
	s_wait_alu 0xfffe
	s_mov_b64 s[16:17], s[52:53]
.LBB103_200:                            ;   in Loop: Header=BB103_36 Depth=1
	s_wait_alu 0xfffe
	s_sub_nc_u64 s[14:15], s[14:15], s[16:17]
	s_mov_b32 s17, 0
	s_mov_b32 s16, 0
	s_mov_b32 s52, exec_lo
                                        ; implicit-def: $vgpr5_vgpr6
	s_wait_alu 0xfffe
	v_cmpx_gt_u64_e64 s[14:15], v[0:1]
	s_cbranch_execz .LBB103_211
; %bb.201:                              ;   in Loop: Header=BB103_36 Depth=1
	v_dual_mov_b32 v11, v46 :: v_dual_mov_b32 v10, v1
	v_mov_b32_e32 v9, v0
                                        ; implicit-def: $sgpr73
	s_branch .LBB103_204
.LBB103_202:                            ;   in Loop: Header=BB103_204 Depth=2
	s_wait_alu 0xfffe
	s_or_b32 exec_lo, exec_lo, s74
	s_wait_loadcnt_dscnt 0x0
	s_barrier_signal -1
	s_barrier_wait -1
	global_inv scope:SCOPE_SE
	ds_load_b128 v[3:6], v16 offset:3072
	s_mov_b32 s74, -1
	s_mov_b32 s75, -1
	s_wait_loadcnt_dscnt 0x0
	s_barrier_signal -1
	s_barrier_wait -1
	global_inv scope:SCOPE_SE
	v_cmp_ne_u64_e32 vcc_lo, 0, v[3:4]
	s_cbranch_vccz .LBB103_207
.LBB103_203:                            ;   in Loop: Header=BB103_204 Depth=2
	s_wait_alu 0xfffe
	s_and_b32 s74, exec_lo, s74
	s_wait_alu 0xfffe
	s_or_b32 s16, s74, s16
	s_and_not1_b32 s73, s73, exec_lo
	s_and_b32 s74, s75, exec_lo
	s_wait_alu 0xfffe
	s_or_b32 s73, s73, s74
	s_and_not1_b32 exec_lo, exec_lo, s16
	s_cbranch_execz .LBB103_210
.LBB103_204:                            ;   Parent Loop BB103_36 Depth=1
                                        ; =>  This Inner Loop Header: Depth=2
	s_mov_b32 s74, exec_lo
	s_delay_alu instid0(VALU_DEP_1)
	v_cmpx_gt_u64_e64 s[4:5], v[9:10]
	s_cbranch_execz .LBB103_202
; %bb.205:                              ;   in Loop: Header=BB103_204 Depth=2
	ds_load_b64 v[4:5], v11
	s_wait_dscnt 0x0
	v_xor_b32_e32 v3, 0x80000000, v5
	v_and_b32_e32 v12, v4, v33
	s_delay_alu instid0(VALU_DEP_2) | instskip(NEXT) | instid1(VALU_DEP_1)
	v_and_b32_e32 v13, v3, v34
	v_cmp_eq_u64_e32 vcc_lo, v[12:13], v[31:32]
	s_and_b32 exec_lo, exec_lo, vcc_lo
	s_cbranch_execz .LBB103_202
; %bb.206:                              ;   in Loop: Header=BB103_204 Depth=2
	v_mov_b32_e32 v3, v16
	ds_store_b128 v16, v[2:5] offset:3072
	s_branch .LBB103_202
.LBB103_207:                            ;   in Loop: Header=BB103_204 Depth=2
	v_add_co_u32 v9, vcc_lo, v9, s44
	s_wait_alu 0xfffd
	v_add_co_ci_u32_e64 v10, null, 0, v10, vcc_lo
	v_add_nc_u32_e32 v11, s88, v11
	s_mov_b32 s75, 0
	s_delay_alu instid0(VALU_DEP_2)
	v_cmp_le_u64_e32 vcc_lo, s[14:15], v[9:10]
	s_or_not1_b32 s74, vcc_lo, exec_lo
	s_branch .LBB103_203
.LBB103_208:                            ;   in Loop: Header=BB103_36 Depth=1
                                        ; implicit-def: $sgpr16_sgpr17
	s_branch .LBB103_150
.LBB103_209:                            ;   in Loop: Header=BB103_36 Depth=1
                                        ; implicit-def: $sgpr4_sgpr5
	s_branch .LBB103_169
.LBB103_210:                            ;   in Loop: Header=BB103_36 Depth=1
	s_or_b32 exec_lo, exec_lo, s16
	s_wait_alu 0xfffe
	s_and_b32 s16, s73, exec_lo
.LBB103_211:                            ;   in Loop: Header=BB103_36 Depth=1
	s_or_b32 exec_lo, exec_lo, s52
.LBB103_212:                            ;   in Loop: Header=BB103_36 Depth=1
	s_wait_alu 0xfffe
	s_and_b32 vcc_lo, exec_lo, s17
	s_wait_alu 0xfffe
	s_cbranch_vccz .LBB103_226
; %bb.213:                              ;   in Loop: Header=BB103_36 Depth=1
	s_mov_b32 s4, s53
	s_mov_b32 s5, s59
	s_wait_alu 0xfffe
	s_cmp_lg_u64 s[4:5], 0
	s_cbranch_scc0 .LBB103_254
; %bb.214:                              ;   in Loop: Header=BB103_36 Depth=1
	s_cvt_f32_u32 s4, s44
	s_sub_nc_u64 s[14:15], 0, s[44:45]
	s_wait_alu 0xfffe
	s_delay_alu instid0(SALU_CYCLE_1) | instskip(SKIP_1) | instid1(SALU_CYCLE_2)
	s_fmamk_f32 s4, s91, 0x0, s4
	s_wait_alu 0xfffe
	v_s_rcp_f32 s4, s4
	s_delay_alu instid0(TRANS32_DEP_1) | instskip(SKIP_1) | instid1(SALU_CYCLE_2)
	s_mul_f32 s4, s4, 0x5f7ffffc
	s_wait_alu 0xfffe
	s_mul_f32 s5, s4, 0x2f800000
	s_wait_alu 0xfffe
	s_delay_alu instid0(SALU_CYCLE_2) | instskip(SKIP_1) | instid1(SALU_CYCLE_2)
	s_trunc_f32 s5, s5
	s_wait_alu 0xfffe
	s_fmamk_f32 s4, s5, 0xcf800000, s4
	s_cvt_u32_f32 s5, s5
	s_wait_alu 0xfffe
	s_delay_alu instid0(SALU_CYCLE_1) | instskip(SKIP_1) | instid1(SALU_CYCLE_2)
	s_cvt_u32_f32 s4, s4
	s_wait_alu 0xfffe
	s_mul_u64 s[74:75], s[14:15], s[4:5]
	s_wait_alu 0xfffe
	s_mul_hi_u32 s77, s4, s75
	s_mul_i32 s76, s4, s75
	s_mul_hi_u32 s52, s4, s74
	s_mul_i32 s69, s5, s74
	s_wait_alu 0xfffe
	s_add_nc_u64 s[76:77], s[52:53], s[76:77]
	s_mul_hi_u32 s17, s5, s74
	s_mul_hi_u32 s70, s5, s75
	s_wait_alu 0xfffe
	s_add_co_u32 s52, s76, s69
	s_add_co_ci_u32 s52, s77, s17
	s_mul_i32 s74, s5, s75
	s_add_co_ci_u32 s75, s70, 0
	s_wait_alu 0xfffe
	s_add_nc_u64 s[74:75], s[52:53], s[74:75]
	s_wait_alu 0xfffe
	s_add_co_u32 s4, s4, s74
	s_cselect_b32 s17, -1, 0
	s_wait_alu 0xfffe
	s_cmp_lg_u32 s17, 0
	s_add_co_ci_u32 s5, s5, s75
	s_wait_alu 0xfffe
	s_mul_u64 s[14:15], s[14:15], s[4:5]
	s_wait_alu 0xfffe
	s_mul_hi_u32 s75, s4, s15
	s_mul_i32 s74, s4, s15
	s_mul_hi_u32 s52, s4, s14
	s_mul_i32 s69, s5, s14
	s_wait_alu 0xfffe
	s_add_nc_u64 s[74:75], s[52:53], s[74:75]
	s_mul_hi_u32 s17, s5, s14
	s_mul_hi_u32 s70, s5, s15
	s_mul_i32 s14, s5, s15
	s_wait_alu 0xfffe
	s_add_co_u32 s15, s74, s69
	s_add_co_ci_u32 s52, s75, s17
	s_add_co_ci_u32 s15, s70, 0
	s_wait_alu 0xfffe
	s_add_nc_u64 s[14:15], s[52:53], s[14:15]
	s_wait_alu 0xfffe
	s_add_co_u32 s4, s4, s14
	s_cselect_b32 s14, -1, 0
	s_wait_alu 0xfffe
	s_mul_hi_u32 s52, s58, s4
	s_cmp_lg_u32 s14, 0
	s_mul_hi_u32 s17, s59, s4
	s_add_co_ci_u32 s14, s5, s15
	s_mul_i32 s15, s59, s4
	s_wait_alu 0xfffe
	s_mul_hi_u32 s5, s58, s14
	s_mul_i32 s4, s58, s14
	s_mul_hi_u32 s69, s59, s14
	s_wait_alu 0xfffe
	s_add_nc_u64 s[4:5], s[52:53], s[4:5]
	s_mul_i32 s14, s59, s14
	s_wait_alu 0xfffe
	s_add_co_u32 s4, s4, s15
	s_add_co_ci_u32 s52, s5, s17
	s_add_co_ci_u32 s15, s69, 0
	s_wait_alu 0xfffe
	s_add_nc_u64 s[4:5], s[52:53], s[14:15]
	s_wait_alu 0xfffe
	s_mul_u64 s[4:5], s[44:45], s[4:5]
	s_wait_alu 0xfffe
	s_sub_co_u32 s4, s58, s4
	s_cselect_b32 s14, -1, 0
	s_wait_alu 0xfffe
	s_cmp_lg_u32 s14, 0
	s_sub_co_ci_u32 s5, s59, s5
	s_sub_co_u32 s14, s4, s44
	s_cselect_b32 s15, -1, 0
	s_wait_alu 0xfffe
	s_cmp_lg_u32 s15, 0
	s_sub_co_ci_u32 s15, s5, 0
	;; [unrolled: 5-line block ×3, first 2 shown]
	s_cmp_ge_u32 s14, s44
	s_cselect_b32 s69, -1, 0
	s_cmp_eq_u32 s15, 0
	s_cselect_b32 s69, s69, -1
	s_delay_alu instid0(SALU_CYCLE_1)
	s_cmp_lg_u32 s69, 0
	s_wait_alu 0xfffe
	s_cselect_b32 s15, s52, s15
	s_cselect_b32 s14, s17, s14
	s_cmp_ge_u32 s4, s44
	s_cselect_b32 s17, -1, 0
	s_cmp_eq_u32 s5, 0
	s_wait_alu 0xfffe
	s_cselect_b32 s17, s17, -1
	s_wait_alu 0xfffe
	s_cmp_lg_u32 s17, 0
	s_cselect_b32 s5, s15, s5
	s_cselect_b32 s4, s14, s4
	s_cbranch_execnz .LBB103_216
.LBB103_215:                            ;   in Loop: Header=BB103_36 Depth=1
	v_cvt_f32_u32_e32 v3, s44
	s_sub_co_i32 s5, 0, s44
	s_delay_alu instid0(VALU_DEP_1) | instskip(NEXT) | instid1(TRANS32_DEP_1)
	v_rcp_iflag_f32_e32 v3, v3
	v_mul_f32_e32 v3, 0x4f7ffffe, v3
	s_delay_alu instid0(VALU_DEP_1) | instskip(NEXT) | instid1(VALU_DEP_1)
	v_cvt_u32_f32_e32 v3, v3
	v_readfirstlane_b32 s4, v3
	s_wait_alu 0xfffe
	s_mul_i32 s5, s5, s4
	s_wait_alu 0xfffe
	s_mul_hi_u32 s5, s4, s5
	s_wait_alu 0xfffe
	s_add_co_i32 s4, s4, s5
	s_wait_alu 0xfffe
	s_mul_hi_u32 s4, s58, s4
	s_wait_alu 0xfffe
	s_mul_i32 s4, s4, s44
	s_wait_alu 0xfffe
	s_sub_co_i32 s4, s58, s4
	s_wait_alu 0xfffe
	s_sub_co_i32 s5, s4, s44
	s_cmp_ge_u32 s4, s44
	s_wait_alu 0xfffe
	s_cselect_b32 s4, s5, s4
	s_wait_alu 0xfffe
	s_sub_co_i32 s5, s4, s44
	s_cmp_ge_u32 s4, s44
	s_wait_alu 0xfffe
	s_cselect_b32 s52, s5, s4
	s_wait_alu 0xfffe
	s_mov_b64 s[4:5], s[52:53]
.LBB103_216:                            ;   in Loop: Header=BB103_36 Depth=1
	s_wait_alu 0xfffe
	s_sub_nc_u64 s[14:15], s[58:59], s[4:5]
	s_mov_b32 s5, exec_lo
                                        ; implicit-def: $vgpr5_vgpr6
	s_wait_alu 0xfffe
	v_cmpx_gt_u64_e64 s[14:15], v[0:1]
	s_cbranch_execz .LBB103_225
; %bb.217:                              ;   in Loop: Header=BB103_36 Depth=1
	v_dual_mov_b32 v9, v17 :: v_dual_mov_b32 v10, v18
	v_dual_mov_b32 v12, v1 :: v_dual_mov_b32 v11, v0
	s_mov_b32 s17, 0
                                        ; implicit-def: $sgpr52
	s_branch .LBB103_220
.LBB103_218:                            ;   in Loop: Header=BB103_220 Depth=2
	s_wait_alu 0xfffe
	s_or_b32 exec_lo, exec_lo, s4
	s_wait_loadcnt_dscnt 0x0
	s_barrier_signal -1
	s_barrier_wait -1
	global_inv scope:SCOPE_SE
	ds_load_b128 v[3:6], v16 offset:3072
	s_mov_b32 s4, -1
	s_mov_b32 s69, -1
	s_wait_loadcnt_dscnt 0x0
	s_barrier_signal -1
	s_barrier_wait -1
	global_inv scope:SCOPE_SE
	v_cmp_eq_u64_e32 vcc_lo, 0, v[3:4]
	s_cbranch_vccnz .LBB103_223
.LBB103_219:                            ;   in Loop: Header=BB103_220 Depth=2
	s_wait_alu 0xfffe
	s_and_b32 s4, exec_lo, s4
	s_wait_alu 0xfffe
	s_or_b32 s17, s4, s17
	s_and_not1_b32 s4, s52, exec_lo
	s_and_b32 s52, s69, exec_lo
	s_wait_alu 0xfffe
	s_or_b32 s52, s4, s52
	s_and_not1_b32 exec_lo, exec_lo, s17
	s_cbranch_execz .LBB103_224
.LBB103_220:                            ;   Parent Loop BB103_36 Depth=1
                                        ; =>  This Inner Loop Header: Depth=2
	s_mov_b32 s4, exec_lo
	s_delay_alu instid0(VALU_DEP_1)
	v_cmpx_gt_u64_e64 s[24:25], v[11:12]
	s_cbranch_execz .LBB103_218
; %bb.221:                              ;   in Loop: Header=BB103_220 Depth=2
	global_load_b64 v[4:5], v[9:10], off
	s_wait_loadcnt 0x0
	v_xor_b32_e32 v3, 0x80000000, v5
	v_and_b32_e32 v13, v4, v33
	s_delay_alu instid0(VALU_DEP_2) | instskip(NEXT) | instid1(VALU_DEP_1)
	v_and_b32_e32 v14, v3, v34
	v_cmp_eq_u64_e32 vcc_lo, v[13:14], v[31:32]
	s_and_b32 exec_lo, exec_lo, vcc_lo
	s_cbranch_execz .LBB103_218
; %bb.222:                              ;   in Loop: Header=BB103_220 Depth=2
	v_mov_b32_e32 v3, v16
	ds_store_b128 v16, v[2:5] offset:3072
	s_branch .LBB103_218
.LBB103_223:                            ;   in Loop: Header=BB103_220 Depth=2
	v_add_co_u32 v11, vcc_lo, v11, s44
	s_wait_alu 0xfffd
	v_add_co_ci_u32_e64 v12, null, 0, v12, vcc_lo
	v_add_co_u32 v9, s4, v9, s54
	s_wait_alu 0xf1fe
	v_add_co_ci_u32_e64 v10, null, s55, v10, s4
	s_delay_alu instid0(VALU_DEP_3)
	v_cmp_le_u64_e32 vcc_lo, s[14:15], v[11:12]
	s_mov_b32 s69, 0
	s_or_not1_b32 s4, vcc_lo, exec_lo
	s_branch .LBB103_219
.LBB103_224:                            ;   in Loop: Header=BB103_36 Depth=1
	s_or_b32 exec_lo, exec_lo, s17
	s_delay_alu instid0(SALU_CYCLE_1)
	s_and_not1_b32 s4, s16, exec_lo
	s_wait_alu 0xfffe
	s_and_b32 s14, s52, exec_lo
	s_wait_alu 0xfffe
	s_or_b32 s16, s4, s14
.LBB103_225:                            ;   in Loop: Header=BB103_36 Depth=1
	s_or_b32 exec_lo, exec_lo, s5
	s_mov_b32 s69, 0
	s_mov_b32 s70, -1
.LBB103_226:                            ;   in Loop: Header=BB103_36 Depth=1
	s_wait_alu 0xfffe
	s_or_not1_b32 s4, s16, exec_lo
.LBB103_227:                            ;   in Loop: Header=BB103_36 Depth=1
	s_wait_alu 0xfffe
	s_or_b32 exec_lo, exec_lo, s72
	s_mov_b32 s5, 0
	s_and_saveexec_b32 s14, s4
	s_cbranch_execz .LBB103_285
; %bb.228:                              ;   in Loop: Header=BB103_36 Depth=1
	v_mov_b32_e32 v9, 1
	v_dual_mov_b32 v10, 0 :: v_dual_mov_b32 v37, 1
	s_xor_b32 s15, s71, -1
	s_wait_alu 0xfffe
	s_and_saveexec_b32 s4, s15
	s_cbranch_execz .LBB103_237
; %bb.229:                              ;   in Loop: Header=BB103_36 Depth=1
	s_mov_b32 s5, exec_lo
	v_cmpx_ge_u64_e64 s[10:11], v[7:8]
	s_wait_alu 0xfffe
	s_xor_b32 s5, exec_lo, s5
	s_cbranch_execz .LBB103_234
; %bb.230:                              ;   in Loop: Header=BB103_36 Depth=1
	ds_load_b64 v[3:4], v16 offset:5120
	v_and_b32_e32 v9, s13, v32
	v_and_b32_e32 v10, s12, v31
	s_lshl_b64 s[12:13], 2, s89
	v_or_b32_e32 v34, s9, v34
	v_or_b32_e32 v33, s8, v33
	s_wait_alu 0xfffe
	v_or_b32_e32 v32, s13, v9
	v_or_b32_e32 v31, s12, v10
	s_wait_dscnt 0x0
	v_cmp_ne_u64_e32 vcc_lo, 0, v[3:4]
	s_cbranch_vccnz .LBB103_234
; %bb.231:                              ;   in Loop: Header=BB103_36 Depth=1
	s_and_saveexec_b32 s12, s2
; %bb.232:                              ;   in Loop: Header=BB103_36 Depth=1
	v_dual_mov_b32 v3, s10 :: v_dual_mov_b32 v4, s11
	ds_store_b64 v16, v[3:4] offset:5128
; %bb.233:                              ;   in Loop: Header=BB103_36 Depth=1
	s_wait_alu 0xfffe
	s_or_b32 exec_lo, exec_lo, s12
	s_wait_loadcnt_dscnt 0x0
	s_barrier_signal -1
	s_barrier_wait -1
	global_inv scope:SCOPE_SE
.LBB103_234:                            ;   in Loop: Header=BB103_36 Depth=1
	s_wait_alu 0xfffe
	s_or_saveexec_b32 s5, s5
	v_mov_b32_e32 v37, 8
	s_mov_b32 s12, 0
	s_wait_alu 0xfffe
	s_xor_b32 exec_lo, exec_lo, s5
; %bb.235:                              ;   in Loop: Header=BB103_36 Depth=1
	v_sub_co_u32 v7, vcc_lo, v7, s10
	s_wait_alu 0xfffd
	v_subrev_co_ci_u32_e64 v8, null, s11, v8, vcc_lo
	v_mov_b32_e32 v37, 0
	s_mov_b32 s12, exec_lo
; %bb.236:                              ;   in Loop: Header=BB103_36 Depth=1
	s_or_b32 exec_lo, exec_lo, s5
	s_delay_alu instid0(VALU_DEP_2)
	v_dual_mov_b32 v10, v8 :: v_dual_mov_b32 v9, v7
	s_wait_alu 0xfffe
	s_and_b32 s5, s12, exec_lo
.LBB103_237:                            ;   in Loop: Header=BB103_36 Depth=1
	s_wait_alu 0xfffe
	s_or_b32 exec_lo, exec_lo, s4
	s_mov_b32 s4, -1
                                        ; implicit-def: $sgpr72
                                        ; implicit-def: $sgpr71
	s_and_saveexec_b32 s15, s5
	s_cbranch_execz .LBB103_284
; %bb.238:                              ;   in Loop: Header=BB103_36 Depth=1
	v_cmp_eq_u64_e32 vcc_lo, 1, v[9:10]
	s_cmp_eq_u64 s[6:7], 1
	s_mov_b32 s5, -1
	s_cselect_b32 s4, -1, 0
                                        ; implicit-def: $sgpr72
                                        ; implicit-def: $sgpr71
	s_wait_alu 0xfffe
	s_and_b32 s16, s4, vcc_lo
	s_wait_alu 0xfffe
	s_and_saveexec_b32 s17, s16
	s_cbranch_execz .LBB103_272
; %bb.239:                              ;   in Loop: Header=BB103_36 Depth=1
	ds_load_b64 v[3:4], v16 offset:5120
	s_wait_loadcnt_dscnt 0x0
	s_barrier_signal -1
	s_barrier_wait -1
	global_inv scope:SCOPE_SE
	v_readfirstlane_b32 s4, v3
	v_readfirstlane_b32 s5, v4
	s_and_saveexec_b32 s10, s3
; %bb.240:                              ;   in Loop: Header=BB103_36 Depth=1
	v_mov_b32_e32 v15, v16
	ds_store_b64 v47, v[15:16]
; %bb.241:                              ;   in Loop: Header=BB103_36 Depth=1
	s_wait_alu 0xfffe
	s_or_b32 exec_lo, exec_lo, s10
	v_or_b32_e32 v32, s9, v32
	v_or_b32_e32 v31, s8, v31
	;; [unrolled: 1-line block ×4, first 2 shown]
	s_mov_b32 s71, -1
	s_mov_b32 s72, 0
	s_cmp_eq_u64 s[4:5], 0
	s_mov_b32 s12, 0
	s_mov_b32 s13, -1
	s_wait_loadcnt_dscnt 0x0
	s_barrier_signal -1
	s_barrier_wait -1
	global_inv scope:SCOPE_SE
                                        ; implicit-def: $vgpr5_vgpr6
	s_cbranch_scc1 .LBB103_257
; %bb.242:                              ;   in Loop: Header=BB103_36 Depth=1
	s_add_nc_u64 s[10:11], s[4:5], s[56:57]
	s_mov_b32 s12, s53
	s_wait_alu 0xfffe
	s_mov_b32 s13, s11
	s_wait_alu 0xfffe
	s_cmp_lg_u64 s[12:13], 0
	s_cbranch_scc0 .LBB103_291
; %bb.243:                              ;   in Loop: Header=BB103_36 Depth=1
	s_cvt_f32_u32 s12, s44
	s_sub_nc_u64 s[74:75], 0, s[44:45]
	s_wait_alu 0xfffe
	s_delay_alu instid0(SALU_CYCLE_1) | instskip(SKIP_1) | instid1(SALU_CYCLE_2)
	s_fmamk_f32 s12, s91, 0x0, s12
	s_wait_alu 0xfffe
	v_s_rcp_f32 s12, s12
	s_delay_alu instid0(TRANS32_DEP_1) | instskip(SKIP_1) | instid1(SALU_CYCLE_2)
	s_mul_f32 s12, s12, 0x5f7ffffc
	s_wait_alu 0xfffe
	s_mul_f32 s13, s12, 0x2f800000
	s_wait_alu 0xfffe
	s_delay_alu instid0(SALU_CYCLE_2) | instskip(SKIP_1) | instid1(SALU_CYCLE_2)
	s_trunc_f32 s13, s13
	s_wait_alu 0xfffe
	s_fmamk_f32 s12, s13, 0xcf800000, s12
	s_cvt_u32_f32 s13, s13
	s_wait_alu 0xfffe
	s_delay_alu instid0(SALU_CYCLE_1) | instskip(SKIP_1) | instid1(SALU_CYCLE_2)
	s_cvt_u32_f32 s12, s12
	s_wait_alu 0xfffe
	s_mul_u64 s[76:77], s[74:75], s[12:13]
	s_wait_alu 0xfffe
	s_mul_hi_u32 s79, s12, s77
	s_mul_i32 s78, s12, s77
	s_mul_hi_u32 s52, s12, s76
	s_mul_i32 s80, s13, s76
	s_wait_alu 0xfffe
	s_add_nc_u64 s[78:79], s[52:53], s[78:79]
	s_mul_hi_u32 s73, s13, s76
	s_mul_hi_u32 s81, s13, s77
	s_wait_alu 0xfffe
	s_add_co_u32 s52, s78, s80
	s_add_co_ci_u32 s52, s79, s73
	s_mul_i32 s76, s13, s77
	s_add_co_ci_u32 s77, s81, 0
	s_wait_alu 0xfffe
	s_add_nc_u64 s[76:77], s[52:53], s[76:77]
	s_wait_alu 0xfffe
	s_add_co_u32 s12, s12, s76
	s_cselect_b32 s52, -1, 0
	s_wait_alu 0xfffe
	s_cmp_lg_u32 s52, 0
	s_add_co_ci_u32 s13, s13, s77
	s_wait_alu 0xfffe
	s_mul_u64 s[74:75], s[74:75], s[12:13]
	s_wait_alu 0xfffe
	s_mul_hi_u32 s77, s12, s75
	s_mul_i32 s76, s12, s75
	s_mul_hi_u32 s52, s12, s74
	s_mul_i32 s78, s13, s74
	s_wait_alu 0xfffe
	s_add_nc_u64 s[76:77], s[52:53], s[76:77]
	s_mul_hi_u32 s73, s13, s74
	s_mul_hi_u32 s79, s13, s75
	s_wait_alu 0xfffe
	s_add_co_u32 s52, s76, s78
	s_add_co_ci_u32 s52, s77, s73
	s_mul_i32 s74, s13, s75
	s_add_co_ci_u32 s75, s79, 0
	s_wait_alu 0xfffe
	s_add_nc_u64 s[74:75], s[52:53], s[74:75]
	s_wait_alu 0xfffe
	s_add_co_u32 s12, s12, s74
	s_cselect_b32 s73, -1, 0
	s_wait_alu 0xfffe
	s_mul_hi_u32 s52, s10, s12
	s_cmp_lg_u32 s73, 0
	s_mul_hi_u32 s73, s11, s12
	s_add_co_ci_u32 s74, s13, s75
	s_mul_i32 s75, s11, s12
	s_wait_alu 0xfffe
	s_mul_hi_u32 s13, s10, s74
	s_mul_i32 s12, s10, s74
	s_mul_hi_u32 s76, s11, s74
	s_wait_alu 0xfffe
	s_add_nc_u64 s[12:13], s[52:53], s[12:13]
	s_mul_i32 s74, s11, s74
	s_wait_alu 0xfffe
	s_add_co_u32 s12, s12, s75
	s_add_co_ci_u32 s52, s13, s73
	s_add_co_ci_u32 s75, s76, 0
	s_wait_alu 0xfffe
	s_add_nc_u64 s[12:13], s[52:53], s[74:75]
	s_wait_alu 0xfffe
	s_mul_u64 s[12:13], s[44:45], s[12:13]
	s_wait_alu 0xfffe
	s_sub_co_u32 s12, s10, s12
	s_cselect_b32 s52, -1, 0
	s_wait_alu 0xfffe
	s_cmp_lg_u32 s52, 0
	s_sub_co_ci_u32 s13, s11, s13
	s_sub_co_u32 s52, s12, s44
	s_cselect_b32 s73, -1, 0
	s_wait_alu 0xfffe
	s_cmp_lg_u32 s73, 0
	s_sub_co_ci_u32 s73, s13, 0
	;; [unrolled: 5-line block ×3, first 2 shown]
	s_cmp_ge_u32 s52, s44
	s_cselect_b32 s76, -1, 0
	s_cmp_eq_u32 s73, 0
	s_wait_alu 0xfffe
	s_cselect_b32 s76, s76, -1
	s_wait_alu 0xfffe
	s_cmp_lg_u32 s76, 0
	s_cselect_b32 s73, s75, s73
	s_cselect_b32 s52, s74, s52
	s_cmp_ge_u32 s12, s44
	s_cselect_b32 s74, -1, 0
	s_cmp_eq_u32 s13, 0
	s_wait_alu 0xfffe
	s_cselect_b32 s74, s74, -1
	s_wait_alu 0xfffe
	s_cmp_lg_u32 s74, 0
	s_cselect_b32 s13, s73, s13
	s_cselect_b32 s12, s52, s12
	s_cbranch_execnz .LBB103_245
.LBB103_244:                            ;   in Loop: Header=BB103_36 Depth=1
	v_cvt_f32_u32_e32 v3, s44
	s_sub_co_i32 s13, 0, s44
	s_delay_alu instid0(VALU_DEP_1) | instskip(NEXT) | instid1(TRANS32_DEP_1)
	v_rcp_iflag_f32_e32 v3, v3
	v_mul_f32_e32 v3, 0x4f7ffffe, v3
	s_delay_alu instid0(VALU_DEP_1) | instskip(NEXT) | instid1(VALU_DEP_1)
	v_cvt_u32_f32_e32 v3, v3
	v_readfirstlane_b32 s12, v3
	s_wait_alu 0xfffe
	s_mul_i32 s13, s13, s12
	s_wait_alu 0xfffe
	s_mul_hi_u32 s13, s12, s13
	s_wait_alu 0xfffe
	s_add_co_i32 s12, s12, s13
	s_wait_alu 0xfffe
	s_mul_hi_u32 s12, s10, s12
	s_wait_alu 0xfffe
	s_mul_i32 s12, s12, s44
	s_wait_alu 0xfffe
	s_sub_co_i32 s12, s10, s12
	s_wait_alu 0xfffe
	s_sub_co_i32 s13, s12, s44
	s_cmp_ge_u32 s12, s44
	s_wait_alu 0xfffe
	s_cselect_b32 s12, s13, s12
	s_wait_alu 0xfffe
	s_sub_co_i32 s13, s12, s44
	s_cmp_ge_u32 s12, s44
	s_wait_alu 0xfffe
	s_cselect_b32 s52, s13, s12
	s_wait_alu 0xfffe
	s_mov_b64 s[12:13], s[52:53]
.LBB103_245:                            ;   in Loop: Header=BB103_36 Depth=1
	s_wait_alu 0xfffe
	s_sub_nc_u64 s[10:11], s[10:11], s[12:13]
	s_mov_b32 s13, 0
	s_mov_b32 s12, 0
	s_mov_b32 s52, exec_lo
                                        ; implicit-def: $vgpr5_vgpr6
	s_wait_alu 0xfffe
	v_cmpx_gt_u64_e64 s[10:11], v[0:1]
	s_cbranch_execz .LBB103_256
; %bb.246:                              ;   in Loop: Header=BB103_36 Depth=1
	v_dual_mov_b32 v11, v46 :: v_dual_mov_b32 v8, v1
	v_mov_b32_e32 v7, v0
                                        ; implicit-def: $sgpr73
	s_branch .LBB103_249
.LBB103_247:                            ;   in Loop: Header=BB103_249 Depth=2
	s_wait_alu 0xfffe
	s_or_b32 exec_lo, exec_lo, s74
	s_wait_loadcnt_dscnt 0x0
	s_barrier_signal -1
	s_barrier_wait -1
	global_inv scope:SCOPE_SE
	ds_load_b128 v[3:6], v16 offset:3072
	s_mov_b32 s74, -1
	s_mov_b32 s75, -1
	s_wait_loadcnt_dscnt 0x0
	s_barrier_signal -1
	s_barrier_wait -1
	global_inv scope:SCOPE_SE
	v_cmp_ne_u64_e32 vcc_lo, 0, v[3:4]
	s_cbranch_vccz .LBB103_252
.LBB103_248:                            ;   in Loop: Header=BB103_249 Depth=2
	s_wait_alu 0xfffe
	s_and_b32 s74, exec_lo, s74
	s_wait_alu 0xfffe
	s_or_b32 s12, s74, s12
	s_and_not1_b32 s73, s73, exec_lo
	s_and_b32 s74, s75, exec_lo
	s_wait_alu 0xfffe
	s_or_b32 s73, s73, s74
	s_and_not1_b32 exec_lo, exec_lo, s12
	s_cbranch_execz .LBB103_255
.LBB103_249:                            ;   Parent Loop BB103_36 Depth=1
                                        ; =>  This Inner Loop Header: Depth=2
	s_mov_b32 s74, exec_lo
	s_delay_alu instid0(VALU_DEP_1)
	v_cmpx_gt_u64_e64 s[4:5], v[7:8]
	s_cbranch_execz .LBB103_247
; %bb.250:                              ;   in Loop: Header=BB103_249 Depth=2
	ds_load_b64 v[4:5], v11
	s_wait_dscnt 0x0
	v_xor_b32_e32 v3, 0x80000000, v5
	v_and_b32_e32 v12, v4, v33
	s_delay_alu instid0(VALU_DEP_2) | instskip(NEXT) | instid1(VALU_DEP_1)
	v_and_b32_e32 v13, v3, v34
	v_cmp_eq_u64_e32 vcc_lo, v[12:13], v[31:32]
	s_and_b32 exec_lo, exec_lo, vcc_lo
	s_cbranch_execz .LBB103_247
; %bb.251:                              ;   in Loop: Header=BB103_249 Depth=2
	v_mov_b32_e32 v3, v16
	ds_store_b128 v16, v[2:5] offset:3072
	s_branch .LBB103_247
.LBB103_252:                            ;   in Loop: Header=BB103_249 Depth=2
	v_add_co_u32 v7, vcc_lo, v7, s44
	s_wait_alu 0xfffd
	v_add_co_ci_u32_e64 v8, null, 0, v8, vcc_lo
	v_add_nc_u32_e32 v11, s88, v11
	s_mov_b32 s75, 0
	s_delay_alu instid0(VALU_DEP_2)
	v_cmp_le_u64_e32 vcc_lo, s[10:11], v[7:8]
	s_or_not1_b32 s74, vcc_lo, exec_lo
	s_branch .LBB103_248
.LBB103_253:                            ;   in Loop: Header=BB103_36 Depth=1
                                        ; implicit-def: $sgpr16_sgpr17
	s_branch .LBB103_199
.LBB103_254:                            ;   in Loop: Header=BB103_36 Depth=1
                                        ; implicit-def: $sgpr4_sgpr5
	s_branch .LBB103_215
.LBB103_255:                            ;   in Loop: Header=BB103_36 Depth=1
	s_or_b32 exec_lo, exec_lo, s12
	s_wait_alu 0xfffe
	s_and_b32 s12, s73, exec_lo
.LBB103_256:                            ;   in Loop: Header=BB103_36 Depth=1
	s_or_b32 exec_lo, exec_lo, s52
.LBB103_257:                            ;   in Loop: Header=BB103_36 Depth=1
	s_wait_alu 0xfffe
	s_and_b32 vcc_lo, exec_lo, s13
	s_wait_alu 0xfffe
	s_cbranch_vccz .LBB103_271
; %bb.258:                              ;   in Loop: Header=BB103_36 Depth=1
	s_mov_b32 s4, s53
	s_mov_b32 s5, s59
	s_wait_alu 0xfffe
	s_cmp_lg_u64 s[4:5], 0
	s_cbranch_scc0 .LBB103_292
; %bb.259:                              ;   in Loop: Header=BB103_36 Depth=1
	s_cvt_f32_u32 s4, s44
	s_sub_nc_u64 s[10:11], 0, s[44:45]
	s_wait_alu 0xfffe
	s_delay_alu instid0(SALU_CYCLE_1) | instskip(SKIP_1) | instid1(SALU_CYCLE_2)
	s_fmamk_f32 s4, s91, 0x0, s4
	s_wait_alu 0xfffe
	v_s_rcp_f32 s4, s4
	s_delay_alu instid0(TRANS32_DEP_1) | instskip(SKIP_1) | instid1(SALU_CYCLE_2)
	s_mul_f32 s4, s4, 0x5f7ffffc
	s_wait_alu 0xfffe
	s_mul_f32 s5, s4, 0x2f800000
	s_wait_alu 0xfffe
	s_delay_alu instid0(SALU_CYCLE_2) | instskip(SKIP_1) | instid1(SALU_CYCLE_2)
	s_trunc_f32 s5, s5
	s_wait_alu 0xfffe
	s_fmamk_f32 s4, s5, 0xcf800000, s4
	s_cvt_u32_f32 s5, s5
	s_wait_alu 0xfffe
	s_delay_alu instid0(SALU_CYCLE_1) | instskip(SKIP_1) | instid1(SALU_CYCLE_2)
	s_cvt_u32_f32 s4, s4
	s_wait_alu 0xfffe
	s_mul_u64 s[72:73], s[10:11], s[4:5]
	s_wait_alu 0xfffe
	s_mul_hi_u32 s75, s4, s73
	s_mul_i32 s74, s4, s73
	s_mul_hi_u32 s52, s4, s72
	s_mul_i32 s71, s5, s72
	s_wait_alu 0xfffe
	s_add_nc_u64 s[74:75], s[52:53], s[74:75]
	s_mul_hi_u32 s13, s5, s72
	s_mul_hi_u32 s76, s5, s73
	s_wait_alu 0xfffe
	s_add_co_u32 s52, s74, s71
	s_add_co_ci_u32 s52, s75, s13
	s_mul_i32 s72, s5, s73
	s_add_co_ci_u32 s73, s76, 0
	s_wait_alu 0xfffe
	s_add_nc_u64 s[72:73], s[52:53], s[72:73]
	s_wait_alu 0xfffe
	s_add_co_u32 s4, s4, s72
	s_cselect_b32 s13, -1, 0
	s_wait_alu 0xfffe
	s_cmp_lg_u32 s13, 0
	s_add_co_ci_u32 s5, s5, s73
	s_wait_alu 0xfffe
	s_mul_u64 s[10:11], s[10:11], s[4:5]
	s_wait_alu 0xfffe
	s_mul_hi_u32 s73, s4, s11
	s_mul_i32 s72, s4, s11
	s_mul_hi_u32 s52, s4, s10
	s_mul_i32 s71, s5, s10
	s_wait_alu 0xfffe
	s_add_nc_u64 s[72:73], s[52:53], s[72:73]
	s_mul_hi_u32 s13, s5, s10
	s_mul_hi_u32 s74, s5, s11
	s_mul_i32 s10, s5, s11
	s_wait_alu 0xfffe
	s_add_co_u32 s11, s72, s71
	s_add_co_ci_u32 s52, s73, s13
	s_add_co_ci_u32 s11, s74, 0
	s_wait_alu 0xfffe
	s_add_nc_u64 s[10:11], s[52:53], s[10:11]
	s_wait_alu 0xfffe
	s_add_co_u32 s4, s4, s10
	s_cselect_b32 s10, -1, 0
	s_wait_alu 0xfffe
	s_mul_hi_u32 s52, s58, s4
	s_cmp_lg_u32 s10, 0
	s_mul_hi_u32 s13, s59, s4
	s_add_co_ci_u32 s10, s5, s11
	s_mul_i32 s11, s59, s4
	s_wait_alu 0xfffe
	s_mul_hi_u32 s5, s58, s10
	s_mul_i32 s4, s58, s10
	s_mul_hi_u32 s71, s59, s10
	s_wait_alu 0xfffe
	s_add_nc_u64 s[4:5], s[52:53], s[4:5]
	s_mul_i32 s10, s59, s10
	s_wait_alu 0xfffe
	s_add_co_u32 s4, s4, s11
	s_add_co_ci_u32 s52, s5, s13
	s_add_co_ci_u32 s11, s71, 0
	s_wait_alu 0xfffe
	s_add_nc_u64 s[4:5], s[52:53], s[10:11]
	s_wait_alu 0xfffe
	s_mul_u64 s[4:5], s[44:45], s[4:5]
	s_wait_alu 0xfffe
	s_sub_co_u32 s4, s58, s4
	s_cselect_b32 s10, -1, 0
	s_wait_alu 0xfffe
	s_cmp_lg_u32 s10, 0
	s_sub_co_ci_u32 s5, s59, s5
	s_sub_co_u32 s10, s4, s44
	s_cselect_b32 s11, -1, 0
	s_wait_alu 0xfffe
	s_cmp_lg_u32 s11, 0
	s_sub_co_ci_u32 s11, s5, 0
	;; [unrolled: 5-line block ×3, first 2 shown]
	s_cmp_ge_u32 s10, s44
	s_cselect_b32 s71, -1, 0
	s_cmp_eq_u32 s11, 0
	s_wait_alu 0xfffe
	s_cselect_b32 s71, s71, -1
	s_wait_alu 0xfffe
	s_cmp_lg_u32 s71, 0
	s_cselect_b32 s11, s52, s11
	s_cselect_b32 s10, s13, s10
	s_cmp_ge_u32 s4, s44
	s_cselect_b32 s13, -1, 0
	s_cmp_eq_u32 s5, 0
	s_wait_alu 0xfffe
	s_cselect_b32 s13, s13, -1
	s_wait_alu 0xfffe
	s_cmp_lg_u32 s13, 0
	s_cselect_b32 s5, s11, s5
	s_cselect_b32 s4, s10, s4
	s_cbranch_execnz .LBB103_261
.LBB103_260:                            ;   in Loop: Header=BB103_36 Depth=1
	v_cvt_f32_u32_e32 v3, s44
	s_sub_co_i32 s5, 0, s44
	s_delay_alu instid0(VALU_DEP_1) | instskip(NEXT) | instid1(TRANS32_DEP_1)
	v_rcp_iflag_f32_e32 v3, v3
	v_mul_f32_e32 v3, 0x4f7ffffe, v3
	s_delay_alu instid0(VALU_DEP_1) | instskip(NEXT) | instid1(VALU_DEP_1)
	v_cvt_u32_f32_e32 v3, v3
	v_readfirstlane_b32 s4, v3
	s_wait_alu 0xfffe
	s_mul_i32 s5, s5, s4
	s_wait_alu 0xfffe
	s_mul_hi_u32 s5, s4, s5
	s_wait_alu 0xfffe
	s_add_co_i32 s4, s4, s5
	s_wait_alu 0xfffe
	s_mul_hi_u32 s4, s58, s4
	s_wait_alu 0xfffe
	s_mul_i32 s4, s4, s44
	s_wait_alu 0xfffe
	s_sub_co_i32 s4, s58, s4
	s_wait_alu 0xfffe
	s_sub_co_i32 s5, s4, s44
	s_cmp_ge_u32 s4, s44
	s_wait_alu 0xfffe
	s_cselect_b32 s4, s5, s4
	s_wait_alu 0xfffe
	s_sub_co_i32 s5, s4, s44
	s_cmp_ge_u32 s4, s44
	s_wait_alu 0xfffe
	s_cselect_b32 s52, s5, s4
	s_wait_alu 0xfffe
	s_mov_b64 s[4:5], s[52:53]
.LBB103_261:                            ;   in Loop: Header=BB103_36 Depth=1
	s_wait_alu 0xfffe
	s_sub_nc_u64 s[10:11], s[58:59], s[4:5]
	s_mov_b32 s5, exec_lo
                                        ; implicit-def: $vgpr5_vgpr6
	s_wait_alu 0xfffe
	v_cmpx_gt_u64_e64 s[10:11], v[0:1]
	s_cbranch_execz .LBB103_270
; %bb.262:                              ;   in Loop: Header=BB103_36 Depth=1
	v_dual_mov_b32 v7, v17 :: v_dual_mov_b32 v8, v18
	v_dual_mov_b32 v12, v1 :: v_dual_mov_b32 v11, v0
	s_mov_b32 s13, 0
                                        ; implicit-def: $sgpr52
	s_branch .LBB103_265
.LBB103_263:                            ;   in Loop: Header=BB103_265 Depth=2
	s_wait_alu 0xfffe
	s_or_b32 exec_lo, exec_lo, s4
	s_wait_loadcnt_dscnt 0x0
	s_barrier_signal -1
	s_barrier_wait -1
	global_inv scope:SCOPE_SE
	ds_load_b128 v[3:6], v16 offset:3072
	s_mov_b32 s4, -1
	s_mov_b32 s71, -1
	s_wait_loadcnt_dscnt 0x0
	s_barrier_signal -1
	s_barrier_wait -1
	global_inv scope:SCOPE_SE
	v_cmp_eq_u64_e32 vcc_lo, 0, v[3:4]
	s_cbranch_vccnz .LBB103_268
.LBB103_264:                            ;   in Loop: Header=BB103_265 Depth=2
	s_wait_alu 0xfffe
	s_and_b32 s4, exec_lo, s4
	s_wait_alu 0xfffe
	s_or_b32 s13, s4, s13
	s_and_not1_b32 s4, s52, exec_lo
	s_and_b32 s52, s71, exec_lo
	s_wait_alu 0xfffe
	s_or_b32 s52, s4, s52
	s_and_not1_b32 exec_lo, exec_lo, s13
	s_cbranch_execz .LBB103_269
.LBB103_265:                            ;   Parent Loop BB103_36 Depth=1
                                        ; =>  This Inner Loop Header: Depth=2
	s_mov_b32 s4, exec_lo
	s_delay_alu instid0(VALU_DEP_1)
	v_cmpx_gt_u64_e64 s[24:25], v[11:12]
	s_cbranch_execz .LBB103_263
; %bb.266:                              ;   in Loop: Header=BB103_265 Depth=2
	global_load_b64 v[4:5], v[7:8], off
	s_wait_loadcnt 0x0
	v_xor_b32_e32 v3, 0x80000000, v5
	v_and_b32_e32 v13, v4, v33
	s_delay_alu instid0(VALU_DEP_2) | instskip(NEXT) | instid1(VALU_DEP_1)
	v_and_b32_e32 v14, v3, v34
	v_cmp_eq_u64_e32 vcc_lo, v[13:14], v[31:32]
	s_and_b32 exec_lo, exec_lo, vcc_lo
	s_cbranch_execz .LBB103_263
; %bb.267:                              ;   in Loop: Header=BB103_265 Depth=2
	v_mov_b32_e32 v3, v16
	ds_store_b128 v16, v[2:5] offset:3072
	s_branch .LBB103_263
.LBB103_268:                            ;   in Loop: Header=BB103_265 Depth=2
	v_add_co_u32 v11, vcc_lo, v11, s44
	s_wait_alu 0xfffd
	v_add_co_ci_u32_e64 v12, null, 0, v12, vcc_lo
	v_add_co_u32 v7, s4, v7, s54
	s_wait_alu 0xf1fe
	v_add_co_ci_u32_e64 v8, null, s55, v8, s4
	s_delay_alu instid0(VALU_DEP_3)
	v_cmp_le_u64_e32 vcc_lo, s[10:11], v[11:12]
	s_mov_b32 s71, 0
	s_or_not1_b32 s4, vcc_lo, exec_lo
	s_branch .LBB103_264
.LBB103_269:                            ;   in Loop: Header=BB103_36 Depth=1
	s_or_b32 exec_lo, exec_lo, s13
	s_delay_alu instid0(SALU_CYCLE_1)
	s_and_not1_b32 s4, s12, exec_lo
	s_wait_alu 0xfffe
	s_and_b32 s10, s52, exec_lo
	s_wait_alu 0xfffe
	s_or_b32 s12, s4, s10
.LBB103_270:                            ;   in Loop: Header=BB103_36 Depth=1
	s_or_b32 exec_lo, exec_lo, s5
	s_mov_b32 s71, 0
	s_mov_b32 s72, -1
.LBB103_271:                            ;   in Loop: Header=BB103_36 Depth=1
	s_wait_alu 0xfffe
	s_or_not1_b32 s5, s12, exec_lo
.LBB103_272:                            ;   in Loop: Header=BB103_36 Depth=1
	s_wait_alu 0xfffe
	s_or_b32 exec_lo, exec_lo, s17
	s_mov_b32 s10, 0
	s_and_saveexec_b32 s4, s5
	s_cbranch_execz .LBB103_283
; %bb.273:                              ;   in Loop: Header=BB103_36 Depth=1
	v_mov_b32_e32 v3, 1
	v_dual_mov_b32 v4, 0 :: v_dual_mov_b32 v37, 1
	s_xor_b32 s10, s16, -1
	s_wait_alu 0xfffe
	s_and_saveexec_b32 s5, s10
	s_cbranch_execz .LBB103_282
; %bb.274:                              ;   in Loop: Header=BB103_36 Depth=1
	s_mov_b32 s10, exec_lo
	v_cmpx_ge_u64_e64 s[6:7], v[9:10]
	s_wait_alu 0xfffe
	s_xor_b32 s10, exec_lo, s10
	s_cbranch_execz .LBB103_279
; %bb.275:                              ;   in Loop: Header=BB103_36 Depth=1
	ds_load_b64 v[3:4], v16 offset:5120
	v_or_b32_e32 v32, s9, v32
	v_or_b32_e32 v31, s8, v31
	;; [unrolled: 1-line block ×4, first 2 shown]
	s_wait_dscnt 0x0
	v_cmp_ne_u64_e32 vcc_lo, 0, v[3:4]
	s_cbranch_vccnz .LBB103_279
; %bb.276:                              ;   in Loop: Header=BB103_36 Depth=1
	s_and_saveexec_b32 s8, s2
; %bb.277:                              ;   in Loop: Header=BB103_36 Depth=1
	v_dual_mov_b32 v3, s6 :: v_dual_mov_b32 v4, s7
	ds_store_b64 v16, v[3:4] offset:5128
; %bb.278:                              ;   in Loop: Header=BB103_36 Depth=1
	s_wait_alu 0xfffe
	s_or_b32 exec_lo, exec_lo, s8
	s_wait_loadcnt_dscnt 0x0
	s_barrier_signal -1
	s_barrier_wait -1
	global_inv scope:SCOPE_SE
.LBB103_279:                            ;   in Loop: Header=BB103_36 Depth=1
	s_wait_alu 0xfffe
	s_and_not1_saveexec_b32 s8, s10
; %bb.280:                              ;   in Loop: Header=BB103_36 Depth=1
	v_sub_co_u32 v9, vcc_lo, v9, s6
	s_wait_alu 0xfffd
	v_subrev_co_ci_u32_e64 v10, null, s7, v10, vcc_lo
; %bb.281:                              ;   in Loop: Header=BB103_36 Depth=1
	s_wait_alu 0xfffe
	s_or_b32 exec_lo, exec_lo, s8
	v_mov_b32_e32 v3, v9
	s_delay_alu instid0(VALU_DEP_2)
	v_dual_mov_b32 v37, 8 :: v_dual_mov_b32 v4, v10
.LBB103_282:                            ;   in Loop: Header=BB103_36 Depth=1
	s_wait_alu 0xfffe
	s_or_b32 exec_lo, exec_lo, s5
	s_delay_alu instid0(VALU_DEP_1)
	v_dual_mov_b32 v10, v4 :: v_dual_mov_b32 v9, v3
	s_mov_b32 s10, exec_lo
.LBB103_283:                            ;   in Loop: Header=BB103_36 Depth=1
	s_wait_alu 0xfffe
	s_or_b32 exec_lo, exec_lo, s4
	s_delay_alu instid0(SALU_CYCLE_1)
	s_or_not1_b32 s4, s10, exec_lo
.LBB103_284:                            ;   in Loop: Header=BB103_36 Depth=1
	s_wait_alu 0xfffe
	s_or_b32 exec_lo, exec_lo, s15
	v_dual_mov_b32 v7, v9 :: v_dual_mov_b32 v8, v10
	s_and_not1_b32 s5, s70, exec_lo
	s_and_b32 s6, s72, exec_lo
	s_and_not1_b32 s7, s69, exec_lo
	s_and_b32 s8, s71, exec_lo
	s_wait_alu 0xfffe
	s_or_b32 s70, s5, s6
	s_or_b32 s69, s7, s8
	s_and_b32 s5, s4, exec_lo
.LBB103_285:                            ;   in Loop: Header=BB103_36 Depth=1
	s_wait_alu 0xfffe
	s_or_b32 exec_lo, exec_lo, s14
	s_delay_alu instid0(SALU_CYCLE_1)
	s_or_not1_b32 s4, s5, exec_lo
.LBB103_286:                            ;   in Loop: Header=BB103_36 Depth=1
	s_or_b32 exec_lo, exec_lo, s68
	v_dual_mov_b32 v12, v8 :: v_dual_mov_b32 v11, v7
	s_and_not1_b32 s5, s22, exec_lo
	s_and_b32 s6, s70, exec_lo
	s_and_not1_b32 s7, s21, exec_lo
	s_and_b32 s8, s69, exec_lo
	s_wait_alu 0xfffe
	s_or_b32 s22, s5, s6
	s_or_b32 s21, s7, s8
	s_and_b32 s5, s4, exec_lo
.LBB103_287:                            ;   in Loop: Header=BB103_36 Depth=1
	s_or_b32 exec_lo, exec_lo, s23
	s_wait_alu 0xfffe
	s_or_not1_b32 s4, s5, exec_lo
.LBB103_288:                            ;   in Loop: Header=BB103_36 Depth=1
	s_or_b32 exec_lo, exec_lo, s20
	s_mov_b32 s5, 0
	s_wait_alu 0xfffe
	s_and_saveexec_b32 s6, s4
	s_wait_alu 0xfffe
	s_xor_b32 s4, exec_lo, s6
	s_cbranch_execz .LBB103_34
; %bb.289:                              ;   in Loop: Header=BB103_36 Depth=1
	v_and_b32_e32 v3, 7, v37
	s_mov_b32 s6, -1
	s_mov_b32 s5, -1
	s_mov_b32 s7, exec_lo
	s_delay_alu instid0(VALU_DEP_1)
	v_cmpx_eq_u32_e32 0, v3
	s_cbranch_execz .LBB103_33
; %bb.290:                              ;   in Loop: Header=BB103_36 Depth=1
	s_xor_b32 s92, s92, 1
	s_add_co_i32 s8, s89, -2
	s_cmp_eq_u32 s89, 0
	s_wait_alu 0xfffe
	s_mov_b32 s89, s8
	s_cselect_b32 s6, -1, 0
	s_xor_b32 s5, exec_lo, -1
	s_wait_alu 0xfffe
	s_or_not1_b32 s6, s6, exec_lo
	s_branch .LBB103_33
.LBB103_291:                            ;   in Loop: Header=BB103_36 Depth=1
                                        ; implicit-def: $sgpr12_sgpr13
	s_branch .LBB103_244
.LBB103_292:                            ;   in Loop: Header=BB103_36 Depth=1
                                        ; implicit-def: $sgpr4_sgpr5
	s_branch .LBB103_260
.LBB103_293:
	s_or_b32 exec_lo, exec_lo, s90
	s_xor_b32 s4, s98, -1
	s_xor_b32 s1, s96, -1
	;; [unrolled: 1-line block ×3, first 2 shown]
	s_mov_b32 s2, 0
	s_and_saveexec_b32 s5, s1
	s_wait_alu 0xfffe
	s_xor_b32 s1, exec_lo, s5
	s_cbranch_execnz .LBB103_298
; %bb.294:
	s_and_not1_saveexec_b32 s0, s1
	s_cbranch_execnz .LBB103_311
.LBB103_295:
	s_wait_alu 0xfffe
	s_or_b32 exec_lo, exec_lo, s0
	s_and_saveexec_b32 s0, s2
.LBB103_296:
	; divergent unreachable
.LBB103_297:
	s_endpgm
.LBB103_298:
	s_and_saveexec_b32 s2, s4
	s_wait_alu 0xfffe
	s_xor_b32 s2, exec_lo, s2
	s_cbranch_execz .LBB103_309
; %bb.299:
	s_and_saveexec_b32 s4, s3
	s_wait_alu 0xfffe
	s_xor_b32 s3, exec_lo, s4
; %bb.300:
	v_xor_b32_e32 v32, 0x80000000, v32
	s_delay_alu instid0(VALU_DEP_1)
	v_dual_mov_b32 v5, v31 :: v_dual_mov_b32 v6, v32
; %bb.301:
	s_wait_alu 0xfffe
	s_or_b32 exec_lo, exec_lo, s3
	s_mul_u64 s[4:5], s[38:39], s[34:35]
	v_mov_b32_e32 v2, 0
	s_wait_alu 0xfffe
	s_lshl_b64 s[4:5], s[4:5], 3
	s_lshl_b64 s[6:7], s[26:27], 3
	s_wait_alu 0xfffe
	s_add_nc_u64 s[4:5], s[46:47], s[4:5]
	s_wait_alu 0xfffe
	s_add_nc_u64 s[4:5], s[4:5], s[6:7]
	global_store_b64 v2, v[5:6], s[4:5]
	s_and_saveexec_b32 s3, s0
	s_cbranch_execz .LBB103_308
; %bb.302:
	s_mov_b32 s4, 0
                                        ; implicit-def: $sgpr5
                                        ; implicit-def: $sgpr7
                                        ; implicit-def: $sgpr6
	s_branch .LBB103_304
.LBB103_303:                            ;   in Loop: Header=BB103_304 Depth=1
	s_wait_alu 0xfffe
	s_or_b32 exec_lo, exec_lo, s8
	s_delay_alu instid0(SALU_CYCLE_1)
	s_and_b32 s0, exec_lo, s7
	s_wait_alu 0xfffe
	s_or_b32 s4, s0, s4
	s_and_not1_b32 s0, s5, exec_lo
	s_and_b32 s5, s6, exec_lo
	s_wait_alu 0xfffe
	s_or_b32 s5, s0, s5
	s_and_not1_b32 exec_lo, exec_lo, s4
	s_cbranch_execz .LBB103_306
.LBB103_304:                            ; =>This Inner Loop Header: Depth=1
	global_load_b64 v[2:3], v[17:18], off
	s_or_b32 s6, s6, exec_lo
	s_or_b32 s7, s7, exec_lo
	s_wait_loadcnt 0x0
	v_cmp_ne_u64_e32 vcc_lo, v[2:3], v[5:6]
	v_dual_mov_b32 v3, v1 :: v_dual_mov_b32 v2, v0
                                        ; implicit-def: $vgpr0_vgpr1
	s_and_saveexec_b32 s8, vcc_lo
	s_cbranch_execz .LBB103_303
; %bb.305:                              ;   in Loop: Header=BB103_304 Depth=1
	s_delay_alu instid0(VALU_DEP_1)
	v_add_co_u32 v0, vcc_lo, v2, s44
	s_wait_alu 0xfffd
	v_add_co_ci_u32_e64 v1, null, 0, v3, vcc_lo
	v_add_co_u32 v17, s0, v17, s54
	s_wait_alu 0xf1ff
	v_add_co_ci_u32_e64 v18, null, s55, v18, s0
	s_delay_alu instid0(VALU_DEP_3)
	v_cmp_le_u64_e32 vcc_lo, s[24:25], v[0:1]
	s_wait_alu 0xfffe
	s_and_not1_b32 s0, s7, exec_lo
	s_and_not1_b32 s6, s6, exec_lo
	s_and_b32 s7, vcc_lo, exec_lo
	s_wait_alu 0xfffe
	s_or_b32 s7, s0, s7
	s_branch .LBB103_303
.LBB103_306:
	s_or_b32 exec_lo, exec_lo, s4
	s_wait_alu 0xfffe
	s_and_saveexec_b32 s0, s5
	s_wait_alu 0xfffe
	s_xor_b32 s0, exec_lo, s0
	s_cbranch_execz .LBB103_308
; %bb.307:
	s_mul_u64 s[4:5], s[40:41], s[36:37]
	v_mov_b32_e32 v0, 0
	s_wait_alu 0xfffe
	s_lshl_b64 s[4:5], s[4:5], 3
	s_lshl_b64 s[6:7], s[30:31], 3
	s_wait_alu 0xfffe
	s_add_nc_u64 s[4:5], s[42:43], s[4:5]
	s_wait_alu 0xfffe
	s_add_nc_u64 s[4:5], s[4:5], s[6:7]
	global_store_b64 v0, v[2:3], s[4:5]
.LBB103_308:
	s_wait_alu 0xfffe
	s_or_b32 exec_lo, exec_lo, s3
.LBB103_309:
	s_wait_alu 0xfffe
	s_or_saveexec_b32 s0, s2
	s_mov_b32 s2, 0
	s_wait_alu 0xfffe
	s_xor_b32 exec_lo, exec_lo, s0
	s_cbranch_execnz .LBB103_312
.LBB103_310:
	s_or_b32 exec_lo, exec_lo, s0
	s_wait_alu 0xfffe
	s_and_b32 s2, s2, exec_lo
	s_and_not1_saveexec_b32 s0, s1
	s_cbranch_execz .LBB103_295
.LBB103_311:
	s_wait_alu 0xfffe
	s_or_b32 s2, s2, exec_lo
	s_trap 2
	s_or_b32 exec_lo, exec_lo, s0
	s_wait_alu 0xfffe
	s_and_saveexec_b32 s0, s2
	s_cbranch_execnz .LBB103_296
	s_branch .LBB103_297
.LBB103_312:
	s_mov_b32 s2, exec_lo
	s_trap 2
	s_branch .LBB103_310
	.section	.rodata,"a",@progbits
	.p2align	6, 0x0
	.amdhsa_kernel _ZN2at6native12_GLOBAL__N_112gatherMedianIlmLin1EEEvNS_4cuda6detail10TensorInfoIT_T0_EENS5_IlS7_EENS5_IKS6_S7_EES7_S7_S7_b
		.amdhsa_group_segment_fixed_size 5152
		.amdhsa_private_segment_fixed_size 0
		.amdhsa_kernarg_size 1536
		.amdhsa_user_sgpr_count 2
		.amdhsa_user_sgpr_dispatch_ptr 0
		.amdhsa_user_sgpr_queue_ptr 0
		.amdhsa_user_sgpr_kernarg_segment_ptr 1
		.amdhsa_user_sgpr_dispatch_id 0
		.amdhsa_user_sgpr_private_segment_size 0
		.amdhsa_wavefront_size32 1
		.amdhsa_uses_dynamic_stack 0
		.amdhsa_enable_private_segment 0
		.amdhsa_system_sgpr_workgroup_id_x 1
		.amdhsa_system_sgpr_workgroup_id_y 1
		.amdhsa_system_sgpr_workgroup_id_z 1
		.amdhsa_system_sgpr_workgroup_info 0
		.amdhsa_system_vgpr_workitem_id 0
		.amdhsa_next_free_vgpr 71
		.amdhsa_next_free_sgpr 100
		.amdhsa_reserve_vcc 1
		.amdhsa_float_round_mode_32 0
		.amdhsa_float_round_mode_16_64 0
		.amdhsa_float_denorm_mode_32 3
		.amdhsa_float_denorm_mode_16_64 3
		.amdhsa_fp16_overflow 0
		.amdhsa_workgroup_processor_mode 1
		.amdhsa_memory_ordered 1
		.amdhsa_forward_progress 1
		.amdhsa_inst_pref_size 158
		.amdhsa_round_robin_scheduling 0
		.amdhsa_exception_fp_ieee_invalid_op 0
		.amdhsa_exception_fp_denorm_src 0
		.amdhsa_exception_fp_ieee_div_zero 0
		.amdhsa_exception_fp_ieee_overflow 0
		.amdhsa_exception_fp_ieee_underflow 0
		.amdhsa_exception_fp_ieee_inexact 0
		.amdhsa_exception_int_div_zero 0
	.end_amdhsa_kernel
	.section	.text._ZN2at6native12_GLOBAL__N_112gatherMedianIlmLin1EEEvNS_4cuda6detail10TensorInfoIT_T0_EENS5_IlS7_EENS5_IKS6_S7_EES7_S7_S7_b,"axG",@progbits,_ZN2at6native12_GLOBAL__N_112gatherMedianIlmLin1EEEvNS_4cuda6detail10TensorInfoIT_T0_EENS5_IlS7_EENS5_IKS6_S7_EES7_S7_S7_b,comdat
.Lfunc_end103:
	.size	_ZN2at6native12_GLOBAL__N_112gatherMedianIlmLin1EEEvNS_4cuda6detail10TensorInfoIT_T0_EENS5_IlS7_EENS5_IKS6_S7_EES7_S7_S7_b, .Lfunc_end103-_ZN2at6native12_GLOBAL__N_112gatherMedianIlmLin1EEEvNS_4cuda6detail10TensorInfoIT_T0_EENS5_IlS7_EENS5_IKS6_S7_EES7_S7_S7_b
                                        ; -- End function
	.set _ZN2at6native12_GLOBAL__N_112gatherMedianIlmLin1EEEvNS_4cuda6detail10TensorInfoIT_T0_EENS5_IlS7_EENS5_IKS6_S7_EES7_S7_S7_b.num_vgpr, 71
	.set _ZN2at6native12_GLOBAL__N_112gatherMedianIlmLin1EEEvNS_4cuda6detail10TensorInfoIT_T0_EENS5_IlS7_EENS5_IKS6_S7_EES7_S7_S7_b.num_agpr, 0
	.set _ZN2at6native12_GLOBAL__N_112gatherMedianIlmLin1EEEvNS_4cuda6detail10TensorInfoIT_T0_EENS5_IlS7_EENS5_IKS6_S7_EES7_S7_S7_b.numbered_sgpr, 100
	.set _ZN2at6native12_GLOBAL__N_112gatherMedianIlmLin1EEEvNS_4cuda6detail10TensorInfoIT_T0_EENS5_IlS7_EENS5_IKS6_S7_EES7_S7_S7_b.num_named_barrier, 0
	.set _ZN2at6native12_GLOBAL__N_112gatherMedianIlmLin1EEEvNS_4cuda6detail10TensorInfoIT_T0_EENS5_IlS7_EENS5_IKS6_S7_EES7_S7_S7_b.private_seg_size, 0
	.set _ZN2at6native12_GLOBAL__N_112gatherMedianIlmLin1EEEvNS_4cuda6detail10TensorInfoIT_T0_EENS5_IlS7_EENS5_IKS6_S7_EES7_S7_S7_b.uses_vcc, 1
	.set _ZN2at6native12_GLOBAL__N_112gatherMedianIlmLin1EEEvNS_4cuda6detail10TensorInfoIT_T0_EENS5_IlS7_EENS5_IKS6_S7_EES7_S7_S7_b.uses_flat_scratch, 0
	.set _ZN2at6native12_GLOBAL__N_112gatherMedianIlmLin1EEEvNS_4cuda6detail10TensorInfoIT_T0_EENS5_IlS7_EENS5_IKS6_S7_EES7_S7_S7_b.has_dyn_sized_stack, 0
	.set _ZN2at6native12_GLOBAL__N_112gatherMedianIlmLin1EEEvNS_4cuda6detail10TensorInfoIT_T0_EENS5_IlS7_EENS5_IKS6_S7_EES7_S7_S7_b.has_recursion, 0
	.set _ZN2at6native12_GLOBAL__N_112gatherMedianIlmLin1EEEvNS_4cuda6detail10TensorInfoIT_T0_EENS5_IlS7_EENS5_IKS6_S7_EES7_S7_S7_b.has_indirect_call, 0
	.section	.AMDGPU.csdata,"",@progbits
; Kernel info:
; codeLenInByte = 20124
; TotalNumSgprs: 102
; NumVgprs: 71
; ScratchSize: 0
; MemoryBound: 0
; FloatMode: 240
; IeeeMode: 1
; LDSByteSize: 5152 bytes/workgroup (compile time only)
; SGPRBlocks: 0
; VGPRBlocks: 8
; NumSGPRsForWavesPerEU: 102
; NumVGPRsForWavesPerEU: 71
; Occupancy: 16
; WaveLimiterHint : 1
; COMPUTE_PGM_RSRC2:SCRATCH_EN: 0
; COMPUTE_PGM_RSRC2:USER_SGPR: 2
; COMPUTE_PGM_RSRC2:TRAP_HANDLER: 0
; COMPUTE_PGM_RSRC2:TGID_X_EN: 1
; COMPUTE_PGM_RSRC2:TGID_Y_EN: 1
; COMPUTE_PGM_RSRC2:TGID_Z_EN: 1
; COMPUTE_PGM_RSRC2:TIDIG_COMP_CNT: 0
	.section	.text._ZN2at6native12_GLOBAL__N_112gatherMedianIsjLi1EEEvNS_4cuda6detail10TensorInfoIT_T0_EENS5_IlS7_EENS5_IKS6_S7_EES7_S7_S7_b,"axG",@progbits,_ZN2at6native12_GLOBAL__N_112gatherMedianIsjLi1EEEvNS_4cuda6detail10TensorInfoIT_T0_EENS5_IlS7_EENS5_IKS6_S7_EES7_S7_S7_b,comdat
	.globl	_ZN2at6native12_GLOBAL__N_112gatherMedianIsjLi1EEEvNS_4cuda6detail10TensorInfoIT_T0_EENS5_IlS7_EENS5_IKS6_S7_EES7_S7_S7_b ; -- Begin function _ZN2at6native12_GLOBAL__N_112gatherMedianIsjLi1EEEvNS_4cuda6detail10TensorInfoIT_T0_EENS5_IlS7_EENS5_IKS6_S7_EES7_S7_S7_b
	.p2align	8
	.type	_ZN2at6native12_GLOBAL__N_112gatherMedianIsjLi1EEEvNS_4cuda6detail10TensorInfoIT_T0_EENS5_IlS7_EENS5_IKS6_S7_EES7_S7_S7_b,@function
_ZN2at6native12_GLOBAL__N_112gatherMedianIsjLi1EEEvNS_4cuda6detail10TensorInfoIT_T0_EENS5_IlS7_EENS5_IKS6_S7_EES7_S7_S7_b: ; @_ZN2at6native12_GLOBAL__N_112gatherMedianIsjLi1EEEvNS_4cuda6detail10TensorInfoIT_T0_EENS5_IlS7_EENS5_IKS6_S7_EES7_S7_S7_b
; %bb.0:
	s_clause 0x1
	s_load_b64 s[4:5], s[0:1], 0x298
	s_load_b128 s[36:39], s[0:1], 0x288
	s_lshr_b32 s2, ttmp7, 16
	s_and_b32 s3, ttmp7, 0xffff
	s_wait_kmcnt 0x0
	s_mul_i32 s2, s5, s2
	s_delay_alu instid0(SALU_CYCLE_1) | instskip(NEXT) | instid1(SALU_CYCLE_1)
	s_add_co_i32 s2, s2, s3
	s_mul_i32 s31, s2, s4
	s_delay_alu instid0(SALU_CYCLE_1) | instskip(NEXT) | instid1(SALU_CYCLE_1)
	s_add_co_i32 s31, s31, ttmp9
	s_cmp_ge_u32 s31, s37
	s_cbranch_scc1 .LBB104_250
; %bb.1:
	v_cmp_eq_u32_e64 s2, 0, v0
	s_and_saveexec_b32 s3, s2
; %bb.2:
	v_mov_b32_e32 v1, 0
	s_delay_alu instid0(VALU_DEP_1)
	v_mov_b32_e32 v2, v1
	ds_store_b64 v1, v[1:2] offset:4096
; %bb.3:
	s_or_b32 exec_lo, exec_lo, s3
	v_mov_b32_e32 v1, 0
	s_wait_dscnt 0x0
	s_barrier_signal -1
	s_barrier_wait -1
	global_inv scope:SCOPE_SE
	s_wait_loadcnt 0x0
	s_barrier_signal -1
	s_barrier_wait -1
	global_inv scope:SCOPE_SE
	ds_load_b64 v[1:2], v1 offset:4096
	s_bitcmp1_b32 s39, 0
	s_mov_b32 s11, s36
	s_cselect_b32 s5, -1, 0
	s_wait_dscnt 0x0
	v_readfirstlane_b32 s6, v1
	v_readfirstlane_b32 s7, v2
	s_delay_alu instid0(VALU_DEP_1) | instskip(SKIP_1) | instid1(SALU_CYCLE_1)
	v_cmp_lt_i64_e64 s3, s[6:7], 1
	s_or_b32 s3, s5, s3
	s_and_not1_b32 vcc_lo, exec_lo, s3
	s_cbranch_vccnz .LBB104_5
; %bb.4:
	s_not_b64 s[6:7], s[6:7]
	s_mov_b32 s37, 0
	s_wait_alu 0xfffe
	s_add_nc_u64 s[6:7], s[6:7], s[36:37]
	s_mov_b32 s9, s37
	s_wait_alu 0xfffe
	s_lshr_b32 s8, s7, 31
	s_delay_alu instid0(SALU_CYCLE_1)
	s_add_nc_u64 s[6:7], s[6:7], s[8:9]
	s_wait_alu 0xfffe
	s_lshr_b64 s[6:7], s[6:7], 1
	s_wait_alu 0xfffe
	s_add_co_i32 s11, s6, 1
.LBB104_5:
	s_clause 0x1
	s_load_b32 s3, s[0:1], 0x21c
	s_load_b64 s[6:7], s[0:1], 0x1b0
	s_add_nc_u64 s[12:13], s[0:1], 0x298
	s_and_saveexec_b32 s5, s2
	s_cbranch_execz .LBB104_7
; %bb.6:
	v_dual_mov_b32 v1, 0 :: v_dual_mov_b32 v2, s36
	ds_store_b32 v1, v1 offset:4112
	ds_store_b64 v1, v[1:2] offset:4104
.LBB104_7:
	s_or_b32 exec_lo, exec_lo, s5
	s_wait_loadcnt_dscnt 0x0
	s_barrier_signal -1
	s_barrier_wait -1
	global_inv scope:SCOPE_SE
	s_load_b32 s5, s[12:13], 0xc
	s_clause 0x3
	s_load_b32 s33, s[0:1], 0x144
	s_load_b64 s[34:35], s[0:1], 0xd8
	s_load_b32 s52, s[0:1], 0x6c
	s_load_b64 s[42:43], s[0:1], 0x0
	v_dual_mov_b32 v7, 0 :: v_dual_lshlrev_b32 v14, 2, v0
	v_mbcnt_lo_u32_b32 v15, -1, 0
	v_mul_lo_u32 v5, s38, v0
	s_wait_kmcnt 0x0
	s_mul_i32 s44, s3, s31
	s_mov_b32 s45, 0
	v_dual_mov_b32 v33, 0 :: v_dual_lshlrev_b32 v16, 1, v0
	v_mov_b32_e32 v6, v7
	s_lshl_b64 s[8:9], s[44:45], 1
	v_lshlrev_b64_e64 v[3:4], v15, -1
	s_add_nc_u64 s[40:41], s[6:7], s[8:9]
	v_add_nc_u32_e32 v17, 0xc00, v16
	v_lshlrev_b64_e32 v[1:2], 1, v[5:6]
	v_cmp_gt_u32_e32 vcc_lo, 32, v0
	s_and_b32 s37, s5, 0xffff
	v_cmp_gt_i32_e64 s3, 4, v15
	s_wait_alu 0xfffe
	s_lshl_b32 s53, s37, 2
	v_not_b32_e32 v18, v3
	s_cvt_f32_u32 s6, s53
	s_add_co_i32 s55, s37, -1
	s_and_b32 s54, vcc_lo, s3
	v_add_co_u32 v8, vcc_lo, s40, v1
	s_wait_alu 0xfffe
	v_rcp_iflag_f32_e32 v3, s6
	s_bfe_u32 s5, s5, 0xb0005
	s_add_co_i32 s10, s55, s36
	s_cmp_gt_u32 s36, 0x600
	v_add_co_ci_u32_e64 v9, null, s41, v2, vcc_lo
	v_lshrrev_b32_e32 v2, 1, v0
	s_cselect_b32 s56, -1, 0
	s_cmp_gt_u32 s37, 31
	s_movk_i32 s6, 0x1f0
	s_cselect_b32 s58, -1, 0
	s_cmp_lt_u32 ttmp9, s4
	s_wait_alu 0xfffe
	v_and_or_b32 v19, v2, s6, 0xc00
	v_readfirstlane_b32 s6, v3
	s_cselect_b32 s44, 12, 18
	s_add_co_i32 s4, s5, -1
	s_bfe_u32 s59, s37, 0x30005
	s_and_b32 s4, s4, 0xffff
	v_dual_mov_b32 v34, s11 :: v_dual_add_nc_u32 v1, 2, v0
	s_cmp_gt_u32 s4, 6
	s_mul_f32 s4, s6, 0x4f7ffffe
	s_cselect_b32 s60, -1, 0
	s_and_b32 s61, s5, 0x7f8
	s_cmp_lg_u32 s59, 0
	s_cvt_u32_f32 s4, s4
	s_cselect_b32 s62, -1, 0
	s_cvt_f32_u32 s5, s37
	s_sub_co_i32 s6, 0, s53
	v_max_u32_e32 v1, s36, v1
	s_wait_alu 0xfffe
	s_mul_i32 s6, s6, s4
	v_rcp_iflag_f32_e32 v4, s5
	s_wait_alu 0xfffe
	s_mul_hi_u32 s5, s4, s6
	s_mov_b32 s39, s38
	s_wait_alu 0xfffe
	s_add_co_i32 s46, s4, s5
	v_xad_u32 v1, v0, -1, v1
	s_mul_hi_u32 s5, s36, s46
	v_mad_co_u64_u32 v[12:13], null, s38, v14, s[38:39]
	s_wait_alu 0xfffe
	s_mul_i32 s5, s5, s53
	v_dual_mov_b32 v31, 0 :: v_dual_add_nc_u32 v2, -2, v1
	s_wait_alu 0xfffe
	s_sub_co_i32 s5, s36, s5
	v_readfirstlane_b32 s6, v4
	s_wait_alu 0xfffe
	s_sub_co_i32 s7, s5, s53
	s_cmp_ge_u32 s5, s53
	v_dual_mov_b32 v13, 0 :: v_dual_and_b32 v20, -2, v1
	s_wait_alu 0xfffe
	s_cselect_b32 s7, s7, s5
	s_mul_f32 s6, s6, 0x4f7ffffe
	s_wait_alu 0xfffe
	s_sub_co_i32 s8, s7, s53
	s_cmp_ge_u32 s7, s53
	v_lshrrev_b32_e32 v3, 1, v2
	s_cselect_b32 s14, s8, s7
	s_cvt_u32_f32 s6, s6
	s_sub_co_i32 s63, s36, s14
	s_sub_co_i32 s7, 0, s37
	v_add_nc_u32_e32 v22, s63, v0
	s_wait_alu 0xfffe
	s_mul_i32 s7, s7, s6
	v_cmp_lt_u32_e64 s4, 31, v1
	s_wait_alu 0xfffe
	s_mul_hi_u32 s7, s6, s7
	v_cmp_lt_u32_e64 s5, 13, v2
	v_mul_lo_u32 v6, v22, s38
	s_wait_alu 0xfffe
	s_add_co_i32 s48, s6, s7
	v_dual_mov_b32 v32, 0 :: v_dual_add_nc_u32 v3, 1, v3
	s_mul_hi_u32 s7, s10, s48
	v_cmp_gt_u32_e64 s0, s36, v0
	s_wait_alu 0xfffe
	s_mul_i32 s8, s7, s37
	v_cmp_ne_u32_e64 s7, v1, v20
	v_lshlrev_b64_e32 v[1:2], 1, v[6:7]
	s_sub_co_i32 s9, s10, s8
	v_and_b32_e32 v4, 7, v3
	s_sub_co_i32 s15, s9, s37
	s_cmp_ge_u32 s9, s37
	v_and_b32_e32 v23, -8, v3
	v_add_co_u32 v10, vcc_lo, s40, v1
	v_add3_u32 v1, s37, s36, v0
	s_cselect_b32 s15, s15, s9
	s_wait_alu 0xfffd
	v_add_co_ci_u32_e64 v11, null, s41, v2, vcc_lo
	v_or_b32_e32 v2, 2, v14
	v_or_b32_e32 v3, 3, v14
	v_subrev_nc_u32_e32 v1, s14, v1
	s_sub_co_i32 s16, s15, s37
	s_cmp_ge_u32 s15, s37
	v_mul_lo_u32 v25, s38, v2
	s_cselect_b32 s15, s16, s15
	v_mul_lo_u32 v26, s38, v3
	v_mul_lo_u32 v28, s38, v1
	s_wait_alu 0xfffe
	s_sub_co_i32 s64, s10, s15
	v_cmp_eq_u32_e64 s1, 0, v15
	v_cmp_gt_u32_e64 s3, 2, v0
	v_add_nc_u32_e32 v21, v0, v20
	v_cmp_ne_u32_e64 s6, 0, v4
	v_cmp_gt_u32_e64 s8, s63, v14
	v_cmp_gt_u32_e64 s9, s36, v22
	;; [unrolled: 1-line block ×3, first 2 shown]
	v_lshlrev_b32_e32 v24, 2, v4
	v_lshlrev_b32_e32 v27, 2, v5
	;; [unrolled: 1-line block ×3, first 2 shown]
	v_lshl_or_b32 v30, v15, 2, 0xc00
	s_mul_i32 s57, s38, s37
	s_mov_b32 s47, s45
	s_mov_b32 s49, s45
	s_lshl_b32 s65, s57, 2
	s_lshl_b32 s66, s37, 3
	;; [unrolled: 1-line block ×3, first 2 shown]
	s_mov_b32 s75, 14
	s_add_nc_u64 s[50:51], s[12:13], s[44:45]
	s_mov_b32 s68, 0
                                        ; implicit-def: $sgpr72
                                        ; implicit-def: $sgpr74
                                        ; implicit-def: $sgpr69
                                        ; implicit-def: $sgpr71
                                        ; implicit-def: $sgpr73
                                        ; implicit-def: $sgpr70
	s_branch .LBB104_11
.LBB104_8:                              ;   in Loop: Header=BB104_11 Depth=1
	s_wait_alu 0xfffe
	s_or_b32 exec_lo, exec_lo, s15
	s_delay_alu instid0(SALU_CYCLE_1)
	s_and_b32 s12, s12, exec_lo
	s_and_not1_b32 s17, s17, exec_lo
	s_and_not1_b32 s16, s16, exec_lo
	s_or_not1_b32 s14, s14, exec_lo
.LBB104_9:                              ;   in Loop: Header=BB104_11 Depth=1
	s_wait_alu 0xfffe
	s_or_b32 exec_lo, exec_lo, s11
	s_delay_alu instid0(SALU_CYCLE_1)
	s_and_not1_b32 s11, s70, exec_lo
	s_and_b32 s12, s12, exec_lo
	s_and_not1_b32 s15, s71, exec_lo
	s_wait_alu 0xfffe
	s_or_b32 s70, s11, s12
	s_and_not1_b32 s11, s73, exec_lo
	s_and_b32 s12, s17, exec_lo
	s_and_b32 s16, s16, exec_lo
	s_wait_alu 0xfffe
	s_or_b32 s73, s11, s12
	s_or_b32 s71, s15, s16
	s_or_not1_b32 s15, s14, exec_lo
.LBB104_10:                             ;   in Loop: Header=BB104_11 Depth=1
	s_wait_alu 0xfffe
	s_or_b32 exec_lo, exec_lo, s13
	s_delay_alu instid0(SALU_CYCLE_1)
	s_and_b32 s11, exec_lo, s15
	v_mov_b32_e32 v34, v2
	s_wait_alu 0xfffe
	s_or_b32 s68, s11, s68
	s_and_not1_b32 s11, s69, exec_lo
	s_and_b32 s12, s70, exec_lo
	s_and_not1_b32 s13, s74, exec_lo
	s_wait_alu 0xfffe
	s_or_b32 s69, s11, s12
	s_and_b32 s11, s73, exec_lo
	s_and_not1_b32 s12, s72, exec_lo
	s_and_b32 s14, s71, exec_lo
	s_wait_alu 0xfffe
	s_or_b32 s74, s13, s11
	s_or_b32 s72, s12, s14
	s_mov_b32 s75, s22
	s_and_not1_b32 exec_lo, exec_lo, s68
	s_cbranch_execz .LBB104_246
.LBB104_11:                             ; =>This Loop Header: Depth=1
                                        ;     Child Loop BB104_16 Depth 2
                                        ;     Child Loop BB104_37 Depth 2
	;; [unrolled: 1-line block ×18, first 2 shown]
	ds_load_b64 v[1:2], v7 offset:4104
	s_wait_dscnt 0x0
	v_readfirstlane_b32 s44, v1
	s_cmp_lg_u32 s44, 0
	s_cbranch_scc1 .LBB104_56
; %bb.12:                               ;   in Loop: Header=BB104_11 Depth=1
	s_and_b32 vcc_lo, exec_lo, s56
	s_wait_alu 0xfffe
	s_cbranch_vccz .LBB104_24
; %bb.13:                               ;   in Loop: Header=BB104_11 Depth=1
	v_cmp_gt_u32_e32 vcc_lo, 0x601, v2
	s_mov_b32 s13, 0
	s_mov_b32 s11, 0
	s_cbranch_vccz .LBB104_25
; %bb.14:                               ;   in Loop: Header=BB104_11 Depth=1
	global_load_u16 v1, v[8:9], off
	s_load_u16 s14, s[50:51], 0x0
	s_mov_b32 s15, 0
	s_wait_kmcnt 0x0
	v_add_nc_u32_e32 v2, s14, v0
	s_mul_i32 s16, s38, s14
	s_delay_alu instid0(VALU_DEP_1)
	v_mul_lo_u32 v6, s38, v2
	v_mov_b32_e32 v2, v0
	s_branch .LBB104_16
.LBB104_15:                             ;   in Loop: Header=BB104_16 Depth=2
	s_wait_alu 0xfffe
	s_or_b32 exec_lo, exec_lo, s12
	v_dual_mov_b32 v1, v3 :: v_dual_add_nc_u32 v6, s16, v6
	s_and_not1_b32 exec_lo, exec_lo, s15
	s_cbranch_execz .LBB104_31
.LBB104_16:                             ;   Parent Loop BB104_11 Depth=1
                                        ; =>  This Inner Loop Header: Depth=2
	s_delay_alu instid0(VALU_DEP_1) | instskip(SKIP_3) | instid1(VALU_DEP_2)
	v_dual_mov_b32 v3, 0 :: v_dual_add_nc_u32 v2, s14, v2
	s_wait_dscnt 0x0
	v_mov_b32_e32 v4, 0
	s_mov_b32 s12, exec_lo
	v_cmp_le_u32_e32 vcc_lo, s36, v2
	v_cmpx_gt_u32_e64 s36, v2
	s_cbranch_execz .LBB104_18
; %bb.17:                               ;   in Loop: Header=BB104_16 Depth=2
	v_lshlrev_b64_e32 v[35:36], 1, v[6:7]
	s_delay_alu instid0(VALU_DEP_1) | instskip(SKIP_1) | instid1(VALU_DEP_2)
	v_add_co_u32 v35, s11, s40, v35
	s_wait_alu 0xf1ff
	v_add_co_ci_u32_e64 v36, null, s41, v36, s11
	global_load_u16 v3, v[35:36], off
.LBB104_18:                             ;   in Loop: Header=BB104_16 Depth=2
	s_wait_alu 0xfffe
	s_or_b32 exec_lo, exec_lo, s12
	s_wait_loadcnt 0x0
	v_bfe_i32 v35, v1, 0, 16
	s_delay_alu instid0(VALU_DEP_1) | instskip(NEXT) | instid1(VALU_DEP_1)
	v_add_nc_u32_e32 v35, 0x8000, v35
	v_and_b32_e32 v35, v35, v32
	s_delay_alu instid0(VALU_DEP_1)
	v_cmp_eq_u32_e64 s11, v35, v13
	s_cmp_lg_u32 s11, 0
	s_cselect_b32 s12, -1, 0
	s_wait_alu 0xfffe
	s_and_b32 s12, s1, s12
	s_wait_alu 0xfffe
	s_and_saveexec_b32 s17, s12
	s_cbranch_execz .LBB104_22
; %bb.19:                               ;   in Loop: Header=BB104_16 Depth=2
	s_mov_b32 s20, exec_lo
	s_bcnt1_i32_b32 s18, s11
	s_wait_alu 0xfffe
	v_mbcnt_lo_u32_b32 v4, s20, 0
	s_mov_b32 s19, exec_lo
                                        ; implicit-def: $vgpr35
	s_delay_alu instid0(VALU_DEP_1)
	v_cmpx_eq_u32_e32 0, v4
; %bb.20:                               ;   in Loop: Header=BB104_16 Depth=2
	s_bcnt1_i32_b32 s12, s20
	s_wait_alu 0xfffe
	s_mul_i32 s12, s18, s12
	s_wait_alu 0xfffe
	v_mov_b32_e32 v35, s12
	ds_add_rtn_u32 v35, v7, v35 offset:4112
; %bb.21:                               ;   in Loop: Header=BB104_16 Depth=2
	s_or_b32 exec_lo, exec_lo, s19
	s_wait_dscnt 0x0
	v_readfirstlane_b32 s12, v35
	s_wait_alu 0xf1ff
	s_delay_alu instid0(VALU_DEP_1)
	v_mad_u32_u24 v4, s18, v4, s12
.LBB104_22:                             ;   in Loop: Header=BB104_16 Depth=2
	s_wait_alu 0xfffe
	s_or_b32 exec_lo, exec_lo, s17
	ds_bpermute_b32 v4, v7, v4
	s_and_b32 s12, exec_lo, vcc_lo
	s_wait_alu 0xfffe
	s_or_b32 s15, s12, s15
	s_and_saveexec_b32 s12, s11
	s_cbranch_execz .LBB104_15
; %bb.23:                               ;   in Loop: Header=BB104_16 Depth=2
	v_and_b32_e32 v35, s11, v18
	s_delay_alu instid0(VALU_DEP_1) | instskip(NEXT) | instid1(VALU_DEP_1)
	v_bcnt_u32_b32 v35, v35, 0
	v_lshlrev_b32_e32 v35, 1, v35
	s_wait_dscnt 0x0
	s_delay_alu instid0(VALU_DEP_1)
	v_lshl_add_u32 v4, v4, 1, v35
	ds_store_b16 v4, v1
	s_branch .LBB104_15
.LBB104_24:                             ;   in Loop: Header=BB104_11 Depth=1
	s_mov_b32 s13, -1
	s_mov_b32 s11, 0
.LBB104_25:                             ;   in Loop: Header=BB104_11 Depth=1
	s_wait_alu 0xfffe
	s_and_b32 vcc_lo, exec_lo, s13
	s_wait_alu 0xfffe
	s_cbranch_vccz .LBB104_54
.LBB104_26:                             ;   in Loop: Header=BB104_11 Depth=1
	s_and_saveexec_b32 s12, s0
	s_cbranch_execz .LBB104_51
; %bb.27:                               ;   in Loop: Header=BB104_11 Depth=1
	global_load_u16 v35, v[8:9], off
	s_load_u16 s14, s[50:51], 0x0
	v_mov_b32_e32 v3, v0
	s_mov_b32 s13, exec_lo
	s_wait_kmcnt 0x0
	v_add_nc_u32_e32 v1, s14, v0
	s_delay_alu instid0(VALU_DEP_1)
	v_cmpx_gt_u32_e64 s36, v1
	s_cbranch_execz .LBB104_50
; %bb.28:                               ;   in Loop: Header=BB104_11 Depth=1
	s_mov_b32 s11, 0
	s_mul_i32 s15, s38, s14
                                        ; implicit-def: $vgpr3
                                        ; implicit-def: $vgpr36
                                        ; implicit-def: $vgpr2
                                        ; implicit-def: $vgpr4
	s_and_saveexec_b32 s16, s4
	s_wait_alu 0xfffe
	s_xor_b32 s16, exec_lo, s16
	s_cbranch_execnz .LBB104_34
; %bb.29:                               ;   in Loop: Header=BB104_11 Depth=1
	s_wait_alu 0xfffe
	s_and_not1_saveexec_b32 s16, s16
	s_cbranch_execnz .LBB104_45
.LBB104_30:                             ;   in Loop: Header=BB104_11 Depth=1
	s_wait_alu 0xfffe
	s_or_b32 exec_lo, exec_lo, s16
	s_and_saveexec_b32 s15, s11
	s_cbranch_execnz .LBB104_46
	s_branch .LBB104_49
.LBB104_31:                             ;   in Loop: Header=BB104_11 Depth=1
	s_or_b32 exec_lo, exec_lo, s15
	s_wait_dscnt 0x0
	s_barrier_signal -1
	s_barrier_wait -1
	global_inv scope:SCOPE_SE
	s_and_saveexec_b32 s11, s2
	s_cbranch_execz .LBB104_33
; %bb.32:                               ;   in Loop: Header=BB104_11 Depth=1
	ds_load_b32 v1, v7 offset:4112
	s_wait_dscnt 0x0
	ds_store_b32 v7, v1 offset:4104
.LBB104_33:                             ;   in Loop: Header=BB104_11 Depth=1
	s_wait_alu 0xfffe
	s_or_b32 exec_lo, exec_lo, s11
	s_wait_loadcnt_dscnt 0x0
	s_barrier_signal -1
	s_mov_b32 s11, -1
	s_barrier_wait -1
	s_and_b32 vcc_lo, exec_lo, s13
	s_wait_alu 0xfffe
	s_cbranch_vccnz .LBB104_26
	s_branch .LBB104_54
.LBB104_34:                             ;   in Loop: Header=BB104_11 Depth=1
	v_add_nc_u32_e32 v2, s14, v1
	s_cvt_f32_u32 s11, s14
	s_wait_alu 0xfffe
	s_delay_alu instid0(SALU_CYCLE_2) | instskip(NEXT) | instid1(VALU_DEP_1)
	v_rcp_iflag_f32_e32 v3, s11
	v_max_u32_e32 v2, s36, v2
	s_lshl_b32 s11, s14, 1
	s_delay_alu instid0(VALU_DEP_1) | instskip(NEXT) | instid1(TRANS32_DEP_1)
	v_sub_nc_u32_e32 v2, v2, v0
	v_readfirstlane_b32 s17, v3
	s_wait_alu 0xfffe
	s_delay_alu instid0(VALU_DEP_2) | instskip(SKIP_3) | instid1(VALU_DEP_1)
	v_cmp_ne_u32_e32 vcc_lo, s11, v2
	s_mul_f32 s17, s17, 0x4f7ffffe
	s_wait_alu 0xfffd
	v_cndmask_b32_e64 v3, 0, 1, vcc_lo
	v_or_b32_e32 v3, s11, v3
	s_wait_alu 0xfffe
	s_cvt_u32_f32 s11, s17
	s_sub_co_i32 s17, 0, s14
	s_wait_alu 0xfffe
	s_delay_alu instid0(SALU_CYCLE_1)
	s_mul_i32 s17, s17, s11
	v_sub_nc_u32_e32 v2, v2, v3
	s_wait_alu 0xfffe
	s_mul_hi_u32 s17, s11, s17
	s_wait_alu 0xfffe
	s_add_co_i32 s11, s11, s17
	s_not_b32 s17, s15
	s_wait_alu 0xfffe
	v_mul_hi_u32 v3, v2, s11
	s_delay_alu instid0(VALU_DEP_1) | instskip(NEXT) | instid1(VALU_DEP_1)
	v_mul_lo_u32 v4, v3, s14
	v_sub_nc_u32_e32 v2, v2, v4
	v_add_nc_u32_e32 v4, 1, v3
	s_delay_alu instid0(VALU_DEP_2) | instskip(SKIP_2) | instid1(VALU_DEP_1)
	v_subrev_nc_u32_e32 v6, s14, v2
	v_cmp_le_u32_e64 s11, s14, v2
	s_wait_alu 0xf1ff
	v_cndmask_b32_e64 v3, v3, v4, s11
	s_delay_alu instid0(VALU_DEP_3) | instskip(NEXT) | instid1(VALU_DEP_2)
	v_cndmask_b32_e64 v2, v2, v6, s11
	v_add_nc_u32_e32 v4, 1, v3
	s_delay_alu instid0(VALU_DEP_2) | instskip(SKIP_1) | instid1(VALU_DEP_1)
	v_cmp_le_u32_e64 s11, s14, v2
	s_wait_alu 0xf1ff
	v_cndmask_b32_e64 v2, v3, v4, s11
	v_mul_lo_u32 v3, s38, v1
	s_abs_i32 s11, s15
	s_delay_alu instid0(VALU_DEP_2) | instskip(SKIP_1) | instid1(VALU_DEP_1)
	v_add_co_ci_u32_e64 v2, null, 0, v2, vcc_lo
	s_wait_alu 0xfffe
	v_mul_hi_u32 v4, s11, v2
	v_mul_lo_u32 v2, s11, v2
	s_ashr_i32 s11, s17, 31
	s_cmp_eq_u32 s14, 1
	s_wait_alu 0xfffe
	v_xor_b32_e32 v3, s11, v3
	s_cselect_b32 s17, -1, 0
	s_delay_alu instid0(VALU_DEP_3) | instskip(NEXT) | instid1(VALU_DEP_2)
	v_cmp_eq_u32_e32 vcc_lo, 0, v4
	v_cmp_le_u32_e64 s11, v2, v3
	v_mov_b32_e32 v2, v0
                                        ; implicit-def: $vgpr3
	s_wait_alu 0xfffe
	s_and_b32 s17, vcc_lo, s17
	s_wait_alu 0xfffe
	s_and_b32 s18, s17, s11
	s_mov_b32 s17, -1
	s_wait_alu 0xfffe
	s_and_saveexec_b32 s11, s18
	s_cbranch_execz .LBB104_44
; %bb.35:                               ;   in Loop: Header=BB104_11 Depth=1
	v_add_nc_u32_e32 v2, 1, v1
	s_wait_loadcnt 0x0
	v_lshlrev_b32_e32 v38, 16, v35
	v_mov_b32_e32 v6, 0
                                        ; implicit-def: $vgpr35
	s_delay_alu instid0(VALU_DEP_3)
	v_dual_mov_b32 v4, v2 :: v_dual_mov_b32 v3, v1
	s_and_saveexec_b32 s17, s5
	s_cbranch_execz .LBB104_39
; %bb.36:                               ;   in Loop: Header=BB104_11 Depth=1
	v_dual_mov_b32 v36, v23 :: v_dual_mov_b32 v37, v16
	v_dual_mov_b32 v4, v2 :: v_dual_mov_b32 v3, v1
	s_mov_b32 s18, 0
	s_mov_b32 s19, 0
.LBB104_37:                             ;   Parent Loop BB104_11 Depth=1
                                        ; =>  This Inner Loop Header: Depth=2
	s_delay_alu instid0(VALU_DEP_1) | instskip(NEXT) | instid1(VALU_DEP_2)
	v_dual_mov_b32 v41, v7 :: v_dual_add_nc_u32 v2, 2, v4
	v_mul_lo_u32 v6, v3, s38
	s_wait_alu 0xfffe
	s_add_co_i32 s19, s19, 16
	v_add_nc_u32_e32 v35, 4, v4
	v_mul_lo_u32 v40, v4, s39
	v_lshrrev_b32_e32 v39, 16, v38
	v_dual_mov_b32 v43, v7 :: v_dual_add_nc_u32 v38, 6, v4
	v_mul_lo_u32 v42, v2, s39
	v_dual_mov_b32 v45, v7 :: v_dual_add_nc_u32 v48, 8, v4
	v_mul_lo_u32 v44, v35, s39
	;; [unrolled: 2-line block ×3, first 2 shown]
	v_lshlrev_b64_e32 v[52:53], 1, v[6:7]
	v_mul_lo_u32 v48, v48, s39
	v_lshlrev_b64_e32 v[40:41], 1, v[40:41]
	v_mul_lo_u32 v50, v50, s39
	v_lshlrev_b64_e32 v[42:43], 1, v[42:43]
	v_dual_mov_b32 v49, v7 :: v_dual_add_nc_u32 v2, 2, v3
	v_lshlrev_b64_e32 v[44:45], 1, v[44:45]
	v_add_co_u32 v52, vcc_lo, s40, v52
	v_dual_mov_b32 v51, v7 :: v_dual_add_nc_u32 v38, 6, v3
	v_lshlrev_b64_e32 v[46:47], 1, v[46:47]
	s_wait_alu 0xfffd
	v_add_co_ci_u32_e64 v53, null, s41, v53, vcc_lo
	v_add_co_u32 v40, vcc_lo, s40, v40
	v_lshlrev_b64_e32 v[48:49], 1, v[48:49]
	s_wait_alu 0xfffd
	v_add_co_ci_u32_e64 v41, null, s41, v41, vcc_lo
	v_add_co_u32 v42, vcc_lo, s40, v42
	;; [unrolled: 4-line block ×3, first 2 shown]
	s_wait_alu 0xfffd
	v_add_co_ci_u32_e64 v45, null, s41, v45, vcc_lo
	v_add_co_u32 v46, vcc_lo, s40, v46
	s_wait_alu 0xfffd
	v_add_co_ci_u32_e64 v47, null, s41, v47, vcc_lo
	v_add_co_u32 v48, vcc_lo, s40, v48
	;; [unrolled: 3-line block ×3, first 2 shown]
	s_wait_alu 0xfffd
	v_add_co_ci_u32_e64 v51, null, s41, v51, vcc_lo
	s_clause 0x6
	global_load_d16_hi_b16 v39, v[52:53], off
	global_load_u16 v40, v[40:41], off
	global_load_u16 v41, v[42:43], off
	;; [unrolled: 1-line block ×6, first 2 shown]
	v_add_nc_u32_e32 v6, 12, v4
	v_add_nc_u32_e32 v48, 14, v4
	v_add_nc_u32_e32 v35, 4, v3
	v_dual_mov_b32 v47, v7 :: v_dual_add_nc_u32 v54, 8, v3
	s_delay_alu instid0(VALU_DEP_4)
	v_mul_lo_u32 v46, v6, s39
	v_mul_lo_u32 v6, v2, s38
	;; [unrolled: 1-line block ×3, first 2 shown]
	v_dual_mov_b32 v49, v7 :: v_dual_add_nc_u32 v56, 10, v3
	v_add_nc_u32_e32 v58, 12, v3
	v_add_nc_u32_e32 v60, 14, v3
	v_add_nc_u32_e32 v36, -8, v36
	v_lshlrev_b64_e32 v[46:47], 1, v[46:47]
	v_lshlrev_b64_e32 v[50:51], 1, v[6:7]
	v_mul_lo_u32 v6, v35, s38
	v_lshlrev_b64_e32 v[48:49], 1, v[48:49]
	v_add_nc_u32_e32 v4, 16, v4
	v_add_nc_u32_e32 v3, 16, v3
	v_add_co_u32 v46, vcc_lo, s40, v46
	s_wait_alu 0xfffd
	v_add_co_ci_u32_e64 v47, null, s41, v47, vcc_lo
	v_lshlrev_b64_e32 v[52:53], 1, v[6:7]
	v_mul_lo_u32 v6, v38, s38
	v_add_co_u32 v48, vcc_lo, s40, v48
	s_wait_alu 0xfffd
	v_add_co_ci_u32_e64 v49, null, s41, v49, vcc_lo
	v_add_co_u32 v50, vcc_lo, s40, v50
	s_wait_alu 0xfffd
	v_add_co_ci_u32_e64 v51, null, s41, v51, vcc_lo
	global_load_u16 v2, v[46:47], off
	v_add_co_u32 v46, vcc_lo, s40, v52
	s_wait_alu 0xfffd
	v_add_co_ci_u32_e64 v47, null, s41, v53, vcc_lo
	v_lshlrev_b64_e32 v[52:53], 1, v[6:7]
	v_mul_lo_u32 v6, v54, s38
	s_delay_alu instid0(VALU_DEP_2) | instskip(SKIP_1) | instid1(VALU_DEP_3)
	v_add_co_u32 v52, vcc_lo, s40, v52
	s_wait_alu 0xfffd
	v_add_co_ci_u32_e64 v53, null, s41, v53, vcc_lo
	s_delay_alu instid0(VALU_DEP_3) | instskip(SKIP_1) | instid1(VALU_DEP_2)
	v_lshlrev_b64_e32 v[54:55], 1, v[6:7]
	v_mul_lo_u32 v6, v56, s38
	v_add_co_u32 v54, vcc_lo, s40, v54
	s_wait_alu 0xfffd
	s_delay_alu instid0(VALU_DEP_3) | instskip(NEXT) | instid1(VALU_DEP_3)
	v_add_co_ci_u32_e64 v55, null, s41, v55, vcc_lo
	v_lshlrev_b64_e32 v[56:57], 1, v[6:7]
	v_mul_lo_u32 v6, v58, s38
	s_delay_alu instid0(VALU_DEP_2) | instskip(SKIP_1) | instid1(VALU_DEP_3)
	v_add_co_u32 v56, vcc_lo, s40, v56
	s_wait_alu 0xfffd
	v_add_co_ci_u32_e64 v57, null, s41, v57, vcc_lo
	s_delay_alu instid0(VALU_DEP_3) | instskip(SKIP_1) | instid1(VALU_DEP_2)
	v_lshlrev_b64_e32 v[58:59], 1, v[6:7]
	v_mul_lo_u32 v6, v60, s38
	v_add_co_u32 v58, vcc_lo, s40, v58
	s_wait_alu 0xfffd
	s_delay_alu instid0(VALU_DEP_3) | instskip(NEXT) | instid1(VALU_DEP_3)
	v_add_co_ci_u32_e64 v59, null, s41, v59, vcc_lo
	v_lshlrev_b64_e32 v[60:61], 1, v[6:7]
	s_wait_alu 0xfffe
	v_mov_b32_e32 v6, s19
	s_delay_alu instid0(VALU_DEP_2) | instskip(SKIP_1) | instid1(VALU_DEP_3)
	v_add_co_u32 v60, vcc_lo, s40, v60
	s_wait_alu 0xfffd
	v_add_co_ci_u32_e64 v61, null, s41, v61, vcc_lo
	v_cmp_eq_u32_e32 vcc_lo, 0, v36
	s_wait_loadcnt 0x6
	global_load_d16_hi_b16 v40, v[50:51], off
	s_wait_loadcnt 0x6
	global_load_d16_hi_b16 v41, v[46:47], off
	;; [unrolled: 2-line block ×3, first 2 shown]
	s_wait_loadcnt 0x6
	s_clause 0x1
	global_load_d16_hi_b16 v43, v[54:55], off
	global_load_u16 v38, v[60:61], off
	s_wait_loadcnt 0x7
	global_load_d16_hi_b16 v44, v[56:57], off
	s_wait_loadcnt 0x7
	s_clause 0x1
	global_load_d16_hi_b16 v45, v[58:59], off
	global_load_u16 v35, v[48:49], off
	s_or_b32 s18, vcc_lo, s18
	s_wait_loadcnt 0x3
	v_perm_b32 v46, v38, v2, 0x5040100
	ds_store_b128 v37, v[39:42]
	s_wait_loadcnt 0x1
	ds_store_b128 v37, v[43:46] offset:16
	s_wait_loadcnt 0x0
	v_perm_b32 v38, v35, v38, 0x5040100
	v_add_nc_u32_e32 v37, 32, v37
	s_wait_alu 0xfffe
	s_and_not1_b32 exec_lo, exec_lo, s18
	s_cbranch_execnz .LBB104_37
; %bb.38:                               ;   in Loop: Header=BB104_11 Depth=1
	s_or_b32 exec_lo, exec_lo, s18
.LBB104_39:                             ;   in Loop: Header=BB104_11 Depth=1
	s_wait_alu 0xfffe
	s_or_b32 exec_lo, exec_lo, s17
	s_and_saveexec_b32 s17, s6
	s_cbranch_execz .LBB104_43
; %bb.40:                               ;   in Loop: Header=BB104_11 Depth=1
	v_lshl_add_u32 v2, v6, 1, v16
	v_mov_b32_e32 v36, v24
	s_mov_b32 s18, 0
.LBB104_41:                             ;   Parent Loop BB104_11 Depth=1
                                        ; =>  This Inner Loop Header: Depth=2
	v_mul_lo_u32 v6, v3, s38
	v_mul_lo_u32 v39, v4, s39
	v_dual_mov_b32 v40, v7 :: v_dual_add_nc_u32 v3, 2, v3
	v_add_nc_u32_e32 v36, -4, v36
	v_add_nc_u32_e32 v4, 2, v4
	v_lshlrev_b64_e32 v[41:42], 1, v[6:7]
	s_delay_alu instid0(VALU_DEP_4) | instskip(NEXT) | instid1(VALU_DEP_2)
	v_lshlrev_b64_e32 v[39:40], 1, v[39:40]
	v_add_co_u32 v41, vcc_lo, s40, v41
	s_wait_alu 0xfffd
	s_delay_alu instid0(VALU_DEP_3) | instskip(NEXT) | instid1(VALU_DEP_3)
	v_add_co_ci_u32_e64 v42, null, s41, v42, vcc_lo
	v_add_co_u32 v39, vcc_lo, s40, v39
	s_wait_alu 0xfffd
	v_add_co_ci_u32_e64 v40, null, s41, v40, vcc_lo
	s_clause 0x1
	global_load_u16 v6, v[41:42], off
	global_load_u16 v35, v[39:40], off
	v_cmp_eq_u32_e32 vcc_lo, 0, v36
	s_wait_alu 0xfffe
	s_or_b32 s18, vcc_lo, s18
	s_wait_loadcnt 0x1
	v_alignbit_b32 v37, v6, v38, 16
	s_wait_loadcnt 0x0
	v_perm_b32 v38, v35, v6, 0x5040100
	ds_store_b32 v2, v37
	v_add_nc_u32_e32 v2, 4, v2
	s_wait_alu 0xfffe
	s_and_not1_b32 exec_lo, exec_lo, s18
	s_cbranch_execnz .LBB104_41
; %bb.42:                               ;   in Loop: Header=BB104_11 Depth=1
	s_or_b32 exec_lo, exec_lo, s18
.LBB104_43:                             ;   in Loop: Header=BB104_11 Depth=1
	s_wait_alu 0xfffe
	s_or_b32 exec_lo, exec_lo, s17
	v_add_nc_u32_e32 v1, v1, v20
	s_or_not1_b32 s17, s7, exec_lo
	s_delay_alu instid0(VALU_DEP_1)
	v_dual_mov_b32 v2, v21 :: v_dual_add_nc_u32 v3, -1, v1
.LBB104_44:                             ;   in Loop: Header=BB104_11 Depth=1
	s_wait_alu 0xfffe
	s_or_b32 exec_lo, exec_lo, s11
	v_mov_b32_e32 v4, s15
	s_wait_loadcnt 0x0
	v_mov_b32_e32 v36, v35
	s_and_b32 s11, s17, exec_lo
	s_and_not1_saveexec_b32 s16, s16
	s_cbranch_execz .LBB104_30
.LBB104_45:                             ;   in Loop: Header=BB104_11 Depth=1
	s_wait_alu 0xfffe
	v_mov_b32_e32 v4, s15
	s_wait_loadcnt 0x0
	v_mov_b32_e32 v36, v35
	v_mov_b32_e32 v2, v0
	s_or_b32 s11, s11, exec_lo
	s_or_b32 exec_lo, exec_lo, s16
	s_wait_alu 0xfffe
	s_and_saveexec_b32 s15, s11
	s_cbranch_execz .LBB104_49
.LBB104_46:                             ;   in Loop: Header=BB104_11 Depth=1
	v_mul_lo_u32 v6, s38, v1
	s_mov_b32 s16, 0
	s_sub_co_i32 s11, 0, s14
.LBB104_47:                             ;   Parent Loop BB104_11 Depth=1
                                        ; =>  This Inner Loop Header: Depth=2
	s_delay_alu instid0(VALU_DEP_1) | instskip(SKIP_2) | instid1(VALU_DEP_2)
	v_lshlrev_b64_e32 v[37:38], 1, v[6:7]
	v_dual_mov_b32 v3, v1 :: v_dual_lshlrev_b32 v2, 1, v2
	v_add_nc_u32_e32 v6, v6, v4
	v_add_nc_u32_e32 v1, s14, v3
	s_delay_alu instid0(VALU_DEP_4)
	v_add_co_u32 v37, vcc_lo, s40, v37
	s_wait_alu 0xfffd
	v_add_co_ci_u32_e64 v38, null, s41, v38, vcc_lo
	ds_store_b16 v2, v36
	v_mov_b32_e32 v2, v3
	v_cmp_le_u32_e32 vcc_lo, s36, v1
	s_wait_loadcnt 0x0
	global_load_u16 v35, v[37:38], off
	s_wait_alu 0xfffe
	s_or_b32 s16, vcc_lo, s16
	s_wait_loadcnt 0x0
	v_mov_b32_e32 v36, v35
	s_wait_alu 0xfffe
	s_and_not1_b32 exec_lo, exec_lo, s16
	s_cbranch_execnz .LBB104_47
; %bb.48:                               ;   in Loop: Header=BB104_11 Depth=1
	s_or_b32 exec_lo, exec_lo, s16
	v_add_nc_u32_e32 v3, s11, v1
.LBB104_49:                             ;   in Loop: Header=BB104_11 Depth=1
	s_wait_alu 0xfffe
	s_or_b32 exec_lo, exec_lo, s15
.LBB104_50:                             ;   in Loop: Header=BB104_11 Depth=1
	s_wait_alu 0xfffe
	s_or_b32 exec_lo, exec_lo, s13
	v_lshlrev_b32_e32 v1, 1, v3
	s_wait_loadcnt 0x0
	ds_store_b16 v1, v35
.LBB104_51:                             ;   in Loop: Header=BB104_11 Depth=1
	s_wait_alu 0xfffe
	s_or_b32 exec_lo, exec_lo, s12
	s_wait_loadcnt_dscnt 0x0
	s_barrier_signal -1
	s_barrier_wait -1
	global_inv scope:SCOPE_SE
	s_and_saveexec_b32 s11, s2
; %bb.52:                               ;   in Loop: Header=BB104_11 Depth=1
	v_mov_b32_e32 v1, s36
	ds_store_b32 v7, v1 offset:4104
; %bb.53:                               ;   in Loop: Header=BB104_11 Depth=1
	s_wait_alu 0xfffe
	s_or_b32 exec_lo, exec_lo, s11
	s_mov_b32 s11, -1
	s_wait_loadcnt_dscnt 0x0
	s_barrier_signal -1
	s_barrier_wait -1
.LBB104_54:                             ;   in Loop: Header=BB104_11 Depth=1
	s_wait_alu 0xfffe
	s_and_b32 vcc_lo, exec_lo, s11
	s_mov_b32 s44, 0
	s_wait_alu 0xfffe
	s_cbranch_vccz .LBB104_56
; %bb.55:                               ;   in Loop: Header=BB104_11 Depth=1
	s_wait_loadcnt 0x0
	global_inv scope:SCOPE_SE
	ds_load_b32 v1, v7 offset:4104
	s_wait_dscnt 0x0
	v_readfirstlane_b32 s44, v1
.LBB104_56:                             ;   in Loop: Header=BB104_11 Depth=1
	s_delay_alu instid0(VALU_DEP_1)
	s_cmp_lt_i32 s44, 1
	s_mov_b32 s11, -1
                                        ; implicit-def: $vgpr1
	s_cbranch_scc1 .LBB104_66
; %bb.57:                               ;   in Loop: Header=BB104_11 Depth=1
	s_wait_alu 0xfffe
	s_and_b32 vcc_lo, exec_lo, s11
	s_wait_alu 0xfffe
	s_cbranch_vccnz .LBB104_77
.LBB104_58:                             ;   in Loop: Header=BB104_11 Depth=1
	v_lshlrev_b32_e32 v6, 7, v31
	s_and_saveexec_b32 s11, s1
.LBB104_59:                             ;   in Loop: Header=BB104_11 Depth=1
	s_delay_alu instid0(VALU_DEP_1)
	v_lshl_add_u32 v35, v6, 2, v19
	ds_store_b128 v35, v[1:4]
.LBB104_60:                             ;   in Loop: Header=BB104_11 Depth=1
	s_wait_alu 0xfffe
	s_or_b32 exec_lo, exec_lo, s11
	s_wait_loadcnt_dscnt 0x0
	s_barrier_signal -1
	s_barrier_wait -1
	global_inv scope:SCOPE_SE
	s_and_saveexec_b32 s11, s54
	s_cbranch_execz .LBB104_90
; %bb.61:                               ;   in Loop: Header=BB104_11 Depth=1
	v_mov_b32_e32 v1, 0
	s_and_not1_b32 vcc_lo, exec_lo, s58
	s_wait_alu 0xfffe
	s_cbranch_vccnz .LBB104_89
; %bb.62:                               ;   in Loop: Header=BB104_11 Depth=1
	s_and_not1_b32 vcc_lo, exec_lo, s60
	s_wait_alu 0xfffe
	s_cbranch_vccnz .LBB104_86
; %bb.63:                               ;   in Loop: Header=BB104_11 Depth=1
	v_lshl_add_u32 v2, v31, 9, v30
	v_mov_b32_e32 v1, 0
	s_mov_b32 s12, 0
.LBB104_64:                             ;   Parent Loop BB104_11 Depth=1
                                        ; =>  This Inner Loop Header: Depth=2
	ds_load_2addr_b32 v[3:4], v2 offset1:4
	ds_load_2addr_b32 v[35:36], v2 offset0:8 offset1:12
	ds_load_2addr_b32 v[37:38], v2 offset0:16 offset1:20
	;; [unrolled: 1-line block ×3, first 2 shown]
	v_add_nc_u32_e32 v2, 0x80, v2
	s_wait_alu 0xfffe
	s_add_co_i32 s12, s12, 8
	s_wait_alu 0xfffe
	s_cmp_eq_u32 s61, s12
	s_wait_dscnt 0x3
	v_add3_u32 v1, v3, v1, v4
	s_wait_dscnt 0x2
	s_delay_alu instid0(VALU_DEP_1) | instskip(SKIP_1) | instid1(VALU_DEP_1)
	v_add3_u32 v1, v35, v1, v36
	s_wait_dscnt 0x1
	v_add3_u32 v1, v37, v1, v38
	s_wait_dscnt 0x0
	s_delay_alu instid0(VALU_DEP_1)
	v_add3_u32 v1, v39, v1, v40
	s_cbranch_scc0 .LBB104_64
; %bb.65:                               ;   in Loop: Header=BB104_11 Depth=1
	s_mov_b32 s12, s61
	s_and_not1_b32 vcc_lo, exec_lo, s62
	s_wait_alu 0xfffe
	s_cbranch_vccz .LBB104_87
	s_branch .LBB104_89
.LBB104_66:                             ;   in Loop: Header=BB104_11 Depth=1
	v_dual_mov_b32 v1, 0 :: v_dual_mov_b32 v2, 0
	v_dual_mov_b32 v3, 0 :: v_dual_mov_b32 v4, 0
	s_and_saveexec_b32 s22, s8
	s_cbranch_execz .LBB104_70
; %bb.67:                               ;   in Loop: Header=BB104_11 Depth=1
	v_mov_b32_e32 v35, v14
	s_mov_b32 s23, 0
	s_mov_b32 s24, 0
	;; [unrolled: 1-line block ×6, first 2 shown]
.LBB104_68:                             ;   Parent Loop BB104_11 Depth=1
                                        ; =>  This Inner Loop Header: Depth=2
	s_wait_alu 0xfffe
	v_add_nc_u32_e32 v6, s24, v27
	s_delay_alu instid0(VALU_DEP_1) | instskip(SKIP_1) | instid1(VALU_DEP_1)
	v_lshlrev_b64_e32 v[1:2], 1, v[6:7]
	v_add_nc_u32_e32 v6, s24, v12
	v_lshlrev_b64_e32 v[3:4], 1, v[6:7]
	v_add_nc_u32_e32 v6, s24, v25
	s_delay_alu instid0(VALU_DEP_4) | instskip(SKIP_2) | instid1(VALU_DEP_3)
	v_add_co_u32 v1, vcc_lo, s40, v1
	s_wait_alu 0xfffd
	v_add_co_ci_u32_e64 v2, null, s41, v2, vcc_lo
	v_lshlrev_b64_e32 v[36:37], 1, v[6:7]
	v_add_nc_u32_e32 v6, s24, v26
	s_add_co_i32 s24, s24, s65
	global_load_i16 v38, v[1:2], off
	v_add_co_u32 v1, vcc_lo, s40, v3
	s_wait_alu 0xfffd
	v_add_co_ci_u32_e64 v2, null, s41, v4, vcc_lo
	v_add_co_u32 v36, vcc_lo, s40, v36
	s_wait_alu 0xfffd
	v_add_co_ci_u32_e64 v37, null, s41, v37, vcc_lo
	v_lshlrev_b64_e32 v[3:4], 1, v[6:7]
	s_clause 0x1
	global_load_i16 v6, v[1:2], off
	global_load_i16 v36, v[36:37], off
	v_add_co_u32 v1, vcc_lo, s40, v3
	s_wait_alu 0xfffd
	v_add_co_ci_u32_e64 v2, null, s41, v4, vcc_lo
	global_load_i16 v1, v[1:2], off
	s_wait_loadcnt 0x3
	v_add_nc_u32_e32 v2, 0x8000, v38
	s_delay_alu instid0(VALU_DEP_1)
	v_and_b32_e32 v3, v2, v32
	v_bfe_u32 v2, v2, s75, 2
	s_wait_loadcnt 0x2
	v_add_nc_u32_e32 v4, 0x8000, v6
	s_wait_loadcnt 0x1
	v_add_nc_u32_e32 v6, 0x8000, v36
	v_cmp_eq_u32_e64 s11, v3, v13
	v_cmp_eq_u32_e64 s12, 0, v2
	;; [unrolled: 1-line block ×3, first 2 shown]
	v_and_b32_e32 v3, v4, v32
	v_bfe_u32 v4, v4, s75, 2
	v_cmp_eq_u32_e64 s14, 2, v2
	v_cmp_eq_u32_e64 s15, 3, v2
	v_and_b32_e32 v2, v6, v32
	v_cmp_eq_u32_e64 s16, v3, v13
	v_bfe_u32 v3, v6, s75, 2
	s_and_b32 s12, s11, s12
	s_wait_loadcnt 0x0
	v_add_nc_u32_e32 v1, 0x8000, v1
	v_cmp_eq_u32_e64 s17, 0, v4
	s_wait_alu 0xfffe
	v_cndmask_b32_e64 v6, 0, 1, s12
	v_cmp_eq_u32_e64 s12, 1, v4
	s_and_b32 s13, s11, s13
	s_and_b32 s14, s11, s14
	;; [unrolled: 1-line block ×3, first 2 shown]
	s_wait_alu 0xfffe
	v_cndmask_b32_e64 v36, 0, 1, s13
	v_cmp_eq_u32_e64 s13, 2, v4
	v_cndmask_b32_e64 v37, 0, 1, s14
	v_cmp_eq_u32_e64 s14, 3, v4
	;; [unrolled: 2-line block ×3, first 2 shown]
	v_cmp_eq_u32_e64 s15, 0, v3
	v_and_b32_e32 v2, v1, v32
	v_bfe_u32 v1, v1, s75, 2
	s_and_b32 s17, s16, s17
	s_and_b32 s12, s16, s12
	v_cmp_ne_u32_e64 s18, 0, v6
	s_wait_alu 0xfffe
	v_cndmask_b32_e64 v6, 0, 1, s17
	v_cmp_eq_u32_e64 s17, 1, v3
	v_cmp_ne_u32_e64 s19, 0, v36
	v_cndmask_b32_e64 v36, 0, 1, s12
	v_cmp_eq_u32_e64 s12, 2, v3
	s_and_b32 s13, s16, s13
	s_and_b32 s14, s16, s14
	;; [unrolled: 1-line block ×3, first 2 shown]
	v_cmp_ne_u32_e64 s20, 0, v37
	s_wait_alu 0xfffe
	v_cndmask_b32_e64 v37, 0, 1, s13
	v_cmp_eq_u32_e64 s13, 3, v3
	v_cndmask_b32_e64 v3, 0, 1, s14
	v_cmp_eq_u32_e64 s14, v2, v13
	;; [unrolled: 2-line block ×3, first 2 shown]
	v_cmp_ne_u32_e64 s21, 0, v4
	v_cmp_eq_u32_e64 s16, 0, v1
	s_and_b32 s17, s11, s17
	s_and_b32 s12, s11, s12
	s_bcnt1_i32_b32 s29, s18
	v_cmp_ne_u32_e64 s18, 0, v6
	s_wait_alu 0xfffe
	v_cndmask_b32_e64 v4, 0, 1, s17
	v_cmp_eq_u32_e64 s17, 2, v1
	v_cndmask_b32_e64 v6, 0, 1, s12
	v_cmp_eq_u32_e64 s12, 3, v1
	s_and_b32 s11, s11, s13
	s_and_b32 s15, s14, s15
	s_bcnt1_i32_b32 s77, s21
	v_cmp_ne_u32_e64 s21, 0, v3
	s_wait_alu 0xfffe
	v_cndmask_b32_e64 v1, 0, 1, s11
	v_cndmask_b32_e64 v3, 0, 1, s15
	s_bcnt1_i32_b32 s30, s19
	v_cmp_ne_u32_e64 s19, 0, v36
	s_and_b32 s13, s14, s16
	v_cmp_ne_u32_e64 s11, 0, v2
	s_wait_alu 0xfffe
	v_cndmask_b32_e64 v2, 0, 1, s13
	v_cmp_ne_u32_e64 s13, 0, v4
	s_and_b32 s16, s14, s17
	s_and_b32 s12, s14, s12
	s_wait_alu 0xfffe
	v_cndmask_b32_e64 v4, 0, 1, s16
	v_cmp_ne_u32_e64 s16, 0, v1
	v_cndmask_b32_e64 v1, 0, 1, s12
	v_cmp_ne_u32_e64 s12, 0, v3
	s_bcnt1_i32_b32 s76, s20
	v_cmp_ne_u32_e64 s20, 0, v37
	s_add_co_i32 s27, s30, s27
	s_add_co_i32 s25, s77, s25
	s_bcnt1_i32_b32 s19, s19
	s_bcnt1_i32_b32 s17, s21
	v_cmp_ne_u32_e64 s15, 0, v6
	s_wait_alu 0xfffe
	s_add_co_i32 s19, s27, s19
	s_add_co_i32 s17, s25, s17
	s_bcnt1_i32_b32 s25, s13
	s_bcnt1_i32_b32 s21, s11
	v_cmp_ne_u32_e64 s11, 0, v2
	v_cmp_ne_u32_e64 s13, 0, v4
	;; [unrolled: 1-line block ×3, first 2 shown]
	s_wait_alu 0xfffe
	s_add_co_i32 s19, s19, s25
	s_bcnt1_i32_b32 s12, s12
	s_add_co_i32 s28, s29, s28
	s_add_co_i32 s26, s76, s26
	s_bcnt1_i32_b32 s18, s18
	s_bcnt1_i32_b32 s20, s20
	s_wait_alu 0xfffe
	s_add_co_i32 s27, s19, s12
	s_wait_alu 0xfffe
	v_dual_mov_b32 v2, s27 :: v_dual_add_nc_u32 v35, s53, v35
	s_add_co_i32 s18, s28, s18
	s_add_co_i32 s20, s26, s20
	s_bcnt1_i32_b32 s15, s15
	s_bcnt1_i32_b32 s16, s16
	s_wait_alu 0xfffe
	s_add_co_i32 s18, s18, s21
	s_add_co_i32 s15, s20, s15
	;; [unrolled: 1-line block ×3, first 2 shown]
	s_bcnt1_i32_b32 s11, s11
	s_bcnt1_i32_b32 s13, s13
	;; [unrolled: 1-line block ×3, first 2 shown]
	v_cmp_le_u32_e32 vcc_lo, s63, v35
	s_wait_alu 0xfffe
	s_add_co_i32 s28, s18, s11
	s_add_co_i32 s26, s15, s13
	;; [unrolled: 1-line block ×3, first 2 shown]
	s_wait_alu 0xfffe
	v_mov_b32_e32 v1, s28
	v_dual_mov_b32 v3, s26 :: v_dual_mov_b32 v4, s25
	s_or_b32 s23, vcc_lo, s23
	s_wait_alu 0xfffe
	s_and_not1_b32 exec_lo, exec_lo, s23
	s_cbranch_execnz .LBB104_68
; %bb.69:                               ;   in Loop: Header=BB104_11 Depth=1
	s_or_b32 exec_lo, exec_lo, s23
.LBB104_70:                             ;   in Loop: Header=BB104_11 Depth=1
	s_wait_alu 0xfffe
	s_or_b32 exec_lo, exec_lo, s22
	s_and_saveexec_b32 s15, s9
	s_cbranch_execz .LBB104_76
; %bb.71:                               ;   in Loop: Header=BB104_11 Depth=1
	global_load_u16 v37, v[10:11], off
	v_dual_mov_b32 v6, v28 :: v_dual_mov_b32 v35, v22
	s_mov_b32 s16, 0
	s_branch .LBB104_73
.LBB104_72:                             ;   in Loop: Header=BB104_73 Depth=2
	s_wait_alu 0xfffe
	s_or_b32 exec_lo, exec_lo, s12
	s_wait_loadcnt 0x0
	v_bfe_i32 v37, v37, 0, 16
	s_and_b32 s12, exec_lo, vcc_lo
	v_add_nc_u32_e32 v6, s57, v6
	s_wait_alu 0xfffe
	s_or_b32 s16, s12, s16
	v_add_nc_u32_e32 v37, 0x8000, v37
	s_delay_alu instid0(VALU_DEP_1) | instskip(SKIP_1) | instid1(VALU_DEP_2)
	v_and_b32_e32 v38, v37, v32
	v_bfe_u32 v37, v37, s75, 2
	v_cmp_eq_u32_e32 vcc_lo, v38, v13
	s_delay_alu instid0(VALU_DEP_2)
	v_cmp_eq_u32_e64 s11, 0, v37
	v_cmp_eq_u32_e64 s12, 1, v37
	;; [unrolled: 1-line block ×4, first 2 shown]
	s_and_b32 s11, vcc_lo, s11
	s_wait_alu 0xfffe
	v_cndmask_b32_e64 v37, 0, 1, s11
	s_and_b32 s11, vcc_lo, s12
	s_wait_alu 0xfffe
	v_cndmask_b32_e64 v38, 0, 1, s11
	;; [unrolled: 3-line block ×3, first 2 shown]
	s_and_b32 s11, vcc_lo, s14
	v_cmp_ne_u32_e32 vcc_lo, 0, v37
	s_wait_alu 0xfffe
	v_cndmask_b32_e64 v40, 0, 1, s11
	v_cmp_ne_u32_e64 s11, 0, v38
	v_cmp_ne_u32_e64 s12, 0, v39
	v_mov_b32_e32 v37, v36
	s_bcnt1_i32_b32 s14, vcc_lo
	v_cmp_ne_u32_e64 s13, 0, v40
	s_bcnt1_i32_b32 s11, s11
	s_bcnt1_i32_b32 s12, s12
	s_wait_alu 0xfffe
	v_add_nc_u32_e32 v1, s14, v1
	v_add_nc_u32_e32 v2, s11, v2
	s_bcnt1_i32_b32 s13, s13
	v_add_nc_u32_e32 v3, s12, v3
	s_wait_alu 0xfffe
	v_add_nc_u32_e32 v4, s13, v4
	s_and_not1_b32 exec_lo, exec_lo, s16
	s_cbranch_execz .LBB104_75
.LBB104_73:                             ;   Parent Loop BB104_11 Depth=1
                                        ; =>  This Inner Loop Header: Depth=2
	s_delay_alu instid0(VALU_DEP_1) | instskip(SKIP_1) | instid1(VALU_DEP_1)
	v_dual_mov_b32 v36, 0 :: v_dual_add_nc_u32 v35, s37, v35
	s_mov_b32 s12, exec_lo
	v_cmp_le_u32_e32 vcc_lo, s36, v35
	v_cmpx_gt_u32_e64 s36, v35
	s_cbranch_execz .LBB104_72
; %bb.74:                               ;   in Loop: Header=BB104_73 Depth=2
	v_lshlrev_b64_e32 v[38:39], 1, v[6:7]
	s_delay_alu instid0(VALU_DEP_1) | instskip(SKIP_1) | instid1(VALU_DEP_2)
	v_add_co_u32 v38, s11, s40, v38
	s_wait_alu 0xf1fe
	v_add_co_ci_u32_e64 v39, null, s41, v39, s11
	global_load_u16 v36, v[38:39], off
	s_branch .LBB104_72
.LBB104_75:                             ;   in Loop: Header=BB104_11 Depth=1
	s_or_b32 exec_lo, exec_lo, s16
.LBB104_76:                             ;   in Loop: Header=BB104_11 Depth=1
	s_wait_alu 0xfffe
	s_or_b32 exec_lo, exec_lo, s15
	s_branch .LBB104_58
.LBB104_77:                             ;   in Loop: Header=BB104_11 Depth=1
	s_mul_u64 s[12:13], s[44:45], s[46:47]
	v_dual_mov_b32 v1, 0 :: v_dual_mov_b32 v2, 0
	s_wait_alu 0xfffe
	s_mul_i32 s11, s13, s53
	v_dual_mov_b32 v3, 0 :: v_dual_mov_b32 v4, 0
	s_wait_alu 0xfffe
	s_sub_co_i32 s11, s44, s11
	s_mov_b32 s77, exec_lo
	s_wait_alu 0xfffe
	s_sub_co_i32 s12, s11, s53
	s_cmp_ge_u32 s11, s53
	s_wait_alu 0xfffe
	s_cselect_b32 s11, s12, s11
	s_wait_alu 0xfffe
	s_sub_co_i32 s12, s11, s53
	s_cmp_ge_u32 s11, s53
	s_wait_alu 0xfffe
	s_cselect_b32 s11, s12, s11
	s_wait_alu 0xfffe
	s_sub_co_i32 s76, s44, s11
	s_wait_alu 0xfffe
	v_cmpx_gt_u32_e64 s76, v14
	s_cbranch_execz .LBB104_81
; %bb.78:                               ;   in Loop: Header=BB104_11 Depth=1
	v_dual_mov_b32 v6, v29 :: v_dual_mov_b32 v35, v14
	s_mov_b32 s78, 0
	s_mov_b32 s79, 0
	;; [unrolled: 1-line block ×5, first 2 shown]
.LBB104_79:                             ;   Parent Loop BB104_11 Depth=1
                                        ; =>  This Inner Loop Header: Depth=2
	ds_load_b64 v[1:2], v6
	s_wait_dscnt 0x0
	v_bfe_i32 v3, v1, 0, 16
	v_ashrrev_i32_e32 v1, 16, v1
	v_bfe_i32 v4, v2, 0, 16
	v_ashrrev_i32_e32 v2, 16, v2
	s_delay_alu instid0(VALU_DEP_4) | instskip(NEXT) | instid1(VALU_DEP_4)
	v_add_nc_u32_e32 v3, 0x8000, v3
	v_add_nc_u32_e32 v1, 0x8000, v1
	s_delay_alu instid0(VALU_DEP_4) | instskip(NEXT) | instid1(VALU_DEP_4)
	v_add_nc_u32_e32 v4, 0x8000, v4
	v_add_nc_u32_e32 v2, 0x8000, v2
	s_delay_alu instid0(VALU_DEP_4)
	v_and_b32_e32 v36, v3, v32
	v_bfe_u32 v3, v3, s75, 2
	v_and_b32_e32 v37, v1, v32
	v_bfe_u32 v1, v1, s75, 2
	;; [unrolled: 2-line block ×3, first 2 shown]
	v_cmp_eq_u32_e64 s11, v36, v13
	v_cmp_eq_u32_e64 s15, 0, v3
	v_and_b32_e32 v39, v2, v32
	v_bfe_u32 v2, v2, s75, 2
	v_cmp_eq_u32_e64 s12, v37, v13
	v_cmp_eq_u32_e64 s16, 0, v1
	;; [unrolled: 1-line block ×4, first 2 shown]
	s_and_b32 s15, s11, s15
	v_cmp_eq_u32_e64 s14, v39, v13
	v_cmp_eq_u32_e64 s18, 0, v2
	;; [unrolled: 1-line block ×5, first 2 shown]
	s_wait_alu 0xfffe
	v_cndmask_b32_e64 v1, 0, 1, s15
	s_and_b32 s15, s12, s16
	v_cmp_eq_u32_e64 s19, 1, v3
	v_cmp_eq_u32_e64 s22, 1, v2
	;; [unrolled: 1-line block ×4, first 2 shown]
	s_wait_alu 0xfffe
	v_cndmask_b32_e64 v2, 0, 1, s15
	s_and_b32 s15, s13, s17
	v_cmp_eq_u32_e64 s23, 2, v3
	v_cmp_eq_u32_e64 s27, 3, v3
	s_wait_alu 0xfffe
	v_cndmask_b32_e64 v3, 0, 1, s15
	s_and_b32 s15, s14, s18
	v_cmp_eq_u32_e64 s21, 1, v4
	v_cmp_eq_u32_e64 s25, 2, v4
	;; [unrolled: 1-line block ×3, first 2 shown]
	s_wait_alu 0xfffe
	v_cndmask_b32_e64 v4, 0, 1, s15
	s_and_b32 s15, s11, s19
	s_wait_alu 0xfffe
	v_cndmask_b32_e64 v36, 0, 1, s15
	s_and_b32 s15, s12, s20
	;; [unrolled: 3-line block ×4, first 2 shown]
	v_cmp_ne_u32_e64 s16, 0, v37
	s_wait_alu 0xfffe
	v_cndmask_b32_e64 v39, 0, 1, s15
	s_and_b32 s15, s11, s23
	s_and_b32 s11, s11, s27
	s_wait_alu 0xfffe
	v_cndmask_b32_e64 v40, 0, 1, s15
	s_and_b32 s15, s12, s24
	v_cndmask_b32_e64 v44, 0, 1, s11
	s_and_b32 s11, s12, s28
	s_wait_alu 0xfffe
	v_cndmask_b32_e64 v41, 0, 1, s15
	s_and_b32 s15, s13, s25
	v_cndmask_b32_e64 v45, 0, 1, s11
	;; [unrolled: 5-line block ×3, first 2 shown]
	s_and_b32 s11, s14, s30
	s_wait_alu 0xfffe
	v_cndmask_b32_e64 v43, 0, 1, s15
	v_cndmask_b32_e64 v47, 0, 1, s11
	v_cmp_ne_u32_e64 s11, 0, v1
	v_cmp_ne_u32_e64 s15, 0, v36
	;; [unrolled: 1-line block ×6, first 2 shown]
	s_bcnt1_i32_b32 s11, s11
	s_bcnt1_i32_b32 s15, s15
	v_cmp_ne_u32_e64 s18, 0, v39
	v_cmp_ne_u32_e64 s20, 0, v41
	;; [unrolled: 1-line block ×3, first 2 shown]
	s_bcnt1_i32_b32 s12, s12
	s_bcnt1_i32_b32 s16, s16
	s_wait_alu 0xfffe
	s_add_co_i32 s11, s11, s82
	s_add_co_i32 s15, s15, s81
	v_cmp_ne_u32_e64 s13, 0, v3
	v_cmp_ne_u32_e64 s21, 0, v42
	;; [unrolled: 1-line block ×3, first 2 shown]
	s_bcnt1_i32_b32 s17, s17
	s_wait_alu 0xfffe
	s_add_co_i32 s11, s11, s12
	s_add_co_i32 s12, s15, s16
	s_bcnt1_i32_b32 s19, s19
	s_bcnt1_i32_b32 s23, s23
	v_cmp_ne_u32_e64 s14, 0, v4
	v_cmp_ne_u32_e64 s22, 0, v43
	;; [unrolled: 1-line block ×3, first 2 shown]
	s_bcnt1_i32_b32 s18, s18
	s_wait_alu 0xfffe
	s_add_co_i32 s12, s12, s17
	s_bcnt1_i32_b32 s20, s20
	s_bcnt1_i32_b32 s24, s24
	s_add_co_i32 s19, s19, s80
	s_add_co_i32 s23, s23, s79
	s_wait_alu 0xfffe
	s_add_co_i32 s81, s12, s18
	s_wait_alu 0xfffe
	v_dual_mov_b32 v2, s81 :: v_dual_add_nc_u32 v35, s53, v35
	s_bcnt1_i32_b32 s13, s13
	s_bcnt1_i32_b32 s21, s21
	;; [unrolled: 1-line block ×3, first 2 shown]
	s_add_co_i32 s15, s19, s20
	s_add_co_i32 s16, s23, s24
	s_bcnt1_i32_b32 s14, s14
	s_bcnt1_i32_b32 s22, s22
	;; [unrolled: 1-line block ×3, first 2 shown]
	s_wait_alu 0xfffe
	s_add_co_i32 s11, s11, s13
	s_add_co_i32 s13, s15, s21
	;; [unrolled: 1-line block ×3, first 2 shown]
	v_cmp_le_u32_e32 vcc_lo, s76, v35
	s_wait_alu 0xfffe
	s_add_co_i32 s82, s11, s14
	s_add_co_i32 s80, s13, s22
	;; [unrolled: 1-line block ×3, first 2 shown]
	s_wait_alu 0xfffe
	v_dual_mov_b32 v1, s82 :: v_dual_add_nc_u32 v6, s66, v6
	v_dual_mov_b32 v3, s80 :: v_dual_mov_b32 v4, s79
	s_or_b32 s78, vcc_lo, s78
	s_wait_alu 0xfffe
	s_and_not1_b32 exec_lo, exec_lo, s78
	s_cbranch_execnz .LBB104_79
; %bb.80:                               ;   in Loop: Header=BB104_11 Depth=1
	s_or_b32 exec_lo, exec_lo, s78
.LBB104_81:                             ;   in Loop: Header=BB104_11 Depth=1
	s_delay_alu instid0(SALU_CYCLE_1) | instskip(SKIP_2) | instid1(VALU_DEP_1)
	s_or_b32 exec_lo, exec_lo, s77
	v_add_nc_u32_e32 v6, s76, v0
	s_mov_b32 s16, exec_lo
	v_cmpx_gt_u32_e64 s44, v6
	s_cbranch_execz .LBB104_85
; %bb.82:                               ;   in Loop: Header=BB104_11 Depth=1
	v_lshlrev_b32_e32 v35, 1, v6
	s_mov_b32 s17, 0
.LBB104_83:                             ;   Parent Loop BB104_11 Depth=1
                                        ; =>  This Inner Loop Header: Depth=2
	ds_load_i16 v36, v35
	v_add_nc_u32_e32 v6, s37, v6
	v_add_nc_u32_e32 v35, s67, v35
	s_delay_alu instid0(VALU_DEP_2) | instskip(SKIP_2) | instid1(VALU_DEP_1)
	v_cmp_le_u32_e32 vcc_lo, s44, v6
	s_wait_dscnt 0x0
	v_add_nc_u32_e32 v36, 0x8000, v36
	v_and_b32_e32 v37, v36, v32
	v_bfe_u32 v36, v36, s75, 2
	s_delay_alu instid0(VALU_DEP_2) | instskip(NEXT) | instid1(VALU_DEP_2)
	v_cmp_eq_u32_e64 s11, v37, v13
	v_cmp_eq_u32_e64 s12, 0, v36
	;; [unrolled: 1-line block ×5, first 2 shown]
	s_and_b32 s12, s11, s12
	s_wait_alu 0xfffe
	v_cndmask_b32_e64 v36, 0, 1, s12
	s_and_b32 s12, s11, s13
	s_wait_alu 0xfffe
	v_cndmask_b32_e64 v37, 0, 1, s12
	s_and_b32 s12, s11, s14
	s_and_b32 s11, s11, s15
	s_wait_alu 0xfffe
	v_cndmask_b32_e64 v38, 0, 1, s12
	v_cndmask_b32_e64 v39, 0, 1, s11
	v_cmp_ne_u32_e64 s11, 0, v36
	v_cmp_ne_u32_e64 s12, 0, v37
	s_delay_alu instid0(VALU_DEP_4) | instskip(NEXT) | instid1(VALU_DEP_4)
	v_cmp_ne_u32_e64 s13, 0, v38
	v_cmp_ne_u32_e64 s14, 0, v39
	s_bcnt1_i32_b32 s11, s11
	s_bcnt1_i32_b32 s12, s12
	s_wait_alu 0xfffe
	v_add_nc_u32_e32 v1, s11, v1
	s_bcnt1_i32_b32 s13, s13
	s_bcnt1_i32_b32 s14, s14
	v_add_nc_u32_e32 v2, s12, v2
	s_wait_alu 0xfffe
	v_add_nc_u32_e32 v3, s13, v3
	v_add_nc_u32_e32 v4, s14, v4
	s_or_b32 s17, vcc_lo, s17
	s_wait_alu 0xfffe
	s_and_not1_b32 exec_lo, exec_lo, s17
	s_cbranch_execnz .LBB104_83
; %bb.84:                               ;   in Loop: Header=BB104_11 Depth=1
	s_or_b32 exec_lo, exec_lo, s17
.LBB104_85:                             ;   in Loop: Header=BB104_11 Depth=1
	s_wait_alu 0xfffe
	s_or_b32 exec_lo, exec_lo, s16
	v_lshlrev_b32_e32 v6, 7, v31
	s_and_saveexec_b32 s11, s1
	s_cbranch_execnz .LBB104_59
	s_branch .LBB104_60
.LBB104_86:                             ;   in Loop: Header=BB104_11 Depth=1
	v_mov_b32_e32 v1, 0
	s_mov_b32 s12, 0
	s_and_not1_b32 vcc_lo, exec_lo, s62
	s_wait_alu 0xfffe
	s_cbranch_vccnz .LBB104_89
.LBB104_87:                             ;   in Loop: Header=BB104_11 Depth=1
	v_lshlrev_b32_e32 v2, 9, v31
	s_lshl_b32 s12, s12, 4
	s_wait_alu 0xfffe
	s_delay_alu instid0(VALU_DEP_1)
	v_add3_u32 v2, v2, s12, v30
	s_mov_b32 s12, s59
.LBB104_88:                             ;   Parent Loop BB104_11 Depth=1
                                        ; =>  This Inner Loop Header: Depth=2
	ds_load_b32 v3, v2
	v_add_nc_u32_e32 v2, 16, v2
	s_wait_alu 0xfffe
	s_add_co_i32 s12, s12, -1
	s_wait_alu 0xfffe
	s_cmp_lg_u32 s12, 0
	s_wait_dscnt 0x0
	v_add_nc_u32_e32 v1, v3, v1
	s_cbranch_scc1 .LBB104_88
.LBB104_89:                             ;   in Loop: Header=BB104_11 Depth=1
	v_add_lshl_u32 v2, v6, v15, 2
	ds_store_b32 v2, v1 offset:3072
.LBB104_90:                             ;   in Loop: Header=BB104_11 Depth=1
	s_wait_alu 0xfffe
	s_or_b32 exec_lo, exec_lo, s11
	v_lshlrev_b32_e32 v1, 2, v6
	s_wait_loadcnt_dscnt 0x0
	s_barrier_signal -1
	s_barrier_wait -1
	global_inv scope:SCOPE_SE
	ds_load_b128 v[1:4], v1 offset:3072
	s_lshl_b32 s12, 3, s75
	v_cmp_eq_u32_e32 vcc_lo, 1, v34
	s_wait_alu 0xfffe
	s_not_b32 s19, s12
	s_mov_b32 s15, -1
	s_mov_b32 s23, -1
                                        ; implicit-def: $sgpr20
                                        ; implicit-def: $sgpr17
	s_wait_dscnt 0x0
	v_readfirstlane_b32 s14, v1
	v_readfirstlane_b32 s21, v2
	;; [unrolled: 1-line block ×4, first 2 shown]
	s_cmp_eq_u32 s14, 1
	s_cselect_b32 s13, -1, 0
	s_wait_alu 0xfffe
	s_and_b32 s16, s13, vcc_lo
	s_wait_alu 0xfffe
	s_and_saveexec_b32 s13, s16
	s_cbranch_execz .LBB104_116
; %bb.91:                               ;   in Loop: Header=BB104_11 Depth=1
	ds_load_b32 v1, v7 offset:4104
	s_wait_loadcnt_dscnt 0x0
	s_barrier_signal -1
	s_barrier_wait -1
	global_inv scope:SCOPE_SE
	v_readfirstlane_b32 s23, v1
	s_and_saveexec_b32 s17, s3
; %bb.92:                               ;   in Loop: Header=BB104_11 Depth=1
	ds_store_b16 v17, v7
; %bb.93:                               ;   in Loop: Header=BB104_11 Depth=1
	s_wait_alu 0xfffe
	s_or_b32 exec_lo, exec_lo, s17
	v_and_b32_e32 v13, s19, v13
	v_or_b32_e32 v32, s12, v32
	s_mov_b32 s17, -1
	s_mov_b32 s20, 0
	s_cmp_eq_u32 s23, 0
	s_mov_b32 s22, 0
	s_mov_b32 s24, -1
	s_wait_loadcnt_dscnt 0x0
	s_barrier_signal -1
	s_barrier_wait -1
	global_inv scope:SCOPE_SE
                                        ; implicit-def: $vgpr33
	s_cbranch_scc1 .LBB104_104
; %bb.94:                               ;   in Loop: Header=BB104_11 Depth=1
	s_add_co_i32 s44, s23, s55
                                        ; implicit-def: $vgpr33
	s_wait_alu 0xfffe
	s_mul_u64 s[24:25], s[44:45], s[48:49]
	s_wait_alu 0xfffe
	s_mul_i32 s22, s25, s37
	s_mov_b32 s25, exec_lo
	s_wait_alu 0xfffe
	s_sub_co_i32 s22, s44, s22
	s_wait_alu 0xfffe
	s_sub_co_i32 s24, s22, s37
	s_cmp_ge_u32 s22, s37
	s_wait_alu 0xfffe
	s_cselect_b32 s22, s24, s22
	s_wait_alu 0xfffe
	s_sub_co_i32 s24, s22, s37
	s_cmp_ge_u32 s22, s37
	s_wait_alu 0xfffe
	s_cselect_b32 s22, s24, s22
	s_mov_b32 s24, 0
	s_wait_alu 0xfffe
	s_sub_co_i32 s26, s44, s22
	s_mov_b32 s22, 0
	s_wait_alu 0xfffe
	v_cmpx_gt_u32_e64 s26, v0
	s_cbranch_execz .LBB104_103
; %bb.95:                               ;   in Loop: Header=BB104_11 Depth=1
	v_dual_mov_b32 v1, v16 :: v_dual_mov_b32 v2, v0
                                        ; implicit-def: $sgpr27
	s_branch .LBB104_98
.LBB104_96:                             ;   in Loop: Header=BB104_98 Depth=2
	s_wait_alu 0xfffe
	s_or_b32 exec_lo, exec_lo, s28
	s_wait_loadcnt_dscnt 0x0
	s_barrier_signal -1
	s_barrier_wait -1
	global_inv scope:SCOPE_SE
	ds_load_b32 v3, v7 offset:3072
	s_mov_b32 s28, -1
	s_mov_b32 s29, -1
	s_wait_loadcnt_dscnt 0x0
	s_barrier_signal -1
	s_barrier_wait -1
	global_inv scope:SCOPE_SE
	v_and_b32_e32 v4, 0xffff, v3
	s_delay_alu instid0(VALU_DEP_1)
	v_cmp_ne_u32_e32 vcc_lo, 0, v4
	s_cbranch_vccz .LBB104_101
.LBB104_97:                             ;   in Loop: Header=BB104_98 Depth=2
	s_wait_alu 0xfffe
	s_and_b32 s28, exec_lo, s28
	s_wait_alu 0xfffe
	s_or_b32 s22, s28, s22
	s_and_not1_b32 s27, s27, exec_lo
	s_and_b32 s28, s29, exec_lo
	s_wait_alu 0xfffe
	s_or_b32 s27, s27, s28
	s_and_not1_b32 exec_lo, exec_lo, s22
	s_cbranch_execz .LBB104_102
.LBB104_98:                             ;   Parent Loop BB104_11 Depth=1
                                        ; =>  This Inner Loop Header: Depth=2
	s_mov_b32 s28, exec_lo
	s_delay_alu instid0(VALU_DEP_1)
	v_cmpx_gt_u32_e64 s23, v2
	s_cbranch_execz .LBB104_96
; %bb.99:                               ;   in Loop: Header=BB104_98 Depth=2
	ds_load_u16 v3, v1
	s_wait_dscnt 0x0
	v_bfe_i32 v4, v3, 0, 16
	s_delay_alu instid0(VALU_DEP_1) | instskip(NEXT) | instid1(VALU_DEP_1)
	v_add_nc_u32_e32 v4, 0x8000, v4
	v_and_b32_e32 v4, v4, v32
	s_delay_alu instid0(VALU_DEP_1)
	v_cmp_eq_u32_e32 vcc_lo, v4, v13
	s_and_b32 exec_lo, exec_lo, vcc_lo
	s_cbranch_execz .LBB104_96
; %bb.100:                              ;   in Loop: Header=BB104_98 Depth=2
	v_perm_b32 v3, v3, 1, 0x5040100
	ds_store_b32 v7, v3 offset:3072
	s_branch .LBB104_96
.LBB104_101:                            ;   in Loop: Header=BB104_98 Depth=2
	v_add_nc_u32_e32 v2, s37, v2
	v_add_nc_u32_e32 v1, s67, v1
	s_mov_b32 s29, 0
	s_delay_alu instid0(VALU_DEP_2)
	v_cmp_le_u32_e32 vcc_lo, s26, v2
	s_or_not1_b32 s28, vcc_lo, exec_lo
	s_branch .LBB104_97
.LBB104_102:                            ;   in Loop: Header=BB104_11 Depth=1
	s_or_b32 exec_lo, exec_lo, s22
	v_lshrrev_b32_e32 v33, 16, v3
	s_wait_alu 0xfffe
	s_and_b32 s22, s27, exec_lo
.LBB104_103:                            ;   in Loop: Header=BB104_11 Depth=1
	s_or_b32 exec_lo, exec_lo, s25
.LBB104_104:                            ;   in Loop: Header=BB104_11 Depth=1
	s_wait_alu 0xfffe
	s_and_b32 vcc_lo, exec_lo, s24
	s_wait_alu 0xfffe
	s_cbranch_vccz .LBB104_115
; %bb.105:                              ;   in Loop: Header=BB104_11 Depth=1
                                        ; implicit-def: $vgpr33
	s_and_saveexec_b32 s17, s10
	s_cbranch_execz .LBB104_114
; %bb.106:                              ;   in Loop: Header=BB104_11 Depth=1
	v_dual_mov_b32 v6, v5 :: v_dual_mov_b32 v1, v0
	s_mov_b32 s20, 0
                                        ; implicit-def: $sgpr23
	s_branch .LBB104_109
.LBB104_107:                            ;   in Loop: Header=BB104_109 Depth=2
	s_wait_alu 0xfffe
	s_or_b32 exec_lo, exec_lo, s24
	s_wait_loadcnt_dscnt 0x0
	s_barrier_signal -1
	s_barrier_wait -1
	global_inv scope:SCOPE_SE
	ds_load_b32 v2, v7 offset:3072
	s_mov_b32 s24, -1
	s_mov_b32 s25, -1
	s_wait_loadcnt_dscnt 0x0
	s_barrier_signal -1
	s_barrier_wait -1
	global_inv scope:SCOPE_SE
	v_and_b32_e32 v3, 0xffff, v2
	s_delay_alu instid0(VALU_DEP_1)
	v_cmp_ne_u32_e32 vcc_lo, 0, v3
	s_cbranch_vccz .LBB104_112
.LBB104_108:                            ;   in Loop: Header=BB104_109 Depth=2
	s_wait_alu 0xfffe
	s_and_b32 s24, exec_lo, s24
	s_wait_alu 0xfffe
	s_or_b32 s20, s24, s20
	s_and_not1_b32 s23, s23, exec_lo
	s_and_b32 s24, s25, exec_lo
	s_wait_alu 0xfffe
	s_or_b32 s23, s23, s24
	s_and_not1_b32 exec_lo, exec_lo, s20
	s_cbranch_execz .LBB104_113
.LBB104_109:                            ;   Parent Loop BB104_11 Depth=1
                                        ; =>  This Inner Loop Header: Depth=2
	s_mov_b32 s24, exec_lo
	s_delay_alu instid0(VALU_DEP_1)
	v_cmpx_gt_u32_e64 s36, v1
	s_cbranch_execz .LBB104_107
; %bb.110:                              ;   in Loop: Header=BB104_109 Depth=2
	v_lshlrev_b64_e32 v[2:3], 1, v[6:7]
	s_delay_alu instid0(VALU_DEP_1) | instskip(SKIP_1) | instid1(VALU_DEP_2)
	v_add_co_u32 v2, vcc_lo, s40, v2
	s_wait_alu 0xfffd
	v_add_co_ci_u32_e64 v3, null, s41, v3, vcc_lo
	global_load_u16 v2, v[2:3], off
	s_wait_loadcnt 0x0
	v_bfe_i32 v3, v2, 0, 16
	s_delay_alu instid0(VALU_DEP_1) | instskip(NEXT) | instid1(VALU_DEP_1)
	v_add_nc_u32_e32 v3, 0x8000, v3
	v_and_b32_e32 v3, v3, v32
	s_delay_alu instid0(VALU_DEP_1)
	v_cmp_eq_u32_e32 vcc_lo, v3, v13
	s_and_b32 exec_lo, exec_lo, vcc_lo
	s_cbranch_execz .LBB104_107
; %bb.111:                              ;   in Loop: Header=BB104_109 Depth=2
	v_perm_b32 v2, v2, 1, 0x5040100
	ds_store_b32 v7, v2 offset:3072
	s_branch .LBB104_107
.LBB104_112:                            ;   in Loop: Header=BB104_109 Depth=2
	v_add_nc_u32_e32 v1, s37, v1
	v_add_nc_u32_e32 v6, s57, v6
	s_mov_b32 s25, 0
	s_delay_alu instid0(VALU_DEP_2)
	v_cmp_le_u32_e32 vcc_lo, s64, v1
	s_or_not1_b32 s24, vcc_lo, exec_lo
	s_branch .LBB104_108
.LBB104_113:                            ;   in Loop: Header=BB104_11 Depth=1
	s_or_b32 exec_lo, exec_lo, s20
	v_lshrrev_b32_e32 v33, 16, v2
	s_and_not1_b32 s20, s22, exec_lo
	s_wait_alu 0xfffe
	s_and_b32 s22, s23, exec_lo
	s_wait_alu 0xfffe
	s_or_b32 s22, s20, s22
.LBB104_114:                            ;   in Loop: Header=BB104_11 Depth=1
	s_wait_alu 0xfffe
	s_or_b32 exec_lo, exec_lo, s17
	s_mov_b32 s17, 0
	s_mov_b32 s20, -1
.LBB104_115:                            ;   in Loop: Header=BB104_11 Depth=1
	s_or_not1_b32 s23, s22, exec_lo
.LBB104_116:                            ;   in Loop: Header=BB104_11 Depth=1
	s_wait_alu 0xfffe
	s_or_b32 exec_lo, exec_lo, s13
	v_readfirstlane_b32 s22, v0
	s_and_not1_b32 s13, s73, exec_lo
	s_and_b32 s20, s20, exec_lo
	s_and_not1_b32 s24, s71, exec_lo
	s_and_b32 s17, s17, exec_lo
	s_and_not1_b32 s70, s70, exec_lo
	s_wait_alu 0xfffe
	s_or_b32 s73, s13, s20
	s_or_b32 s71, s24, s17
                                        ; implicit-def: $vgpr2
	s_and_saveexec_b32 s13, s23
	s_cbranch_execz .LBB104_10
; %bb.117:                              ;   in Loop: Header=BB104_11 Depth=1
	v_dual_mov_b32 v2, 1 :: v_dual_mov_b32 v1, 1
	s_xor_b32 s16, s16, -1
	s_mov_b32 s22, 0
	s_wait_alu 0xfffe
	s_and_saveexec_b32 s15, s16
	s_cbranch_execz .LBB104_126
; %bb.118:                              ;   in Loop: Header=BB104_11 Depth=1
	s_mov_b32 s16, exec_lo
	v_cmpx_ge_u32_e64 s14, v34
	s_wait_alu 0xfffe
	s_xor_b32 s16, exec_lo, s16
	s_cbranch_execz .LBB104_123
; %bb.119:                              ;   in Loop: Header=BB104_11 Depth=1
	ds_load_b32 v1, v7 offset:4104
	v_and_b32_e32 v13, s19, v13
	v_or_b32_e32 v32, s12, v32
	s_wait_dscnt 0x0
	v_cmp_ne_u32_e32 vcc_lo, 0, v1
	s_cbranch_vccnz .LBB104_123
; %bb.120:                              ;   in Loop: Header=BB104_11 Depth=1
	s_and_saveexec_b32 s17, s2
; %bb.121:                              ;   in Loop: Header=BB104_11 Depth=1
	v_mov_b32_e32 v1, s14
	ds_store_b32 v7, v1 offset:4108
; %bb.122:                              ;   in Loop: Header=BB104_11 Depth=1
	s_wait_alu 0xfffe
	s_or_b32 exec_lo, exec_lo, s17
	s_wait_loadcnt_dscnt 0x0
	s_barrier_signal -1
	s_barrier_wait -1
	global_inv scope:SCOPE_SE
.LBB104_123:                            ;   in Loop: Header=BB104_11 Depth=1
	s_wait_alu 0xfffe
	s_or_saveexec_b32 s16, s16
	v_mov_b32_e32 v1, 8
	s_mov_b32 s17, 0
	s_wait_alu 0xfffe
	s_xor_b32 exec_lo, exec_lo, s16
; %bb.124:                              ;   in Loop: Header=BB104_11 Depth=1
	v_subrev_nc_u32_e32 v34, s14, v34
	v_mov_b32_e32 v1, 0
	s_mov_b32 s17, exec_lo
; %bb.125:                              ;   in Loop: Header=BB104_11 Depth=1
	s_or_b32 exec_lo, exec_lo, s16
	s_delay_alu instid0(VALU_DEP_2)
	v_mov_b32_e32 v2, v34
	s_wait_alu 0xfffe
	s_and_b32 s22, s17, exec_lo
.LBB104_126:                            ;   in Loop: Header=BB104_11 Depth=1
	s_wait_alu 0xfffe
	s_or_b32 exec_lo, exec_lo, s15
	s_mov_b32 s14, -1
	s_mov_b32 s20, -1
                                        ; implicit-def: $sgpr16
                                        ; implicit-def: $sgpr17
	s_and_saveexec_b32 s15, s22
	s_wait_alu 0xfffe
	s_xor_b32 s15, exec_lo, s15
	s_cbranch_execz .LBB104_243
; %bb.127:                              ;   in Loop: Header=BB104_11 Depth=1
	v_cmp_eq_u32_e32 vcc_lo, 1, v2
	s_cmp_eq_u32 s21, 1
	s_mov_b32 s23, -1
	s_cselect_b32 s16, -1, 0
                                        ; implicit-def: $sgpr17
	s_wait_alu 0xfffe
	s_and_b32 s22, s16, vcc_lo
                                        ; implicit-def: $sgpr16
	s_wait_alu 0xfffe
	s_and_saveexec_b32 s20, s22
	s_cbranch_execz .LBB104_153
; %bb.128:                              ;   in Loop: Header=BB104_11 Depth=1
	ds_load_b32 v3, v7 offset:4104
	s_wait_loadcnt_dscnt 0x0
	s_barrier_signal -1
	s_barrier_wait -1
	global_inv scope:SCOPE_SE
	v_readfirstlane_b32 s24, v3
	s_and_saveexec_b32 s16, s3
; %bb.129:                              ;   in Loop: Header=BB104_11 Depth=1
	ds_store_b16 v17, v7
; %bb.130:                              ;   in Loop: Header=BB104_11 Depth=1
	s_wait_alu 0xfffe
	s_or_b32 exec_lo, exec_lo, s16
	s_lshl_b32 s16, 1, s75
	v_or_b32_e32 v32, s12, v32
	s_wait_alu 0xfffe
	v_and_or_b32 v13, v13, s19, s16
	s_mov_b32 s16, -1
	s_mov_b32 s17, 0
	s_cmp_eq_u32 s24, 0
	s_mov_b32 s23, 0
	s_mov_b32 s25, -1
	s_wait_loadcnt_dscnt 0x0
	s_barrier_signal -1
	s_barrier_wait -1
	global_inv scope:SCOPE_SE
                                        ; implicit-def: $vgpr33
	s_cbranch_scc1 .LBB104_141
; %bb.131:                              ;   in Loop: Header=BB104_11 Depth=1
	s_add_co_i32 s44, s24, s55
                                        ; implicit-def: $vgpr33
	s_wait_alu 0xfffe
	s_mul_u64 s[26:27], s[44:45], s[48:49]
	s_mov_b32 s26, exec_lo
	s_wait_alu 0xfffe
	s_mul_i32 s23, s27, s37
	s_wait_alu 0xfffe
	s_sub_co_i32 s23, s44, s23
	s_wait_alu 0xfffe
	s_sub_co_i32 s25, s23, s37
	s_cmp_ge_u32 s23, s37
	s_wait_alu 0xfffe
	s_cselect_b32 s23, s25, s23
	s_wait_alu 0xfffe
	s_sub_co_i32 s25, s23, s37
	s_cmp_ge_u32 s23, s37
	s_wait_alu 0xfffe
	s_cselect_b32 s23, s25, s23
	s_mov_b32 s25, 0
	s_wait_alu 0xfffe
	s_sub_co_i32 s27, s44, s23
	s_mov_b32 s23, 0
	s_wait_alu 0xfffe
	v_cmpx_gt_u32_e64 s27, v0
	s_cbranch_execz .LBB104_140
; %bb.132:                              ;   in Loop: Header=BB104_11 Depth=1
	v_dual_mov_b32 v3, v16 :: v_dual_mov_b32 v4, v0
                                        ; implicit-def: $sgpr28
	s_branch .LBB104_135
.LBB104_133:                            ;   in Loop: Header=BB104_135 Depth=2
	s_wait_alu 0xfffe
	s_or_b32 exec_lo, exec_lo, s29
	s_wait_loadcnt_dscnt 0x0
	s_barrier_signal -1
	s_barrier_wait -1
	global_inv scope:SCOPE_SE
	ds_load_b32 v6, v7 offset:3072
	s_mov_b32 s29, -1
	s_mov_b32 s30, -1
	s_wait_loadcnt_dscnt 0x0
	s_barrier_signal -1
	s_barrier_wait -1
	global_inv scope:SCOPE_SE
	v_and_b32_e32 v33, 0xffff, v6
	s_delay_alu instid0(VALU_DEP_1)
	v_cmp_ne_u32_e32 vcc_lo, 0, v33
	s_cbranch_vccz .LBB104_138
.LBB104_134:                            ;   in Loop: Header=BB104_135 Depth=2
	s_wait_alu 0xfffe
	s_and_b32 s29, exec_lo, s29
	s_wait_alu 0xfffe
	s_or_b32 s23, s29, s23
	s_and_not1_b32 s28, s28, exec_lo
	s_and_b32 s29, s30, exec_lo
	s_wait_alu 0xfffe
	s_or_b32 s28, s28, s29
	s_and_not1_b32 exec_lo, exec_lo, s23
	s_cbranch_execz .LBB104_139
.LBB104_135:                            ;   Parent Loop BB104_11 Depth=1
                                        ; =>  This Inner Loop Header: Depth=2
	s_mov_b32 s29, exec_lo
	s_delay_alu instid0(VALU_DEP_1)
	v_cmpx_gt_u32_e64 s24, v4
	s_cbranch_execz .LBB104_133
; %bb.136:                              ;   in Loop: Header=BB104_135 Depth=2
	ds_load_u16 v6, v3
	s_wait_dscnt 0x0
	v_bfe_i32 v33, v6, 0, 16
	s_delay_alu instid0(VALU_DEP_1) | instskip(NEXT) | instid1(VALU_DEP_1)
	v_add_nc_u32_e32 v33, 0x8000, v33
	v_and_b32_e32 v33, v33, v32
	s_delay_alu instid0(VALU_DEP_1)
	v_cmp_eq_u32_e32 vcc_lo, v33, v13
	s_and_b32 exec_lo, exec_lo, vcc_lo
	s_cbranch_execz .LBB104_133
; %bb.137:                              ;   in Loop: Header=BB104_135 Depth=2
	v_perm_b32 v6, v6, 1, 0x5040100
	ds_store_b32 v7, v6 offset:3072
	s_branch .LBB104_133
.LBB104_138:                            ;   in Loop: Header=BB104_135 Depth=2
	v_add_nc_u32_e32 v4, s37, v4
	v_add_nc_u32_e32 v3, s67, v3
	s_mov_b32 s30, 0
	s_delay_alu instid0(VALU_DEP_2)
	v_cmp_le_u32_e32 vcc_lo, s27, v4
	s_or_not1_b32 s29, vcc_lo, exec_lo
	s_branch .LBB104_134
.LBB104_139:                            ;   in Loop: Header=BB104_11 Depth=1
	s_or_b32 exec_lo, exec_lo, s23
	v_lshrrev_b32_e32 v33, 16, v6
	s_wait_alu 0xfffe
	s_and_b32 s23, s28, exec_lo
.LBB104_140:                            ;   in Loop: Header=BB104_11 Depth=1
	s_or_b32 exec_lo, exec_lo, s26
.LBB104_141:                            ;   in Loop: Header=BB104_11 Depth=1
	s_wait_alu 0xfffe
	s_and_b32 vcc_lo, exec_lo, s25
	s_wait_alu 0xfffe
	s_cbranch_vccz .LBB104_152
; %bb.142:                              ;   in Loop: Header=BB104_11 Depth=1
                                        ; implicit-def: $vgpr33
	s_and_saveexec_b32 s16, s10
	s_cbranch_execz .LBB104_151
; %bb.143:                              ;   in Loop: Header=BB104_11 Depth=1
	v_dual_mov_b32 v6, v5 :: v_dual_mov_b32 v3, v0
	s_mov_b32 s17, 0
                                        ; implicit-def: $sgpr24
	s_branch .LBB104_146
.LBB104_144:                            ;   in Loop: Header=BB104_146 Depth=2
	s_wait_alu 0xfffe
	s_or_b32 exec_lo, exec_lo, s25
	s_wait_loadcnt_dscnt 0x0
	s_barrier_signal -1
	s_barrier_wait -1
	global_inv scope:SCOPE_SE
	ds_load_b32 v4, v7 offset:3072
	s_mov_b32 s25, -1
	s_mov_b32 s26, -1
	s_wait_loadcnt_dscnt 0x0
	s_barrier_signal -1
	s_barrier_wait -1
	global_inv scope:SCOPE_SE
	v_and_b32_e32 v33, 0xffff, v4
	s_delay_alu instid0(VALU_DEP_1)
	v_cmp_eq_u32_e32 vcc_lo, 0, v33
	s_cbranch_vccnz .LBB104_149
.LBB104_145:                            ;   in Loop: Header=BB104_146 Depth=2
	s_wait_alu 0xfffe
	s_and_b32 s25, exec_lo, s25
	s_wait_alu 0xfffe
	s_or_b32 s17, s25, s17
	s_and_not1_b32 s24, s24, exec_lo
	s_and_b32 s25, s26, exec_lo
	s_wait_alu 0xfffe
	s_or_b32 s24, s24, s25
	s_and_not1_b32 exec_lo, exec_lo, s17
	s_cbranch_execz .LBB104_150
.LBB104_146:                            ;   Parent Loop BB104_11 Depth=1
                                        ; =>  This Inner Loop Header: Depth=2
	s_mov_b32 s25, exec_lo
	s_delay_alu instid0(VALU_DEP_1)
	v_cmpx_gt_u32_e64 s36, v3
	s_cbranch_execz .LBB104_144
; %bb.147:                              ;   in Loop: Header=BB104_146 Depth=2
	v_lshlrev_b64_e32 v[33:34], 1, v[6:7]
	s_delay_alu instid0(VALU_DEP_1) | instskip(SKIP_1) | instid1(VALU_DEP_2)
	v_add_co_u32 v33, vcc_lo, s40, v33
	s_wait_alu 0xfffd
	v_add_co_ci_u32_e64 v34, null, s41, v34, vcc_lo
	global_load_u16 v4, v[33:34], off
	s_wait_loadcnt 0x0
	v_bfe_i32 v33, v4, 0, 16
	s_delay_alu instid0(VALU_DEP_1) | instskip(NEXT) | instid1(VALU_DEP_1)
	v_add_nc_u32_e32 v33, 0x8000, v33
	v_and_b32_e32 v33, v33, v32
	s_delay_alu instid0(VALU_DEP_1)
	v_cmp_eq_u32_e32 vcc_lo, v33, v13
	s_and_b32 exec_lo, exec_lo, vcc_lo
	s_cbranch_execz .LBB104_144
; %bb.148:                              ;   in Loop: Header=BB104_146 Depth=2
	v_perm_b32 v4, v4, 1, 0x5040100
	ds_store_b32 v7, v4 offset:3072
	s_branch .LBB104_144
.LBB104_149:                            ;   in Loop: Header=BB104_146 Depth=2
	v_add_nc_u32_e32 v3, s37, v3
	v_add_nc_u32_e32 v6, s57, v6
	s_mov_b32 s26, 0
	s_delay_alu instid0(VALU_DEP_2)
	v_cmp_le_u32_e32 vcc_lo, s64, v3
	s_or_not1_b32 s25, vcc_lo, exec_lo
	s_branch .LBB104_145
.LBB104_150:                            ;   in Loop: Header=BB104_11 Depth=1
	s_or_b32 exec_lo, exec_lo, s17
	v_lshrrev_b32_e32 v33, 16, v4
	s_and_not1_b32 s17, s23, exec_lo
	s_wait_alu 0xfffe
	s_and_b32 s23, s24, exec_lo
	s_wait_alu 0xfffe
	s_or_b32 s23, s17, s23
.LBB104_151:                            ;   in Loop: Header=BB104_11 Depth=1
	s_wait_alu 0xfffe
	s_or_b32 exec_lo, exec_lo, s16
	s_mov_b32 s16, 0
	s_mov_b32 s17, -1
.LBB104_152:                            ;   in Loop: Header=BB104_11 Depth=1
	s_or_not1_b32 s23, s23, exec_lo
.LBB104_153:                            ;   in Loop: Header=BB104_11 Depth=1
	s_wait_alu 0xfffe
	s_or_b32 exec_lo, exec_lo, s20
	s_mov_b32 s24, 0
	s_and_saveexec_b32 s20, s23
	s_cbranch_execz .LBB104_242
; %bb.154:                              ;   in Loop: Header=BB104_11 Depth=1
	v_mov_b32_e32 v3, 1
	v_mov_b32_e32 v1, 1
	s_xor_b32 s23, s22, -1
	s_mov_b32 s25, 0
	s_wait_alu 0xfffe
	s_and_saveexec_b32 s22, s23
	s_cbranch_execz .LBB104_163
; %bb.155:                              ;   in Loop: Header=BB104_11 Depth=1
	s_mov_b32 s23, exec_lo
	v_cmpx_ge_u32_e64 s21, v2
	s_wait_alu 0xfffe
	s_xor_b32 s23, exec_lo, s23
	s_cbranch_execz .LBB104_160
; %bb.156:                              ;   in Loop: Header=BB104_11 Depth=1
	ds_load_b32 v1, v7 offset:4104
	s_lshl_b32 s24, 1, s75
	v_or_b32_e32 v32, s12, v32
	s_wait_alu 0xfffe
	v_and_or_b32 v13, v13, s19, s24
	s_wait_dscnt 0x0
	v_cmp_ne_u32_e32 vcc_lo, 0, v1
	s_cbranch_vccnz .LBB104_160
; %bb.157:                              ;   in Loop: Header=BB104_11 Depth=1
	s_and_saveexec_b32 s24, s2
; %bb.158:                              ;   in Loop: Header=BB104_11 Depth=1
	v_mov_b32_e32 v1, s21
	ds_store_b32 v7, v1 offset:4108
; %bb.159:                              ;   in Loop: Header=BB104_11 Depth=1
	s_wait_alu 0xfffe
	s_or_b32 exec_lo, exec_lo, s24
	s_wait_loadcnt_dscnt 0x0
	s_barrier_signal -1
	s_barrier_wait -1
	global_inv scope:SCOPE_SE
.LBB104_160:                            ;   in Loop: Header=BB104_11 Depth=1
	s_wait_alu 0xfffe
	s_or_saveexec_b32 s23, s23
	v_mov_b32_e32 v1, 8
	s_mov_b32 s24, 0
	s_wait_alu 0xfffe
	s_xor_b32 exec_lo, exec_lo, s23
; %bb.161:                              ;   in Loop: Header=BB104_11 Depth=1
	v_subrev_nc_u32_e32 v2, s21, v2
	v_mov_b32_e32 v1, 0
	s_mov_b32 s24, exec_lo
; %bb.162:                              ;   in Loop: Header=BB104_11 Depth=1
	s_or_b32 exec_lo, exec_lo, s23
	s_delay_alu instid0(VALU_DEP_2)
	v_mov_b32_e32 v3, v2
	s_wait_alu 0xfffe
	s_and_b32 s25, s24, exec_lo
.LBB104_163:                            ;   in Loop: Header=BB104_11 Depth=1
	s_wait_alu 0xfffe
	s_or_b32 exec_lo, exec_lo, s22
	s_mov_b32 s24, -1
                                        ; implicit-def: $sgpr22
                                        ; implicit-def: $sgpr23
	s_and_saveexec_b32 s21, s25
	s_cbranch_execz .LBB104_241
; %bb.164:                              ;   in Loop: Header=BB104_11 Depth=1
	v_cmp_eq_u32_e32 vcc_lo, 1, v3
	s_cmp_eq_u32 s18, 1
	s_mov_b32 s26, -1
	s_cselect_b32 s22, -1, 0
                                        ; implicit-def: $sgpr23
	s_wait_alu 0xfffe
	s_and_b32 s25, s22, vcc_lo
                                        ; implicit-def: $sgpr22
	s_wait_alu 0xfffe
	s_and_saveexec_b32 s24, s25
	s_cbranch_execz .LBB104_190
; %bb.165:                              ;   in Loop: Header=BB104_11 Depth=1
	ds_load_b32 v2, v7 offset:4104
	s_wait_loadcnt_dscnt 0x0
	s_barrier_signal -1
	s_barrier_wait -1
	global_inv scope:SCOPE_SE
	v_readfirstlane_b32 s27, v2
	s_and_saveexec_b32 s22, s3
; %bb.166:                              ;   in Loop: Header=BB104_11 Depth=1
	ds_store_b16 v17, v7
; %bb.167:                              ;   in Loop: Header=BB104_11 Depth=1
	s_wait_alu 0xfffe
	s_or_b32 exec_lo, exec_lo, s22
	s_lshl_b32 s22, 2, s75
	v_or_b32_e32 v32, s12, v32
	s_wait_alu 0xfffe
	v_and_or_b32 v13, v13, s19, s22
	s_mov_b32 s22, -1
	s_mov_b32 s23, 0
	s_cmp_eq_u32 s27, 0
	s_mov_b32 s26, 0
	s_mov_b32 s28, -1
	s_wait_loadcnt_dscnt 0x0
	s_barrier_signal -1
	s_barrier_wait -1
	global_inv scope:SCOPE_SE
                                        ; implicit-def: $vgpr33
	s_cbranch_scc1 .LBB104_178
; %bb.168:                              ;   in Loop: Header=BB104_11 Depth=1
	s_add_co_i32 s44, s27, s55
                                        ; implicit-def: $vgpr33
	s_wait_alu 0xfffe
	s_mul_u64 s[28:29], s[44:45], s[48:49]
	s_wait_alu 0xfffe
	s_mul_i32 s26, s29, s37
	s_mov_b32 s29, exec_lo
	s_wait_alu 0xfffe
	s_sub_co_i32 s26, s44, s26
	s_wait_alu 0xfffe
	s_sub_co_i32 s28, s26, s37
	s_cmp_ge_u32 s26, s37
	s_wait_alu 0xfffe
	s_cselect_b32 s26, s28, s26
	s_wait_alu 0xfffe
	s_sub_co_i32 s28, s26, s37
	s_cmp_ge_u32 s26, s37
	s_wait_alu 0xfffe
	s_cselect_b32 s26, s28, s26
	s_mov_b32 s28, 0
	s_wait_alu 0xfffe
	s_sub_co_i32 s30, s44, s26
	s_mov_b32 s26, 0
	s_wait_alu 0xfffe
	v_cmpx_gt_u32_e64 s30, v0
	s_cbranch_execz .LBB104_177
; %bb.169:                              ;   in Loop: Header=BB104_11 Depth=1
	v_mov_b32_e32 v2, v16
	v_mov_b32_e32 v4, v0
                                        ; implicit-def: $sgpr44
	s_branch .LBB104_172
.LBB104_170:                            ;   in Loop: Header=BB104_172 Depth=2
	s_wait_alu 0xfffe
	s_or_b32 exec_lo, exec_lo, s76
	s_wait_loadcnt_dscnt 0x0
	s_barrier_signal -1
	s_barrier_wait -1
	global_inv scope:SCOPE_SE
	ds_load_b32 v6, v7 offset:3072
	s_mov_b32 s76, -1
	s_mov_b32 s77, -1
	s_wait_loadcnt_dscnt 0x0
	s_barrier_signal -1
	s_barrier_wait -1
	global_inv scope:SCOPE_SE
	v_and_b32_e32 v33, 0xffff, v6
	s_delay_alu instid0(VALU_DEP_1)
	v_cmp_ne_u32_e32 vcc_lo, 0, v33
	s_cbranch_vccz .LBB104_175
.LBB104_171:                            ;   in Loop: Header=BB104_172 Depth=2
	s_wait_alu 0xfffe
	s_and_b32 s76, exec_lo, s76
	s_wait_alu 0xfffe
	s_or_b32 s26, s76, s26
	s_and_not1_b32 s44, s44, exec_lo
	s_and_b32 s76, s77, exec_lo
	s_wait_alu 0xfffe
	s_or_b32 s44, s44, s76
	s_and_not1_b32 exec_lo, exec_lo, s26
	s_cbranch_execz .LBB104_176
.LBB104_172:                            ;   Parent Loop BB104_11 Depth=1
                                        ; =>  This Inner Loop Header: Depth=2
	s_mov_b32 s76, exec_lo
	s_delay_alu instid0(VALU_DEP_1)
	v_cmpx_gt_u32_e64 s27, v4
	s_cbranch_execz .LBB104_170
; %bb.173:                              ;   in Loop: Header=BB104_172 Depth=2
	ds_load_u16 v6, v2
	s_wait_dscnt 0x0
	v_bfe_i32 v33, v6, 0, 16
	s_delay_alu instid0(VALU_DEP_1) | instskip(NEXT) | instid1(VALU_DEP_1)
	v_add_nc_u32_e32 v33, 0x8000, v33
	v_and_b32_e32 v33, v33, v32
	s_delay_alu instid0(VALU_DEP_1)
	v_cmp_eq_u32_e32 vcc_lo, v33, v13
	s_and_b32 exec_lo, exec_lo, vcc_lo
	s_cbranch_execz .LBB104_170
; %bb.174:                              ;   in Loop: Header=BB104_172 Depth=2
	v_perm_b32 v6, v6, 1, 0x5040100
	ds_store_b32 v7, v6 offset:3072
	s_branch .LBB104_170
.LBB104_175:                            ;   in Loop: Header=BB104_172 Depth=2
	v_add_nc_u32_e32 v4, s37, v4
	v_add_nc_u32_e32 v2, s67, v2
	s_mov_b32 s77, 0
	s_delay_alu instid0(VALU_DEP_2)
	v_cmp_le_u32_e32 vcc_lo, s30, v4
	s_or_not1_b32 s76, vcc_lo, exec_lo
	s_branch .LBB104_171
.LBB104_176:                            ;   in Loop: Header=BB104_11 Depth=1
	s_or_b32 exec_lo, exec_lo, s26
	v_lshrrev_b32_e32 v33, 16, v6
	s_wait_alu 0xfffe
	s_and_b32 s26, s44, exec_lo
.LBB104_177:                            ;   in Loop: Header=BB104_11 Depth=1
	s_or_b32 exec_lo, exec_lo, s29
.LBB104_178:                            ;   in Loop: Header=BB104_11 Depth=1
	s_wait_alu 0xfffe
	s_and_b32 vcc_lo, exec_lo, s28
	s_wait_alu 0xfffe
	s_cbranch_vccz .LBB104_189
; %bb.179:                              ;   in Loop: Header=BB104_11 Depth=1
                                        ; implicit-def: $vgpr33
	s_and_saveexec_b32 s22, s10
	s_cbranch_execz .LBB104_188
; %bb.180:                              ;   in Loop: Header=BB104_11 Depth=1
	v_mov_b32_e32 v6, v5
	v_mov_b32_e32 v2, v0
	s_mov_b32 s23, 0
                                        ; implicit-def: $sgpr27
	s_branch .LBB104_183
.LBB104_181:                            ;   in Loop: Header=BB104_183 Depth=2
	s_wait_alu 0xfffe
	s_or_b32 exec_lo, exec_lo, s28
	s_wait_loadcnt_dscnt 0x0
	s_barrier_signal -1
	s_barrier_wait -1
	global_inv scope:SCOPE_SE
	ds_load_b32 v4, v7 offset:3072
	s_mov_b32 s28, -1
	s_mov_b32 s29, -1
	s_wait_loadcnt_dscnt 0x0
	s_barrier_signal -1
	s_barrier_wait -1
	global_inv scope:SCOPE_SE
	v_and_b32_e32 v33, 0xffff, v4
	s_delay_alu instid0(VALU_DEP_1)
	v_cmp_eq_u32_e32 vcc_lo, 0, v33
	s_cbranch_vccnz .LBB104_186
.LBB104_182:                            ;   in Loop: Header=BB104_183 Depth=2
	s_wait_alu 0xfffe
	s_and_b32 s28, exec_lo, s28
	s_wait_alu 0xfffe
	s_or_b32 s23, s28, s23
	s_and_not1_b32 s27, s27, exec_lo
	s_and_b32 s28, s29, exec_lo
	s_wait_alu 0xfffe
	s_or_b32 s27, s27, s28
	s_and_not1_b32 exec_lo, exec_lo, s23
	s_cbranch_execz .LBB104_187
.LBB104_183:                            ;   Parent Loop BB104_11 Depth=1
                                        ; =>  This Inner Loop Header: Depth=2
	s_mov_b32 s28, exec_lo
	s_delay_alu instid0(VALU_DEP_1)
	v_cmpx_gt_u32_e64 s36, v2
	s_cbranch_execz .LBB104_181
; %bb.184:                              ;   in Loop: Header=BB104_183 Depth=2
	v_lshlrev_b64_e32 v[33:34], 1, v[6:7]
	s_delay_alu instid0(VALU_DEP_1) | instskip(SKIP_1) | instid1(VALU_DEP_2)
	v_add_co_u32 v33, vcc_lo, s40, v33
	s_wait_alu 0xfffd
	v_add_co_ci_u32_e64 v34, null, s41, v34, vcc_lo
	global_load_u16 v4, v[33:34], off
	s_wait_loadcnt 0x0
	v_bfe_i32 v33, v4, 0, 16
	s_delay_alu instid0(VALU_DEP_1) | instskip(NEXT) | instid1(VALU_DEP_1)
	v_add_nc_u32_e32 v33, 0x8000, v33
	v_and_b32_e32 v33, v33, v32
	s_delay_alu instid0(VALU_DEP_1)
	v_cmp_eq_u32_e32 vcc_lo, v33, v13
	s_and_b32 exec_lo, exec_lo, vcc_lo
	s_cbranch_execz .LBB104_181
; %bb.185:                              ;   in Loop: Header=BB104_183 Depth=2
	v_perm_b32 v4, v4, 1, 0x5040100
	ds_store_b32 v7, v4 offset:3072
	s_branch .LBB104_181
.LBB104_186:                            ;   in Loop: Header=BB104_183 Depth=2
	v_add_nc_u32_e32 v2, s37, v2
	v_add_nc_u32_e32 v6, s57, v6
	s_mov_b32 s29, 0
	s_delay_alu instid0(VALU_DEP_2)
	v_cmp_le_u32_e32 vcc_lo, s64, v2
	s_or_not1_b32 s28, vcc_lo, exec_lo
	s_branch .LBB104_182
.LBB104_187:                            ;   in Loop: Header=BB104_11 Depth=1
	s_or_b32 exec_lo, exec_lo, s23
	v_lshrrev_b32_e32 v33, 16, v4
	s_and_not1_b32 s23, s26, exec_lo
	s_wait_alu 0xfffe
	s_and_b32 s26, s27, exec_lo
	s_wait_alu 0xfffe
	s_or_b32 s26, s23, s26
.LBB104_188:                            ;   in Loop: Header=BB104_11 Depth=1
	s_wait_alu 0xfffe
	s_or_b32 exec_lo, exec_lo, s22
	s_mov_b32 s22, 0
	s_mov_b32 s23, -1
.LBB104_189:                            ;   in Loop: Header=BB104_11 Depth=1
	s_or_not1_b32 s26, s26, exec_lo
.LBB104_190:                            ;   in Loop: Header=BB104_11 Depth=1
	s_wait_alu 0xfffe
	s_or_b32 exec_lo, exec_lo, s24
	s_mov_b32 s27, 0
	s_and_saveexec_b32 s24, s26
	s_cbranch_execz .LBB104_240
; %bb.191:                              ;   in Loop: Header=BB104_11 Depth=1
	v_dual_mov_b32 v2, 1 :: v_dual_mov_b32 v1, 1
	s_xor_b32 s26, s25, -1
	s_wait_alu 0xfffe
	s_and_saveexec_b32 s25, s26
	s_cbranch_execz .LBB104_200
; %bb.192:                              ;   in Loop: Header=BB104_11 Depth=1
	s_mov_b32 s26, exec_lo
	v_cmpx_ge_u32_e64 s18, v3
	s_wait_alu 0xfffe
	s_xor_b32 s26, exec_lo, s26
	s_cbranch_execz .LBB104_197
; %bb.193:                              ;   in Loop: Header=BB104_11 Depth=1
	ds_load_b32 v1, v7 offset:4104
	s_lshl_b32 s27, 2, s75
	v_or_b32_e32 v32, s12, v32
	s_wait_alu 0xfffe
	v_and_or_b32 v13, v13, s19, s27
	s_wait_dscnt 0x0
	v_cmp_ne_u32_e32 vcc_lo, 0, v1
	s_cbranch_vccnz .LBB104_197
; %bb.194:                              ;   in Loop: Header=BB104_11 Depth=1
	s_and_saveexec_b32 s19, s2
; %bb.195:                              ;   in Loop: Header=BB104_11 Depth=1
	v_mov_b32_e32 v1, s18
	ds_store_b32 v7, v1 offset:4108
; %bb.196:                              ;   in Loop: Header=BB104_11 Depth=1
	s_wait_alu 0xfffe
	s_or_b32 exec_lo, exec_lo, s19
	s_wait_loadcnt_dscnt 0x0
	s_barrier_signal -1
	s_barrier_wait -1
	global_inv scope:SCOPE_SE
.LBB104_197:                            ;   in Loop: Header=BB104_11 Depth=1
	s_wait_alu 0xfffe
	s_or_saveexec_b32 s19, s26
	v_mov_b32_e32 v1, 8
	s_mov_b32 s26, 0
	s_wait_alu 0xfffe
	s_xor_b32 exec_lo, exec_lo, s19
; %bb.198:                              ;   in Loop: Header=BB104_11 Depth=1
	v_subrev_nc_u32_e32 v3, s18, v3
	v_mov_b32_e32 v1, 0
	s_mov_b32 s26, exec_lo
; %bb.199:                              ;   in Loop: Header=BB104_11 Depth=1
	s_or_b32 exec_lo, exec_lo, s19
	s_delay_alu instid0(VALU_DEP_2)
	v_mov_b32_e32 v2, v3
	s_wait_alu 0xfffe
	s_and_b32 s27, s26, exec_lo
.LBB104_200:                            ;   in Loop: Header=BB104_11 Depth=1
	s_wait_alu 0xfffe
	s_or_b32 exec_lo, exec_lo, s25
	s_mov_b32 s19, -1
                                        ; implicit-def: $sgpr26
                                        ; implicit-def: $sgpr25
	s_and_saveexec_b32 s18, s27
	s_cbranch_execz .LBB104_239
; %bb.201:                              ;   in Loop: Header=BB104_11 Depth=1
	v_cmp_eq_u32_e32 vcc_lo, 1, v2
	s_cmp_eq_u32 s11, 1
	s_mov_b32 s28, -1
	s_cselect_b32 s19, -1, 0
                                        ; implicit-def: $sgpr26
                                        ; implicit-def: $sgpr25
	s_wait_alu 0xfffe
	s_and_b32 s19, s19, vcc_lo
	s_wait_alu 0xfffe
	s_and_saveexec_b32 s27, s19
	s_cbranch_execz .LBB104_227
; %bb.202:                              ;   in Loop: Header=BB104_11 Depth=1
	ds_load_b32 v3, v7 offset:4104
	s_wait_loadcnt_dscnt 0x0
	s_barrier_signal -1
	s_barrier_wait -1
	global_inv scope:SCOPE_SE
	v_readfirstlane_b32 s29, v3
	s_and_saveexec_b32 s25, s3
; %bb.203:                              ;   in Loop: Header=BB104_11 Depth=1
	ds_store_b16 v17, v7
; %bb.204:                              ;   in Loop: Header=BB104_11 Depth=1
	s_wait_alu 0xfffe
	s_or_b32 exec_lo, exec_lo, s25
	v_or_b32_e32 v13, s12, v13
	v_or_b32_e32 v32, s12, v32
	s_mov_b32 s25, -1
	s_mov_b32 s26, 0
	s_cmp_eq_u32 s29, 0
	s_mov_b32 s28, 0
	s_mov_b32 s30, -1
	s_wait_loadcnt_dscnt 0x0
	s_barrier_signal -1
	s_barrier_wait -1
	global_inv scope:SCOPE_SE
                                        ; implicit-def: $vgpr33
	s_cbranch_scc1 .LBB104_215
; %bb.205:                              ;   in Loop: Header=BB104_11 Depth=1
	s_add_co_i32 s44, s29, s55
                                        ; implicit-def: $vgpr33
	s_wait_alu 0xfffe
	s_mul_u64 s[76:77], s[44:45], s[48:49]
	s_wait_alu 0xfffe
	s_mul_i32 s28, s77, s37
	s_wait_alu 0xfffe
	s_sub_co_i32 s28, s44, s28
	s_wait_alu 0xfffe
	s_sub_co_i32 s30, s28, s37
	s_cmp_ge_u32 s28, s37
	s_wait_alu 0xfffe
	s_cselect_b32 s28, s30, s28
	s_wait_alu 0xfffe
	s_sub_co_i32 s30, s28, s37
	s_cmp_ge_u32 s28, s37
	s_wait_alu 0xfffe
	s_cselect_b32 s28, s30, s28
	s_mov_b32 s30, 0
	s_wait_alu 0xfffe
	s_sub_co_i32 s76, s44, s28
	s_mov_b32 s28, 0
	s_mov_b32 s44, exec_lo
	s_wait_alu 0xfffe
	v_cmpx_gt_u32_e64 s76, v0
	s_cbranch_execz .LBB104_214
; %bb.206:                              ;   in Loop: Header=BB104_11 Depth=1
	v_dual_mov_b32 v3, v16 :: v_dual_mov_b32 v4, v0
                                        ; implicit-def: $sgpr77
	s_branch .LBB104_209
.LBB104_207:                            ;   in Loop: Header=BB104_209 Depth=2
	s_wait_alu 0xfffe
	s_or_b32 exec_lo, exec_lo, s78
	s_wait_loadcnt_dscnt 0x0
	s_barrier_signal -1
	s_barrier_wait -1
	global_inv scope:SCOPE_SE
	ds_load_b32 v6, v7 offset:3072
	s_mov_b32 s78, -1
	s_mov_b32 s79, -1
	s_wait_loadcnt_dscnt 0x0
	s_barrier_signal -1
	s_barrier_wait -1
	global_inv scope:SCOPE_SE
	v_and_b32_e32 v33, 0xffff, v6
	s_delay_alu instid0(VALU_DEP_1)
	v_cmp_ne_u32_e32 vcc_lo, 0, v33
	s_cbranch_vccz .LBB104_212
.LBB104_208:                            ;   in Loop: Header=BB104_209 Depth=2
	s_wait_alu 0xfffe
	s_and_b32 s78, exec_lo, s78
	s_wait_alu 0xfffe
	s_or_b32 s28, s78, s28
	s_and_not1_b32 s77, s77, exec_lo
	s_and_b32 s78, s79, exec_lo
	s_wait_alu 0xfffe
	s_or_b32 s77, s77, s78
	s_and_not1_b32 exec_lo, exec_lo, s28
	s_cbranch_execz .LBB104_213
.LBB104_209:                            ;   Parent Loop BB104_11 Depth=1
                                        ; =>  This Inner Loop Header: Depth=2
	s_mov_b32 s78, exec_lo
	s_delay_alu instid0(VALU_DEP_1)
	v_cmpx_gt_u32_e64 s29, v4
	s_cbranch_execz .LBB104_207
; %bb.210:                              ;   in Loop: Header=BB104_209 Depth=2
	ds_load_u16 v6, v3
	s_wait_dscnt 0x0
	v_bfe_i32 v33, v6, 0, 16
	s_delay_alu instid0(VALU_DEP_1) | instskip(NEXT) | instid1(VALU_DEP_1)
	v_add_nc_u32_e32 v33, 0x8000, v33
	v_and_b32_e32 v33, v33, v32
	s_delay_alu instid0(VALU_DEP_1)
	v_cmp_eq_u32_e32 vcc_lo, v33, v13
	s_and_b32 exec_lo, exec_lo, vcc_lo
	s_cbranch_execz .LBB104_207
; %bb.211:                              ;   in Loop: Header=BB104_209 Depth=2
	v_perm_b32 v6, v6, 1, 0x5040100
	ds_store_b32 v7, v6 offset:3072
	s_branch .LBB104_207
.LBB104_212:                            ;   in Loop: Header=BB104_209 Depth=2
	v_add_nc_u32_e32 v4, s37, v4
	v_add_nc_u32_e32 v3, s67, v3
	s_mov_b32 s79, 0
	s_delay_alu instid0(VALU_DEP_2)
	v_cmp_le_u32_e32 vcc_lo, s76, v4
	s_or_not1_b32 s78, vcc_lo, exec_lo
	s_branch .LBB104_208
.LBB104_213:                            ;   in Loop: Header=BB104_11 Depth=1
	s_or_b32 exec_lo, exec_lo, s28
	v_lshrrev_b32_e32 v33, 16, v6
	s_wait_alu 0xfffe
	s_and_b32 s28, s77, exec_lo
.LBB104_214:                            ;   in Loop: Header=BB104_11 Depth=1
	s_or_b32 exec_lo, exec_lo, s44
.LBB104_215:                            ;   in Loop: Header=BB104_11 Depth=1
	s_wait_alu 0xfffe
	s_and_b32 vcc_lo, exec_lo, s30
	s_wait_alu 0xfffe
	s_cbranch_vccz .LBB104_226
; %bb.216:                              ;   in Loop: Header=BB104_11 Depth=1
                                        ; implicit-def: $vgpr33
	s_and_saveexec_b32 s25, s10
	s_cbranch_execz .LBB104_225
; %bb.217:                              ;   in Loop: Header=BB104_11 Depth=1
	v_dual_mov_b32 v6, v5 :: v_dual_mov_b32 v3, v0
	s_mov_b32 s26, 0
                                        ; implicit-def: $sgpr29
	s_branch .LBB104_220
.LBB104_218:                            ;   in Loop: Header=BB104_220 Depth=2
	s_wait_alu 0xfffe
	s_or_b32 exec_lo, exec_lo, s30
	s_wait_loadcnt_dscnt 0x0
	s_barrier_signal -1
	s_barrier_wait -1
	global_inv scope:SCOPE_SE
	ds_load_b32 v4, v7 offset:3072
	s_mov_b32 s30, -1
	s_mov_b32 s44, -1
	s_wait_loadcnt_dscnt 0x0
	s_barrier_signal -1
	s_barrier_wait -1
	global_inv scope:SCOPE_SE
	v_and_b32_e32 v33, 0xffff, v4
	s_delay_alu instid0(VALU_DEP_1)
	v_cmp_eq_u32_e32 vcc_lo, 0, v33
	s_cbranch_vccnz .LBB104_223
.LBB104_219:                            ;   in Loop: Header=BB104_220 Depth=2
	s_wait_alu 0xfffe
	s_and_b32 s30, exec_lo, s30
	s_wait_alu 0xfffe
	s_or_b32 s26, s30, s26
	s_and_not1_b32 s29, s29, exec_lo
	s_and_b32 s30, s44, exec_lo
	s_wait_alu 0xfffe
	s_or_b32 s29, s29, s30
	s_and_not1_b32 exec_lo, exec_lo, s26
	s_cbranch_execz .LBB104_224
.LBB104_220:                            ;   Parent Loop BB104_11 Depth=1
                                        ; =>  This Inner Loop Header: Depth=2
	s_mov_b32 s30, exec_lo
	s_delay_alu instid0(VALU_DEP_1)
	v_cmpx_gt_u32_e64 s36, v3
	s_cbranch_execz .LBB104_218
; %bb.221:                              ;   in Loop: Header=BB104_220 Depth=2
	v_lshlrev_b64_e32 v[33:34], 1, v[6:7]
	s_delay_alu instid0(VALU_DEP_1) | instskip(SKIP_1) | instid1(VALU_DEP_2)
	v_add_co_u32 v33, vcc_lo, s40, v33
	s_wait_alu 0xfffd
	v_add_co_ci_u32_e64 v34, null, s41, v34, vcc_lo
	global_load_u16 v4, v[33:34], off
	s_wait_loadcnt 0x0
	v_bfe_i32 v33, v4, 0, 16
	s_delay_alu instid0(VALU_DEP_1) | instskip(NEXT) | instid1(VALU_DEP_1)
	v_add_nc_u32_e32 v33, 0x8000, v33
	v_and_b32_e32 v33, v33, v32
	s_delay_alu instid0(VALU_DEP_1)
	v_cmp_eq_u32_e32 vcc_lo, v33, v13
	s_and_b32 exec_lo, exec_lo, vcc_lo
	s_cbranch_execz .LBB104_218
; %bb.222:                              ;   in Loop: Header=BB104_220 Depth=2
	v_perm_b32 v4, v4, 1, 0x5040100
	ds_store_b32 v7, v4 offset:3072
	s_branch .LBB104_218
.LBB104_223:                            ;   in Loop: Header=BB104_220 Depth=2
	v_add_nc_u32_e32 v3, s37, v3
	v_add_nc_u32_e32 v6, s57, v6
	s_mov_b32 s44, 0
	s_delay_alu instid0(VALU_DEP_2)
	v_cmp_le_u32_e32 vcc_lo, s64, v3
	s_or_not1_b32 s30, vcc_lo, exec_lo
	s_branch .LBB104_219
.LBB104_224:                            ;   in Loop: Header=BB104_11 Depth=1
	s_or_b32 exec_lo, exec_lo, s26
	v_lshrrev_b32_e32 v33, 16, v4
	s_and_not1_b32 s26, s28, exec_lo
	s_wait_alu 0xfffe
	s_and_b32 s28, s29, exec_lo
	s_wait_alu 0xfffe
	s_or_b32 s28, s26, s28
.LBB104_225:                            ;   in Loop: Header=BB104_11 Depth=1
	s_wait_alu 0xfffe
	s_or_b32 exec_lo, exec_lo, s25
	s_mov_b32 s25, 0
	s_mov_b32 s26, -1
.LBB104_226:                            ;   in Loop: Header=BB104_11 Depth=1
	s_or_not1_b32 s28, s28, exec_lo
.LBB104_227:                            ;   in Loop: Header=BB104_11 Depth=1
	s_wait_alu 0xfffe
	s_or_b32 exec_lo, exec_lo, s27
	s_mov_b32 s29, 0
	s_and_saveexec_b32 s27, s28
	s_cbranch_execz .LBB104_238
; %bb.228:                              ;   in Loop: Header=BB104_11 Depth=1
	v_mov_b32_e32 v1, 1
	v_mov_b32_e32 v3, 1
	s_xor_b32 s28, s19, -1
	s_wait_alu 0xfffe
	s_and_saveexec_b32 s19, s28
	s_cbranch_execz .LBB104_237
; %bb.229:                              ;   in Loop: Header=BB104_11 Depth=1
	s_mov_b32 s28, exec_lo
	v_cmpx_ge_u32_e64 s11, v2
	s_wait_alu 0xfffe
	s_xor_b32 s28, exec_lo, s28
	s_cbranch_execz .LBB104_234
; %bb.230:                              ;   in Loop: Header=BB104_11 Depth=1
	ds_load_b32 v1, v7 offset:4104
	v_or_b32_e32 v13, s12, v13
	v_or_b32_e32 v32, s12, v32
	s_wait_dscnt 0x0
	v_cmp_ne_u32_e32 vcc_lo, 0, v1
	s_cbranch_vccnz .LBB104_234
; %bb.231:                              ;   in Loop: Header=BB104_11 Depth=1
	s_and_saveexec_b32 s12, s2
; %bb.232:                              ;   in Loop: Header=BB104_11 Depth=1
	v_mov_b32_e32 v1, s11
	ds_store_b32 v7, v1 offset:4108
; %bb.233:                              ;   in Loop: Header=BB104_11 Depth=1
	s_wait_alu 0xfffe
	s_or_b32 exec_lo, exec_lo, s12
	s_wait_loadcnt_dscnt 0x0
	s_barrier_signal -1
	s_barrier_wait -1
	global_inv scope:SCOPE_SE
.LBB104_234:                            ;   in Loop: Header=BB104_11 Depth=1
	s_wait_alu 0xfffe
	s_and_not1_saveexec_b32 s12, s28
; %bb.235:                              ;   in Loop: Header=BB104_11 Depth=1
	v_subrev_nc_u32_e32 v2, s11, v2
; %bb.236:                              ;   in Loop: Header=BB104_11 Depth=1
	s_wait_alu 0xfffe
	s_or_b32 exec_lo, exec_lo, s12
	v_mov_b32_e32 v1, 8
	s_delay_alu instid0(VALU_DEP_2)
	v_mov_b32_e32 v3, v2
.LBB104_237:                            ;   in Loop: Header=BB104_11 Depth=1
	s_wait_alu 0xfffe
	s_or_b32 exec_lo, exec_lo, s19
	s_delay_alu instid0(VALU_DEP_1)
	v_mov_b32_e32 v2, v3
	s_mov_b32 s29, exec_lo
.LBB104_238:                            ;   in Loop: Header=BB104_11 Depth=1
	s_wait_alu 0xfffe
	s_or_b32 exec_lo, exec_lo, s27
	s_delay_alu instid0(SALU_CYCLE_1)
	s_or_not1_b32 s19, s29, exec_lo
.LBB104_239:                            ;   in Loop: Header=BB104_11 Depth=1
	s_wait_alu 0xfffe
	s_or_b32 exec_lo, exec_lo, s18
	v_mov_b32_e32 v3, v2
	s_and_not1_b32 s11, s23, exec_lo
	s_and_b32 s12, s26, exec_lo
	s_and_not1_b32 s18, s22, exec_lo
	s_and_b32 s22, s25, exec_lo
	s_wait_alu 0xfffe
	s_or_b32 s23, s11, s12
	s_or_b32 s22, s18, s22
	s_and_b32 s27, s19, exec_lo
.LBB104_240:                            ;   in Loop: Header=BB104_11 Depth=1
	s_wait_alu 0xfffe
	s_or_b32 exec_lo, exec_lo, s24
	s_delay_alu instid0(SALU_CYCLE_1)
	s_or_not1_b32 s24, s27, exec_lo
.LBB104_241:                            ;   in Loop: Header=BB104_11 Depth=1
	s_wait_alu 0xfffe
	s_or_b32 exec_lo, exec_lo, s21
	v_mov_b32_e32 v2, v3
	s_and_not1_b32 s11, s17, exec_lo
	s_and_b32 s12, s23, exec_lo
	s_and_not1_b32 s16, s16, exec_lo
	s_and_b32 s18, s22, exec_lo
	s_wait_alu 0xfffe
	s_or_b32 s17, s11, s12
	s_or_b32 s16, s16, s18
	s_and_b32 s24, s24, exec_lo
.LBB104_242:                            ;   in Loop: Header=BB104_11 Depth=1
	s_wait_alu 0xfffe
	s_or_b32 exec_lo, exec_lo, s20
	s_delay_alu instid0(SALU_CYCLE_1)
	s_or_not1_b32 s20, s24, exec_lo
.LBB104_243:                            ;   in Loop: Header=BB104_11 Depth=1
	s_wait_alu 0xfffe
	s_or_b32 exec_lo, exec_lo, s15
	s_mov_b32 s12, 0
                                        ; implicit-def: $sgpr22
	s_and_saveexec_b32 s11, s20
	s_wait_alu 0xfffe
	s_xor_b32 s11, exec_lo, s11
	s_cbranch_execz .LBB104_9
; %bb.244:                              ;   in Loop: Header=BB104_11 Depth=1
	v_and_b32_e32 v1, 7, v1
	s_mov_b32 s14, -1
	s_mov_b32 s12, -1
	s_mov_b32 s15, exec_lo
                                        ; implicit-def: $sgpr22
	s_delay_alu instid0(VALU_DEP_1)
	v_cmpx_eq_u32_e32 0, v1
	s_cbranch_execz .LBB104_8
; %bb.245:                              ;   in Loop: Header=BB104_11 Depth=1
	s_add_co_i32 s22, s75, -2
	s_cmp_eq_u32 s75, 0
	v_xor_b32_e32 v31, 1, v31
	s_cselect_b32 s14, -1, 0
	s_xor_b32 s12, exec_lo, -1
	s_wait_alu 0xfffe
	s_or_not1_b32 s14, s14, exec_lo
	s_branch .LBB104_8
.LBB104_246:
	s_or_b32 exec_lo, exec_lo, s68
	s_wait_alu 0xfffe
	s_xor_b32 s4, s74, -1
	s_xor_b32 s1, s72, -1
	;; [unrolled: 1-line block ×3, first 2 shown]
	s_mov_b32 s2, 0
	s_and_saveexec_b32 s5, s1
	s_wait_alu 0xfffe
	s_xor_b32 s1, exec_lo, s5
	s_cbranch_execnz .LBB104_251
; %bb.247:
	s_and_not1_saveexec_b32 s0, s1
	s_cbranch_execnz .LBB104_264
.LBB104_248:
	s_or_b32 exec_lo, exec_lo, s0
	s_and_saveexec_b32 s0, s2
.LBB104_249:
	; divergent unreachable
.LBB104_250:
	s_endpgm
.LBB104_251:
	s_and_saveexec_b32 s2, s4
	s_delay_alu instid0(SALU_CYCLE_1)
	s_xor_b32 s4, exec_lo, s2
	s_cbranch_execz .LBB104_262
; %bb.252:
	s_and_saveexec_b32 s2, s3
	s_delay_alu instid0(SALU_CYCLE_1)
	s_xor_b32 s2, exec_lo, s2
; %bb.253:
	v_xor_b32_e32 v33, 0xffff8000, v13
; %bb.254:
	s_or_b32 exec_lo, exec_lo, s2
	s_mul_i32 s2, s52, s31
	s_mov_b32 s3, 0
	v_mov_b32_e32 v6, 0
	s_lshl_b64 s[6:7], s[2:3], 1
	s_wait_alu 0xfffe
	s_add_nc_u64 s[6:7], s[42:43], s[6:7]
	global_store_b16 v6, v33, s[6:7]
	s_and_saveexec_b32 s2, s0
	s_cbranch_execz .LBB104_261
; %bb.255:
                                        ; implicit-def: $sgpr0
                                        ; implicit-def: $sgpr6
                                        ; implicit-def: $sgpr5
	s_branch .LBB104_257
.LBB104_256:                            ;   in Loop: Header=BB104_257 Depth=1
	s_wait_alu 0xfffe
	s_or_b32 exec_lo, exec_lo, s7
	s_delay_alu instid0(SALU_CYCLE_1)
	s_and_b32 s7, exec_lo, s6
	s_wait_alu 0xfffe
	s_or_b32 s3, s7, s3
	s_and_not1_b32 s0, s0, exec_lo
	s_and_b32 s7, s5, exec_lo
	s_wait_alu 0xfffe
	s_or_b32 s0, s0, s7
	s_and_not1_b32 exec_lo, exec_lo, s3
	s_cbranch_execz .LBB104_259
.LBB104_257:                            ; =>This Inner Loop Header: Depth=1
	v_lshlrev_b64_e32 v[1:2], 1, v[5:6]
	s_or_b32 s5, s5, exec_lo
	s_wait_alu 0xfffe
	s_or_b32 s6, s6, exec_lo
	s_mov_b32 s7, exec_lo
	s_delay_alu instid0(VALU_DEP_1)
	v_add_co_u32 v1, vcc_lo, s40, v1
	s_wait_alu 0xfffd
	v_add_co_ci_u32_e64 v2, null, s41, v2, vcc_lo
	global_load_u16 v2, v[1:2], off
	v_mov_b32_e32 v1, v0
                                        ; implicit-def: $vgpr0
	s_wait_loadcnt 0x0
	v_cmpx_ne_u16_e64 v2, v33
	s_cbranch_execz .LBB104_256
; %bb.258:                              ;   in Loop: Header=BB104_257 Depth=1
	s_delay_alu instid0(VALU_DEP_2)
	v_add_nc_u32_e32 v0, s37, v1
	v_add_nc_u32_e32 v5, s57, v5
	s_wait_alu 0xfffe
	s_and_not1_b32 s6, s6, exec_lo
	s_and_not1_b32 s5, s5, exec_lo
	v_cmp_le_u32_e32 vcc_lo, s36, v0
	s_and_b32 s8, vcc_lo, exec_lo
	s_wait_alu 0xfffe
	s_or_b32 s6, s6, s8
	s_branch .LBB104_256
.LBB104_259:
	s_or_b32 exec_lo, exec_lo, s3
	s_and_saveexec_b32 s3, s0
	s_delay_alu instid0(SALU_CYCLE_1)
	s_xor_b32 s3, exec_lo, s3
	s_cbranch_execz .LBB104_261
; %bb.260:
	s_mul_i32 s6, s33, s31
	s_mov_b32 s7, 0
	v_mov_b32_e32 v2, 0
	s_wait_alu 0xfffe
	s_lshl_b64 s[6:7], s[6:7], 3
	s_wait_alu 0xfffe
	s_add_nc_u64 s[6:7], s[34:35], s[6:7]
	global_store_b64 v2, v[1:2], s[6:7]
.LBB104_261:
	s_or_b32 exec_lo, exec_lo, s2
.LBB104_262:
	s_wait_alu 0xfffe
	s_or_saveexec_b32 s0, s4
	s_mov_b32 s2, 0
	s_xor_b32 exec_lo, exec_lo, s0
	s_cbranch_execnz .LBB104_265
.LBB104_263:
	s_or_b32 exec_lo, exec_lo, s0
	s_delay_alu instid0(SALU_CYCLE_1)
	s_and_b32 s2, s2, exec_lo
	s_and_not1_saveexec_b32 s0, s1
	s_cbranch_execz .LBB104_248
.LBB104_264:
	s_or_b32 s2, s2, exec_lo
	s_trap 2
	s_or_b32 exec_lo, exec_lo, s0
	s_and_saveexec_b32 s0, s2
	s_cbranch_execnz .LBB104_249
	s_branch .LBB104_250
.LBB104_265:
	s_mov_b32 s2, exec_lo
	s_trap 2
	s_branch .LBB104_263
	.section	.rodata,"a",@progbits
	.p2align	6, 0x0
	.amdhsa_kernel _ZN2at6native12_GLOBAL__N_112gatherMedianIsjLi1EEEvNS_4cuda6detail10TensorInfoIT_T0_EENS5_IlS7_EENS5_IKS6_S7_EES7_S7_S7_b
		.amdhsa_group_segment_fixed_size 4120
		.amdhsa_private_segment_fixed_size 0
		.amdhsa_kernarg_size 920
		.amdhsa_user_sgpr_count 2
		.amdhsa_user_sgpr_dispatch_ptr 0
		.amdhsa_user_sgpr_queue_ptr 0
		.amdhsa_user_sgpr_kernarg_segment_ptr 1
		.amdhsa_user_sgpr_dispatch_id 0
		.amdhsa_user_sgpr_private_segment_size 0
		.amdhsa_wavefront_size32 1
		.amdhsa_uses_dynamic_stack 0
		.amdhsa_enable_private_segment 0
		.amdhsa_system_sgpr_workgroup_id_x 1
		.amdhsa_system_sgpr_workgroup_id_y 1
		.amdhsa_system_sgpr_workgroup_id_z 1
		.amdhsa_system_sgpr_workgroup_info 0
		.amdhsa_system_vgpr_workitem_id 0
		.amdhsa_next_free_vgpr 62
		.amdhsa_next_free_sgpr 83
		.amdhsa_reserve_vcc 1
		.amdhsa_float_round_mode_32 0
		.amdhsa_float_round_mode_16_64 0
		.amdhsa_float_denorm_mode_32 3
		.amdhsa_float_denorm_mode_16_64 3
		.amdhsa_fp16_overflow 0
		.amdhsa_workgroup_processor_mode 1
		.amdhsa_memory_ordered 1
		.amdhsa_forward_progress 1
		.amdhsa_inst_pref_size 98
		.amdhsa_round_robin_scheduling 0
		.amdhsa_exception_fp_ieee_invalid_op 0
		.amdhsa_exception_fp_denorm_src 0
		.amdhsa_exception_fp_ieee_div_zero 0
		.amdhsa_exception_fp_ieee_overflow 0
		.amdhsa_exception_fp_ieee_underflow 0
		.amdhsa_exception_fp_ieee_inexact 0
		.amdhsa_exception_int_div_zero 0
	.end_amdhsa_kernel
	.section	.text._ZN2at6native12_GLOBAL__N_112gatherMedianIsjLi1EEEvNS_4cuda6detail10TensorInfoIT_T0_EENS5_IlS7_EENS5_IKS6_S7_EES7_S7_S7_b,"axG",@progbits,_ZN2at6native12_GLOBAL__N_112gatherMedianIsjLi1EEEvNS_4cuda6detail10TensorInfoIT_T0_EENS5_IlS7_EENS5_IKS6_S7_EES7_S7_S7_b,comdat
.Lfunc_end104:
	.size	_ZN2at6native12_GLOBAL__N_112gatherMedianIsjLi1EEEvNS_4cuda6detail10TensorInfoIT_T0_EENS5_IlS7_EENS5_IKS6_S7_EES7_S7_S7_b, .Lfunc_end104-_ZN2at6native12_GLOBAL__N_112gatherMedianIsjLi1EEEvNS_4cuda6detail10TensorInfoIT_T0_EENS5_IlS7_EENS5_IKS6_S7_EES7_S7_S7_b
                                        ; -- End function
	.set _ZN2at6native12_GLOBAL__N_112gatherMedianIsjLi1EEEvNS_4cuda6detail10TensorInfoIT_T0_EENS5_IlS7_EENS5_IKS6_S7_EES7_S7_S7_b.num_vgpr, 62
	.set _ZN2at6native12_GLOBAL__N_112gatherMedianIsjLi1EEEvNS_4cuda6detail10TensorInfoIT_T0_EENS5_IlS7_EENS5_IKS6_S7_EES7_S7_S7_b.num_agpr, 0
	.set _ZN2at6native12_GLOBAL__N_112gatherMedianIsjLi1EEEvNS_4cuda6detail10TensorInfoIT_T0_EENS5_IlS7_EENS5_IKS6_S7_EES7_S7_S7_b.numbered_sgpr, 83
	.set _ZN2at6native12_GLOBAL__N_112gatherMedianIsjLi1EEEvNS_4cuda6detail10TensorInfoIT_T0_EENS5_IlS7_EENS5_IKS6_S7_EES7_S7_S7_b.num_named_barrier, 0
	.set _ZN2at6native12_GLOBAL__N_112gatherMedianIsjLi1EEEvNS_4cuda6detail10TensorInfoIT_T0_EENS5_IlS7_EENS5_IKS6_S7_EES7_S7_S7_b.private_seg_size, 0
	.set _ZN2at6native12_GLOBAL__N_112gatherMedianIsjLi1EEEvNS_4cuda6detail10TensorInfoIT_T0_EENS5_IlS7_EENS5_IKS6_S7_EES7_S7_S7_b.uses_vcc, 1
	.set _ZN2at6native12_GLOBAL__N_112gatherMedianIsjLi1EEEvNS_4cuda6detail10TensorInfoIT_T0_EENS5_IlS7_EENS5_IKS6_S7_EES7_S7_S7_b.uses_flat_scratch, 0
	.set _ZN2at6native12_GLOBAL__N_112gatherMedianIsjLi1EEEvNS_4cuda6detail10TensorInfoIT_T0_EENS5_IlS7_EENS5_IKS6_S7_EES7_S7_S7_b.has_dyn_sized_stack, 0
	.set _ZN2at6native12_GLOBAL__N_112gatherMedianIsjLi1EEEvNS_4cuda6detail10TensorInfoIT_T0_EENS5_IlS7_EENS5_IKS6_S7_EES7_S7_S7_b.has_recursion, 0
	.set _ZN2at6native12_GLOBAL__N_112gatherMedianIsjLi1EEEvNS_4cuda6detail10TensorInfoIT_T0_EENS5_IlS7_EENS5_IKS6_S7_EES7_S7_S7_b.has_indirect_call, 0
	.section	.AMDGPU.csdata,"",@progbits
; Kernel info:
; codeLenInByte = 12492
; TotalNumSgprs: 85
; NumVgprs: 62
; ScratchSize: 0
; MemoryBound: 0
; FloatMode: 240
; IeeeMode: 1
; LDSByteSize: 4120 bytes/workgroup (compile time only)
; SGPRBlocks: 0
; VGPRBlocks: 7
; NumSGPRsForWavesPerEU: 85
; NumVGPRsForWavesPerEU: 62
; Occupancy: 16
; WaveLimiterHint : 1
; COMPUTE_PGM_RSRC2:SCRATCH_EN: 0
; COMPUTE_PGM_RSRC2:USER_SGPR: 2
; COMPUTE_PGM_RSRC2:TRAP_HANDLER: 0
; COMPUTE_PGM_RSRC2:TGID_X_EN: 1
; COMPUTE_PGM_RSRC2:TGID_Y_EN: 1
; COMPUTE_PGM_RSRC2:TGID_Z_EN: 1
; COMPUTE_PGM_RSRC2:TIDIG_COMP_CNT: 0
	.section	.text._ZN2at6native12_GLOBAL__N_112gatherMedianIsjLi2EEEvNS_4cuda6detail10TensorInfoIT_T0_EENS5_IlS7_EENS5_IKS6_S7_EES7_S7_S7_b,"axG",@progbits,_ZN2at6native12_GLOBAL__N_112gatherMedianIsjLi2EEEvNS_4cuda6detail10TensorInfoIT_T0_EENS5_IlS7_EENS5_IKS6_S7_EES7_S7_S7_b,comdat
	.globl	_ZN2at6native12_GLOBAL__N_112gatherMedianIsjLi2EEEvNS_4cuda6detail10TensorInfoIT_T0_EENS5_IlS7_EENS5_IKS6_S7_EES7_S7_S7_b ; -- Begin function _ZN2at6native12_GLOBAL__N_112gatherMedianIsjLi2EEEvNS_4cuda6detail10TensorInfoIT_T0_EENS5_IlS7_EENS5_IKS6_S7_EES7_S7_S7_b
	.p2align	8
	.type	_ZN2at6native12_GLOBAL__N_112gatherMedianIsjLi2EEEvNS_4cuda6detail10TensorInfoIT_T0_EENS5_IlS7_EENS5_IKS6_S7_EES7_S7_S7_b,@function
_ZN2at6native12_GLOBAL__N_112gatherMedianIsjLi2EEEvNS_4cuda6detail10TensorInfoIT_T0_EENS5_IlS7_EENS5_IKS6_S7_EES7_S7_S7_b: ; @_ZN2at6native12_GLOBAL__N_112gatherMedianIsjLi2EEEvNS_4cuda6detail10TensorInfoIT_T0_EENS5_IlS7_EENS5_IKS6_S7_EES7_S7_S7_b
; %bb.0:
	s_clause 0x1
	s_load_b64 s[4:5], s[0:1], 0x298
	s_load_b128 s[36:39], s[0:1], 0x288
	s_lshr_b32 s2, ttmp7, 16
	s_and_b32 s3, ttmp7, 0xffff
	s_wait_kmcnt 0x0
	s_mul_i32 s2, s5, s2
	s_delay_alu instid0(SALU_CYCLE_1) | instskip(NEXT) | instid1(SALU_CYCLE_1)
	s_add_co_i32 s2, s2, s3
	s_mul_i32 s2, s2, s4
	s_delay_alu instid0(SALU_CYCLE_1) | instskip(NEXT) | instid1(SALU_CYCLE_1)
	s_add_co_i32 s34, s2, ttmp9
	s_cmp_ge_u32 s34, s37
	s_cbranch_scc1 .LBB105_250
; %bb.1:
	s_clause 0x2
	s_load_b32 s60, s[0:1], 0xc
	s_load_b32 s33, s[0:1], 0xe4
	;; [unrolled: 1-line block ×3, first 2 shown]
	s_mov_b32 s35, 0
	s_wait_kmcnt 0x0
	s_cvt_f32_u32 s2, s60
	s_cvt_f32_u32 s5, s33
	;; [unrolled: 1-line block ×3, first 2 shown]
	s_sub_co_i32 s8, 0, s60
	v_rcp_iflag_f32_e32 v1, s2
	v_rcp_iflag_f32_e32 v2, s5
	;; [unrolled: 1-line block ×3, first 2 shown]
	s_sub_co_i32 s10, 0, s33
	v_cmp_eq_u32_e64 s2, 0, v0
	s_delay_alu instid0(TRANS32_DEP_3) | instskip(NEXT) | instid1(TRANS32_DEP_2)
	v_readfirstlane_b32 s5, v1
	v_readfirstlane_b32 s6, v2
	s_delay_alu instid0(TRANS32_DEP_1)
	v_readfirstlane_b32 s7, v3
	s_mul_f32 s5, s5, 0x4f7ffffe
	s_mul_f32 s9, s6, 0x4f7ffffe
	;; [unrolled: 1-line block ×3, first 2 shown]
	s_wait_alu 0xfffe
	s_cvt_u32_f32 s6, s5
	s_cvt_u32_f32 s5, s9
	;; [unrolled: 1-line block ×3, first 2 shown]
	s_sub_co_i32 s7, 0, s3
	s_wait_alu 0xfffe
	s_mul_i32 s8, s8, s6
	s_mul_i32 s10, s10, s5
	;; [unrolled: 1-line block ×3, first 2 shown]
	s_mul_hi_u32 s8, s6, s8
	s_wait_alu 0xfffe
	s_mul_hi_u32 s11, s9, s7
	s_mul_hi_u32 s7, s5, s10
	s_add_co_i32 s12, s9, s11
	s_and_saveexec_b32 s9, s2
; %bb.2:
	v_mov_b32_e32 v1, 0
	s_delay_alu instid0(VALU_DEP_1)
	v_mov_b32_e32 v2, v1
	ds_store_b64 v1, v[1:2] offset:4096
; %bb.3:
	s_or_b32 exec_lo, exec_lo, s9
	v_mov_b32_e32 v1, 0
	s_wait_dscnt 0x0
	s_barrier_signal -1
	s_barrier_wait -1
	global_inv scope:SCOPE_SE
	s_wait_loadcnt 0x0
	s_barrier_signal -1
	s_barrier_wait -1
	global_inv scope:SCOPE_SE
	ds_load_b64 v[1:2], v1 offset:4096
	s_load_b64 s[10:11], s[0:1], 0x21c
	s_add_co_i32 s6, s6, s8
	s_add_co_i32 s8, s5, s7
	s_bitcmp1_b32 s39, 0
	s_mov_b32 s13, s35
	s_cselect_b32 s5, -1, 0
	s_mov_b32 s18, s36
	s_wait_dscnt 0x0
	v_readfirstlane_b32 s14, v1
	v_readfirstlane_b32 s15, v2
	s_delay_alu instid0(VALU_DEP_1)
	v_cmp_lt_i64_e64 s9, s[14:15], 1
	s_wait_alu 0xfffe
	s_or_b32 s5, s5, s9
	s_wait_alu 0xfffe
	s_and_not1_b32 vcc_lo, exec_lo, s5
	s_cbranch_vccnz .LBB105_5
; %bb.4:
	s_not_b64 s[14:15], s[14:15]
	s_mov_b32 s37, 0
	s_wait_alu 0xfffe
	s_add_nc_u64 s[14:15], s[14:15], s[36:37]
	s_mov_b32 s17, s37
	s_wait_alu 0xfffe
	s_lshr_b32 s16, s15, 31
	s_delay_alu instid0(SALU_CYCLE_1)
	s_add_nc_u64 s[14:15], s[14:15], s[16:17]
	s_wait_alu 0xfffe
	s_lshr_b64 s[14:15], s[14:15], 1
	s_wait_alu 0xfffe
	s_add_co_i32 s18, s14, 1
.LBB105_5:
	s_clause 0x2
	s_load_b64 s[40:41], s[0:1], 0x144
	s_load_b64 s[14:15], s[0:1], 0x1b0
	;; [unrolled: 1-line block ×3, first 2 shown]
	s_mul_u64 s[16:17], s[34:35], s[12:13]
	s_mov_b32 s7, s35
	s_mov_b32 s9, s35
	s_add_nc_u64 s[12:13], s[0:1], 0x298
	s_and_saveexec_b32 s5, s2
	s_cbranch_execz .LBB105_7
; %bb.6:
	v_dual_mov_b32 v1, 0 :: v_dual_mov_b32 v2, s36
	ds_store_b32 v1, v1 offset:4112
	ds_store_b64 v1, v[1:2] offset:4104
.LBB105_7:
	s_wait_alu 0xfffe
	s_or_b32 exec_lo, exec_lo, s5
	s_mul_i32 s5, s17, s3
	s_add_co_i32 s16, s17, 1
	s_wait_alu 0xfffe
	s_sub_co_i32 s5, s34, s5
	s_wait_loadcnt_dscnt 0x0
	s_wait_alu 0xfffe
	s_sub_co_i32 s19, s5, s3
	s_cmp_ge_u32 s5, s3
	s_barrier_signal -1
	s_cselect_b32 s16, s16, s17
	s_barrier_wait -1
	global_inv scope:SCOPE_SE
	s_load_b32 s17, s[12:13], 0xc
	s_cselect_b32 s5, s19, s5
	s_add_co_i32 s19, s16, 1
	s_wait_alu 0xfffe
	s_cmp_ge_u32 s5, s3
	v_dual_mov_b32 v7, 0 :: v_dual_lshlrev_b32 v16, 1, v0
	s_cselect_b32 s5, s19, s16
	v_mbcnt_lo_u32_b32 v14, -1, 0
	v_mul_lo_u32 v5, s38, v0
	s_wait_alu 0xfffe
	s_mul_i32 s3, s5, s3
	s_mul_u64 s[50:51], s[34:35], s[6:7]
	s_mul_u64 s[30:31], s[34:35], s[8:9]
	v_dual_mov_b32 v6, v7 :: v_dual_lshlrev_b32 v15, 2, v0
	s_wait_alu 0xfffe
	s_sub_co_i32 s3, s34, s3
	v_lshlrev_b64_e64 v[3:4], v14, -1
	s_wait_kmcnt 0x0
	s_mul_i32 s5, s5, s10
	s_wait_alu 0xfffe
	s_mul_i32 s3, s3, s11
	s_mov_b32 s53, 0
	s_wait_alu 0xfffe
	s_add_co_i32 s52, s5, s3
	s_and_b32 s35, s17, 0xffff
	v_lshlrev_b64_e32 v[1:2], 1, v[5:6]
	s_lshl_b32 s37, s35, 2
	v_cmp_gt_u32_e32 vcc_lo, 32, v0
	s_wait_alu 0xfffe
	s_cvt_f32_u32 s6, s37
	v_cmp_gt_i32_e64 s3, 4, v14
	s_clause 0x1
	s_load_b64 s[42:43], s[0:1], 0xd8
	s_load_b64 s[48:49], s[0:1], 0x0
	s_lshl_b64 s[0:1], s[52:53], 1
	v_not_b32_e32 v18, v3
	v_rcp_iflag_f32_e32 v3, s6
	s_add_nc_u64 s[44:45], s[14:15], s[0:1]
	s_add_co_i32 s61, s35, -1
	s_and_b32 s50, vcc_lo, s3
	v_add_co_u32 v8, vcc_lo, s44, v1
	s_bfe_u32 s5, s17, 0xb0005
	s_add_co_i32 s10, s61, s36
	s_cmp_gt_u32 s36, 0x600
	v_add_co_ci_u32_e64 v9, null, s45, v2, vcc_lo
	v_lshrrev_b32_e32 v2, 1, v0
	s_cselect_b32 s62, -1, 0
	s_cmp_gt_u32 s35, 31
	s_movk_i32 s6, 0x1f0
	s_cselect_b32 s64, -1, 0
	s_cmp_lt_u32 ttmp9, s4
	s_wait_alu 0xfffe
	v_and_or_b32 v19, v2, s6, 0xc00
	v_readfirstlane_b32 s6, v3
	s_cselect_b32 s52, 12, 18
	s_add_co_i32 s4, s5, -1
	s_bfe_u32 s65, s35, 0x30005
	s_wait_alu 0xfffe
	s_and_b32 s4, s4, 0xffff
	v_dual_mov_b32 v32, 0 :: v_dual_add_nc_u32 v1, 2, v0
	s_wait_alu 0xfffe
	s_cmp_gt_u32 s4, 6
	s_mul_f32 s4, s6, 0x4f7ffffe
	s_cselect_b32 s66, -1, 0
	s_and_b32 s67, s5, 0x7f8
	s_cmp_lg_u32 s65, 0
	s_wait_alu 0xfffe
	s_cvt_u32_f32 s4, s4
	s_cselect_b32 s68, -1, 0
	s_cvt_f32_u32 s5, s35
	s_sub_co_i32 s6, 0, s37
	v_max_u32_e32 v1, s36, v1
	s_wait_alu 0xfffe
	s_mul_i32 s6, s6, s4
	v_rcp_iflag_f32_e32 v4, s5
	s_wait_alu 0xfffe
	s_mul_hi_u32 s5, s4, s6
	v_mov_b32_e32 v33, 0
	s_wait_alu 0xfffe
	s_add_co_i32 s54, s4, s5
	v_xad_u32 v1, v0, -1, v1
	s_mul_hi_u32 s5, s36, s54
	v_mov_b32_e32 v31, 0
	s_wait_alu 0xfffe
	s_mul_i32 s5, s5, s37
	s_mov_b32 s39, s38
	s_wait_alu 0xfffe
	s_sub_co_i32 s5, s36, s5
	v_readfirstlane_b32 s6, v4
	s_wait_alu 0xfffe
	s_sub_co_i32 s7, s5, s37
	s_cmp_ge_u32 s5, s37
	v_add_nc_u32_e32 v2, -2, v1
	s_wait_alu 0xfffe
	s_cselect_b32 s7, s7, s5
	s_mul_f32 s6, s6, 0x4f7ffffe
	s_wait_alu 0xfffe
	s_sub_co_i32 s8, s7, s37
	s_cmp_ge_u32 s7, s37
	v_and_b32_e32 v20, -2, v1
	s_cselect_b32 s11, s8, s7
	s_cvt_u32_f32 s6, s6
	s_sub_co_i32 s69, s36, s11
	s_sub_co_i32 s7, 0, s35
	v_add_nc_u32_e32 v22, s69, v0
	s_wait_alu 0xfffe
	s_mul_i32 s7, s7, s6
	v_lshrrev_b32_e32 v3, 1, v2
	s_wait_alu 0xfffe
	s_mul_hi_u32 s7, s6, s7
	v_cmp_lt_u32_e64 s4, 31, v1
	v_mul_lo_u32 v6, v22, s38
	s_wait_alu 0xfffe
	s_add_co_i32 s56, s6, s7
	v_cmp_lt_u32_e64 s5, 13, v2
	s_mul_hi_u32 s7, s10, s56
	v_add_nc_u32_e32 v3, 1, v3
	s_wait_alu 0xfffe
	s_mul_i32 s8, s7, s35
	v_cmp_ne_u32_e64 s7, v1, v20
	s_sub_co_i32 s9, s10, s8
	v_lshlrev_b64_e32 v[1:2], 1, v[6:7]
	s_sub_co_i32 s14, s9, s35
	s_cmp_ge_u32 s9, s35
	v_and_b32_e32 v4, 7, v3
	s_wait_alu 0xfffe
	s_cselect_b32 s14, s14, s9
	v_and_b32_e32 v23, -8, v3
	v_add_co_u32 v10, vcc_lo, s44, v1
	v_add3_u32 v1, s35, s36, v0
	s_wait_alu 0xfffd
	v_add_co_ci_u32_e64 v11, null, s45, v2, vcc_lo
	v_or_b32_e32 v2, 2, v15
	v_or_b32_e32 v3, 3, v15
	v_subrev_nc_u32_e32 v1, s11, v1
	s_wait_alu 0xfffe
	s_sub_co_i32 s15, s14, s35
	s_cmp_ge_u32 s14, s35
	v_mad_co_u64_u32 v[12:13], null, s38, v15, s[38:39]
	s_wait_alu 0xfffe
	s_cselect_b32 s14, s15, s14
	v_mul_lo_u32 v25, s38, v2
	v_mul_lo_u32 v26, s38, v3
	;; [unrolled: 1-line block ×3, first 2 shown]
	s_wait_alu 0xfffe
	s_sub_co_i32 s70, s10, s14
	v_cmp_gt_u32_e64 s0, s36, v0
	v_cmp_eq_u32_e64 s1, 0, v14
	v_cmp_gt_u32_e64 s3, 2, v0
	v_dual_mov_b32 v34, s18 :: v_dual_add_nc_u32 v17, 0xc00, v16
	v_add_nc_u32_e32 v21, v0, v20
	v_cmp_gt_u32_e64 s8, s69, v15
	v_cmp_gt_u32_e64 s9, s36, v22
	;; [unrolled: 1-line block ×3, first 2 shown]
	v_lshlrev_b32_e32 v27, 2, v5
	v_lshlrev_b32_e32 v29, 3, v0
	v_lshl_or_b32 v30, v14, 2, 0xc00
	v_mov_b32_e32 v13, 0
	v_cmp_ne_u32_e64 s6, 0, v4
	v_lshlrev_b32_e32 v24, 2, v4
	s_mul_i32 s63, s38, s35
	s_mov_b32 s55, s53
	s_mov_b32 s57, s53
	s_lshl_b32 s71, s63, 2
	s_lshl_b32 s72, s35, 3
	;; [unrolled: 1-line block ×3, first 2 shown]
	s_mov_b32 s81, 14
	s_add_nc_u64 s[58:59], s[12:13], s[52:53]
	s_mov_b32 s74, 0
                                        ; implicit-def: $sgpr78
                                        ; implicit-def: $sgpr80
                                        ; implicit-def: $sgpr75
                                        ; implicit-def: $sgpr77
                                        ; implicit-def: $sgpr79
                                        ; implicit-def: $sgpr76
	s_branch .LBB105_11
.LBB105_8:                              ;   in Loop: Header=BB105_11 Depth=1
	s_wait_alu 0xfffe
	s_or_b32 exec_lo, exec_lo, s15
	s_delay_alu instid0(SALU_CYCLE_1)
	s_and_b32 s12, s12, exec_lo
	s_and_not1_b32 s17, s17, exec_lo
	s_and_not1_b32 s16, s16, exec_lo
	s_or_not1_b32 s14, s14, exec_lo
.LBB105_9:                              ;   in Loop: Header=BB105_11 Depth=1
	s_wait_alu 0xfffe
	s_or_b32 exec_lo, exec_lo, s11
	s_delay_alu instid0(SALU_CYCLE_1)
	s_and_not1_b32 s11, s76, exec_lo
	s_and_b32 s12, s12, exec_lo
	s_and_not1_b32 s15, s77, exec_lo
	s_wait_alu 0xfffe
	s_or_b32 s76, s11, s12
	s_and_not1_b32 s11, s79, exec_lo
	s_and_b32 s12, s17, exec_lo
	s_and_b32 s16, s16, exec_lo
	s_wait_alu 0xfffe
	s_or_b32 s79, s11, s12
	s_or_b32 s77, s15, s16
	s_or_not1_b32 s15, s14, exec_lo
.LBB105_10:                             ;   in Loop: Header=BB105_11 Depth=1
	s_wait_alu 0xfffe
	s_or_b32 exec_lo, exec_lo, s13
	s_delay_alu instid0(SALU_CYCLE_1)
	s_and_b32 s11, exec_lo, s15
	v_mov_b32_e32 v34, v2
	s_wait_alu 0xfffe
	s_or_b32 s74, s11, s74
	s_and_not1_b32 s11, s75, exec_lo
	s_and_b32 s12, s76, exec_lo
	s_and_not1_b32 s13, s80, exec_lo
	s_wait_alu 0xfffe
	s_or_b32 s75, s11, s12
	s_and_b32 s11, s79, exec_lo
	s_and_not1_b32 s12, s78, exec_lo
	s_and_b32 s14, s77, exec_lo
	s_wait_alu 0xfffe
	s_or_b32 s80, s13, s11
	s_or_b32 s78, s12, s14
	s_mov_b32 s81, s22
	s_and_not1_b32 exec_lo, exec_lo, s74
	s_cbranch_execz .LBB105_246
.LBB105_11:                             ; =>This Loop Header: Depth=1
                                        ;     Child Loop BB105_16 Depth 2
                                        ;     Child Loop BB105_37 Depth 2
	;; [unrolled: 1-line block ×18, first 2 shown]
	ds_load_b64 v[1:2], v7 offset:4104
	s_wait_dscnt 0x0
	v_readfirstlane_b32 s52, v1
	s_cmp_lg_u32 s52, 0
	s_cbranch_scc1 .LBB105_56
; %bb.12:                               ;   in Loop: Header=BB105_11 Depth=1
	s_and_b32 vcc_lo, exec_lo, s62
	s_wait_alu 0xfffe
	s_cbranch_vccz .LBB105_24
; %bb.13:                               ;   in Loop: Header=BB105_11 Depth=1
	v_cmp_gt_u32_e32 vcc_lo, 0x601, v2
	s_mov_b32 s13, 0
	s_mov_b32 s11, 0
	s_cbranch_vccz .LBB105_25
; %bb.14:                               ;   in Loop: Header=BB105_11 Depth=1
	global_load_u16 v1, v[8:9], off
	s_load_u16 s14, s[58:59], 0x0
	s_mov_b32 s15, 0
	s_wait_kmcnt 0x0
	v_add_nc_u32_e32 v2, s14, v0
	s_mul_i32 s16, s38, s14
	s_delay_alu instid0(VALU_DEP_1)
	v_mul_lo_u32 v6, s38, v2
	v_mov_b32_e32 v2, v0
	s_branch .LBB105_16
.LBB105_15:                             ;   in Loop: Header=BB105_16 Depth=2
	s_wait_alu 0xfffe
	s_or_b32 exec_lo, exec_lo, s12
	v_dual_mov_b32 v1, v3 :: v_dual_add_nc_u32 v6, s16, v6
	s_and_not1_b32 exec_lo, exec_lo, s15
	s_cbranch_execz .LBB105_31
.LBB105_16:                             ;   Parent Loop BB105_11 Depth=1
                                        ; =>  This Inner Loop Header: Depth=2
	s_delay_alu instid0(VALU_DEP_1) | instskip(SKIP_3) | instid1(VALU_DEP_2)
	v_dual_mov_b32 v3, 0 :: v_dual_add_nc_u32 v2, s14, v2
	s_wait_dscnt 0x0
	v_mov_b32_e32 v4, 0
	s_mov_b32 s12, exec_lo
	v_cmp_le_u32_e32 vcc_lo, s36, v2
	v_cmpx_gt_u32_e64 s36, v2
	s_cbranch_execz .LBB105_18
; %bb.17:                               ;   in Loop: Header=BB105_16 Depth=2
	v_lshlrev_b64_e32 v[35:36], 1, v[6:7]
	s_delay_alu instid0(VALU_DEP_1) | instskip(SKIP_1) | instid1(VALU_DEP_2)
	v_add_co_u32 v35, s11, s44, v35
	s_wait_alu 0xf1ff
	v_add_co_ci_u32_e64 v36, null, s45, v36, s11
	global_load_u16 v3, v[35:36], off
.LBB105_18:                             ;   in Loop: Header=BB105_16 Depth=2
	s_wait_alu 0xfffe
	s_or_b32 exec_lo, exec_lo, s12
	s_wait_loadcnt 0x0
	v_bfe_i32 v35, v1, 0, 16
	s_delay_alu instid0(VALU_DEP_1) | instskip(NEXT) | instid1(VALU_DEP_1)
	v_add_nc_u32_e32 v35, 0x8000, v35
	v_and_b32_e32 v35, v35, v32
	s_delay_alu instid0(VALU_DEP_1)
	v_cmp_eq_u32_e64 s11, v35, v13
	s_cmp_lg_u32 s11, 0
	s_cselect_b32 s12, -1, 0
	s_wait_alu 0xfffe
	s_and_b32 s12, s1, s12
	s_wait_alu 0xfffe
	s_and_saveexec_b32 s17, s12
	s_cbranch_execz .LBB105_22
; %bb.19:                               ;   in Loop: Header=BB105_16 Depth=2
	s_mov_b32 s20, exec_lo
	s_bcnt1_i32_b32 s18, s11
	s_wait_alu 0xfffe
	v_mbcnt_lo_u32_b32 v4, s20, 0
	s_mov_b32 s19, exec_lo
                                        ; implicit-def: $vgpr35
	s_delay_alu instid0(VALU_DEP_1)
	v_cmpx_eq_u32_e32 0, v4
; %bb.20:                               ;   in Loop: Header=BB105_16 Depth=2
	s_bcnt1_i32_b32 s12, s20
	s_wait_alu 0xfffe
	s_mul_i32 s12, s18, s12
	s_wait_alu 0xfffe
	v_mov_b32_e32 v35, s12
	ds_add_rtn_u32 v35, v7, v35 offset:4112
; %bb.21:                               ;   in Loop: Header=BB105_16 Depth=2
	s_or_b32 exec_lo, exec_lo, s19
	s_wait_dscnt 0x0
	v_readfirstlane_b32 s12, v35
	s_wait_alu 0xf1ff
	s_delay_alu instid0(VALU_DEP_1)
	v_mad_u32_u24 v4, s18, v4, s12
.LBB105_22:                             ;   in Loop: Header=BB105_16 Depth=2
	s_wait_alu 0xfffe
	s_or_b32 exec_lo, exec_lo, s17
	ds_bpermute_b32 v4, v7, v4
	s_and_b32 s12, exec_lo, vcc_lo
	s_wait_alu 0xfffe
	s_or_b32 s15, s12, s15
	s_and_saveexec_b32 s12, s11
	s_cbranch_execz .LBB105_15
; %bb.23:                               ;   in Loop: Header=BB105_16 Depth=2
	v_and_b32_e32 v35, s11, v18
	s_delay_alu instid0(VALU_DEP_1) | instskip(NEXT) | instid1(VALU_DEP_1)
	v_bcnt_u32_b32 v35, v35, 0
	v_lshlrev_b32_e32 v35, 1, v35
	s_wait_dscnt 0x0
	s_delay_alu instid0(VALU_DEP_1)
	v_lshl_add_u32 v4, v4, 1, v35
	ds_store_b16 v4, v1
	s_branch .LBB105_15
.LBB105_24:                             ;   in Loop: Header=BB105_11 Depth=1
	s_mov_b32 s13, -1
	s_mov_b32 s11, 0
.LBB105_25:                             ;   in Loop: Header=BB105_11 Depth=1
	s_wait_alu 0xfffe
	s_and_b32 vcc_lo, exec_lo, s13
	s_wait_alu 0xfffe
	s_cbranch_vccz .LBB105_54
.LBB105_26:                             ;   in Loop: Header=BB105_11 Depth=1
	s_and_saveexec_b32 s12, s0
	s_cbranch_execz .LBB105_51
; %bb.27:                               ;   in Loop: Header=BB105_11 Depth=1
	global_load_u16 v35, v[8:9], off
	s_load_u16 s14, s[58:59], 0x0
	v_mov_b32_e32 v3, v0
	s_mov_b32 s13, exec_lo
	s_wait_kmcnt 0x0
	v_add_nc_u32_e32 v1, s14, v0
	s_delay_alu instid0(VALU_DEP_1)
	v_cmpx_gt_u32_e64 s36, v1
	s_cbranch_execz .LBB105_50
; %bb.28:                               ;   in Loop: Header=BB105_11 Depth=1
	s_mov_b32 s11, 0
	s_mul_i32 s15, s38, s14
                                        ; implicit-def: $vgpr3
                                        ; implicit-def: $vgpr36
                                        ; implicit-def: $vgpr2
                                        ; implicit-def: $vgpr4
	s_and_saveexec_b32 s16, s4
	s_wait_alu 0xfffe
	s_xor_b32 s16, exec_lo, s16
	s_cbranch_execnz .LBB105_34
; %bb.29:                               ;   in Loop: Header=BB105_11 Depth=1
	s_wait_alu 0xfffe
	s_and_not1_saveexec_b32 s16, s16
	s_cbranch_execnz .LBB105_45
.LBB105_30:                             ;   in Loop: Header=BB105_11 Depth=1
	s_wait_alu 0xfffe
	s_or_b32 exec_lo, exec_lo, s16
	s_and_saveexec_b32 s15, s11
	s_cbranch_execnz .LBB105_46
	s_branch .LBB105_49
.LBB105_31:                             ;   in Loop: Header=BB105_11 Depth=1
	s_or_b32 exec_lo, exec_lo, s15
	s_wait_dscnt 0x0
	s_barrier_signal -1
	s_barrier_wait -1
	global_inv scope:SCOPE_SE
	s_and_saveexec_b32 s11, s2
	s_cbranch_execz .LBB105_33
; %bb.32:                               ;   in Loop: Header=BB105_11 Depth=1
	ds_load_b32 v1, v7 offset:4112
	s_wait_dscnt 0x0
	ds_store_b32 v7, v1 offset:4104
.LBB105_33:                             ;   in Loop: Header=BB105_11 Depth=1
	s_wait_alu 0xfffe
	s_or_b32 exec_lo, exec_lo, s11
	s_wait_loadcnt_dscnt 0x0
	s_barrier_signal -1
	s_mov_b32 s11, -1
	s_barrier_wait -1
	s_and_b32 vcc_lo, exec_lo, s13
	s_wait_alu 0xfffe
	s_cbranch_vccnz .LBB105_26
	s_branch .LBB105_54
.LBB105_34:                             ;   in Loop: Header=BB105_11 Depth=1
	v_add_nc_u32_e32 v2, s14, v1
	s_cvt_f32_u32 s11, s14
	s_wait_alu 0xfffe
	s_delay_alu instid0(SALU_CYCLE_2) | instskip(NEXT) | instid1(VALU_DEP_1)
	v_rcp_iflag_f32_e32 v3, s11
	v_max_u32_e32 v2, s36, v2
	s_lshl_b32 s11, s14, 1
	s_delay_alu instid0(VALU_DEP_1) | instskip(NEXT) | instid1(TRANS32_DEP_1)
	v_sub_nc_u32_e32 v2, v2, v0
	v_readfirstlane_b32 s17, v3
	s_wait_alu 0xfffe
	s_delay_alu instid0(VALU_DEP_2) | instskip(SKIP_3) | instid1(VALU_DEP_1)
	v_cmp_ne_u32_e32 vcc_lo, s11, v2
	s_mul_f32 s17, s17, 0x4f7ffffe
	s_wait_alu 0xfffd
	v_cndmask_b32_e64 v3, 0, 1, vcc_lo
	v_or_b32_e32 v3, s11, v3
	s_wait_alu 0xfffe
	s_cvt_u32_f32 s11, s17
	s_sub_co_i32 s17, 0, s14
	s_wait_alu 0xfffe
	s_delay_alu instid0(SALU_CYCLE_1)
	s_mul_i32 s17, s17, s11
	v_sub_nc_u32_e32 v2, v2, v3
	s_wait_alu 0xfffe
	s_mul_hi_u32 s17, s11, s17
	s_wait_alu 0xfffe
	s_add_co_i32 s11, s11, s17
	s_not_b32 s17, s15
	s_wait_alu 0xfffe
	v_mul_hi_u32 v3, v2, s11
	s_delay_alu instid0(VALU_DEP_1) | instskip(NEXT) | instid1(VALU_DEP_1)
	v_mul_lo_u32 v4, v3, s14
	v_sub_nc_u32_e32 v2, v2, v4
	v_add_nc_u32_e32 v4, 1, v3
	s_delay_alu instid0(VALU_DEP_2) | instskip(SKIP_2) | instid1(VALU_DEP_1)
	v_subrev_nc_u32_e32 v6, s14, v2
	v_cmp_le_u32_e64 s11, s14, v2
	s_wait_alu 0xf1ff
	v_cndmask_b32_e64 v3, v3, v4, s11
	s_delay_alu instid0(VALU_DEP_3) | instskip(NEXT) | instid1(VALU_DEP_2)
	v_cndmask_b32_e64 v2, v2, v6, s11
	v_add_nc_u32_e32 v4, 1, v3
	s_delay_alu instid0(VALU_DEP_2) | instskip(SKIP_1) | instid1(VALU_DEP_1)
	v_cmp_le_u32_e64 s11, s14, v2
	s_wait_alu 0xf1ff
	v_cndmask_b32_e64 v2, v3, v4, s11
	v_mul_lo_u32 v3, s38, v1
	s_abs_i32 s11, s15
	s_delay_alu instid0(VALU_DEP_2) | instskip(SKIP_1) | instid1(VALU_DEP_1)
	v_add_co_ci_u32_e64 v2, null, 0, v2, vcc_lo
	s_wait_alu 0xfffe
	v_mul_hi_u32 v4, s11, v2
	v_mul_lo_u32 v2, s11, v2
	s_ashr_i32 s11, s17, 31
	s_cmp_eq_u32 s14, 1
	s_wait_alu 0xfffe
	v_xor_b32_e32 v3, s11, v3
	s_cselect_b32 s17, -1, 0
	s_delay_alu instid0(VALU_DEP_3) | instskip(NEXT) | instid1(VALU_DEP_2)
	v_cmp_eq_u32_e32 vcc_lo, 0, v4
	v_cmp_le_u32_e64 s11, v2, v3
	v_mov_b32_e32 v2, v0
                                        ; implicit-def: $vgpr3
	s_wait_alu 0xfffe
	s_and_b32 s17, vcc_lo, s17
	s_wait_alu 0xfffe
	s_and_b32 s18, s17, s11
	s_mov_b32 s17, -1
	s_wait_alu 0xfffe
	s_and_saveexec_b32 s11, s18
	s_cbranch_execz .LBB105_44
; %bb.35:                               ;   in Loop: Header=BB105_11 Depth=1
	v_add_nc_u32_e32 v2, 1, v1
	s_wait_loadcnt 0x0
	v_lshlrev_b32_e32 v38, 16, v35
	v_mov_b32_e32 v6, 0
                                        ; implicit-def: $vgpr35
	s_delay_alu instid0(VALU_DEP_3)
	v_dual_mov_b32 v4, v2 :: v_dual_mov_b32 v3, v1
	s_and_saveexec_b32 s17, s5
	s_cbranch_execz .LBB105_39
; %bb.36:                               ;   in Loop: Header=BB105_11 Depth=1
	v_dual_mov_b32 v36, v23 :: v_dual_mov_b32 v37, v16
	v_dual_mov_b32 v4, v2 :: v_dual_mov_b32 v3, v1
	s_mov_b32 s18, 0
	s_mov_b32 s19, 0
.LBB105_37:                             ;   Parent Loop BB105_11 Depth=1
                                        ; =>  This Inner Loop Header: Depth=2
	s_delay_alu instid0(VALU_DEP_1) | instskip(NEXT) | instid1(VALU_DEP_2)
	v_dual_mov_b32 v41, v7 :: v_dual_add_nc_u32 v2, 2, v4
	v_mul_lo_u32 v6, v3, s38
	s_wait_alu 0xfffe
	s_add_co_i32 s19, s19, 16
	v_add_nc_u32_e32 v35, 4, v4
	v_mul_lo_u32 v40, v4, s39
	v_lshrrev_b32_e32 v39, 16, v38
	v_dual_mov_b32 v43, v7 :: v_dual_add_nc_u32 v38, 6, v4
	v_mul_lo_u32 v42, v2, s39
	v_dual_mov_b32 v45, v7 :: v_dual_add_nc_u32 v48, 8, v4
	v_mul_lo_u32 v44, v35, s39
	;; [unrolled: 2-line block ×3, first 2 shown]
	v_lshlrev_b64_e32 v[52:53], 1, v[6:7]
	v_mul_lo_u32 v48, v48, s39
	v_lshlrev_b64_e32 v[40:41], 1, v[40:41]
	v_mul_lo_u32 v50, v50, s39
	v_lshlrev_b64_e32 v[42:43], 1, v[42:43]
	v_dual_mov_b32 v49, v7 :: v_dual_add_nc_u32 v2, 2, v3
	v_lshlrev_b64_e32 v[44:45], 1, v[44:45]
	v_add_co_u32 v52, vcc_lo, s44, v52
	v_dual_mov_b32 v51, v7 :: v_dual_add_nc_u32 v38, 6, v3
	v_lshlrev_b64_e32 v[46:47], 1, v[46:47]
	s_wait_alu 0xfffd
	v_add_co_ci_u32_e64 v53, null, s45, v53, vcc_lo
	v_add_co_u32 v40, vcc_lo, s44, v40
	v_lshlrev_b64_e32 v[48:49], 1, v[48:49]
	s_wait_alu 0xfffd
	v_add_co_ci_u32_e64 v41, null, s45, v41, vcc_lo
	v_add_co_u32 v42, vcc_lo, s44, v42
	;; [unrolled: 4-line block ×3, first 2 shown]
	s_wait_alu 0xfffd
	v_add_co_ci_u32_e64 v45, null, s45, v45, vcc_lo
	v_add_co_u32 v46, vcc_lo, s44, v46
	s_wait_alu 0xfffd
	v_add_co_ci_u32_e64 v47, null, s45, v47, vcc_lo
	v_add_co_u32 v48, vcc_lo, s44, v48
	;; [unrolled: 3-line block ×3, first 2 shown]
	s_wait_alu 0xfffd
	v_add_co_ci_u32_e64 v51, null, s45, v51, vcc_lo
	s_clause 0x6
	global_load_d16_hi_b16 v39, v[52:53], off
	global_load_u16 v40, v[40:41], off
	global_load_u16 v41, v[42:43], off
	;; [unrolled: 1-line block ×6, first 2 shown]
	v_add_nc_u32_e32 v6, 12, v4
	v_add_nc_u32_e32 v48, 14, v4
	;; [unrolled: 1-line block ×3, first 2 shown]
	v_dual_mov_b32 v47, v7 :: v_dual_add_nc_u32 v54, 8, v3
	s_delay_alu instid0(VALU_DEP_4)
	v_mul_lo_u32 v46, v6, s39
	v_mul_lo_u32 v6, v2, s38
	;; [unrolled: 1-line block ×3, first 2 shown]
	v_dual_mov_b32 v49, v7 :: v_dual_add_nc_u32 v56, 10, v3
	v_add_nc_u32_e32 v58, 12, v3
	v_add_nc_u32_e32 v60, 14, v3
	v_add_nc_u32_e32 v36, -8, v36
	v_lshlrev_b64_e32 v[46:47], 1, v[46:47]
	v_lshlrev_b64_e32 v[50:51], 1, v[6:7]
	v_mul_lo_u32 v6, v35, s38
	v_lshlrev_b64_e32 v[48:49], 1, v[48:49]
	v_add_nc_u32_e32 v4, 16, v4
	v_add_nc_u32_e32 v3, 16, v3
	v_add_co_u32 v46, vcc_lo, s44, v46
	s_wait_alu 0xfffd
	v_add_co_ci_u32_e64 v47, null, s45, v47, vcc_lo
	v_lshlrev_b64_e32 v[52:53], 1, v[6:7]
	v_mul_lo_u32 v6, v38, s38
	v_add_co_u32 v48, vcc_lo, s44, v48
	s_wait_alu 0xfffd
	v_add_co_ci_u32_e64 v49, null, s45, v49, vcc_lo
	v_add_co_u32 v50, vcc_lo, s44, v50
	s_wait_alu 0xfffd
	v_add_co_ci_u32_e64 v51, null, s45, v51, vcc_lo
	global_load_u16 v2, v[46:47], off
	v_add_co_u32 v46, vcc_lo, s44, v52
	s_wait_alu 0xfffd
	v_add_co_ci_u32_e64 v47, null, s45, v53, vcc_lo
	v_lshlrev_b64_e32 v[52:53], 1, v[6:7]
	v_mul_lo_u32 v6, v54, s38
	s_delay_alu instid0(VALU_DEP_2) | instskip(SKIP_1) | instid1(VALU_DEP_3)
	v_add_co_u32 v52, vcc_lo, s44, v52
	s_wait_alu 0xfffd
	v_add_co_ci_u32_e64 v53, null, s45, v53, vcc_lo
	s_delay_alu instid0(VALU_DEP_3) | instskip(SKIP_1) | instid1(VALU_DEP_2)
	v_lshlrev_b64_e32 v[54:55], 1, v[6:7]
	v_mul_lo_u32 v6, v56, s38
	v_add_co_u32 v54, vcc_lo, s44, v54
	s_wait_alu 0xfffd
	s_delay_alu instid0(VALU_DEP_3) | instskip(NEXT) | instid1(VALU_DEP_3)
	v_add_co_ci_u32_e64 v55, null, s45, v55, vcc_lo
	v_lshlrev_b64_e32 v[56:57], 1, v[6:7]
	v_mul_lo_u32 v6, v58, s38
	s_delay_alu instid0(VALU_DEP_2) | instskip(SKIP_1) | instid1(VALU_DEP_3)
	v_add_co_u32 v56, vcc_lo, s44, v56
	s_wait_alu 0xfffd
	v_add_co_ci_u32_e64 v57, null, s45, v57, vcc_lo
	s_delay_alu instid0(VALU_DEP_3) | instskip(SKIP_1) | instid1(VALU_DEP_2)
	v_lshlrev_b64_e32 v[58:59], 1, v[6:7]
	v_mul_lo_u32 v6, v60, s38
	v_add_co_u32 v58, vcc_lo, s44, v58
	s_wait_alu 0xfffd
	s_delay_alu instid0(VALU_DEP_3) | instskip(NEXT) | instid1(VALU_DEP_3)
	v_add_co_ci_u32_e64 v59, null, s45, v59, vcc_lo
	v_lshlrev_b64_e32 v[60:61], 1, v[6:7]
	s_wait_alu 0xfffe
	v_mov_b32_e32 v6, s19
	s_delay_alu instid0(VALU_DEP_2) | instskip(SKIP_1) | instid1(VALU_DEP_3)
	v_add_co_u32 v60, vcc_lo, s44, v60
	s_wait_alu 0xfffd
	v_add_co_ci_u32_e64 v61, null, s45, v61, vcc_lo
	v_cmp_eq_u32_e32 vcc_lo, 0, v36
	s_wait_loadcnt 0x6
	global_load_d16_hi_b16 v40, v[50:51], off
	s_wait_loadcnt 0x6
	global_load_d16_hi_b16 v41, v[46:47], off
	;; [unrolled: 2-line block ×3, first 2 shown]
	s_wait_loadcnt 0x6
	s_clause 0x1
	global_load_d16_hi_b16 v43, v[54:55], off
	global_load_u16 v38, v[60:61], off
	s_wait_loadcnt 0x7
	global_load_d16_hi_b16 v44, v[56:57], off
	s_wait_loadcnt 0x7
	s_clause 0x1
	global_load_d16_hi_b16 v45, v[58:59], off
	global_load_u16 v35, v[48:49], off
	s_or_b32 s18, vcc_lo, s18
	s_wait_loadcnt 0x3
	v_perm_b32 v46, v38, v2, 0x5040100
	ds_store_b128 v37, v[39:42]
	s_wait_loadcnt 0x1
	ds_store_b128 v37, v[43:46] offset:16
	s_wait_loadcnt 0x0
	v_perm_b32 v38, v35, v38, 0x5040100
	v_add_nc_u32_e32 v37, 32, v37
	s_wait_alu 0xfffe
	s_and_not1_b32 exec_lo, exec_lo, s18
	s_cbranch_execnz .LBB105_37
; %bb.38:                               ;   in Loop: Header=BB105_11 Depth=1
	s_or_b32 exec_lo, exec_lo, s18
.LBB105_39:                             ;   in Loop: Header=BB105_11 Depth=1
	s_wait_alu 0xfffe
	s_or_b32 exec_lo, exec_lo, s17
	s_and_saveexec_b32 s17, s6
	s_cbranch_execz .LBB105_43
; %bb.40:                               ;   in Loop: Header=BB105_11 Depth=1
	v_lshl_add_u32 v2, v6, 1, v16
	v_mov_b32_e32 v36, v24
	s_mov_b32 s18, 0
.LBB105_41:                             ;   Parent Loop BB105_11 Depth=1
                                        ; =>  This Inner Loop Header: Depth=2
	v_mul_lo_u32 v6, v3, s38
	v_mul_lo_u32 v39, v4, s39
	v_dual_mov_b32 v40, v7 :: v_dual_add_nc_u32 v3, 2, v3
	v_add_nc_u32_e32 v36, -4, v36
	v_add_nc_u32_e32 v4, 2, v4
	v_lshlrev_b64_e32 v[41:42], 1, v[6:7]
	s_delay_alu instid0(VALU_DEP_4) | instskip(NEXT) | instid1(VALU_DEP_2)
	v_lshlrev_b64_e32 v[39:40], 1, v[39:40]
	v_add_co_u32 v41, vcc_lo, s44, v41
	s_wait_alu 0xfffd
	s_delay_alu instid0(VALU_DEP_3) | instskip(NEXT) | instid1(VALU_DEP_3)
	v_add_co_ci_u32_e64 v42, null, s45, v42, vcc_lo
	v_add_co_u32 v39, vcc_lo, s44, v39
	s_wait_alu 0xfffd
	v_add_co_ci_u32_e64 v40, null, s45, v40, vcc_lo
	s_clause 0x1
	global_load_u16 v6, v[41:42], off
	global_load_u16 v35, v[39:40], off
	v_cmp_eq_u32_e32 vcc_lo, 0, v36
	s_wait_alu 0xfffe
	s_or_b32 s18, vcc_lo, s18
	s_wait_loadcnt 0x1
	v_alignbit_b32 v37, v6, v38, 16
	s_wait_loadcnt 0x0
	v_perm_b32 v38, v35, v6, 0x5040100
	ds_store_b32 v2, v37
	v_add_nc_u32_e32 v2, 4, v2
	s_wait_alu 0xfffe
	s_and_not1_b32 exec_lo, exec_lo, s18
	s_cbranch_execnz .LBB105_41
; %bb.42:                               ;   in Loop: Header=BB105_11 Depth=1
	s_or_b32 exec_lo, exec_lo, s18
.LBB105_43:                             ;   in Loop: Header=BB105_11 Depth=1
	s_wait_alu 0xfffe
	s_or_b32 exec_lo, exec_lo, s17
	v_add_nc_u32_e32 v1, v1, v20
	s_or_not1_b32 s17, s7, exec_lo
	s_delay_alu instid0(VALU_DEP_1)
	v_dual_mov_b32 v2, v21 :: v_dual_add_nc_u32 v3, -1, v1
.LBB105_44:                             ;   in Loop: Header=BB105_11 Depth=1
	s_wait_alu 0xfffe
	s_or_b32 exec_lo, exec_lo, s11
	v_mov_b32_e32 v4, s15
	s_wait_loadcnt 0x0
	v_mov_b32_e32 v36, v35
	s_and_b32 s11, s17, exec_lo
	s_and_not1_saveexec_b32 s16, s16
	s_cbranch_execz .LBB105_30
.LBB105_45:                             ;   in Loop: Header=BB105_11 Depth=1
	s_wait_alu 0xfffe
	v_mov_b32_e32 v4, s15
	s_wait_loadcnt 0x0
	v_mov_b32_e32 v36, v35
	v_mov_b32_e32 v2, v0
	s_or_b32 s11, s11, exec_lo
	s_or_b32 exec_lo, exec_lo, s16
	s_wait_alu 0xfffe
	s_and_saveexec_b32 s15, s11
	s_cbranch_execz .LBB105_49
.LBB105_46:                             ;   in Loop: Header=BB105_11 Depth=1
	v_mul_lo_u32 v6, s38, v1
	s_mov_b32 s16, 0
	s_sub_co_i32 s11, 0, s14
.LBB105_47:                             ;   Parent Loop BB105_11 Depth=1
                                        ; =>  This Inner Loop Header: Depth=2
	s_delay_alu instid0(VALU_DEP_1) | instskip(SKIP_2) | instid1(VALU_DEP_2)
	v_lshlrev_b64_e32 v[37:38], 1, v[6:7]
	v_dual_mov_b32 v3, v1 :: v_dual_lshlrev_b32 v2, 1, v2
	v_add_nc_u32_e32 v6, v6, v4
	v_add_nc_u32_e32 v1, s14, v3
	s_delay_alu instid0(VALU_DEP_4)
	v_add_co_u32 v37, vcc_lo, s44, v37
	s_wait_alu 0xfffd
	v_add_co_ci_u32_e64 v38, null, s45, v38, vcc_lo
	ds_store_b16 v2, v36
	v_mov_b32_e32 v2, v3
	v_cmp_le_u32_e32 vcc_lo, s36, v1
	s_wait_loadcnt 0x0
	global_load_u16 v35, v[37:38], off
	s_wait_alu 0xfffe
	s_or_b32 s16, vcc_lo, s16
	s_wait_loadcnt 0x0
	v_mov_b32_e32 v36, v35
	s_wait_alu 0xfffe
	s_and_not1_b32 exec_lo, exec_lo, s16
	s_cbranch_execnz .LBB105_47
; %bb.48:                               ;   in Loop: Header=BB105_11 Depth=1
	s_or_b32 exec_lo, exec_lo, s16
	v_add_nc_u32_e32 v3, s11, v1
.LBB105_49:                             ;   in Loop: Header=BB105_11 Depth=1
	s_wait_alu 0xfffe
	s_or_b32 exec_lo, exec_lo, s15
.LBB105_50:                             ;   in Loop: Header=BB105_11 Depth=1
	s_wait_alu 0xfffe
	s_or_b32 exec_lo, exec_lo, s13
	v_lshlrev_b32_e32 v1, 1, v3
	s_wait_loadcnt 0x0
	ds_store_b16 v1, v35
.LBB105_51:                             ;   in Loop: Header=BB105_11 Depth=1
	s_wait_alu 0xfffe
	s_or_b32 exec_lo, exec_lo, s12
	s_wait_loadcnt_dscnt 0x0
	s_barrier_signal -1
	s_barrier_wait -1
	global_inv scope:SCOPE_SE
	s_and_saveexec_b32 s11, s2
; %bb.52:                               ;   in Loop: Header=BB105_11 Depth=1
	v_mov_b32_e32 v1, s36
	ds_store_b32 v7, v1 offset:4104
; %bb.53:                               ;   in Loop: Header=BB105_11 Depth=1
	s_wait_alu 0xfffe
	s_or_b32 exec_lo, exec_lo, s11
	s_mov_b32 s11, -1
	s_wait_loadcnt_dscnt 0x0
	s_barrier_signal -1
	s_barrier_wait -1
.LBB105_54:                             ;   in Loop: Header=BB105_11 Depth=1
	s_wait_alu 0xfffe
	s_and_b32 vcc_lo, exec_lo, s11
	s_mov_b32 s52, 0
	s_wait_alu 0xfffe
	s_cbranch_vccz .LBB105_56
; %bb.55:                               ;   in Loop: Header=BB105_11 Depth=1
	s_wait_loadcnt 0x0
	global_inv scope:SCOPE_SE
	ds_load_b32 v1, v7 offset:4104
	s_wait_dscnt 0x0
	v_readfirstlane_b32 s52, v1
.LBB105_56:                             ;   in Loop: Header=BB105_11 Depth=1
	s_delay_alu instid0(VALU_DEP_1)
	s_cmp_lt_i32 s52, 1
	s_mov_b32 s11, -1
                                        ; implicit-def: $vgpr1
	s_cbranch_scc1 .LBB105_66
; %bb.57:                               ;   in Loop: Header=BB105_11 Depth=1
	s_wait_alu 0xfffe
	s_and_b32 vcc_lo, exec_lo, s11
	s_wait_alu 0xfffe
	s_cbranch_vccnz .LBB105_77
.LBB105_58:                             ;   in Loop: Header=BB105_11 Depth=1
	v_lshlrev_b32_e32 v6, 7, v31
	s_and_saveexec_b32 s11, s1
.LBB105_59:                             ;   in Loop: Header=BB105_11 Depth=1
	s_delay_alu instid0(VALU_DEP_1)
	v_lshl_add_u32 v35, v6, 2, v19
	ds_store_b128 v35, v[1:4]
.LBB105_60:                             ;   in Loop: Header=BB105_11 Depth=1
	s_wait_alu 0xfffe
	s_or_b32 exec_lo, exec_lo, s11
	s_wait_loadcnt_dscnt 0x0
	s_barrier_signal -1
	s_barrier_wait -1
	global_inv scope:SCOPE_SE
	s_and_saveexec_b32 s11, s50
	s_cbranch_execz .LBB105_90
; %bb.61:                               ;   in Loop: Header=BB105_11 Depth=1
	v_mov_b32_e32 v1, 0
	s_and_not1_b32 vcc_lo, exec_lo, s64
	s_wait_alu 0xfffe
	s_cbranch_vccnz .LBB105_89
; %bb.62:                               ;   in Loop: Header=BB105_11 Depth=1
	s_and_not1_b32 vcc_lo, exec_lo, s66
	s_wait_alu 0xfffe
	s_cbranch_vccnz .LBB105_86
; %bb.63:                               ;   in Loop: Header=BB105_11 Depth=1
	v_lshl_add_u32 v2, v31, 9, v30
	v_mov_b32_e32 v1, 0
	s_mov_b32 s12, 0
.LBB105_64:                             ;   Parent Loop BB105_11 Depth=1
                                        ; =>  This Inner Loop Header: Depth=2
	ds_load_2addr_b32 v[3:4], v2 offset1:4
	ds_load_2addr_b32 v[35:36], v2 offset0:8 offset1:12
	ds_load_2addr_b32 v[37:38], v2 offset0:16 offset1:20
	;; [unrolled: 1-line block ×3, first 2 shown]
	v_add_nc_u32_e32 v2, 0x80, v2
	s_wait_alu 0xfffe
	s_add_co_i32 s12, s12, 8
	s_wait_alu 0xfffe
	s_cmp_eq_u32 s67, s12
	s_wait_dscnt 0x3
	v_add3_u32 v1, v3, v1, v4
	s_wait_dscnt 0x2
	s_delay_alu instid0(VALU_DEP_1) | instskip(SKIP_1) | instid1(VALU_DEP_1)
	v_add3_u32 v1, v35, v1, v36
	s_wait_dscnt 0x1
	v_add3_u32 v1, v37, v1, v38
	s_wait_dscnt 0x0
	s_delay_alu instid0(VALU_DEP_1)
	v_add3_u32 v1, v39, v1, v40
	s_cbranch_scc0 .LBB105_64
; %bb.65:                               ;   in Loop: Header=BB105_11 Depth=1
	s_mov_b32 s12, s67
	s_and_not1_b32 vcc_lo, exec_lo, s68
	s_wait_alu 0xfffe
	s_cbranch_vccz .LBB105_87
	s_branch .LBB105_89
.LBB105_66:                             ;   in Loop: Header=BB105_11 Depth=1
	v_dual_mov_b32 v1, 0 :: v_dual_mov_b32 v2, 0
	v_dual_mov_b32 v3, 0 :: v_dual_mov_b32 v4, 0
	s_and_saveexec_b32 s22, s8
	s_cbranch_execz .LBB105_70
; %bb.67:                               ;   in Loop: Header=BB105_11 Depth=1
	v_mov_b32_e32 v35, v15
	s_mov_b32 s23, 0
	s_mov_b32 s24, 0
	;; [unrolled: 1-line block ×6, first 2 shown]
.LBB105_68:                             ;   Parent Loop BB105_11 Depth=1
                                        ; =>  This Inner Loop Header: Depth=2
	s_wait_alu 0xfffe
	v_add_nc_u32_e32 v6, s24, v27
	s_delay_alu instid0(VALU_DEP_1) | instskip(SKIP_1) | instid1(VALU_DEP_1)
	v_lshlrev_b64_e32 v[1:2], 1, v[6:7]
	v_add_nc_u32_e32 v6, s24, v12
	v_lshlrev_b64_e32 v[3:4], 1, v[6:7]
	v_add_nc_u32_e32 v6, s24, v25
	s_delay_alu instid0(VALU_DEP_4) | instskip(SKIP_2) | instid1(VALU_DEP_3)
	v_add_co_u32 v1, vcc_lo, s44, v1
	s_wait_alu 0xfffd
	v_add_co_ci_u32_e64 v2, null, s45, v2, vcc_lo
	v_lshlrev_b64_e32 v[36:37], 1, v[6:7]
	v_add_nc_u32_e32 v6, s24, v26
	s_add_co_i32 s24, s24, s71
	global_load_i16 v38, v[1:2], off
	v_add_co_u32 v1, vcc_lo, s44, v3
	s_wait_alu 0xfffd
	v_add_co_ci_u32_e64 v2, null, s45, v4, vcc_lo
	v_add_co_u32 v36, vcc_lo, s44, v36
	s_wait_alu 0xfffd
	v_add_co_ci_u32_e64 v37, null, s45, v37, vcc_lo
	v_lshlrev_b64_e32 v[3:4], 1, v[6:7]
	s_clause 0x1
	global_load_i16 v6, v[1:2], off
	global_load_i16 v36, v[36:37], off
	v_add_co_u32 v1, vcc_lo, s44, v3
	s_wait_alu 0xfffd
	v_add_co_ci_u32_e64 v2, null, s45, v4, vcc_lo
	global_load_i16 v1, v[1:2], off
	s_wait_loadcnt 0x3
	v_add_nc_u32_e32 v2, 0x8000, v38
	s_delay_alu instid0(VALU_DEP_1)
	v_and_b32_e32 v3, v2, v32
	v_bfe_u32 v2, v2, s81, 2
	s_wait_loadcnt 0x2
	v_add_nc_u32_e32 v4, 0x8000, v6
	s_wait_loadcnt 0x1
	v_add_nc_u32_e32 v6, 0x8000, v36
	v_cmp_eq_u32_e64 s11, v3, v13
	v_cmp_eq_u32_e64 s12, 0, v2
	;; [unrolled: 1-line block ×3, first 2 shown]
	v_and_b32_e32 v3, v4, v32
	v_bfe_u32 v4, v4, s81, 2
	v_cmp_eq_u32_e64 s14, 2, v2
	v_cmp_eq_u32_e64 s15, 3, v2
	v_and_b32_e32 v2, v6, v32
	v_cmp_eq_u32_e64 s16, v3, v13
	v_bfe_u32 v3, v6, s81, 2
	s_and_b32 s12, s11, s12
	s_wait_loadcnt 0x0
	v_add_nc_u32_e32 v1, 0x8000, v1
	v_cmp_eq_u32_e64 s17, 0, v4
	s_wait_alu 0xfffe
	v_cndmask_b32_e64 v6, 0, 1, s12
	v_cmp_eq_u32_e64 s12, 1, v4
	s_and_b32 s13, s11, s13
	s_and_b32 s14, s11, s14
	;; [unrolled: 1-line block ×3, first 2 shown]
	s_wait_alu 0xfffe
	v_cndmask_b32_e64 v36, 0, 1, s13
	v_cmp_eq_u32_e64 s13, 2, v4
	v_cndmask_b32_e64 v37, 0, 1, s14
	v_cmp_eq_u32_e64 s14, 3, v4
	;; [unrolled: 2-line block ×3, first 2 shown]
	v_cmp_eq_u32_e64 s15, 0, v3
	v_and_b32_e32 v2, v1, v32
	v_bfe_u32 v1, v1, s81, 2
	s_and_b32 s17, s16, s17
	s_and_b32 s12, s16, s12
	v_cmp_ne_u32_e64 s18, 0, v6
	s_wait_alu 0xfffe
	v_cndmask_b32_e64 v6, 0, 1, s17
	v_cmp_eq_u32_e64 s17, 1, v3
	v_cmp_ne_u32_e64 s19, 0, v36
	v_cndmask_b32_e64 v36, 0, 1, s12
	v_cmp_eq_u32_e64 s12, 2, v3
	s_and_b32 s13, s16, s13
	s_and_b32 s14, s16, s14
	;; [unrolled: 1-line block ×3, first 2 shown]
	v_cmp_ne_u32_e64 s20, 0, v37
	s_wait_alu 0xfffe
	v_cndmask_b32_e64 v37, 0, 1, s13
	v_cmp_eq_u32_e64 s13, 3, v3
	v_cndmask_b32_e64 v3, 0, 1, s14
	v_cmp_eq_u32_e64 s14, v2, v13
	v_cndmask_b32_e64 v2, 0, 1, s15
	v_cmp_eq_u32_e64 s15, 1, v1
	v_cmp_ne_u32_e64 s21, 0, v4
	v_cmp_eq_u32_e64 s16, 0, v1
	s_and_b32 s17, s11, s17
	s_and_b32 s12, s11, s12
	s_bcnt1_i32_b32 s29, s18
	v_cmp_ne_u32_e64 s18, 0, v6
	s_wait_alu 0xfffe
	v_cndmask_b32_e64 v4, 0, 1, s17
	v_cmp_eq_u32_e64 s17, 2, v1
	v_cndmask_b32_e64 v6, 0, 1, s12
	v_cmp_eq_u32_e64 s12, 3, v1
	s_and_b32 s11, s11, s13
	s_and_b32 s15, s14, s15
	s_bcnt1_i32_b32 s83, s21
	v_cmp_ne_u32_e64 s21, 0, v3
	s_wait_alu 0xfffe
	v_cndmask_b32_e64 v1, 0, 1, s11
	v_cndmask_b32_e64 v3, 0, 1, s15
	s_bcnt1_i32_b32 s30, s19
	v_cmp_ne_u32_e64 s19, 0, v36
	s_and_b32 s13, s14, s16
	v_cmp_ne_u32_e64 s11, 0, v2
	s_wait_alu 0xfffe
	v_cndmask_b32_e64 v2, 0, 1, s13
	v_cmp_ne_u32_e64 s13, 0, v4
	s_and_b32 s16, s14, s17
	s_and_b32 s12, s14, s12
	s_wait_alu 0xfffe
	v_cndmask_b32_e64 v4, 0, 1, s16
	v_cmp_ne_u32_e64 s16, 0, v1
	v_cndmask_b32_e64 v1, 0, 1, s12
	v_cmp_ne_u32_e64 s12, 0, v3
	s_bcnt1_i32_b32 s82, s20
	v_cmp_ne_u32_e64 s20, 0, v37
	s_add_co_i32 s27, s30, s27
	s_add_co_i32 s25, s83, s25
	s_bcnt1_i32_b32 s19, s19
	s_bcnt1_i32_b32 s17, s21
	v_cmp_ne_u32_e64 s15, 0, v6
	s_wait_alu 0xfffe
	s_add_co_i32 s19, s27, s19
	s_add_co_i32 s17, s25, s17
	s_bcnt1_i32_b32 s25, s13
	s_bcnt1_i32_b32 s21, s11
	v_cmp_ne_u32_e64 s11, 0, v2
	v_cmp_ne_u32_e64 s13, 0, v4
	;; [unrolled: 1-line block ×3, first 2 shown]
	s_wait_alu 0xfffe
	s_add_co_i32 s19, s19, s25
	s_bcnt1_i32_b32 s12, s12
	s_add_co_i32 s28, s29, s28
	s_add_co_i32 s26, s82, s26
	s_bcnt1_i32_b32 s18, s18
	s_bcnt1_i32_b32 s20, s20
	s_wait_alu 0xfffe
	s_add_co_i32 s27, s19, s12
	s_wait_alu 0xfffe
	v_dual_mov_b32 v2, s27 :: v_dual_add_nc_u32 v35, s37, v35
	s_add_co_i32 s18, s28, s18
	s_add_co_i32 s20, s26, s20
	s_bcnt1_i32_b32 s15, s15
	s_bcnt1_i32_b32 s16, s16
	s_wait_alu 0xfffe
	s_add_co_i32 s18, s18, s21
	s_add_co_i32 s15, s20, s15
	;; [unrolled: 1-line block ×3, first 2 shown]
	s_bcnt1_i32_b32 s11, s11
	s_bcnt1_i32_b32 s13, s13
	;; [unrolled: 1-line block ×3, first 2 shown]
	v_cmp_le_u32_e32 vcc_lo, s69, v35
	s_wait_alu 0xfffe
	s_add_co_i32 s28, s18, s11
	s_add_co_i32 s26, s15, s13
	s_add_co_i32 s25, s16, s14
	s_wait_alu 0xfffe
	v_mov_b32_e32 v1, s28
	v_dual_mov_b32 v3, s26 :: v_dual_mov_b32 v4, s25
	s_or_b32 s23, vcc_lo, s23
	s_wait_alu 0xfffe
	s_and_not1_b32 exec_lo, exec_lo, s23
	s_cbranch_execnz .LBB105_68
; %bb.69:                               ;   in Loop: Header=BB105_11 Depth=1
	s_or_b32 exec_lo, exec_lo, s23
.LBB105_70:                             ;   in Loop: Header=BB105_11 Depth=1
	s_wait_alu 0xfffe
	s_or_b32 exec_lo, exec_lo, s22
	s_and_saveexec_b32 s15, s9
	s_cbranch_execz .LBB105_76
; %bb.71:                               ;   in Loop: Header=BB105_11 Depth=1
	global_load_u16 v37, v[10:11], off
	v_dual_mov_b32 v6, v28 :: v_dual_mov_b32 v35, v22
	s_mov_b32 s16, 0
	s_branch .LBB105_73
.LBB105_72:                             ;   in Loop: Header=BB105_73 Depth=2
	s_wait_alu 0xfffe
	s_or_b32 exec_lo, exec_lo, s12
	s_wait_loadcnt 0x0
	v_bfe_i32 v37, v37, 0, 16
	s_and_b32 s12, exec_lo, vcc_lo
	v_add_nc_u32_e32 v6, s63, v6
	s_wait_alu 0xfffe
	s_or_b32 s16, s12, s16
	v_add_nc_u32_e32 v37, 0x8000, v37
	s_delay_alu instid0(VALU_DEP_1) | instskip(SKIP_1) | instid1(VALU_DEP_2)
	v_and_b32_e32 v38, v37, v32
	v_bfe_u32 v37, v37, s81, 2
	v_cmp_eq_u32_e32 vcc_lo, v38, v13
	s_delay_alu instid0(VALU_DEP_2)
	v_cmp_eq_u32_e64 s11, 0, v37
	v_cmp_eq_u32_e64 s12, 1, v37
	;; [unrolled: 1-line block ×4, first 2 shown]
	s_and_b32 s11, vcc_lo, s11
	s_wait_alu 0xfffe
	v_cndmask_b32_e64 v37, 0, 1, s11
	s_and_b32 s11, vcc_lo, s12
	s_wait_alu 0xfffe
	v_cndmask_b32_e64 v38, 0, 1, s11
	;; [unrolled: 3-line block ×3, first 2 shown]
	s_and_b32 s11, vcc_lo, s14
	v_cmp_ne_u32_e32 vcc_lo, 0, v37
	s_wait_alu 0xfffe
	v_cndmask_b32_e64 v40, 0, 1, s11
	v_cmp_ne_u32_e64 s11, 0, v38
	v_cmp_ne_u32_e64 s12, 0, v39
	v_mov_b32_e32 v37, v36
	s_bcnt1_i32_b32 s14, vcc_lo
	v_cmp_ne_u32_e64 s13, 0, v40
	s_bcnt1_i32_b32 s11, s11
	s_bcnt1_i32_b32 s12, s12
	s_wait_alu 0xfffe
	v_add_nc_u32_e32 v1, s14, v1
	v_add_nc_u32_e32 v2, s11, v2
	s_bcnt1_i32_b32 s13, s13
	v_add_nc_u32_e32 v3, s12, v3
	s_wait_alu 0xfffe
	v_add_nc_u32_e32 v4, s13, v4
	s_and_not1_b32 exec_lo, exec_lo, s16
	s_cbranch_execz .LBB105_75
.LBB105_73:                             ;   Parent Loop BB105_11 Depth=1
                                        ; =>  This Inner Loop Header: Depth=2
	s_delay_alu instid0(VALU_DEP_1) | instskip(SKIP_1) | instid1(VALU_DEP_1)
	v_dual_mov_b32 v36, 0 :: v_dual_add_nc_u32 v35, s35, v35
	s_mov_b32 s12, exec_lo
	v_cmp_le_u32_e32 vcc_lo, s36, v35
	v_cmpx_gt_u32_e64 s36, v35
	s_cbranch_execz .LBB105_72
; %bb.74:                               ;   in Loop: Header=BB105_73 Depth=2
	v_lshlrev_b64_e32 v[38:39], 1, v[6:7]
	s_delay_alu instid0(VALU_DEP_1) | instskip(SKIP_1) | instid1(VALU_DEP_2)
	v_add_co_u32 v38, s11, s44, v38
	s_wait_alu 0xf1fe
	v_add_co_ci_u32_e64 v39, null, s45, v39, s11
	global_load_u16 v36, v[38:39], off
	s_branch .LBB105_72
.LBB105_75:                             ;   in Loop: Header=BB105_11 Depth=1
	s_or_b32 exec_lo, exec_lo, s16
.LBB105_76:                             ;   in Loop: Header=BB105_11 Depth=1
	s_wait_alu 0xfffe
	s_or_b32 exec_lo, exec_lo, s15
	s_branch .LBB105_58
.LBB105_77:                             ;   in Loop: Header=BB105_11 Depth=1
	s_mul_u64 s[12:13], s[52:53], s[54:55]
	v_dual_mov_b32 v1, 0 :: v_dual_mov_b32 v2, 0
	s_wait_alu 0xfffe
	s_mul_i32 s11, s13, s37
	v_dual_mov_b32 v3, 0 :: v_dual_mov_b32 v4, 0
	s_wait_alu 0xfffe
	s_sub_co_i32 s11, s52, s11
	s_mov_b32 s83, exec_lo
	s_wait_alu 0xfffe
	s_sub_co_i32 s12, s11, s37
	s_cmp_ge_u32 s11, s37
	s_wait_alu 0xfffe
	s_cselect_b32 s11, s12, s11
	s_wait_alu 0xfffe
	s_sub_co_i32 s12, s11, s37
	s_cmp_ge_u32 s11, s37
	s_wait_alu 0xfffe
	s_cselect_b32 s11, s12, s11
	s_wait_alu 0xfffe
	s_sub_co_i32 s82, s52, s11
	s_wait_alu 0xfffe
	v_cmpx_gt_u32_e64 s82, v15
	s_cbranch_execz .LBB105_81
; %bb.78:                               ;   in Loop: Header=BB105_11 Depth=1
	v_dual_mov_b32 v6, v29 :: v_dual_mov_b32 v35, v15
	s_mov_b32 s84, 0
	s_mov_b32 s85, 0
	;; [unrolled: 1-line block ×5, first 2 shown]
.LBB105_79:                             ;   Parent Loop BB105_11 Depth=1
                                        ; =>  This Inner Loop Header: Depth=2
	ds_load_b64 v[1:2], v6
	s_wait_dscnt 0x0
	v_bfe_i32 v3, v1, 0, 16
	v_ashrrev_i32_e32 v1, 16, v1
	v_bfe_i32 v4, v2, 0, 16
	v_ashrrev_i32_e32 v2, 16, v2
	s_delay_alu instid0(VALU_DEP_4) | instskip(NEXT) | instid1(VALU_DEP_4)
	v_add_nc_u32_e32 v3, 0x8000, v3
	v_add_nc_u32_e32 v1, 0x8000, v1
	s_delay_alu instid0(VALU_DEP_4) | instskip(NEXT) | instid1(VALU_DEP_4)
	v_add_nc_u32_e32 v4, 0x8000, v4
	v_add_nc_u32_e32 v2, 0x8000, v2
	s_delay_alu instid0(VALU_DEP_4)
	v_and_b32_e32 v36, v3, v32
	v_bfe_u32 v3, v3, s81, 2
	v_and_b32_e32 v37, v1, v32
	v_bfe_u32 v1, v1, s81, 2
	;; [unrolled: 2-line block ×3, first 2 shown]
	v_cmp_eq_u32_e64 s11, v36, v13
	v_cmp_eq_u32_e64 s15, 0, v3
	v_and_b32_e32 v39, v2, v32
	v_bfe_u32 v2, v2, s81, 2
	v_cmp_eq_u32_e64 s12, v37, v13
	v_cmp_eq_u32_e64 s16, 0, v1
	;; [unrolled: 1-line block ×4, first 2 shown]
	s_and_b32 s15, s11, s15
	v_cmp_eq_u32_e64 s14, v39, v13
	v_cmp_eq_u32_e64 s18, 0, v2
	;; [unrolled: 1-line block ×5, first 2 shown]
	s_wait_alu 0xfffe
	v_cndmask_b32_e64 v1, 0, 1, s15
	s_and_b32 s15, s12, s16
	v_cmp_eq_u32_e64 s19, 1, v3
	v_cmp_eq_u32_e64 s22, 1, v2
	v_cmp_eq_u32_e64 s26, 2, v2
	v_cmp_eq_u32_e64 s30, 3, v2
	s_wait_alu 0xfffe
	v_cndmask_b32_e64 v2, 0, 1, s15
	s_and_b32 s15, s13, s17
	v_cmp_eq_u32_e64 s23, 2, v3
	v_cmp_eq_u32_e64 s27, 3, v3
	s_wait_alu 0xfffe
	v_cndmask_b32_e64 v3, 0, 1, s15
	s_and_b32 s15, s14, s18
	v_cmp_eq_u32_e64 s21, 1, v4
	v_cmp_eq_u32_e64 s25, 2, v4
	;; [unrolled: 1-line block ×3, first 2 shown]
	s_wait_alu 0xfffe
	v_cndmask_b32_e64 v4, 0, 1, s15
	s_and_b32 s15, s11, s19
	s_wait_alu 0xfffe
	v_cndmask_b32_e64 v36, 0, 1, s15
	s_and_b32 s15, s12, s20
	;; [unrolled: 3-line block ×4, first 2 shown]
	v_cmp_ne_u32_e64 s16, 0, v37
	s_wait_alu 0xfffe
	v_cndmask_b32_e64 v39, 0, 1, s15
	s_and_b32 s15, s11, s23
	s_and_b32 s11, s11, s27
	s_wait_alu 0xfffe
	v_cndmask_b32_e64 v40, 0, 1, s15
	s_and_b32 s15, s12, s24
	v_cndmask_b32_e64 v44, 0, 1, s11
	s_and_b32 s11, s12, s28
	s_wait_alu 0xfffe
	v_cndmask_b32_e64 v41, 0, 1, s15
	s_and_b32 s15, s13, s25
	v_cndmask_b32_e64 v45, 0, 1, s11
	;; [unrolled: 5-line block ×3, first 2 shown]
	s_and_b32 s11, s14, s30
	s_wait_alu 0xfffe
	v_cndmask_b32_e64 v43, 0, 1, s15
	v_cndmask_b32_e64 v47, 0, 1, s11
	v_cmp_ne_u32_e64 s11, 0, v1
	v_cmp_ne_u32_e64 s15, 0, v36
	;; [unrolled: 1-line block ×6, first 2 shown]
	s_bcnt1_i32_b32 s11, s11
	s_bcnt1_i32_b32 s15, s15
	v_cmp_ne_u32_e64 s18, 0, v39
	v_cmp_ne_u32_e64 s20, 0, v41
	v_cmp_ne_u32_e64 s24, 0, v45
	s_bcnt1_i32_b32 s12, s12
	s_bcnt1_i32_b32 s16, s16
	s_wait_alu 0xfffe
	s_add_co_i32 s11, s11, s88
	s_add_co_i32 s15, s15, s87
	v_cmp_ne_u32_e64 s13, 0, v3
	v_cmp_ne_u32_e64 s21, 0, v42
	;; [unrolled: 1-line block ×3, first 2 shown]
	s_bcnt1_i32_b32 s17, s17
	s_wait_alu 0xfffe
	s_add_co_i32 s11, s11, s12
	s_add_co_i32 s12, s15, s16
	s_bcnt1_i32_b32 s19, s19
	s_bcnt1_i32_b32 s23, s23
	v_cmp_ne_u32_e64 s14, 0, v4
	v_cmp_ne_u32_e64 s22, 0, v43
	;; [unrolled: 1-line block ×3, first 2 shown]
	s_bcnt1_i32_b32 s18, s18
	s_wait_alu 0xfffe
	s_add_co_i32 s12, s12, s17
	s_bcnt1_i32_b32 s20, s20
	s_bcnt1_i32_b32 s24, s24
	s_add_co_i32 s19, s19, s86
	s_add_co_i32 s23, s23, s85
	s_wait_alu 0xfffe
	s_add_co_i32 s87, s12, s18
	s_wait_alu 0xfffe
	v_dual_mov_b32 v2, s87 :: v_dual_add_nc_u32 v35, s37, v35
	s_bcnt1_i32_b32 s13, s13
	s_bcnt1_i32_b32 s21, s21
	;; [unrolled: 1-line block ×3, first 2 shown]
	s_add_co_i32 s15, s19, s20
	s_add_co_i32 s16, s23, s24
	s_bcnt1_i32_b32 s14, s14
	s_bcnt1_i32_b32 s22, s22
	;; [unrolled: 1-line block ×3, first 2 shown]
	s_wait_alu 0xfffe
	s_add_co_i32 s11, s11, s13
	s_add_co_i32 s13, s15, s21
	;; [unrolled: 1-line block ×3, first 2 shown]
	v_cmp_le_u32_e32 vcc_lo, s82, v35
	s_wait_alu 0xfffe
	s_add_co_i32 s88, s11, s14
	s_add_co_i32 s86, s13, s22
	;; [unrolled: 1-line block ×3, first 2 shown]
	s_wait_alu 0xfffe
	v_dual_mov_b32 v1, s88 :: v_dual_add_nc_u32 v6, s72, v6
	v_dual_mov_b32 v3, s86 :: v_dual_mov_b32 v4, s85
	s_or_b32 s84, vcc_lo, s84
	s_wait_alu 0xfffe
	s_and_not1_b32 exec_lo, exec_lo, s84
	s_cbranch_execnz .LBB105_79
; %bb.80:                               ;   in Loop: Header=BB105_11 Depth=1
	s_or_b32 exec_lo, exec_lo, s84
.LBB105_81:                             ;   in Loop: Header=BB105_11 Depth=1
	s_delay_alu instid0(SALU_CYCLE_1) | instskip(SKIP_2) | instid1(VALU_DEP_1)
	s_or_b32 exec_lo, exec_lo, s83
	v_add_nc_u32_e32 v6, s82, v0
	s_mov_b32 s16, exec_lo
	v_cmpx_gt_u32_e64 s52, v6
	s_cbranch_execz .LBB105_85
; %bb.82:                               ;   in Loop: Header=BB105_11 Depth=1
	v_lshlrev_b32_e32 v35, 1, v6
	s_mov_b32 s17, 0
.LBB105_83:                             ;   Parent Loop BB105_11 Depth=1
                                        ; =>  This Inner Loop Header: Depth=2
	ds_load_i16 v36, v35
	v_add_nc_u32_e32 v6, s35, v6
	v_add_nc_u32_e32 v35, s73, v35
	s_delay_alu instid0(VALU_DEP_2) | instskip(SKIP_2) | instid1(VALU_DEP_1)
	v_cmp_le_u32_e32 vcc_lo, s52, v6
	s_wait_dscnt 0x0
	v_add_nc_u32_e32 v36, 0x8000, v36
	v_and_b32_e32 v37, v36, v32
	v_bfe_u32 v36, v36, s81, 2
	s_delay_alu instid0(VALU_DEP_2) | instskip(NEXT) | instid1(VALU_DEP_2)
	v_cmp_eq_u32_e64 s11, v37, v13
	v_cmp_eq_u32_e64 s12, 0, v36
	;; [unrolled: 1-line block ×5, first 2 shown]
	s_and_b32 s12, s11, s12
	s_wait_alu 0xfffe
	v_cndmask_b32_e64 v36, 0, 1, s12
	s_and_b32 s12, s11, s13
	s_wait_alu 0xfffe
	v_cndmask_b32_e64 v37, 0, 1, s12
	s_and_b32 s12, s11, s14
	s_and_b32 s11, s11, s15
	s_wait_alu 0xfffe
	v_cndmask_b32_e64 v38, 0, 1, s12
	v_cndmask_b32_e64 v39, 0, 1, s11
	v_cmp_ne_u32_e64 s11, 0, v36
	v_cmp_ne_u32_e64 s12, 0, v37
	s_delay_alu instid0(VALU_DEP_4) | instskip(NEXT) | instid1(VALU_DEP_4)
	v_cmp_ne_u32_e64 s13, 0, v38
	v_cmp_ne_u32_e64 s14, 0, v39
	s_bcnt1_i32_b32 s11, s11
	s_bcnt1_i32_b32 s12, s12
	s_wait_alu 0xfffe
	v_add_nc_u32_e32 v1, s11, v1
	s_bcnt1_i32_b32 s13, s13
	s_bcnt1_i32_b32 s14, s14
	v_add_nc_u32_e32 v2, s12, v2
	s_wait_alu 0xfffe
	v_add_nc_u32_e32 v3, s13, v3
	v_add_nc_u32_e32 v4, s14, v4
	s_or_b32 s17, vcc_lo, s17
	s_wait_alu 0xfffe
	s_and_not1_b32 exec_lo, exec_lo, s17
	s_cbranch_execnz .LBB105_83
; %bb.84:                               ;   in Loop: Header=BB105_11 Depth=1
	s_or_b32 exec_lo, exec_lo, s17
.LBB105_85:                             ;   in Loop: Header=BB105_11 Depth=1
	s_wait_alu 0xfffe
	s_or_b32 exec_lo, exec_lo, s16
	v_lshlrev_b32_e32 v6, 7, v31
	s_and_saveexec_b32 s11, s1
	s_cbranch_execnz .LBB105_59
	s_branch .LBB105_60
.LBB105_86:                             ;   in Loop: Header=BB105_11 Depth=1
	v_mov_b32_e32 v1, 0
	s_mov_b32 s12, 0
	s_and_not1_b32 vcc_lo, exec_lo, s68
	s_wait_alu 0xfffe
	s_cbranch_vccnz .LBB105_89
.LBB105_87:                             ;   in Loop: Header=BB105_11 Depth=1
	v_lshlrev_b32_e32 v2, 9, v31
	s_lshl_b32 s12, s12, 4
	s_wait_alu 0xfffe
	s_delay_alu instid0(VALU_DEP_1)
	v_add3_u32 v2, v2, s12, v30
	s_mov_b32 s12, s65
.LBB105_88:                             ;   Parent Loop BB105_11 Depth=1
                                        ; =>  This Inner Loop Header: Depth=2
	ds_load_b32 v3, v2
	v_add_nc_u32_e32 v2, 16, v2
	s_wait_alu 0xfffe
	s_add_co_i32 s12, s12, -1
	s_wait_alu 0xfffe
	s_cmp_lg_u32 s12, 0
	s_wait_dscnt 0x0
	v_add_nc_u32_e32 v1, v3, v1
	s_cbranch_scc1 .LBB105_88
.LBB105_89:                             ;   in Loop: Header=BB105_11 Depth=1
	v_add_lshl_u32 v2, v6, v14, 2
	ds_store_b32 v2, v1 offset:3072
.LBB105_90:                             ;   in Loop: Header=BB105_11 Depth=1
	s_wait_alu 0xfffe
	s_or_b32 exec_lo, exec_lo, s11
	v_lshlrev_b32_e32 v1, 2, v6
	s_wait_loadcnt_dscnt 0x0
	s_barrier_signal -1
	s_barrier_wait -1
	global_inv scope:SCOPE_SE
	ds_load_b128 v[1:4], v1 offset:3072
	s_lshl_b32 s12, 3, s81
	v_cmp_eq_u32_e32 vcc_lo, 1, v34
	s_wait_alu 0xfffe
	s_not_b32 s19, s12
	s_mov_b32 s15, -1
	s_mov_b32 s23, -1
                                        ; implicit-def: $sgpr20
                                        ; implicit-def: $sgpr17
	s_wait_dscnt 0x0
	v_readfirstlane_b32 s14, v1
	v_readfirstlane_b32 s21, v2
	;; [unrolled: 1-line block ×4, first 2 shown]
	s_cmp_eq_u32 s14, 1
	s_cselect_b32 s13, -1, 0
	s_wait_alu 0xfffe
	s_and_b32 s16, s13, vcc_lo
	s_wait_alu 0xfffe
	s_and_saveexec_b32 s13, s16
	s_cbranch_execz .LBB105_116
; %bb.91:                               ;   in Loop: Header=BB105_11 Depth=1
	ds_load_b32 v1, v7 offset:4104
	s_wait_loadcnt_dscnt 0x0
	s_barrier_signal -1
	s_barrier_wait -1
	global_inv scope:SCOPE_SE
	v_readfirstlane_b32 s23, v1
	s_and_saveexec_b32 s17, s3
; %bb.92:                               ;   in Loop: Header=BB105_11 Depth=1
	ds_store_b16 v17, v7
; %bb.93:                               ;   in Loop: Header=BB105_11 Depth=1
	s_wait_alu 0xfffe
	s_or_b32 exec_lo, exec_lo, s17
	v_and_b32_e32 v13, s19, v13
	v_or_b32_e32 v32, s12, v32
	s_mov_b32 s17, -1
	s_mov_b32 s20, 0
	s_cmp_eq_u32 s23, 0
	s_mov_b32 s22, 0
	s_mov_b32 s24, -1
	s_wait_loadcnt_dscnt 0x0
	s_barrier_signal -1
	s_barrier_wait -1
	global_inv scope:SCOPE_SE
                                        ; implicit-def: $vgpr33
	s_cbranch_scc1 .LBB105_104
; %bb.94:                               ;   in Loop: Header=BB105_11 Depth=1
	s_add_co_i32 s52, s23, s61
                                        ; implicit-def: $vgpr33
	s_wait_alu 0xfffe
	s_mul_u64 s[24:25], s[52:53], s[56:57]
	s_wait_alu 0xfffe
	s_mul_i32 s22, s25, s35
	s_mov_b32 s25, exec_lo
	s_wait_alu 0xfffe
	s_sub_co_i32 s22, s52, s22
	s_wait_alu 0xfffe
	s_sub_co_i32 s24, s22, s35
	s_cmp_ge_u32 s22, s35
	s_wait_alu 0xfffe
	s_cselect_b32 s22, s24, s22
	s_wait_alu 0xfffe
	s_sub_co_i32 s24, s22, s35
	s_cmp_ge_u32 s22, s35
	s_wait_alu 0xfffe
	s_cselect_b32 s22, s24, s22
	s_mov_b32 s24, 0
	s_wait_alu 0xfffe
	s_sub_co_i32 s26, s52, s22
	s_mov_b32 s22, 0
	s_wait_alu 0xfffe
	v_cmpx_gt_u32_e64 s26, v0
	s_cbranch_execz .LBB105_103
; %bb.95:                               ;   in Loop: Header=BB105_11 Depth=1
	v_dual_mov_b32 v1, v16 :: v_dual_mov_b32 v2, v0
                                        ; implicit-def: $sgpr27
	s_branch .LBB105_98
.LBB105_96:                             ;   in Loop: Header=BB105_98 Depth=2
	s_wait_alu 0xfffe
	s_or_b32 exec_lo, exec_lo, s28
	s_wait_loadcnt_dscnt 0x0
	s_barrier_signal -1
	s_barrier_wait -1
	global_inv scope:SCOPE_SE
	ds_load_b32 v3, v7 offset:3072
	s_mov_b32 s28, -1
	s_mov_b32 s29, -1
	s_wait_loadcnt_dscnt 0x0
	s_barrier_signal -1
	s_barrier_wait -1
	global_inv scope:SCOPE_SE
	v_and_b32_e32 v4, 0xffff, v3
	s_delay_alu instid0(VALU_DEP_1)
	v_cmp_ne_u32_e32 vcc_lo, 0, v4
	s_cbranch_vccz .LBB105_101
.LBB105_97:                             ;   in Loop: Header=BB105_98 Depth=2
	s_wait_alu 0xfffe
	s_and_b32 s28, exec_lo, s28
	s_wait_alu 0xfffe
	s_or_b32 s22, s28, s22
	s_and_not1_b32 s27, s27, exec_lo
	s_and_b32 s28, s29, exec_lo
	s_wait_alu 0xfffe
	s_or_b32 s27, s27, s28
	s_and_not1_b32 exec_lo, exec_lo, s22
	s_cbranch_execz .LBB105_102
.LBB105_98:                             ;   Parent Loop BB105_11 Depth=1
                                        ; =>  This Inner Loop Header: Depth=2
	s_mov_b32 s28, exec_lo
	s_delay_alu instid0(VALU_DEP_1)
	v_cmpx_gt_u32_e64 s23, v2
	s_cbranch_execz .LBB105_96
; %bb.99:                               ;   in Loop: Header=BB105_98 Depth=2
	ds_load_u16 v3, v1
	s_wait_dscnt 0x0
	v_bfe_i32 v4, v3, 0, 16
	s_delay_alu instid0(VALU_DEP_1) | instskip(NEXT) | instid1(VALU_DEP_1)
	v_add_nc_u32_e32 v4, 0x8000, v4
	v_and_b32_e32 v4, v4, v32
	s_delay_alu instid0(VALU_DEP_1)
	v_cmp_eq_u32_e32 vcc_lo, v4, v13
	s_and_b32 exec_lo, exec_lo, vcc_lo
	s_cbranch_execz .LBB105_96
; %bb.100:                              ;   in Loop: Header=BB105_98 Depth=2
	v_perm_b32 v3, v3, 1, 0x5040100
	ds_store_b32 v7, v3 offset:3072
	s_branch .LBB105_96
.LBB105_101:                            ;   in Loop: Header=BB105_98 Depth=2
	v_add_nc_u32_e32 v2, s35, v2
	v_add_nc_u32_e32 v1, s73, v1
	s_mov_b32 s29, 0
	s_delay_alu instid0(VALU_DEP_2)
	v_cmp_le_u32_e32 vcc_lo, s26, v2
	s_or_not1_b32 s28, vcc_lo, exec_lo
	s_branch .LBB105_97
.LBB105_102:                            ;   in Loop: Header=BB105_11 Depth=1
	s_or_b32 exec_lo, exec_lo, s22
	v_lshrrev_b32_e32 v33, 16, v3
	s_wait_alu 0xfffe
	s_and_b32 s22, s27, exec_lo
.LBB105_103:                            ;   in Loop: Header=BB105_11 Depth=1
	s_or_b32 exec_lo, exec_lo, s25
.LBB105_104:                            ;   in Loop: Header=BB105_11 Depth=1
	s_wait_alu 0xfffe
	s_and_b32 vcc_lo, exec_lo, s24
	s_wait_alu 0xfffe
	s_cbranch_vccz .LBB105_115
; %bb.105:                              ;   in Loop: Header=BB105_11 Depth=1
                                        ; implicit-def: $vgpr33
	s_and_saveexec_b32 s17, s10
	s_cbranch_execz .LBB105_114
; %bb.106:                              ;   in Loop: Header=BB105_11 Depth=1
	v_dual_mov_b32 v6, v5 :: v_dual_mov_b32 v1, v0
	s_mov_b32 s20, 0
                                        ; implicit-def: $sgpr23
	s_branch .LBB105_109
.LBB105_107:                            ;   in Loop: Header=BB105_109 Depth=2
	s_wait_alu 0xfffe
	s_or_b32 exec_lo, exec_lo, s24
	s_wait_loadcnt_dscnt 0x0
	s_barrier_signal -1
	s_barrier_wait -1
	global_inv scope:SCOPE_SE
	ds_load_b32 v2, v7 offset:3072
	s_mov_b32 s24, -1
	s_mov_b32 s25, -1
	s_wait_loadcnt_dscnt 0x0
	s_barrier_signal -1
	s_barrier_wait -1
	global_inv scope:SCOPE_SE
	v_and_b32_e32 v3, 0xffff, v2
	s_delay_alu instid0(VALU_DEP_1)
	v_cmp_ne_u32_e32 vcc_lo, 0, v3
	s_cbranch_vccz .LBB105_112
.LBB105_108:                            ;   in Loop: Header=BB105_109 Depth=2
	s_wait_alu 0xfffe
	s_and_b32 s24, exec_lo, s24
	s_wait_alu 0xfffe
	s_or_b32 s20, s24, s20
	s_and_not1_b32 s23, s23, exec_lo
	s_and_b32 s24, s25, exec_lo
	s_wait_alu 0xfffe
	s_or_b32 s23, s23, s24
	s_and_not1_b32 exec_lo, exec_lo, s20
	s_cbranch_execz .LBB105_113
.LBB105_109:                            ;   Parent Loop BB105_11 Depth=1
                                        ; =>  This Inner Loop Header: Depth=2
	s_mov_b32 s24, exec_lo
	s_delay_alu instid0(VALU_DEP_1)
	v_cmpx_gt_u32_e64 s36, v1
	s_cbranch_execz .LBB105_107
; %bb.110:                              ;   in Loop: Header=BB105_109 Depth=2
	v_lshlrev_b64_e32 v[2:3], 1, v[6:7]
	s_delay_alu instid0(VALU_DEP_1) | instskip(SKIP_1) | instid1(VALU_DEP_2)
	v_add_co_u32 v2, vcc_lo, s44, v2
	s_wait_alu 0xfffd
	v_add_co_ci_u32_e64 v3, null, s45, v3, vcc_lo
	global_load_u16 v2, v[2:3], off
	s_wait_loadcnt 0x0
	v_bfe_i32 v3, v2, 0, 16
	s_delay_alu instid0(VALU_DEP_1) | instskip(NEXT) | instid1(VALU_DEP_1)
	v_add_nc_u32_e32 v3, 0x8000, v3
	v_and_b32_e32 v3, v3, v32
	s_delay_alu instid0(VALU_DEP_1)
	v_cmp_eq_u32_e32 vcc_lo, v3, v13
	s_and_b32 exec_lo, exec_lo, vcc_lo
	s_cbranch_execz .LBB105_107
; %bb.111:                              ;   in Loop: Header=BB105_109 Depth=2
	v_perm_b32 v2, v2, 1, 0x5040100
	ds_store_b32 v7, v2 offset:3072
	s_branch .LBB105_107
.LBB105_112:                            ;   in Loop: Header=BB105_109 Depth=2
	v_add_nc_u32_e32 v1, s35, v1
	v_add_nc_u32_e32 v6, s63, v6
	s_mov_b32 s25, 0
	s_delay_alu instid0(VALU_DEP_2)
	v_cmp_le_u32_e32 vcc_lo, s70, v1
	s_or_not1_b32 s24, vcc_lo, exec_lo
	s_branch .LBB105_108
.LBB105_113:                            ;   in Loop: Header=BB105_11 Depth=1
	s_or_b32 exec_lo, exec_lo, s20
	v_lshrrev_b32_e32 v33, 16, v2
	s_and_not1_b32 s20, s22, exec_lo
	s_wait_alu 0xfffe
	s_and_b32 s22, s23, exec_lo
	s_wait_alu 0xfffe
	s_or_b32 s22, s20, s22
.LBB105_114:                            ;   in Loop: Header=BB105_11 Depth=1
	s_wait_alu 0xfffe
	s_or_b32 exec_lo, exec_lo, s17
	s_mov_b32 s17, 0
	s_mov_b32 s20, -1
.LBB105_115:                            ;   in Loop: Header=BB105_11 Depth=1
	s_or_not1_b32 s23, s22, exec_lo
.LBB105_116:                            ;   in Loop: Header=BB105_11 Depth=1
	s_wait_alu 0xfffe
	s_or_b32 exec_lo, exec_lo, s13
	v_readfirstlane_b32 s22, v0
	s_and_not1_b32 s13, s79, exec_lo
	s_and_b32 s20, s20, exec_lo
	s_and_not1_b32 s24, s77, exec_lo
	s_and_b32 s17, s17, exec_lo
	s_and_not1_b32 s76, s76, exec_lo
	s_wait_alu 0xfffe
	s_or_b32 s79, s13, s20
	s_or_b32 s77, s24, s17
                                        ; implicit-def: $vgpr2
	s_and_saveexec_b32 s13, s23
	s_cbranch_execz .LBB105_10
; %bb.117:                              ;   in Loop: Header=BB105_11 Depth=1
	v_dual_mov_b32 v2, 1 :: v_dual_mov_b32 v1, 1
	s_xor_b32 s16, s16, -1
	s_mov_b32 s22, 0
	s_wait_alu 0xfffe
	s_and_saveexec_b32 s15, s16
	s_cbranch_execz .LBB105_126
; %bb.118:                              ;   in Loop: Header=BB105_11 Depth=1
	s_mov_b32 s16, exec_lo
	v_cmpx_ge_u32_e64 s14, v34
	s_wait_alu 0xfffe
	s_xor_b32 s16, exec_lo, s16
	s_cbranch_execz .LBB105_123
; %bb.119:                              ;   in Loop: Header=BB105_11 Depth=1
	ds_load_b32 v1, v7 offset:4104
	v_and_b32_e32 v13, s19, v13
	v_or_b32_e32 v32, s12, v32
	s_wait_dscnt 0x0
	v_cmp_ne_u32_e32 vcc_lo, 0, v1
	s_cbranch_vccnz .LBB105_123
; %bb.120:                              ;   in Loop: Header=BB105_11 Depth=1
	s_and_saveexec_b32 s17, s2
; %bb.121:                              ;   in Loop: Header=BB105_11 Depth=1
	v_mov_b32_e32 v1, s14
	ds_store_b32 v7, v1 offset:4108
; %bb.122:                              ;   in Loop: Header=BB105_11 Depth=1
	s_wait_alu 0xfffe
	s_or_b32 exec_lo, exec_lo, s17
	s_wait_loadcnt_dscnt 0x0
	s_barrier_signal -1
	s_barrier_wait -1
	global_inv scope:SCOPE_SE
.LBB105_123:                            ;   in Loop: Header=BB105_11 Depth=1
	s_wait_alu 0xfffe
	s_or_saveexec_b32 s16, s16
	v_mov_b32_e32 v1, 8
	s_mov_b32 s17, 0
	s_wait_alu 0xfffe
	s_xor_b32 exec_lo, exec_lo, s16
; %bb.124:                              ;   in Loop: Header=BB105_11 Depth=1
	v_subrev_nc_u32_e32 v34, s14, v34
	v_mov_b32_e32 v1, 0
	s_mov_b32 s17, exec_lo
; %bb.125:                              ;   in Loop: Header=BB105_11 Depth=1
	s_or_b32 exec_lo, exec_lo, s16
	s_delay_alu instid0(VALU_DEP_2)
	v_mov_b32_e32 v2, v34
	s_wait_alu 0xfffe
	s_and_b32 s22, s17, exec_lo
.LBB105_126:                            ;   in Loop: Header=BB105_11 Depth=1
	s_wait_alu 0xfffe
	s_or_b32 exec_lo, exec_lo, s15
	s_mov_b32 s14, -1
	s_mov_b32 s20, -1
                                        ; implicit-def: $sgpr16
                                        ; implicit-def: $sgpr17
	s_and_saveexec_b32 s15, s22
	s_wait_alu 0xfffe
	s_xor_b32 s15, exec_lo, s15
	s_cbranch_execz .LBB105_243
; %bb.127:                              ;   in Loop: Header=BB105_11 Depth=1
	v_cmp_eq_u32_e32 vcc_lo, 1, v2
	s_cmp_eq_u32 s21, 1
	s_mov_b32 s23, -1
	s_cselect_b32 s16, -1, 0
                                        ; implicit-def: $sgpr17
	s_wait_alu 0xfffe
	s_and_b32 s22, s16, vcc_lo
                                        ; implicit-def: $sgpr16
	s_wait_alu 0xfffe
	s_and_saveexec_b32 s20, s22
	s_cbranch_execz .LBB105_153
; %bb.128:                              ;   in Loop: Header=BB105_11 Depth=1
	ds_load_b32 v3, v7 offset:4104
	s_wait_loadcnt_dscnt 0x0
	s_barrier_signal -1
	s_barrier_wait -1
	global_inv scope:SCOPE_SE
	v_readfirstlane_b32 s24, v3
	s_and_saveexec_b32 s16, s3
; %bb.129:                              ;   in Loop: Header=BB105_11 Depth=1
	ds_store_b16 v17, v7
; %bb.130:                              ;   in Loop: Header=BB105_11 Depth=1
	s_wait_alu 0xfffe
	s_or_b32 exec_lo, exec_lo, s16
	s_lshl_b32 s16, 1, s81
	v_or_b32_e32 v32, s12, v32
	s_wait_alu 0xfffe
	v_and_or_b32 v13, v13, s19, s16
	s_mov_b32 s16, -1
	s_mov_b32 s17, 0
	s_cmp_eq_u32 s24, 0
	s_mov_b32 s23, 0
	s_mov_b32 s25, -1
	s_wait_loadcnt_dscnt 0x0
	s_barrier_signal -1
	s_barrier_wait -1
	global_inv scope:SCOPE_SE
                                        ; implicit-def: $vgpr33
	s_cbranch_scc1 .LBB105_141
; %bb.131:                              ;   in Loop: Header=BB105_11 Depth=1
	s_add_co_i32 s52, s24, s61
                                        ; implicit-def: $vgpr33
	s_wait_alu 0xfffe
	s_mul_u64 s[26:27], s[52:53], s[56:57]
	s_mov_b32 s26, exec_lo
	s_wait_alu 0xfffe
	s_mul_i32 s23, s27, s35
	s_wait_alu 0xfffe
	s_sub_co_i32 s23, s52, s23
	s_wait_alu 0xfffe
	s_sub_co_i32 s25, s23, s35
	s_cmp_ge_u32 s23, s35
	s_wait_alu 0xfffe
	s_cselect_b32 s23, s25, s23
	s_wait_alu 0xfffe
	s_sub_co_i32 s25, s23, s35
	s_cmp_ge_u32 s23, s35
	s_wait_alu 0xfffe
	s_cselect_b32 s23, s25, s23
	s_mov_b32 s25, 0
	s_wait_alu 0xfffe
	s_sub_co_i32 s27, s52, s23
	s_mov_b32 s23, 0
	s_wait_alu 0xfffe
	v_cmpx_gt_u32_e64 s27, v0
	s_cbranch_execz .LBB105_140
; %bb.132:                              ;   in Loop: Header=BB105_11 Depth=1
	v_dual_mov_b32 v3, v16 :: v_dual_mov_b32 v4, v0
                                        ; implicit-def: $sgpr28
	s_branch .LBB105_135
.LBB105_133:                            ;   in Loop: Header=BB105_135 Depth=2
	s_wait_alu 0xfffe
	s_or_b32 exec_lo, exec_lo, s29
	s_wait_loadcnt_dscnt 0x0
	s_barrier_signal -1
	s_barrier_wait -1
	global_inv scope:SCOPE_SE
	ds_load_b32 v6, v7 offset:3072
	s_mov_b32 s29, -1
	s_mov_b32 s30, -1
	s_wait_loadcnt_dscnt 0x0
	s_barrier_signal -1
	s_barrier_wait -1
	global_inv scope:SCOPE_SE
	v_and_b32_e32 v33, 0xffff, v6
	s_delay_alu instid0(VALU_DEP_1)
	v_cmp_ne_u32_e32 vcc_lo, 0, v33
	s_cbranch_vccz .LBB105_138
.LBB105_134:                            ;   in Loop: Header=BB105_135 Depth=2
	s_wait_alu 0xfffe
	s_and_b32 s29, exec_lo, s29
	s_wait_alu 0xfffe
	s_or_b32 s23, s29, s23
	s_and_not1_b32 s28, s28, exec_lo
	s_and_b32 s29, s30, exec_lo
	s_wait_alu 0xfffe
	s_or_b32 s28, s28, s29
	s_and_not1_b32 exec_lo, exec_lo, s23
	s_cbranch_execz .LBB105_139
.LBB105_135:                            ;   Parent Loop BB105_11 Depth=1
                                        ; =>  This Inner Loop Header: Depth=2
	s_mov_b32 s29, exec_lo
	s_delay_alu instid0(VALU_DEP_1)
	v_cmpx_gt_u32_e64 s24, v4
	s_cbranch_execz .LBB105_133
; %bb.136:                              ;   in Loop: Header=BB105_135 Depth=2
	ds_load_u16 v6, v3
	s_wait_dscnt 0x0
	v_bfe_i32 v33, v6, 0, 16
	s_delay_alu instid0(VALU_DEP_1) | instskip(NEXT) | instid1(VALU_DEP_1)
	v_add_nc_u32_e32 v33, 0x8000, v33
	v_and_b32_e32 v33, v33, v32
	s_delay_alu instid0(VALU_DEP_1)
	v_cmp_eq_u32_e32 vcc_lo, v33, v13
	s_and_b32 exec_lo, exec_lo, vcc_lo
	s_cbranch_execz .LBB105_133
; %bb.137:                              ;   in Loop: Header=BB105_135 Depth=2
	v_perm_b32 v6, v6, 1, 0x5040100
	ds_store_b32 v7, v6 offset:3072
	s_branch .LBB105_133
.LBB105_138:                            ;   in Loop: Header=BB105_135 Depth=2
	v_add_nc_u32_e32 v4, s35, v4
	v_add_nc_u32_e32 v3, s73, v3
	s_mov_b32 s30, 0
	s_delay_alu instid0(VALU_DEP_2)
	v_cmp_le_u32_e32 vcc_lo, s27, v4
	s_or_not1_b32 s29, vcc_lo, exec_lo
	s_branch .LBB105_134
.LBB105_139:                            ;   in Loop: Header=BB105_11 Depth=1
	s_or_b32 exec_lo, exec_lo, s23
	v_lshrrev_b32_e32 v33, 16, v6
	s_wait_alu 0xfffe
	s_and_b32 s23, s28, exec_lo
.LBB105_140:                            ;   in Loop: Header=BB105_11 Depth=1
	s_or_b32 exec_lo, exec_lo, s26
.LBB105_141:                            ;   in Loop: Header=BB105_11 Depth=1
	s_wait_alu 0xfffe
	s_and_b32 vcc_lo, exec_lo, s25
	s_wait_alu 0xfffe
	s_cbranch_vccz .LBB105_152
; %bb.142:                              ;   in Loop: Header=BB105_11 Depth=1
                                        ; implicit-def: $vgpr33
	s_and_saveexec_b32 s16, s10
	s_cbranch_execz .LBB105_151
; %bb.143:                              ;   in Loop: Header=BB105_11 Depth=1
	v_dual_mov_b32 v6, v5 :: v_dual_mov_b32 v3, v0
	s_mov_b32 s17, 0
                                        ; implicit-def: $sgpr24
	s_branch .LBB105_146
.LBB105_144:                            ;   in Loop: Header=BB105_146 Depth=2
	s_wait_alu 0xfffe
	s_or_b32 exec_lo, exec_lo, s25
	s_wait_loadcnt_dscnt 0x0
	s_barrier_signal -1
	s_barrier_wait -1
	global_inv scope:SCOPE_SE
	ds_load_b32 v4, v7 offset:3072
	s_mov_b32 s25, -1
	s_mov_b32 s26, -1
	s_wait_loadcnt_dscnt 0x0
	s_barrier_signal -1
	s_barrier_wait -1
	global_inv scope:SCOPE_SE
	v_and_b32_e32 v33, 0xffff, v4
	s_delay_alu instid0(VALU_DEP_1)
	v_cmp_eq_u32_e32 vcc_lo, 0, v33
	s_cbranch_vccnz .LBB105_149
.LBB105_145:                            ;   in Loop: Header=BB105_146 Depth=2
	s_wait_alu 0xfffe
	s_and_b32 s25, exec_lo, s25
	s_wait_alu 0xfffe
	s_or_b32 s17, s25, s17
	s_and_not1_b32 s24, s24, exec_lo
	s_and_b32 s25, s26, exec_lo
	s_wait_alu 0xfffe
	s_or_b32 s24, s24, s25
	s_and_not1_b32 exec_lo, exec_lo, s17
	s_cbranch_execz .LBB105_150
.LBB105_146:                            ;   Parent Loop BB105_11 Depth=1
                                        ; =>  This Inner Loop Header: Depth=2
	s_mov_b32 s25, exec_lo
	s_delay_alu instid0(VALU_DEP_1)
	v_cmpx_gt_u32_e64 s36, v3
	s_cbranch_execz .LBB105_144
; %bb.147:                              ;   in Loop: Header=BB105_146 Depth=2
	v_lshlrev_b64_e32 v[33:34], 1, v[6:7]
	s_delay_alu instid0(VALU_DEP_1) | instskip(SKIP_1) | instid1(VALU_DEP_2)
	v_add_co_u32 v33, vcc_lo, s44, v33
	s_wait_alu 0xfffd
	v_add_co_ci_u32_e64 v34, null, s45, v34, vcc_lo
	global_load_u16 v4, v[33:34], off
	s_wait_loadcnt 0x0
	v_bfe_i32 v33, v4, 0, 16
	s_delay_alu instid0(VALU_DEP_1) | instskip(NEXT) | instid1(VALU_DEP_1)
	v_add_nc_u32_e32 v33, 0x8000, v33
	v_and_b32_e32 v33, v33, v32
	s_delay_alu instid0(VALU_DEP_1)
	v_cmp_eq_u32_e32 vcc_lo, v33, v13
	s_and_b32 exec_lo, exec_lo, vcc_lo
	s_cbranch_execz .LBB105_144
; %bb.148:                              ;   in Loop: Header=BB105_146 Depth=2
	v_perm_b32 v4, v4, 1, 0x5040100
	ds_store_b32 v7, v4 offset:3072
	s_branch .LBB105_144
.LBB105_149:                            ;   in Loop: Header=BB105_146 Depth=2
	v_add_nc_u32_e32 v3, s35, v3
	v_add_nc_u32_e32 v6, s63, v6
	s_mov_b32 s26, 0
	s_delay_alu instid0(VALU_DEP_2)
	v_cmp_le_u32_e32 vcc_lo, s70, v3
	s_or_not1_b32 s25, vcc_lo, exec_lo
	s_branch .LBB105_145
.LBB105_150:                            ;   in Loop: Header=BB105_11 Depth=1
	s_or_b32 exec_lo, exec_lo, s17
	v_lshrrev_b32_e32 v33, 16, v4
	s_and_not1_b32 s17, s23, exec_lo
	s_wait_alu 0xfffe
	s_and_b32 s23, s24, exec_lo
	s_wait_alu 0xfffe
	s_or_b32 s23, s17, s23
.LBB105_151:                            ;   in Loop: Header=BB105_11 Depth=1
	s_wait_alu 0xfffe
	s_or_b32 exec_lo, exec_lo, s16
	s_mov_b32 s16, 0
	s_mov_b32 s17, -1
.LBB105_152:                            ;   in Loop: Header=BB105_11 Depth=1
	s_or_not1_b32 s23, s23, exec_lo
.LBB105_153:                            ;   in Loop: Header=BB105_11 Depth=1
	s_wait_alu 0xfffe
	s_or_b32 exec_lo, exec_lo, s20
	s_mov_b32 s24, 0
	s_and_saveexec_b32 s20, s23
	s_cbranch_execz .LBB105_242
; %bb.154:                              ;   in Loop: Header=BB105_11 Depth=1
	v_mov_b32_e32 v3, 1
	v_mov_b32_e32 v1, 1
	s_xor_b32 s23, s22, -1
	s_mov_b32 s25, 0
	s_wait_alu 0xfffe
	s_and_saveexec_b32 s22, s23
	s_cbranch_execz .LBB105_163
; %bb.155:                              ;   in Loop: Header=BB105_11 Depth=1
	s_mov_b32 s23, exec_lo
	v_cmpx_ge_u32_e64 s21, v2
	s_wait_alu 0xfffe
	s_xor_b32 s23, exec_lo, s23
	s_cbranch_execz .LBB105_160
; %bb.156:                              ;   in Loop: Header=BB105_11 Depth=1
	ds_load_b32 v1, v7 offset:4104
	s_lshl_b32 s24, 1, s81
	v_or_b32_e32 v32, s12, v32
	s_wait_alu 0xfffe
	v_and_or_b32 v13, v13, s19, s24
	s_wait_dscnt 0x0
	v_cmp_ne_u32_e32 vcc_lo, 0, v1
	s_cbranch_vccnz .LBB105_160
; %bb.157:                              ;   in Loop: Header=BB105_11 Depth=1
	s_and_saveexec_b32 s24, s2
; %bb.158:                              ;   in Loop: Header=BB105_11 Depth=1
	v_mov_b32_e32 v1, s21
	ds_store_b32 v7, v1 offset:4108
; %bb.159:                              ;   in Loop: Header=BB105_11 Depth=1
	s_wait_alu 0xfffe
	s_or_b32 exec_lo, exec_lo, s24
	s_wait_loadcnt_dscnt 0x0
	s_barrier_signal -1
	s_barrier_wait -1
	global_inv scope:SCOPE_SE
.LBB105_160:                            ;   in Loop: Header=BB105_11 Depth=1
	s_wait_alu 0xfffe
	s_or_saveexec_b32 s23, s23
	v_mov_b32_e32 v1, 8
	s_mov_b32 s24, 0
	s_wait_alu 0xfffe
	s_xor_b32 exec_lo, exec_lo, s23
; %bb.161:                              ;   in Loop: Header=BB105_11 Depth=1
	v_subrev_nc_u32_e32 v2, s21, v2
	v_mov_b32_e32 v1, 0
	s_mov_b32 s24, exec_lo
; %bb.162:                              ;   in Loop: Header=BB105_11 Depth=1
	s_or_b32 exec_lo, exec_lo, s23
	s_delay_alu instid0(VALU_DEP_2)
	v_mov_b32_e32 v3, v2
	s_wait_alu 0xfffe
	s_and_b32 s25, s24, exec_lo
.LBB105_163:                            ;   in Loop: Header=BB105_11 Depth=1
	s_wait_alu 0xfffe
	s_or_b32 exec_lo, exec_lo, s22
	s_mov_b32 s24, -1
                                        ; implicit-def: $sgpr22
                                        ; implicit-def: $sgpr23
	s_and_saveexec_b32 s21, s25
	s_cbranch_execz .LBB105_241
; %bb.164:                              ;   in Loop: Header=BB105_11 Depth=1
	v_cmp_eq_u32_e32 vcc_lo, 1, v3
	s_cmp_eq_u32 s18, 1
	s_mov_b32 s26, -1
	s_cselect_b32 s22, -1, 0
                                        ; implicit-def: $sgpr23
	s_wait_alu 0xfffe
	s_and_b32 s25, s22, vcc_lo
                                        ; implicit-def: $sgpr22
	s_wait_alu 0xfffe
	s_and_saveexec_b32 s24, s25
	s_cbranch_execz .LBB105_190
; %bb.165:                              ;   in Loop: Header=BB105_11 Depth=1
	ds_load_b32 v2, v7 offset:4104
	s_wait_loadcnt_dscnt 0x0
	s_barrier_signal -1
	s_barrier_wait -1
	global_inv scope:SCOPE_SE
	v_readfirstlane_b32 s27, v2
	s_and_saveexec_b32 s22, s3
; %bb.166:                              ;   in Loop: Header=BB105_11 Depth=1
	ds_store_b16 v17, v7
; %bb.167:                              ;   in Loop: Header=BB105_11 Depth=1
	s_wait_alu 0xfffe
	s_or_b32 exec_lo, exec_lo, s22
	s_lshl_b32 s22, 2, s81
	v_or_b32_e32 v32, s12, v32
	s_wait_alu 0xfffe
	v_and_or_b32 v13, v13, s19, s22
	s_mov_b32 s22, -1
	s_mov_b32 s23, 0
	s_cmp_eq_u32 s27, 0
	s_mov_b32 s26, 0
	s_mov_b32 s28, -1
	s_wait_loadcnt_dscnt 0x0
	s_barrier_signal -1
	s_barrier_wait -1
	global_inv scope:SCOPE_SE
                                        ; implicit-def: $vgpr33
	s_cbranch_scc1 .LBB105_178
; %bb.168:                              ;   in Loop: Header=BB105_11 Depth=1
	s_add_co_i32 s52, s27, s61
                                        ; implicit-def: $vgpr33
	s_wait_alu 0xfffe
	s_mul_u64 s[28:29], s[52:53], s[56:57]
	s_wait_alu 0xfffe
	s_mul_i32 s26, s29, s35
	s_mov_b32 s29, exec_lo
	s_wait_alu 0xfffe
	s_sub_co_i32 s26, s52, s26
	s_wait_alu 0xfffe
	s_sub_co_i32 s28, s26, s35
	s_cmp_ge_u32 s26, s35
	s_wait_alu 0xfffe
	s_cselect_b32 s26, s28, s26
	s_wait_alu 0xfffe
	s_sub_co_i32 s28, s26, s35
	s_cmp_ge_u32 s26, s35
	s_wait_alu 0xfffe
	s_cselect_b32 s26, s28, s26
	s_mov_b32 s28, 0
	s_wait_alu 0xfffe
	s_sub_co_i32 s30, s52, s26
	s_mov_b32 s26, 0
	s_wait_alu 0xfffe
	v_cmpx_gt_u32_e64 s30, v0
	s_cbranch_execz .LBB105_177
; %bb.169:                              ;   in Loop: Header=BB105_11 Depth=1
	v_mov_b32_e32 v2, v16
	v_mov_b32_e32 v4, v0
                                        ; implicit-def: $sgpr52
	s_branch .LBB105_172
.LBB105_170:                            ;   in Loop: Header=BB105_172 Depth=2
	s_wait_alu 0xfffe
	s_or_b32 exec_lo, exec_lo, s82
	s_wait_loadcnt_dscnt 0x0
	s_barrier_signal -1
	s_barrier_wait -1
	global_inv scope:SCOPE_SE
	ds_load_b32 v6, v7 offset:3072
	s_mov_b32 s82, -1
	s_mov_b32 s83, -1
	s_wait_loadcnt_dscnt 0x0
	s_barrier_signal -1
	s_barrier_wait -1
	global_inv scope:SCOPE_SE
	v_and_b32_e32 v33, 0xffff, v6
	s_delay_alu instid0(VALU_DEP_1)
	v_cmp_ne_u32_e32 vcc_lo, 0, v33
	s_cbranch_vccz .LBB105_175
.LBB105_171:                            ;   in Loop: Header=BB105_172 Depth=2
	s_wait_alu 0xfffe
	s_and_b32 s82, exec_lo, s82
	s_wait_alu 0xfffe
	s_or_b32 s26, s82, s26
	s_and_not1_b32 s52, s52, exec_lo
	s_and_b32 s82, s83, exec_lo
	s_wait_alu 0xfffe
	s_or_b32 s52, s52, s82
	s_and_not1_b32 exec_lo, exec_lo, s26
	s_cbranch_execz .LBB105_176
.LBB105_172:                            ;   Parent Loop BB105_11 Depth=1
                                        ; =>  This Inner Loop Header: Depth=2
	s_mov_b32 s82, exec_lo
	s_delay_alu instid0(VALU_DEP_1)
	v_cmpx_gt_u32_e64 s27, v4
	s_cbranch_execz .LBB105_170
; %bb.173:                              ;   in Loop: Header=BB105_172 Depth=2
	ds_load_u16 v6, v2
	s_wait_dscnt 0x0
	v_bfe_i32 v33, v6, 0, 16
	s_delay_alu instid0(VALU_DEP_1) | instskip(NEXT) | instid1(VALU_DEP_1)
	v_add_nc_u32_e32 v33, 0x8000, v33
	v_and_b32_e32 v33, v33, v32
	s_delay_alu instid0(VALU_DEP_1)
	v_cmp_eq_u32_e32 vcc_lo, v33, v13
	s_and_b32 exec_lo, exec_lo, vcc_lo
	s_cbranch_execz .LBB105_170
; %bb.174:                              ;   in Loop: Header=BB105_172 Depth=2
	v_perm_b32 v6, v6, 1, 0x5040100
	ds_store_b32 v7, v6 offset:3072
	s_branch .LBB105_170
.LBB105_175:                            ;   in Loop: Header=BB105_172 Depth=2
	v_add_nc_u32_e32 v4, s35, v4
	v_add_nc_u32_e32 v2, s73, v2
	s_mov_b32 s83, 0
	s_delay_alu instid0(VALU_DEP_2)
	v_cmp_le_u32_e32 vcc_lo, s30, v4
	s_or_not1_b32 s82, vcc_lo, exec_lo
	s_branch .LBB105_171
.LBB105_176:                            ;   in Loop: Header=BB105_11 Depth=1
	s_or_b32 exec_lo, exec_lo, s26
	v_lshrrev_b32_e32 v33, 16, v6
	s_wait_alu 0xfffe
	s_and_b32 s26, s52, exec_lo
.LBB105_177:                            ;   in Loop: Header=BB105_11 Depth=1
	s_or_b32 exec_lo, exec_lo, s29
.LBB105_178:                            ;   in Loop: Header=BB105_11 Depth=1
	s_wait_alu 0xfffe
	s_and_b32 vcc_lo, exec_lo, s28
	s_wait_alu 0xfffe
	s_cbranch_vccz .LBB105_189
; %bb.179:                              ;   in Loop: Header=BB105_11 Depth=1
                                        ; implicit-def: $vgpr33
	s_and_saveexec_b32 s22, s10
	s_cbranch_execz .LBB105_188
; %bb.180:                              ;   in Loop: Header=BB105_11 Depth=1
	v_mov_b32_e32 v6, v5
	v_mov_b32_e32 v2, v0
	s_mov_b32 s23, 0
                                        ; implicit-def: $sgpr27
	s_branch .LBB105_183
.LBB105_181:                            ;   in Loop: Header=BB105_183 Depth=2
	s_wait_alu 0xfffe
	s_or_b32 exec_lo, exec_lo, s28
	s_wait_loadcnt_dscnt 0x0
	s_barrier_signal -1
	s_barrier_wait -1
	global_inv scope:SCOPE_SE
	ds_load_b32 v4, v7 offset:3072
	s_mov_b32 s28, -1
	s_mov_b32 s29, -1
	s_wait_loadcnt_dscnt 0x0
	s_barrier_signal -1
	s_barrier_wait -1
	global_inv scope:SCOPE_SE
	v_and_b32_e32 v33, 0xffff, v4
	s_delay_alu instid0(VALU_DEP_1)
	v_cmp_eq_u32_e32 vcc_lo, 0, v33
	s_cbranch_vccnz .LBB105_186
.LBB105_182:                            ;   in Loop: Header=BB105_183 Depth=2
	s_wait_alu 0xfffe
	s_and_b32 s28, exec_lo, s28
	s_wait_alu 0xfffe
	s_or_b32 s23, s28, s23
	s_and_not1_b32 s27, s27, exec_lo
	s_and_b32 s28, s29, exec_lo
	s_wait_alu 0xfffe
	s_or_b32 s27, s27, s28
	s_and_not1_b32 exec_lo, exec_lo, s23
	s_cbranch_execz .LBB105_187
.LBB105_183:                            ;   Parent Loop BB105_11 Depth=1
                                        ; =>  This Inner Loop Header: Depth=2
	s_mov_b32 s28, exec_lo
	s_delay_alu instid0(VALU_DEP_1)
	v_cmpx_gt_u32_e64 s36, v2
	s_cbranch_execz .LBB105_181
; %bb.184:                              ;   in Loop: Header=BB105_183 Depth=2
	v_lshlrev_b64_e32 v[33:34], 1, v[6:7]
	s_delay_alu instid0(VALU_DEP_1) | instskip(SKIP_1) | instid1(VALU_DEP_2)
	v_add_co_u32 v33, vcc_lo, s44, v33
	s_wait_alu 0xfffd
	v_add_co_ci_u32_e64 v34, null, s45, v34, vcc_lo
	global_load_u16 v4, v[33:34], off
	s_wait_loadcnt 0x0
	v_bfe_i32 v33, v4, 0, 16
	s_delay_alu instid0(VALU_DEP_1) | instskip(NEXT) | instid1(VALU_DEP_1)
	v_add_nc_u32_e32 v33, 0x8000, v33
	v_and_b32_e32 v33, v33, v32
	s_delay_alu instid0(VALU_DEP_1)
	v_cmp_eq_u32_e32 vcc_lo, v33, v13
	s_and_b32 exec_lo, exec_lo, vcc_lo
	s_cbranch_execz .LBB105_181
; %bb.185:                              ;   in Loop: Header=BB105_183 Depth=2
	v_perm_b32 v4, v4, 1, 0x5040100
	ds_store_b32 v7, v4 offset:3072
	s_branch .LBB105_181
.LBB105_186:                            ;   in Loop: Header=BB105_183 Depth=2
	v_add_nc_u32_e32 v2, s35, v2
	v_add_nc_u32_e32 v6, s63, v6
	s_mov_b32 s29, 0
	s_delay_alu instid0(VALU_DEP_2)
	v_cmp_le_u32_e32 vcc_lo, s70, v2
	s_or_not1_b32 s28, vcc_lo, exec_lo
	s_branch .LBB105_182
.LBB105_187:                            ;   in Loop: Header=BB105_11 Depth=1
	s_or_b32 exec_lo, exec_lo, s23
	v_lshrrev_b32_e32 v33, 16, v4
	s_and_not1_b32 s23, s26, exec_lo
	s_wait_alu 0xfffe
	s_and_b32 s26, s27, exec_lo
	s_wait_alu 0xfffe
	s_or_b32 s26, s23, s26
.LBB105_188:                            ;   in Loop: Header=BB105_11 Depth=1
	s_wait_alu 0xfffe
	s_or_b32 exec_lo, exec_lo, s22
	s_mov_b32 s22, 0
	s_mov_b32 s23, -1
.LBB105_189:                            ;   in Loop: Header=BB105_11 Depth=1
	s_or_not1_b32 s26, s26, exec_lo
.LBB105_190:                            ;   in Loop: Header=BB105_11 Depth=1
	s_wait_alu 0xfffe
	s_or_b32 exec_lo, exec_lo, s24
	s_mov_b32 s27, 0
	s_and_saveexec_b32 s24, s26
	s_cbranch_execz .LBB105_240
; %bb.191:                              ;   in Loop: Header=BB105_11 Depth=1
	v_dual_mov_b32 v2, 1 :: v_dual_mov_b32 v1, 1
	s_xor_b32 s26, s25, -1
	s_wait_alu 0xfffe
	s_and_saveexec_b32 s25, s26
	s_cbranch_execz .LBB105_200
; %bb.192:                              ;   in Loop: Header=BB105_11 Depth=1
	s_mov_b32 s26, exec_lo
	v_cmpx_ge_u32_e64 s18, v3
	s_wait_alu 0xfffe
	s_xor_b32 s26, exec_lo, s26
	s_cbranch_execz .LBB105_197
; %bb.193:                              ;   in Loop: Header=BB105_11 Depth=1
	ds_load_b32 v1, v7 offset:4104
	s_lshl_b32 s27, 2, s81
	v_or_b32_e32 v32, s12, v32
	s_wait_alu 0xfffe
	v_and_or_b32 v13, v13, s19, s27
	s_wait_dscnt 0x0
	v_cmp_ne_u32_e32 vcc_lo, 0, v1
	s_cbranch_vccnz .LBB105_197
; %bb.194:                              ;   in Loop: Header=BB105_11 Depth=1
	s_and_saveexec_b32 s19, s2
; %bb.195:                              ;   in Loop: Header=BB105_11 Depth=1
	v_mov_b32_e32 v1, s18
	ds_store_b32 v7, v1 offset:4108
; %bb.196:                              ;   in Loop: Header=BB105_11 Depth=1
	s_wait_alu 0xfffe
	s_or_b32 exec_lo, exec_lo, s19
	s_wait_loadcnt_dscnt 0x0
	s_barrier_signal -1
	s_barrier_wait -1
	global_inv scope:SCOPE_SE
.LBB105_197:                            ;   in Loop: Header=BB105_11 Depth=1
	s_wait_alu 0xfffe
	s_or_saveexec_b32 s19, s26
	v_mov_b32_e32 v1, 8
	s_mov_b32 s26, 0
	s_wait_alu 0xfffe
	s_xor_b32 exec_lo, exec_lo, s19
; %bb.198:                              ;   in Loop: Header=BB105_11 Depth=1
	v_subrev_nc_u32_e32 v3, s18, v3
	v_mov_b32_e32 v1, 0
	s_mov_b32 s26, exec_lo
; %bb.199:                              ;   in Loop: Header=BB105_11 Depth=1
	s_or_b32 exec_lo, exec_lo, s19
	s_delay_alu instid0(VALU_DEP_2)
	v_mov_b32_e32 v2, v3
	s_wait_alu 0xfffe
	s_and_b32 s27, s26, exec_lo
.LBB105_200:                            ;   in Loop: Header=BB105_11 Depth=1
	s_wait_alu 0xfffe
	s_or_b32 exec_lo, exec_lo, s25
	s_mov_b32 s19, -1
                                        ; implicit-def: $sgpr26
                                        ; implicit-def: $sgpr25
	s_and_saveexec_b32 s18, s27
	s_cbranch_execz .LBB105_239
; %bb.201:                              ;   in Loop: Header=BB105_11 Depth=1
	v_cmp_eq_u32_e32 vcc_lo, 1, v2
	s_cmp_eq_u32 s11, 1
	s_mov_b32 s28, -1
	s_cselect_b32 s19, -1, 0
                                        ; implicit-def: $sgpr26
                                        ; implicit-def: $sgpr25
	s_wait_alu 0xfffe
	s_and_b32 s19, s19, vcc_lo
	s_wait_alu 0xfffe
	s_and_saveexec_b32 s27, s19
	s_cbranch_execz .LBB105_227
; %bb.202:                              ;   in Loop: Header=BB105_11 Depth=1
	ds_load_b32 v3, v7 offset:4104
	s_wait_loadcnt_dscnt 0x0
	s_barrier_signal -1
	s_barrier_wait -1
	global_inv scope:SCOPE_SE
	v_readfirstlane_b32 s29, v3
	s_and_saveexec_b32 s25, s3
; %bb.203:                              ;   in Loop: Header=BB105_11 Depth=1
	ds_store_b16 v17, v7
; %bb.204:                              ;   in Loop: Header=BB105_11 Depth=1
	s_wait_alu 0xfffe
	s_or_b32 exec_lo, exec_lo, s25
	v_or_b32_e32 v13, s12, v13
	v_or_b32_e32 v32, s12, v32
	s_mov_b32 s25, -1
	s_mov_b32 s26, 0
	s_cmp_eq_u32 s29, 0
	s_mov_b32 s28, 0
	s_mov_b32 s30, -1
	s_wait_loadcnt_dscnt 0x0
	s_barrier_signal -1
	s_barrier_wait -1
	global_inv scope:SCOPE_SE
                                        ; implicit-def: $vgpr33
	s_cbranch_scc1 .LBB105_215
; %bb.205:                              ;   in Loop: Header=BB105_11 Depth=1
	s_add_co_i32 s52, s29, s61
                                        ; implicit-def: $vgpr33
	s_wait_alu 0xfffe
	s_mul_u64 s[82:83], s[52:53], s[56:57]
	s_wait_alu 0xfffe
	s_mul_i32 s28, s83, s35
	s_wait_alu 0xfffe
	s_sub_co_i32 s28, s52, s28
	s_wait_alu 0xfffe
	s_sub_co_i32 s30, s28, s35
	s_cmp_ge_u32 s28, s35
	s_wait_alu 0xfffe
	s_cselect_b32 s28, s30, s28
	s_wait_alu 0xfffe
	s_sub_co_i32 s30, s28, s35
	s_cmp_ge_u32 s28, s35
	s_wait_alu 0xfffe
	s_cselect_b32 s28, s30, s28
	s_mov_b32 s30, 0
	s_wait_alu 0xfffe
	s_sub_co_i32 s82, s52, s28
	s_mov_b32 s28, 0
	s_mov_b32 s52, exec_lo
	s_wait_alu 0xfffe
	v_cmpx_gt_u32_e64 s82, v0
	s_cbranch_execz .LBB105_214
; %bb.206:                              ;   in Loop: Header=BB105_11 Depth=1
	v_dual_mov_b32 v3, v16 :: v_dual_mov_b32 v4, v0
                                        ; implicit-def: $sgpr83
	s_branch .LBB105_209
.LBB105_207:                            ;   in Loop: Header=BB105_209 Depth=2
	s_wait_alu 0xfffe
	s_or_b32 exec_lo, exec_lo, s84
	s_wait_loadcnt_dscnt 0x0
	s_barrier_signal -1
	s_barrier_wait -1
	global_inv scope:SCOPE_SE
	ds_load_b32 v6, v7 offset:3072
	s_mov_b32 s84, -1
	s_mov_b32 s85, -1
	s_wait_loadcnt_dscnt 0x0
	s_barrier_signal -1
	s_barrier_wait -1
	global_inv scope:SCOPE_SE
	v_and_b32_e32 v33, 0xffff, v6
	s_delay_alu instid0(VALU_DEP_1)
	v_cmp_ne_u32_e32 vcc_lo, 0, v33
	s_cbranch_vccz .LBB105_212
.LBB105_208:                            ;   in Loop: Header=BB105_209 Depth=2
	s_wait_alu 0xfffe
	s_and_b32 s84, exec_lo, s84
	s_wait_alu 0xfffe
	s_or_b32 s28, s84, s28
	s_and_not1_b32 s83, s83, exec_lo
	s_and_b32 s84, s85, exec_lo
	s_wait_alu 0xfffe
	s_or_b32 s83, s83, s84
	s_and_not1_b32 exec_lo, exec_lo, s28
	s_cbranch_execz .LBB105_213
.LBB105_209:                            ;   Parent Loop BB105_11 Depth=1
                                        ; =>  This Inner Loop Header: Depth=2
	s_mov_b32 s84, exec_lo
	s_delay_alu instid0(VALU_DEP_1)
	v_cmpx_gt_u32_e64 s29, v4
	s_cbranch_execz .LBB105_207
; %bb.210:                              ;   in Loop: Header=BB105_209 Depth=2
	ds_load_u16 v6, v3
	s_wait_dscnt 0x0
	v_bfe_i32 v33, v6, 0, 16
	s_delay_alu instid0(VALU_DEP_1) | instskip(NEXT) | instid1(VALU_DEP_1)
	v_add_nc_u32_e32 v33, 0x8000, v33
	v_and_b32_e32 v33, v33, v32
	s_delay_alu instid0(VALU_DEP_1)
	v_cmp_eq_u32_e32 vcc_lo, v33, v13
	s_and_b32 exec_lo, exec_lo, vcc_lo
	s_cbranch_execz .LBB105_207
; %bb.211:                              ;   in Loop: Header=BB105_209 Depth=2
	v_perm_b32 v6, v6, 1, 0x5040100
	ds_store_b32 v7, v6 offset:3072
	s_branch .LBB105_207
.LBB105_212:                            ;   in Loop: Header=BB105_209 Depth=2
	v_add_nc_u32_e32 v4, s35, v4
	v_add_nc_u32_e32 v3, s73, v3
	s_mov_b32 s85, 0
	s_delay_alu instid0(VALU_DEP_2)
	v_cmp_le_u32_e32 vcc_lo, s82, v4
	s_or_not1_b32 s84, vcc_lo, exec_lo
	s_branch .LBB105_208
.LBB105_213:                            ;   in Loop: Header=BB105_11 Depth=1
	s_or_b32 exec_lo, exec_lo, s28
	v_lshrrev_b32_e32 v33, 16, v6
	s_wait_alu 0xfffe
	s_and_b32 s28, s83, exec_lo
.LBB105_214:                            ;   in Loop: Header=BB105_11 Depth=1
	s_or_b32 exec_lo, exec_lo, s52
.LBB105_215:                            ;   in Loop: Header=BB105_11 Depth=1
	s_wait_alu 0xfffe
	s_and_b32 vcc_lo, exec_lo, s30
	s_wait_alu 0xfffe
	s_cbranch_vccz .LBB105_226
; %bb.216:                              ;   in Loop: Header=BB105_11 Depth=1
                                        ; implicit-def: $vgpr33
	s_and_saveexec_b32 s25, s10
	s_cbranch_execz .LBB105_225
; %bb.217:                              ;   in Loop: Header=BB105_11 Depth=1
	v_dual_mov_b32 v6, v5 :: v_dual_mov_b32 v3, v0
	s_mov_b32 s26, 0
                                        ; implicit-def: $sgpr29
	s_branch .LBB105_220
.LBB105_218:                            ;   in Loop: Header=BB105_220 Depth=2
	s_wait_alu 0xfffe
	s_or_b32 exec_lo, exec_lo, s30
	s_wait_loadcnt_dscnt 0x0
	s_barrier_signal -1
	s_barrier_wait -1
	global_inv scope:SCOPE_SE
	ds_load_b32 v4, v7 offset:3072
	s_mov_b32 s30, -1
	s_mov_b32 s52, -1
	s_wait_loadcnt_dscnt 0x0
	s_barrier_signal -1
	s_barrier_wait -1
	global_inv scope:SCOPE_SE
	v_and_b32_e32 v33, 0xffff, v4
	s_delay_alu instid0(VALU_DEP_1)
	v_cmp_eq_u32_e32 vcc_lo, 0, v33
	s_cbranch_vccnz .LBB105_223
.LBB105_219:                            ;   in Loop: Header=BB105_220 Depth=2
	s_wait_alu 0xfffe
	s_and_b32 s30, exec_lo, s30
	s_wait_alu 0xfffe
	s_or_b32 s26, s30, s26
	s_and_not1_b32 s29, s29, exec_lo
	s_and_b32 s30, s52, exec_lo
	s_wait_alu 0xfffe
	s_or_b32 s29, s29, s30
	s_and_not1_b32 exec_lo, exec_lo, s26
	s_cbranch_execz .LBB105_224
.LBB105_220:                            ;   Parent Loop BB105_11 Depth=1
                                        ; =>  This Inner Loop Header: Depth=2
	s_mov_b32 s30, exec_lo
	s_delay_alu instid0(VALU_DEP_1)
	v_cmpx_gt_u32_e64 s36, v3
	s_cbranch_execz .LBB105_218
; %bb.221:                              ;   in Loop: Header=BB105_220 Depth=2
	v_lshlrev_b64_e32 v[33:34], 1, v[6:7]
	s_delay_alu instid0(VALU_DEP_1) | instskip(SKIP_1) | instid1(VALU_DEP_2)
	v_add_co_u32 v33, vcc_lo, s44, v33
	s_wait_alu 0xfffd
	v_add_co_ci_u32_e64 v34, null, s45, v34, vcc_lo
	global_load_u16 v4, v[33:34], off
	s_wait_loadcnt 0x0
	v_bfe_i32 v33, v4, 0, 16
	s_delay_alu instid0(VALU_DEP_1) | instskip(NEXT) | instid1(VALU_DEP_1)
	v_add_nc_u32_e32 v33, 0x8000, v33
	v_and_b32_e32 v33, v33, v32
	s_delay_alu instid0(VALU_DEP_1)
	v_cmp_eq_u32_e32 vcc_lo, v33, v13
	s_and_b32 exec_lo, exec_lo, vcc_lo
	s_cbranch_execz .LBB105_218
; %bb.222:                              ;   in Loop: Header=BB105_220 Depth=2
	v_perm_b32 v4, v4, 1, 0x5040100
	ds_store_b32 v7, v4 offset:3072
	s_branch .LBB105_218
.LBB105_223:                            ;   in Loop: Header=BB105_220 Depth=2
	v_add_nc_u32_e32 v3, s35, v3
	v_add_nc_u32_e32 v6, s63, v6
	s_mov_b32 s52, 0
	s_delay_alu instid0(VALU_DEP_2)
	v_cmp_le_u32_e32 vcc_lo, s70, v3
	s_or_not1_b32 s30, vcc_lo, exec_lo
	s_branch .LBB105_219
.LBB105_224:                            ;   in Loop: Header=BB105_11 Depth=1
	s_or_b32 exec_lo, exec_lo, s26
	v_lshrrev_b32_e32 v33, 16, v4
	s_and_not1_b32 s26, s28, exec_lo
	s_wait_alu 0xfffe
	s_and_b32 s28, s29, exec_lo
	s_wait_alu 0xfffe
	s_or_b32 s28, s26, s28
.LBB105_225:                            ;   in Loop: Header=BB105_11 Depth=1
	s_wait_alu 0xfffe
	s_or_b32 exec_lo, exec_lo, s25
	s_mov_b32 s25, 0
	s_mov_b32 s26, -1
.LBB105_226:                            ;   in Loop: Header=BB105_11 Depth=1
	s_or_not1_b32 s28, s28, exec_lo
.LBB105_227:                            ;   in Loop: Header=BB105_11 Depth=1
	s_wait_alu 0xfffe
	s_or_b32 exec_lo, exec_lo, s27
	s_mov_b32 s29, 0
	s_and_saveexec_b32 s27, s28
	s_cbranch_execz .LBB105_238
; %bb.228:                              ;   in Loop: Header=BB105_11 Depth=1
	v_mov_b32_e32 v1, 1
	v_mov_b32_e32 v3, 1
	s_xor_b32 s28, s19, -1
	s_wait_alu 0xfffe
	s_and_saveexec_b32 s19, s28
	s_cbranch_execz .LBB105_237
; %bb.229:                              ;   in Loop: Header=BB105_11 Depth=1
	s_mov_b32 s28, exec_lo
	v_cmpx_ge_u32_e64 s11, v2
	s_wait_alu 0xfffe
	s_xor_b32 s28, exec_lo, s28
	s_cbranch_execz .LBB105_234
; %bb.230:                              ;   in Loop: Header=BB105_11 Depth=1
	ds_load_b32 v1, v7 offset:4104
	v_or_b32_e32 v13, s12, v13
	v_or_b32_e32 v32, s12, v32
	s_wait_dscnt 0x0
	v_cmp_ne_u32_e32 vcc_lo, 0, v1
	s_cbranch_vccnz .LBB105_234
; %bb.231:                              ;   in Loop: Header=BB105_11 Depth=1
	s_and_saveexec_b32 s12, s2
; %bb.232:                              ;   in Loop: Header=BB105_11 Depth=1
	v_mov_b32_e32 v1, s11
	ds_store_b32 v7, v1 offset:4108
; %bb.233:                              ;   in Loop: Header=BB105_11 Depth=1
	s_wait_alu 0xfffe
	s_or_b32 exec_lo, exec_lo, s12
	s_wait_loadcnt_dscnt 0x0
	s_barrier_signal -1
	s_barrier_wait -1
	global_inv scope:SCOPE_SE
.LBB105_234:                            ;   in Loop: Header=BB105_11 Depth=1
	s_wait_alu 0xfffe
	s_and_not1_saveexec_b32 s12, s28
; %bb.235:                              ;   in Loop: Header=BB105_11 Depth=1
	v_subrev_nc_u32_e32 v2, s11, v2
; %bb.236:                              ;   in Loop: Header=BB105_11 Depth=1
	s_wait_alu 0xfffe
	s_or_b32 exec_lo, exec_lo, s12
	v_mov_b32_e32 v1, 8
	s_delay_alu instid0(VALU_DEP_2)
	v_mov_b32_e32 v3, v2
.LBB105_237:                            ;   in Loop: Header=BB105_11 Depth=1
	s_wait_alu 0xfffe
	s_or_b32 exec_lo, exec_lo, s19
	s_delay_alu instid0(VALU_DEP_1)
	v_mov_b32_e32 v2, v3
	s_mov_b32 s29, exec_lo
.LBB105_238:                            ;   in Loop: Header=BB105_11 Depth=1
	s_wait_alu 0xfffe
	s_or_b32 exec_lo, exec_lo, s27
	s_delay_alu instid0(SALU_CYCLE_1)
	s_or_not1_b32 s19, s29, exec_lo
.LBB105_239:                            ;   in Loop: Header=BB105_11 Depth=1
	s_wait_alu 0xfffe
	s_or_b32 exec_lo, exec_lo, s18
	v_mov_b32_e32 v3, v2
	s_and_not1_b32 s11, s23, exec_lo
	s_and_b32 s12, s26, exec_lo
	s_and_not1_b32 s18, s22, exec_lo
	s_and_b32 s22, s25, exec_lo
	s_wait_alu 0xfffe
	s_or_b32 s23, s11, s12
	s_or_b32 s22, s18, s22
	s_and_b32 s27, s19, exec_lo
.LBB105_240:                            ;   in Loop: Header=BB105_11 Depth=1
	s_wait_alu 0xfffe
	s_or_b32 exec_lo, exec_lo, s24
	s_delay_alu instid0(SALU_CYCLE_1)
	s_or_not1_b32 s24, s27, exec_lo
.LBB105_241:                            ;   in Loop: Header=BB105_11 Depth=1
	s_wait_alu 0xfffe
	s_or_b32 exec_lo, exec_lo, s21
	v_mov_b32_e32 v2, v3
	s_and_not1_b32 s11, s17, exec_lo
	s_and_b32 s12, s23, exec_lo
	s_and_not1_b32 s16, s16, exec_lo
	s_and_b32 s18, s22, exec_lo
	s_wait_alu 0xfffe
	s_or_b32 s17, s11, s12
	s_or_b32 s16, s16, s18
	s_and_b32 s24, s24, exec_lo
.LBB105_242:                            ;   in Loop: Header=BB105_11 Depth=1
	s_wait_alu 0xfffe
	s_or_b32 exec_lo, exec_lo, s20
	s_delay_alu instid0(SALU_CYCLE_1)
	s_or_not1_b32 s20, s24, exec_lo
.LBB105_243:                            ;   in Loop: Header=BB105_11 Depth=1
	s_wait_alu 0xfffe
	s_or_b32 exec_lo, exec_lo, s15
	s_mov_b32 s12, 0
                                        ; implicit-def: $sgpr22
	s_and_saveexec_b32 s11, s20
	s_wait_alu 0xfffe
	s_xor_b32 s11, exec_lo, s11
	s_cbranch_execz .LBB105_9
; %bb.244:                              ;   in Loop: Header=BB105_11 Depth=1
	v_and_b32_e32 v1, 7, v1
	s_mov_b32 s14, -1
	s_mov_b32 s12, -1
	s_mov_b32 s15, exec_lo
                                        ; implicit-def: $sgpr22
	s_delay_alu instid0(VALU_DEP_1)
	v_cmpx_eq_u32_e32 0, v1
	s_cbranch_execz .LBB105_8
; %bb.245:                              ;   in Loop: Header=BB105_11 Depth=1
	s_add_co_i32 s22, s81, -2
	s_cmp_eq_u32 s81, 0
	v_xor_b32_e32 v31, 1, v31
	s_cselect_b32 s14, -1, 0
	s_xor_b32 s12, exec_lo, -1
	s_wait_alu 0xfffe
	s_or_not1_b32 s14, s14, exec_lo
	s_branch .LBB105_8
.LBB105_246:
	s_or_b32 exec_lo, exec_lo, s74
	s_wait_alu 0xfffe
	s_xor_b32 s4, s80, -1
	s_xor_b32 s1, s78, -1
	;; [unrolled: 1-line block ×3, first 2 shown]
	s_mov_b32 s2, 0
	s_and_saveexec_b32 s5, s1
	s_wait_alu 0xfffe
	s_xor_b32 s1, exec_lo, s5
	s_cbranch_execnz .LBB105_251
; %bb.247:
	s_and_not1_saveexec_b32 s0, s1
	s_cbranch_execnz .LBB105_264
.LBB105_248:
	s_or_b32 exec_lo, exec_lo, s0
	s_wait_alu 0xfffe
	s_and_saveexec_b32 s0, s2
.LBB105_249:
	; divergent unreachable
.LBB105_250:
	s_endpgm
.LBB105_251:
	s_and_saveexec_b32 s2, s4
	s_wait_alu 0xfffe
	s_xor_b32 s4, exec_lo, s2
	s_cbranch_execz .LBB105_262
; %bb.252:
	s_and_saveexec_b32 s2, s3
	s_wait_alu 0xfffe
	s_xor_b32 s2, exec_lo, s2
; %bb.253:
	v_xor_b32_e32 v33, 0xffff8000, v13
; %bb.254:
	s_wait_alu 0xfffe
	s_or_b32 exec_lo, exec_lo, s2
	s_mul_i32 s2, s51, s60
	s_add_co_i32 s3, s51, 1
	s_wait_alu 0xfffe
	s_sub_co_i32 s2, s34, s2
	v_mov_b32_e32 v6, 0
	s_wait_alu 0xfffe
	s_sub_co_i32 s5, s2, s60
	s_cmp_ge_u32 s2, s60
	s_cselect_b32 s3, s3, s51
	s_wait_alu 0xfffe
	s_cselect_b32 s2, s5, s2
	s_add_co_i32 s5, s3, 1
	s_wait_alu 0xfffe
	s_cmp_ge_u32 s2, s60
	s_cselect_b32 s2, s5, s3
	s_wait_alu 0xfffe
	s_mul_i32 s3, s2, s60
	s_mul_i32 s2, s2, s46
	s_wait_alu 0xfffe
	s_sub_co_i32 s3, s34, s3
	s_wait_alu 0xfffe
	s_mul_i32 s3, s3, s47
	s_wait_alu 0xfffe
	s_add_co_i32 s2, s2, s3
	s_mov_b32 s3, 0
	s_wait_alu 0xfffe
	s_lshl_b64 s[6:7], s[2:3], 1
	s_wait_kmcnt 0x0
	s_wait_alu 0xfffe
	s_add_nc_u64 s[6:7], s[48:49], s[6:7]
	global_store_b16 v6, v33, s[6:7]
	s_and_saveexec_b32 s2, s0
	s_cbranch_execz .LBB105_261
; %bb.255:
                                        ; implicit-def: $sgpr0
                                        ; implicit-def: $sgpr6
                                        ; implicit-def: $sgpr5
	s_branch .LBB105_257
.LBB105_256:                            ;   in Loop: Header=BB105_257 Depth=1
	s_wait_alu 0xfffe
	s_or_b32 exec_lo, exec_lo, s7
	s_delay_alu instid0(SALU_CYCLE_1)
	s_and_b32 s7, exec_lo, s6
	s_wait_alu 0xfffe
	s_or_b32 s3, s7, s3
	s_and_not1_b32 s0, s0, exec_lo
	s_and_b32 s7, s5, exec_lo
	s_wait_alu 0xfffe
	s_or_b32 s0, s0, s7
	s_and_not1_b32 exec_lo, exec_lo, s3
	s_cbranch_execz .LBB105_259
.LBB105_257:                            ; =>This Inner Loop Header: Depth=1
	v_lshlrev_b64_e32 v[1:2], 1, v[5:6]
	s_or_b32 s5, s5, exec_lo
	s_wait_alu 0xfffe
	s_or_b32 s6, s6, exec_lo
	s_mov_b32 s7, exec_lo
	s_delay_alu instid0(VALU_DEP_1)
	v_add_co_u32 v1, vcc_lo, s44, v1
	s_wait_alu 0xfffd
	v_add_co_ci_u32_e64 v2, null, s45, v2, vcc_lo
	global_load_u16 v2, v[1:2], off
	v_mov_b32_e32 v1, v0
                                        ; implicit-def: $vgpr0
	s_wait_loadcnt 0x0
	v_cmpx_ne_u16_e64 v2, v33
	s_cbranch_execz .LBB105_256
; %bb.258:                              ;   in Loop: Header=BB105_257 Depth=1
	s_delay_alu instid0(VALU_DEP_2)
	v_add_nc_u32_e32 v0, s35, v1
	v_add_nc_u32_e32 v5, s63, v5
	s_wait_alu 0xfffe
	s_and_not1_b32 s6, s6, exec_lo
	s_and_not1_b32 s5, s5, exec_lo
	v_cmp_le_u32_e32 vcc_lo, s36, v0
	s_and_b32 s8, vcc_lo, exec_lo
	s_wait_alu 0xfffe
	s_or_b32 s6, s6, s8
	s_branch .LBB105_256
.LBB105_259:
	s_or_b32 exec_lo, exec_lo, s3
	s_and_saveexec_b32 s3, s0
	s_wait_alu 0xfffe
	s_xor_b32 s3, exec_lo, s3
	s_cbranch_execz .LBB105_261
; %bb.260:
	s_mul_i32 s0, s31, s33
	s_add_co_i32 s3, s31, 1
	s_sub_co_i32 s0, s34, s0
	s_mov_b32 s7, 0
	s_sub_co_i32 s5, s0, s33
	s_cmp_ge_u32 s0, s33
	v_mov_b32_e32 v2, 0
	s_wait_alu 0xfffe
	s_cselect_b32 s3, s3, s31
	s_cselect_b32 s0, s5, s0
	s_wait_alu 0xfffe
	s_add_co_i32 s5, s3, 1
	s_cmp_ge_u32 s0, s33
	s_wait_alu 0xfffe
	s_cselect_b32 s0, s5, s3
	s_delay_alu instid0(SALU_CYCLE_1)
	s_mul_i32 s3, s0, s33
	s_mul_i32 s0, s0, s40
	s_wait_alu 0xfffe
	s_sub_co_i32 s3, s34, s3
	s_wait_alu 0xfffe
	s_mul_i32 s3, s3, s41
	s_wait_alu 0xfffe
	s_add_co_i32 s6, s0, s3
	s_wait_alu 0xfffe
	s_lshl_b64 s[6:7], s[6:7], 3
	s_wait_alu 0xfffe
	s_add_nc_u64 s[6:7], s[42:43], s[6:7]
	global_store_b64 v2, v[1:2], s[6:7]
.LBB105_261:
	s_wait_alu 0xfffe
	s_or_b32 exec_lo, exec_lo, s2
.LBB105_262:
	s_wait_alu 0xfffe
	s_or_saveexec_b32 s0, s4
	s_mov_b32 s2, 0
	s_xor_b32 exec_lo, exec_lo, s0
	s_cbranch_execnz .LBB105_265
.LBB105_263:
	s_or_b32 exec_lo, exec_lo, s0
	s_wait_alu 0xfffe
	s_and_b32 s2, s2, exec_lo
	s_and_not1_saveexec_b32 s0, s1
	s_cbranch_execz .LBB105_248
.LBB105_264:
	s_wait_alu 0xfffe
	s_or_b32 s2, s2, exec_lo
	s_trap 2
	s_or_b32 exec_lo, exec_lo, s0
	s_wait_alu 0xfffe
	s_and_saveexec_b32 s0, s2
	s_cbranch_execnz .LBB105_249
	s_branch .LBB105_250
.LBB105_265:
	s_mov_b32 s2, exec_lo
	s_trap 2
	s_branch .LBB105_263
	.section	.rodata,"a",@progbits
	.p2align	6, 0x0
	.amdhsa_kernel _ZN2at6native12_GLOBAL__N_112gatherMedianIsjLi2EEEvNS_4cuda6detail10TensorInfoIT_T0_EENS5_IlS7_EENS5_IKS6_S7_EES7_S7_S7_b
		.amdhsa_group_segment_fixed_size 4120
		.amdhsa_private_segment_fixed_size 0
		.amdhsa_kernarg_size 920
		.amdhsa_user_sgpr_count 2
		.amdhsa_user_sgpr_dispatch_ptr 0
		.amdhsa_user_sgpr_queue_ptr 0
		.amdhsa_user_sgpr_kernarg_segment_ptr 1
		.amdhsa_user_sgpr_dispatch_id 0
		.amdhsa_user_sgpr_private_segment_size 0
		.amdhsa_wavefront_size32 1
		.amdhsa_uses_dynamic_stack 0
		.amdhsa_enable_private_segment 0
		.amdhsa_system_sgpr_workgroup_id_x 1
		.amdhsa_system_sgpr_workgroup_id_y 1
		.amdhsa_system_sgpr_workgroup_id_z 1
		.amdhsa_system_sgpr_workgroup_info 0
		.amdhsa_system_vgpr_workitem_id 0
		.amdhsa_next_free_vgpr 62
		.amdhsa_next_free_sgpr 89
		.amdhsa_reserve_vcc 1
		.amdhsa_float_round_mode_32 0
		.amdhsa_float_round_mode_16_64 0
		.amdhsa_float_denorm_mode_32 3
		.amdhsa_float_denorm_mode_16_64 3
		.amdhsa_fp16_overflow 0
		.amdhsa_workgroup_processor_mode 1
		.amdhsa_memory_ordered 1
		.amdhsa_forward_progress 1
		.amdhsa_inst_pref_size 102
		.amdhsa_round_robin_scheduling 0
		.amdhsa_exception_fp_ieee_invalid_op 0
		.amdhsa_exception_fp_denorm_src 0
		.amdhsa_exception_fp_ieee_div_zero 0
		.amdhsa_exception_fp_ieee_overflow 0
		.amdhsa_exception_fp_ieee_underflow 0
		.amdhsa_exception_fp_ieee_inexact 0
		.amdhsa_exception_int_div_zero 0
	.end_amdhsa_kernel
	.section	.text._ZN2at6native12_GLOBAL__N_112gatherMedianIsjLi2EEEvNS_4cuda6detail10TensorInfoIT_T0_EENS5_IlS7_EENS5_IKS6_S7_EES7_S7_S7_b,"axG",@progbits,_ZN2at6native12_GLOBAL__N_112gatherMedianIsjLi2EEEvNS_4cuda6detail10TensorInfoIT_T0_EENS5_IlS7_EENS5_IKS6_S7_EES7_S7_S7_b,comdat
.Lfunc_end105:
	.size	_ZN2at6native12_GLOBAL__N_112gatherMedianIsjLi2EEEvNS_4cuda6detail10TensorInfoIT_T0_EENS5_IlS7_EENS5_IKS6_S7_EES7_S7_S7_b, .Lfunc_end105-_ZN2at6native12_GLOBAL__N_112gatherMedianIsjLi2EEEvNS_4cuda6detail10TensorInfoIT_T0_EENS5_IlS7_EENS5_IKS6_S7_EES7_S7_S7_b
                                        ; -- End function
	.set _ZN2at6native12_GLOBAL__N_112gatherMedianIsjLi2EEEvNS_4cuda6detail10TensorInfoIT_T0_EENS5_IlS7_EENS5_IKS6_S7_EES7_S7_S7_b.num_vgpr, 62
	.set _ZN2at6native12_GLOBAL__N_112gatherMedianIsjLi2EEEvNS_4cuda6detail10TensorInfoIT_T0_EENS5_IlS7_EENS5_IKS6_S7_EES7_S7_S7_b.num_agpr, 0
	.set _ZN2at6native12_GLOBAL__N_112gatherMedianIsjLi2EEEvNS_4cuda6detail10TensorInfoIT_T0_EENS5_IlS7_EENS5_IKS6_S7_EES7_S7_S7_b.numbered_sgpr, 89
	.set _ZN2at6native12_GLOBAL__N_112gatherMedianIsjLi2EEEvNS_4cuda6detail10TensorInfoIT_T0_EENS5_IlS7_EENS5_IKS6_S7_EES7_S7_S7_b.num_named_barrier, 0
	.set _ZN2at6native12_GLOBAL__N_112gatherMedianIsjLi2EEEvNS_4cuda6detail10TensorInfoIT_T0_EENS5_IlS7_EENS5_IKS6_S7_EES7_S7_S7_b.private_seg_size, 0
	.set _ZN2at6native12_GLOBAL__N_112gatherMedianIsjLi2EEEvNS_4cuda6detail10TensorInfoIT_T0_EENS5_IlS7_EENS5_IKS6_S7_EES7_S7_S7_b.uses_vcc, 1
	.set _ZN2at6native12_GLOBAL__N_112gatherMedianIsjLi2EEEvNS_4cuda6detail10TensorInfoIT_T0_EENS5_IlS7_EENS5_IKS6_S7_EES7_S7_S7_b.uses_flat_scratch, 0
	.set _ZN2at6native12_GLOBAL__N_112gatherMedianIsjLi2EEEvNS_4cuda6detail10TensorInfoIT_T0_EENS5_IlS7_EENS5_IKS6_S7_EES7_S7_S7_b.has_dyn_sized_stack, 0
	.set _ZN2at6native12_GLOBAL__N_112gatherMedianIsjLi2EEEvNS_4cuda6detail10TensorInfoIT_T0_EENS5_IlS7_EENS5_IKS6_S7_EES7_S7_S7_b.has_recursion, 0
	.set _ZN2at6native12_GLOBAL__N_112gatherMedianIsjLi2EEEvNS_4cuda6detail10TensorInfoIT_T0_EENS5_IlS7_EENS5_IKS6_S7_EES7_S7_S7_b.has_indirect_call, 0
	.section	.AMDGPU.csdata,"",@progbits
; Kernel info:
; codeLenInByte = 13008
; TotalNumSgprs: 91
; NumVgprs: 62
; ScratchSize: 0
; MemoryBound: 0
; FloatMode: 240
; IeeeMode: 1
; LDSByteSize: 4120 bytes/workgroup (compile time only)
; SGPRBlocks: 0
; VGPRBlocks: 7
; NumSGPRsForWavesPerEU: 91
; NumVGPRsForWavesPerEU: 62
; Occupancy: 16
; WaveLimiterHint : 1
; COMPUTE_PGM_RSRC2:SCRATCH_EN: 0
; COMPUTE_PGM_RSRC2:USER_SGPR: 2
; COMPUTE_PGM_RSRC2:TRAP_HANDLER: 0
; COMPUTE_PGM_RSRC2:TGID_X_EN: 1
; COMPUTE_PGM_RSRC2:TGID_Y_EN: 1
; COMPUTE_PGM_RSRC2:TGID_Z_EN: 1
; COMPUTE_PGM_RSRC2:TIDIG_COMP_CNT: 0
	.section	.text._ZN2at6native12_GLOBAL__N_112gatherMedianIsjLi3EEEvNS_4cuda6detail10TensorInfoIT_T0_EENS5_IlS7_EENS5_IKS6_S7_EES7_S7_S7_b,"axG",@progbits,_ZN2at6native12_GLOBAL__N_112gatherMedianIsjLi3EEEvNS_4cuda6detail10TensorInfoIT_T0_EENS5_IlS7_EENS5_IKS6_S7_EES7_S7_S7_b,comdat
	.globl	_ZN2at6native12_GLOBAL__N_112gatherMedianIsjLi3EEEvNS_4cuda6detail10TensorInfoIT_T0_EENS5_IlS7_EENS5_IKS6_S7_EES7_S7_S7_b ; -- Begin function _ZN2at6native12_GLOBAL__N_112gatherMedianIsjLi3EEEvNS_4cuda6detail10TensorInfoIT_T0_EENS5_IlS7_EENS5_IKS6_S7_EES7_S7_S7_b
	.p2align	8
	.type	_ZN2at6native12_GLOBAL__N_112gatherMedianIsjLi3EEEvNS_4cuda6detail10TensorInfoIT_T0_EENS5_IlS7_EENS5_IKS6_S7_EES7_S7_S7_b,@function
_ZN2at6native12_GLOBAL__N_112gatherMedianIsjLi3EEEvNS_4cuda6detail10TensorInfoIT_T0_EENS5_IlS7_EENS5_IKS6_S7_EES7_S7_S7_b: ; @_ZN2at6native12_GLOBAL__N_112gatherMedianIsjLi3EEEvNS_4cuda6detail10TensorInfoIT_T0_EENS5_IlS7_EENS5_IKS6_S7_EES7_S7_S7_b
; %bb.0:
	s_clause 0x1
	s_load_b64 s[8:9], s[0:1], 0x298
	s_load_b128 s[36:39], s[0:1], 0x288
	s_lshr_b32 s2, ttmp7, 16
	s_and_b32 s3, ttmp7, 0xffff
	s_wait_kmcnt 0x0
	s_mul_i32 s2, s9, s2
	s_delay_alu instid0(SALU_CYCLE_1) | instskip(NEXT) | instid1(SALU_CYCLE_1)
	s_add_co_i32 s2, s2, s3
	s_mul_i32 s33, s2, s8
	s_delay_alu instid0(SALU_CYCLE_1) | instskip(NEXT) | instid1(SALU_CYCLE_1)
	s_add_co_i32 s33, s33, ttmp9
	s_cmp_ge_u32 s33, s37
	s_cbranch_scc1 .LBB106_250
; %bb.1:
	s_clause 0x2
	s_load_b64 s[48:49], s[0:1], 0xc
	s_load_b64 s[34:35], s[0:1], 0xe4
	;; [unrolled: 1-line block ×3, first 2 shown]
	s_mov_b32 s15, 0
	s_wait_kmcnt 0x0
	s_cvt_f32_u32 s5, s35
	s_cvt_f32_u32 s2, s49
	s_sub_co_i32 s3, 0, s49
	s_cvt_f32_u32 s4, s48
	s_cvt_f32_u32 s6, s34
	v_rcp_iflag_f32_e32 v1, s2
	s_cvt_f32_u32 s7, s11
	v_rcp_iflag_f32_e32 v2, s4
	v_rcp_iflag_f32_e32 v3, s6
	s_cvt_f32_u32 s9, s10
	v_rcp_iflag_f32_e32 v4, s7
	s_delay_alu instid0(SALU_CYCLE_2) | instskip(SKIP_4) | instid1(SALU_CYCLE_2)
	v_rcp_iflag_f32_e32 v5, s9
	v_readfirstlane_b32 s2, v1
	v_rcp_iflag_f32_e32 v1, s5
	s_mul_f32 s2, s2, 0x4f7ffffe
	s_wait_alu 0xfffe
	s_cvt_u32_f32 s2, s2
	s_delay_alu instid0(TRANS32_DEP_1) | instskip(SKIP_1) | instid1(SALU_CYCLE_1)
	v_readfirstlane_b32 s4, v1
	s_wait_alu 0xfffe
	s_mul_i32 s3, s3, s2
	s_wait_alu 0xfffe
	s_mul_hi_u32 s3, s2, s3
	s_mul_f32 s4, s4, 0x4f7ffffe
	s_wait_alu 0xfffe
	s_add_co_i32 s2, s2, s3
	s_wait_alu 0xfffe
	s_mul_hi_u32 s2, s33, s2
	s_wait_alu 0xfffe
	s_mul_i32 s3, s2, s49
	s_add_co_i32 s5, s2, 1
	s_wait_alu 0xfffe
	s_sub_co_i32 s3, s33, s3
	s_wait_alu 0xfffe
	s_sub_co_i32 s6, s3, s49
	s_cmp_ge_u32 s3, s49
	s_cselect_b32 s2, s5, s2
	s_wait_alu 0xfffe
	s_cselect_b32 s3, s6, s3
	s_add_co_i32 s5, s2, 1
	s_wait_alu 0xfffe
	s_cmp_ge_u32 s3, s49
	s_cvt_u32_f32 s3, s4
	s_cselect_b32 s52, s5, s2
	s_sub_co_i32 s2, 0, s35
	v_readfirstlane_b32 s6, v4
	s_wait_alu 0xfffe
	s_mul_i32 s2, s2, s3
	s_sub_co_i32 s9, 0, s48
	s_wait_alu 0xfffe
	s_mul_hi_u32 s2, s3, s2
	v_readfirstlane_b32 s4, v2
	s_wait_alu 0xfffe
	s_add_co_i32 s3, s3, s2
	s_mul_f32 s6, s6, 0x4f7ffffe
	s_wait_alu 0xfffe
	s_mul_hi_u32 s3, s33, s3
	v_readfirstlane_b32 s5, v3
	s_wait_alu 0xfffe
	s_mul_i32 s7, s3, s35
	s_add_co_i32 s12, s3, 1
	s_wait_alu 0xfffe
	s_sub_co_i32 s7, s33, s7
	v_readfirstlane_b32 s2, v5
	s_wait_alu 0xfffe
	s_sub_co_i32 s13, s7, s35
	s_cmp_ge_u32 s7, s35
	s_mul_f32 s4, s4, 0x4f7ffffe
	s_cselect_b32 s3, s12, s3
	s_cselect_b32 s7, s13, s7
	s_wait_alu 0xfffe
	s_add_co_i32 s12, s3, 1
	s_cmp_ge_u32 s7, s35
	s_cvt_u32_f32 s7, s6
	s_cselect_b32 s50, s12, s3
	s_sub_co_i32 s3, 0, s11
	s_mul_f32 s5, s5, 0x4f7ffffe
	s_wait_alu 0xfffe
	s_mul_i32 s3, s3, s7
	s_mul_f32 s2, s2, 0x4f7ffffe
	s_wait_alu 0xfffe
	s_mul_hi_u32 s3, s7, s3
	s_cvt_u32_f32 s6, s4
	s_wait_alu 0xfffe
	s_add_co_i32 s7, s7, s3
	s_cvt_u32_f32 s3, s5
	s_wait_alu 0xfffe
	s_mul_hi_u32 s4, s33, s7
	s_cvt_u32_f32 s5, s2
	s_wait_alu 0xfffe
	s_mul_i32 s2, s4, s11
	s_sub_co_i32 s12, 0, s34
	s_wait_alu 0xfffe
	s_sub_co_i32 s2, s33, s2
	s_add_co_i32 s7, s4, 1
	s_wait_alu 0xfffe
	s_sub_co_i32 s13, s2, s11
	s_cmp_ge_u32 s2, s11
	s_mul_i32 s9, s9, s6
	s_cselect_b32 s4, s7, s4
	s_cselect_b32 s2, s13, s2
	s_wait_alu 0xfffe
	s_add_co_i32 s13, s4, 1
	s_cmp_ge_u32 s2, s11
	s_mul_i32 s12, s12, s3
	s_cselect_b32 s14, s13, s4
	s_sub_co_i32 s2, 0, s10
	s_mul_hi_u32 s7, s6, s9
	s_wait_alu 0xfffe
	s_mul_i32 s4, s2, s5
	v_cmp_eq_u32_e64 s2, 0, v0
	s_wait_alu 0xfffe
	s_mul_hi_u32 s4, s5, s4
	s_mul_hi_u32 s9, s3, s12
	s_wait_alu 0xfffe
	s_add_co_i32 s12, s5, s4
	s_and_saveexec_b32 s4, s2
; %bb.2:
	v_mov_b32_e32 v1, 0
	s_delay_alu instid0(VALU_DEP_1)
	v_mov_b32_e32 v2, v1
	ds_store_b64 v1, v[1:2] offset:4096
; %bb.3:
	s_wait_alu 0xfffe
	s_or_b32 exec_lo, exec_lo, s4
	v_mov_b32_e32 v1, 0
	s_wait_dscnt 0x0
	s_barrier_signal -1
	s_barrier_wait -1
	global_inv scope:SCOPE_SE
	s_wait_loadcnt 0x0
	s_barrier_signal -1
	s_barrier_wait -1
	global_inv scope:SCOPE_SE
	ds_load_b64 v[1:2], v1 offset:4096
	s_add_co_i32 s16, s6, s7
	s_add_co_i32 s18, s3, s9
	s_bitcmp1_b32 s39, 0
	s_mov_b32 s13, s15
	s_cselect_b32 s3, -1, 0
	s_mov_b32 s24, s36
	s_wait_dscnt 0x0
	v_readfirstlane_b32 s4, v1
	v_readfirstlane_b32 s5, v2
	s_wait_alu 0xf1ff
	s_delay_alu instid0(VALU_DEP_1)
	v_cmp_lt_i64_e64 s6, s[4:5], 1
	s_wait_alu 0xfffe
	s_or_b32 s3, s3, s6
	s_wait_alu 0xfffe
	s_and_not1_b32 vcc_lo, exec_lo, s3
	s_cbranch_vccnz .LBB106_5
; %bb.4:
	s_not_b64 s[4:5], s[4:5]
	s_mov_b32 s37, 0
	s_wait_alu 0xfffe
	s_add_nc_u64 s[4:5], s[4:5], s[36:37]
	s_mov_b32 s7, s37
	s_wait_alu 0xfffe
	s_lshr_b32 s6, s5, 31
	s_wait_alu 0xfffe
	s_add_nc_u64 s[4:5], s[4:5], s[6:7]
	s_wait_alu 0xfffe
	s_lshr_b64 s[4:5], s[4:5], 1
	s_wait_alu 0xfffe
	s_add_co_i32 s24, s4, 1
.LBB106_5:
	s_clause 0x1
	s_load_b96 s[4:6], s[0:1], 0x21c
	s_load_b64 s[20:21], s[0:1], 0x1b0
	s_mov_b32 s53, s15
	s_mov_b32 s17, s15
	s_mul_u64 s[22:23], s[14:15], s[12:13]
	s_mov_b32 s51, s15
	s_mov_b32 s19, s15
	s_add_nc_u64 s[12:13], s[0:1], 0x298
	s_and_saveexec_b32 s3, s2
	s_cbranch_execz .LBB106_7
; %bb.6:
	v_dual_mov_b32 v1, 0 :: v_dual_mov_b32 v2, s36
	ds_store_b32 v1, v1 offset:4112
	ds_store_b64 v1, v[1:2] offset:4104
.LBB106_7:
	s_wait_alu 0xfffe
	s_or_b32 exec_lo, exec_lo, s3
	s_mul_i32 s7, s23, s10
	s_mul_i32 s3, s14, s11
	s_wait_alu 0xfffe
	s_sub_co_i32 s7, s14, s7
	s_sub_co_i32 s3, s33, s3
	s_add_co_i32 s9, s23, 1
	s_wait_alu 0xfffe
	s_sub_co_i32 s11, s7, s10
	s_cmp_ge_u32 s7, s10
	s_wait_loadcnt_dscnt 0x0
	s_cselect_b32 s9, s9, s23
	s_cselect_b32 s7, s11, s7
	s_wait_alu 0xfffe
	s_add_co_i32 s11, s9, 1
	s_cmp_ge_u32 s7, s10
	s_barrier_signal -1
	s_barrier_wait -1
	global_inv scope:SCOPE_SE
	s_load_b32 s7, s[12:13], 0xc
	s_cselect_b32 s9, s11, s9
	v_dual_mov_b32 v7, 0 :: v_dual_lshlrev_b32 v16, 1, v0
	s_wait_alu 0xfffe
	s_mul_i32 s10, s9, s10
	v_mul_lo_u32 v5, s38, v0
	v_mbcnt_lo_u32_b32 v14, -1, 0
	s_sub_co_i32 s10, s14, s10
	v_dual_mov_b32 v6, v7 :: v_dual_lshlrev_b32 v15, 2, v0
	s_wait_kmcnt 0x0
	s_mul_i32 s3, s3, s6
	s_mul_i32 s5, s10, s5
	;; [unrolled: 1-line block ×3, first 2 shown]
	s_wait_alu 0xfffe
	s_add_co_i32 s3, s5, s3
	v_lshlrev_b64_e64 v[3:4], v14, -1
	s_wait_alu 0xfffe
	s_add_co_i32 s62, s3, s9
	s_mov_b32 s63, 0
	v_lshlrev_b64_e32 v[1:2], 1, v[5:6]
	v_cmp_gt_u32_e32 vcc_lo, 32, v0
	v_cmp_gt_i32_e64 s3, 4, v14
	s_and_b32 s37, s7, 0xffff
	s_clause 0x1
	s_load_b96 s[40:42], s[0:1], 0x144
	s_load_b64 s[54:55], s[0:1], 0xd8
	s_lshl_b32 s43, s37, 2
	s_clause 0x1
	s_load_b96 s[44:46], s[0:1], 0x6c
	s_load_b64 s[58:59], s[0:1], 0x0
	s_cvt_f32_u32 s5, s43
	s_lshl_b64 s[0:1], s[62:63], 1
	s_mul_u64 s[30:31], s[50:51], s[18:19]
	s_add_nc_u64 s[56:57], s[20:21], s[0:1]
	s_add_co_i32 s51, s37, -1
	v_not_b32_e32 v18, v3
	s_wait_alu 0xfffe
	v_rcp_iflag_f32_e32 v3, s5
	s_bfe_u32 s4, s7, 0xb0005
	s_and_b32 s47, vcc_lo, s3
	s_add_co_i32 s10, s51, s36
	v_add_co_u32 v8, vcc_lo, s56, v1
	s_cmp_gt_u32 s36, 0x600
	v_add_co_ci_u32_e64 v9, null, s57, v2, vcc_lo
	v_lshrrev_b32_e32 v2, 1, v0
	s_mul_u64 s[60:61], s[52:53], s[16:17]
	s_cselect_b32 s53, -1, 0
	s_cmp_gt_u32 s37, 31
	s_movk_i32 s5, 0x1f0
	s_cselect_b32 s70, -1, 0
	s_cmp_lt_u32 ttmp9, s8
	s_wait_alu 0xfffe
	v_and_or_b32 v19, v2, s5, 0xc00
	s_cselect_b32 s62, 12, 18
	s_add_co_i32 s5, s4, -1
	v_readfirstlane_b32 s6, v3
	s_wait_alu 0xfffe
	s_and_b32 s5, s5, 0xffff
	s_bfe_u32 s71, s37, 0x30005
	s_wait_alu 0xfffe
	s_cmp_gt_u32 s5, 6
	s_cvt_f32_u32 s5, s37
	s_cselect_b32 s72, -1, 0
	s_and_b32 s73, s4, 0x7f8
	s_mul_f32 s4, s6, 0x4f7ffffe
	s_cmp_lg_u32 s71, 0
	s_wait_alu 0xfffe
	v_rcp_iflag_f32_e32 v4, s5
	s_cselect_b32 s74, -1, 0
	s_cvt_u32_f32 s4, s4
	s_sub_co_i32 s6, 0, s43
	v_dual_mov_b32 v32, 0 :: v_dual_add_nc_u32 v1, 2, v0
	s_wait_alu 0xfffe
	s_mul_i32 s6, s6, s4
	v_mov_b32_e32 v33, 0
	s_wait_alu 0xfffe
	s_mul_hi_u32 s5, s4, s6
	v_max_u32_e32 v1, s36, v1
	s_wait_alu 0xfffe
	s_add_co_i32 s64, s4, s5
	v_readfirstlane_b32 s6, v4
	s_mul_hi_u32 s5, s36, s64
	v_mov_b32_e32 v31, 0
	s_wait_alu 0xfffe
	s_mul_i32 s5, s5, s43
	v_xad_u32 v1, v0, -1, v1
	s_wait_alu 0xfffe
	s_sub_co_i32 s5, s36, s5
	s_mul_f32 s6, s6, 0x4f7ffffe
	s_wait_alu 0xfffe
	s_sub_co_i32 s7, s5, s43
	s_cmp_ge_u32 s5, s43
	v_add_nc_u32_e32 v2, -2, v1
	s_wait_alu 0xfffe
	s_cselect_b32 s7, s7, s5
	s_cvt_u32_f32 s6, s6
	s_wait_alu 0xfffe
	s_sub_co_i32 s8, s7, s43
	s_cmp_ge_u32 s7, s43
	v_and_b32_e32 v20, -2, v1
	s_wait_alu 0xfffe
	s_cselect_b32 s11, s8, s7
	s_sub_co_i32 s7, 0, s37
	s_sub_co_i32 s75, s36, s11
	s_wait_alu 0xfffe
	s_mul_i32 s7, s7, s6
	v_add_nc_u32_e32 v22, s75, v0
	s_wait_alu 0xfffe
	s_mul_hi_u32 s7, s6, s7
	v_lshrrev_b32_e32 v3, 1, v2
	s_wait_alu 0xfffe
	s_add_co_i32 s66, s6, s7
	v_cmp_lt_u32_e64 s4, 31, v1
	v_mul_lo_u32 v6, v22, s38
	s_mul_hi_u32 s7, s10, s66
	v_cmp_lt_u32_e64 s5, 13, v2
	s_wait_alu 0xfffe
	s_mul_i32 s8, s7, s37
	v_cmp_ne_u32_e64 s7, v1, v20
	s_wait_alu 0xfffe
	s_sub_co_i32 s9, s10, s8
	v_add_nc_u32_e32 v3, 1, v3
	s_wait_alu 0xfffe
	s_sub_co_i32 s14, s9, s37
	v_lshlrev_b64_e32 v[1:2], 1, v[6:7]
	s_cmp_ge_u32 s9, s37
	s_mov_b32 s39, s38
	s_cselect_b32 s14, s14, s9
	v_and_b32_e32 v4, 7, v3
	v_and_b32_e32 v23, -8, v3
	v_add_co_u32 v10, vcc_lo, s56, v1
	v_add3_u32 v1, s37, s36, v0
	s_wait_alu 0xfffd
	v_add_co_ci_u32_e64 v11, null, s57, v2, vcc_lo
	v_or_b32_e32 v2, 2, v15
	v_or_b32_e32 v3, 3, v15
	v_subrev_nc_u32_e32 v1, s11, v1
	s_sub_co_i32 s15, s14, s37
	s_cmp_ge_u32 s14, s37
	s_wait_alu 0xfffe
	v_mad_co_u64_u32 v[12:13], null, s38, v15, s[38:39]
	s_cselect_b32 s14, s15, s14
	v_mul_lo_u32 v25, s38, v2
	v_mul_lo_u32 v26, s38, v3
	;; [unrolled: 1-line block ×3, first 2 shown]
	s_sub_co_i32 s76, s10, s14
	v_cmp_gt_u32_e64 s0, s36, v0
	v_cmp_eq_u32_e64 s1, 0, v14
	v_cmp_gt_u32_e64 s3, 2, v0
	v_dual_mov_b32 v34, s24 :: v_dual_add_nc_u32 v17, 0xc00, v16
	v_add_nc_u32_e32 v21, v0, v20
	v_cmp_gt_u32_e64 s8, s75, v15
	v_cmp_gt_u32_e64 s9, s36, v22
	;; [unrolled: 1-line block ×3, first 2 shown]
	v_lshlrev_b32_e32 v27, 2, v5
	v_lshlrev_b32_e32 v29, 3, v0
	v_lshl_or_b32 v30, v14, 2, 0xc00
	v_mov_b32_e32 v13, 0
	v_cmp_ne_u32_e64 s6, 0, v4
	v_lshlrev_b32_e32 v24, 2, v4
	s_mul_i32 s60, s38, s37
	s_mov_b32 s65, s63
	s_mov_b32 s67, s63
	s_lshl_b32 s77, s60, 2
	s_lshl_b32 s78, s37, 3
	;; [unrolled: 1-line block ×3, first 2 shown]
	s_mov_b32 s87, 14
	s_add_nc_u64 s[68:69], s[12:13], s[62:63]
	s_mov_b32 s80, 0
                                        ; implicit-def: $sgpr84
                                        ; implicit-def: $sgpr86
                                        ; implicit-def: $sgpr81
                                        ; implicit-def: $sgpr83
                                        ; implicit-def: $sgpr85
                                        ; implicit-def: $sgpr82
	s_branch .LBB106_11
.LBB106_8:                              ;   in Loop: Header=BB106_11 Depth=1
	s_wait_alu 0xfffe
	s_or_b32 exec_lo, exec_lo, s15
	s_delay_alu instid0(SALU_CYCLE_1)
	s_and_b32 s12, s12, exec_lo
	s_and_not1_b32 s17, s17, exec_lo
	s_and_not1_b32 s16, s16, exec_lo
	s_or_not1_b32 s14, s14, exec_lo
.LBB106_9:                              ;   in Loop: Header=BB106_11 Depth=1
	s_wait_alu 0xfffe
	s_or_b32 exec_lo, exec_lo, s11
	s_delay_alu instid0(SALU_CYCLE_1)
	s_and_not1_b32 s11, s82, exec_lo
	s_and_b32 s12, s12, exec_lo
	s_and_not1_b32 s15, s83, exec_lo
	s_wait_alu 0xfffe
	s_or_b32 s82, s11, s12
	s_and_not1_b32 s11, s85, exec_lo
	s_and_b32 s12, s17, exec_lo
	s_and_b32 s16, s16, exec_lo
	s_wait_alu 0xfffe
	s_or_b32 s85, s11, s12
	s_or_b32 s83, s15, s16
	s_or_not1_b32 s15, s14, exec_lo
.LBB106_10:                             ;   in Loop: Header=BB106_11 Depth=1
	s_wait_alu 0xfffe
	s_or_b32 exec_lo, exec_lo, s13
	s_delay_alu instid0(SALU_CYCLE_1)
	s_and_b32 s11, exec_lo, s15
	v_mov_b32_e32 v34, v2
	s_wait_alu 0xfffe
	s_or_b32 s80, s11, s80
	s_and_not1_b32 s11, s81, exec_lo
	s_and_b32 s12, s82, exec_lo
	s_and_not1_b32 s13, s86, exec_lo
	s_wait_alu 0xfffe
	s_or_b32 s81, s11, s12
	s_and_b32 s11, s85, exec_lo
	s_and_not1_b32 s12, s84, exec_lo
	s_and_b32 s14, s83, exec_lo
	s_wait_alu 0xfffe
	s_or_b32 s86, s13, s11
	s_or_b32 s84, s12, s14
	s_mov_b32 s87, s22
	s_and_not1_b32 exec_lo, exec_lo, s80
	s_cbranch_execz .LBB106_246
.LBB106_11:                             ; =>This Loop Header: Depth=1
                                        ;     Child Loop BB106_16 Depth 2
                                        ;     Child Loop BB106_37 Depth 2
	;; [unrolled: 1-line block ×18, first 2 shown]
	ds_load_b64 v[1:2], v7 offset:4104
	s_wait_dscnt 0x0
	v_readfirstlane_b32 s62, v1
	s_cmp_lg_u32 s62, 0
	s_cbranch_scc1 .LBB106_56
; %bb.12:                               ;   in Loop: Header=BB106_11 Depth=1
	s_and_b32 vcc_lo, exec_lo, s53
	s_wait_alu 0xfffe
	s_cbranch_vccz .LBB106_24
; %bb.13:                               ;   in Loop: Header=BB106_11 Depth=1
	v_cmp_gt_u32_e32 vcc_lo, 0x601, v2
	s_mov_b32 s13, 0
	s_mov_b32 s11, 0
	s_cbranch_vccz .LBB106_25
; %bb.14:                               ;   in Loop: Header=BB106_11 Depth=1
	global_load_u16 v1, v[8:9], off
	s_load_u16 s14, s[68:69], 0x0
	s_mov_b32 s15, 0
	s_wait_kmcnt 0x0
	v_add_nc_u32_e32 v2, s14, v0
	s_mul_i32 s16, s38, s14
	s_delay_alu instid0(VALU_DEP_1)
	v_mul_lo_u32 v6, s38, v2
	v_mov_b32_e32 v2, v0
	s_branch .LBB106_16
.LBB106_15:                             ;   in Loop: Header=BB106_16 Depth=2
	s_wait_alu 0xfffe
	s_or_b32 exec_lo, exec_lo, s12
	v_dual_mov_b32 v1, v3 :: v_dual_add_nc_u32 v6, s16, v6
	s_and_not1_b32 exec_lo, exec_lo, s15
	s_cbranch_execz .LBB106_31
.LBB106_16:                             ;   Parent Loop BB106_11 Depth=1
                                        ; =>  This Inner Loop Header: Depth=2
	s_delay_alu instid0(VALU_DEP_1) | instskip(SKIP_3) | instid1(VALU_DEP_2)
	v_dual_mov_b32 v3, 0 :: v_dual_add_nc_u32 v2, s14, v2
	s_wait_dscnt 0x0
	v_mov_b32_e32 v4, 0
	s_mov_b32 s12, exec_lo
	v_cmp_le_u32_e32 vcc_lo, s36, v2
	v_cmpx_gt_u32_e64 s36, v2
	s_cbranch_execz .LBB106_18
; %bb.17:                               ;   in Loop: Header=BB106_16 Depth=2
	v_lshlrev_b64_e32 v[35:36], 1, v[6:7]
	s_delay_alu instid0(VALU_DEP_1) | instskip(SKIP_1) | instid1(VALU_DEP_2)
	v_add_co_u32 v35, s11, s56, v35
	s_wait_alu 0xf1ff
	v_add_co_ci_u32_e64 v36, null, s57, v36, s11
	global_load_u16 v3, v[35:36], off
.LBB106_18:                             ;   in Loop: Header=BB106_16 Depth=2
	s_wait_alu 0xfffe
	s_or_b32 exec_lo, exec_lo, s12
	s_wait_loadcnt 0x0
	v_bfe_i32 v35, v1, 0, 16
	s_delay_alu instid0(VALU_DEP_1) | instskip(NEXT) | instid1(VALU_DEP_1)
	v_add_nc_u32_e32 v35, 0x8000, v35
	v_and_b32_e32 v35, v35, v32
	s_delay_alu instid0(VALU_DEP_1)
	v_cmp_eq_u32_e64 s11, v35, v13
	s_cmp_lg_u32 s11, 0
	s_cselect_b32 s12, -1, 0
	s_wait_alu 0xfffe
	s_and_b32 s12, s1, s12
	s_wait_alu 0xfffe
	s_and_saveexec_b32 s17, s12
	s_cbranch_execz .LBB106_22
; %bb.19:                               ;   in Loop: Header=BB106_16 Depth=2
	s_mov_b32 s20, exec_lo
	s_bcnt1_i32_b32 s18, s11
	s_wait_alu 0xfffe
	v_mbcnt_lo_u32_b32 v4, s20, 0
	s_mov_b32 s19, exec_lo
                                        ; implicit-def: $vgpr35
	s_delay_alu instid0(VALU_DEP_1)
	v_cmpx_eq_u32_e32 0, v4
; %bb.20:                               ;   in Loop: Header=BB106_16 Depth=2
	s_bcnt1_i32_b32 s12, s20
	s_wait_alu 0xfffe
	s_mul_i32 s12, s18, s12
	s_wait_alu 0xfffe
	v_mov_b32_e32 v35, s12
	ds_add_rtn_u32 v35, v7, v35 offset:4112
; %bb.21:                               ;   in Loop: Header=BB106_16 Depth=2
	s_or_b32 exec_lo, exec_lo, s19
	s_wait_dscnt 0x0
	v_readfirstlane_b32 s12, v35
	s_wait_alu 0xf1ff
	s_delay_alu instid0(VALU_DEP_1)
	v_mad_u32_u24 v4, s18, v4, s12
.LBB106_22:                             ;   in Loop: Header=BB106_16 Depth=2
	s_wait_alu 0xfffe
	s_or_b32 exec_lo, exec_lo, s17
	ds_bpermute_b32 v4, v7, v4
	s_and_b32 s12, exec_lo, vcc_lo
	s_wait_alu 0xfffe
	s_or_b32 s15, s12, s15
	s_and_saveexec_b32 s12, s11
	s_cbranch_execz .LBB106_15
; %bb.23:                               ;   in Loop: Header=BB106_16 Depth=2
	v_and_b32_e32 v35, s11, v18
	s_delay_alu instid0(VALU_DEP_1) | instskip(NEXT) | instid1(VALU_DEP_1)
	v_bcnt_u32_b32 v35, v35, 0
	v_lshlrev_b32_e32 v35, 1, v35
	s_wait_dscnt 0x0
	s_delay_alu instid0(VALU_DEP_1)
	v_lshl_add_u32 v4, v4, 1, v35
	ds_store_b16 v4, v1
	s_branch .LBB106_15
.LBB106_24:                             ;   in Loop: Header=BB106_11 Depth=1
	s_mov_b32 s13, -1
	s_mov_b32 s11, 0
.LBB106_25:                             ;   in Loop: Header=BB106_11 Depth=1
	s_wait_alu 0xfffe
	s_and_b32 vcc_lo, exec_lo, s13
	s_wait_alu 0xfffe
	s_cbranch_vccz .LBB106_54
.LBB106_26:                             ;   in Loop: Header=BB106_11 Depth=1
	s_and_saveexec_b32 s12, s0
	s_cbranch_execz .LBB106_51
; %bb.27:                               ;   in Loop: Header=BB106_11 Depth=1
	global_load_u16 v35, v[8:9], off
	s_load_u16 s14, s[68:69], 0x0
	v_mov_b32_e32 v3, v0
	s_mov_b32 s13, exec_lo
	s_wait_kmcnt 0x0
	v_add_nc_u32_e32 v1, s14, v0
	s_delay_alu instid0(VALU_DEP_1)
	v_cmpx_gt_u32_e64 s36, v1
	s_cbranch_execz .LBB106_50
; %bb.28:                               ;   in Loop: Header=BB106_11 Depth=1
	s_mov_b32 s11, 0
	s_mul_i32 s15, s38, s14
                                        ; implicit-def: $vgpr3
                                        ; implicit-def: $vgpr36
                                        ; implicit-def: $vgpr2
                                        ; implicit-def: $vgpr4
	s_and_saveexec_b32 s16, s4
	s_wait_alu 0xfffe
	s_xor_b32 s16, exec_lo, s16
	s_cbranch_execnz .LBB106_34
; %bb.29:                               ;   in Loop: Header=BB106_11 Depth=1
	s_wait_alu 0xfffe
	s_and_not1_saveexec_b32 s16, s16
	s_cbranch_execnz .LBB106_45
.LBB106_30:                             ;   in Loop: Header=BB106_11 Depth=1
	s_wait_alu 0xfffe
	s_or_b32 exec_lo, exec_lo, s16
	s_and_saveexec_b32 s15, s11
	s_cbranch_execnz .LBB106_46
	s_branch .LBB106_49
.LBB106_31:                             ;   in Loop: Header=BB106_11 Depth=1
	s_or_b32 exec_lo, exec_lo, s15
	s_wait_dscnt 0x0
	s_barrier_signal -1
	s_barrier_wait -1
	global_inv scope:SCOPE_SE
	s_and_saveexec_b32 s11, s2
	s_cbranch_execz .LBB106_33
; %bb.32:                               ;   in Loop: Header=BB106_11 Depth=1
	ds_load_b32 v1, v7 offset:4112
	s_wait_dscnt 0x0
	ds_store_b32 v7, v1 offset:4104
.LBB106_33:                             ;   in Loop: Header=BB106_11 Depth=1
	s_wait_alu 0xfffe
	s_or_b32 exec_lo, exec_lo, s11
	s_wait_loadcnt_dscnt 0x0
	s_barrier_signal -1
	s_mov_b32 s11, -1
	s_barrier_wait -1
	s_and_b32 vcc_lo, exec_lo, s13
	s_wait_alu 0xfffe
	s_cbranch_vccnz .LBB106_26
	s_branch .LBB106_54
.LBB106_34:                             ;   in Loop: Header=BB106_11 Depth=1
	v_add_nc_u32_e32 v2, s14, v1
	s_cvt_f32_u32 s11, s14
	s_wait_alu 0xfffe
	s_delay_alu instid0(SALU_CYCLE_2) | instskip(NEXT) | instid1(VALU_DEP_1)
	v_rcp_iflag_f32_e32 v3, s11
	v_max_u32_e32 v2, s36, v2
	s_lshl_b32 s11, s14, 1
	s_delay_alu instid0(VALU_DEP_1) | instskip(NEXT) | instid1(TRANS32_DEP_1)
	v_sub_nc_u32_e32 v2, v2, v0
	v_readfirstlane_b32 s17, v3
	s_wait_alu 0xfffe
	s_delay_alu instid0(VALU_DEP_2) | instskip(SKIP_3) | instid1(VALU_DEP_1)
	v_cmp_ne_u32_e32 vcc_lo, s11, v2
	s_mul_f32 s17, s17, 0x4f7ffffe
	s_wait_alu 0xfffd
	v_cndmask_b32_e64 v3, 0, 1, vcc_lo
	v_or_b32_e32 v3, s11, v3
	s_wait_alu 0xfffe
	s_cvt_u32_f32 s11, s17
	s_sub_co_i32 s17, 0, s14
	s_wait_alu 0xfffe
	s_delay_alu instid0(SALU_CYCLE_1)
	s_mul_i32 s17, s17, s11
	v_sub_nc_u32_e32 v2, v2, v3
	s_wait_alu 0xfffe
	s_mul_hi_u32 s17, s11, s17
	s_wait_alu 0xfffe
	s_add_co_i32 s11, s11, s17
	s_not_b32 s17, s15
	s_wait_alu 0xfffe
	v_mul_hi_u32 v3, v2, s11
	s_delay_alu instid0(VALU_DEP_1) | instskip(NEXT) | instid1(VALU_DEP_1)
	v_mul_lo_u32 v4, v3, s14
	v_sub_nc_u32_e32 v2, v2, v4
	v_add_nc_u32_e32 v4, 1, v3
	s_delay_alu instid0(VALU_DEP_2) | instskip(SKIP_2) | instid1(VALU_DEP_1)
	v_subrev_nc_u32_e32 v6, s14, v2
	v_cmp_le_u32_e64 s11, s14, v2
	s_wait_alu 0xf1ff
	v_cndmask_b32_e64 v3, v3, v4, s11
	s_delay_alu instid0(VALU_DEP_3) | instskip(NEXT) | instid1(VALU_DEP_2)
	v_cndmask_b32_e64 v2, v2, v6, s11
	v_add_nc_u32_e32 v4, 1, v3
	s_delay_alu instid0(VALU_DEP_2) | instskip(SKIP_1) | instid1(VALU_DEP_1)
	v_cmp_le_u32_e64 s11, s14, v2
	s_wait_alu 0xf1ff
	v_cndmask_b32_e64 v2, v3, v4, s11
	v_mul_lo_u32 v3, s38, v1
	s_abs_i32 s11, s15
	s_delay_alu instid0(VALU_DEP_2) | instskip(SKIP_1) | instid1(VALU_DEP_1)
	v_add_co_ci_u32_e64 v2, null, 0, v2, vcc_lo
	s_wait_alu 0xfffe
	v_mul_hi_u32 v4, s11, v2
	v_mul_lo_u32 v2, s11, v2
	s_ashr_i32 s11, s17, 31
	s_cmp_eq_u32 s14, 1
	s_wait_alu 0xfffe
	v_xor_b32_e32 v3, s11, v3
	s_cselect_b32 s17, -1, 0
	s_delay_alu instid0(VALU_DEP_3) | instskip(NEXT) | instid1(VALU_DEP_2)
	v_cmp_eq_u32_e32 vcc_lo, 0, v4
	v_cmp_le_u32_e64 s11, v2, v3
	v_mov_b32_e32 v2, v0
                                        ; implicit-def: $vgpr3
	s_wait_alu 0xfffe
	s_and_b32 s17, vcc_lo, s17
	s_wait_alu 0xfffe
	s_and_b32 s18, s17, s11
	s_mov_b32 s17, -1
	s_wait_alu 0xfffe
	s_and_saveexec_b32 s11, s18
	s_cbranch_execz .LBB106_44
; %bb.35:                               ;   in Loop: Header=BB106_11 Depth=1
	v_add_nc_u32_e32 v2, 1, v1
	s_wait_loadcnt 0x0
	v_lshlrev_b32_e32 v38, 16, v35
	v_mov_b32_e32 v6, 0
                                        ; implicit-def: $vgpr35
	s_delay_alu instid0(VALU_DEP_3)
	v_dual_mov_b32 v4, v2 :: v_dual_mov_b32 v3, v1
	s_and_saveexec_b32 s17, s5
	s_cbranch_execz .LBB106_39
; %bb.36:                               ;   in Loop: Header=BB106_11 Depth=1
	v_dual_mov_b32 v36, v23 :: v_dual_mov_b32 v37, v16
	v_dual_mov_b32 v4, v2 :: v_dual_mov_b32 v3, v1
	s_mov_b32 s18, 0
	s_mov_b32 s19, 0
.LBB106_37:                             ;   Parent Loop BB106_11 Depth=1
                                        ; =>  This Inner Loop Header: Depth=2
	s_delay_alu instid0(VALU_DEP_1) | instskip(NEXT) | instid1(VALU_DEP_2)
	v_dual_mov_b32 v41, v7 :: v_dual_add_nc_u32 v2, 2, v4
	v_mul_lo_u32 v6, v3, s38
	s_wait_alu 0xfffe
	s_add_co_i32 s19, s19, 16
	v_add_nc_u32_e32 v35, 4, v4
	v_mul_lo_u32 v40, v4, s39
	v_lshrrev_b32_e32 v39, 16, v38
	v_dual_mov_b32 v43, v7 :: v_dual_add_nc_u32 v38, 6, v4
	v_mul_lo_u32 v42, v2, s39
	v_dual_mov_b32 v45, v7 :: v_dual_add_nc_u32 v48, 8, v4
	v_mul_lo_u32 v44, v35, s39
	;; [unrolled: 2-line block ×3, first 2 shown]
	v_lshlrev_b64_e32 v[52:53], 1, v[6:7]
	v_mul_lo_u32 v48, v48, s39
	v_lshlrev_b64_e32 v[40:41], 1, v[40:41]
	v_mul_lo_u32 v50, v50, s39
	v_lshlrev_b64_e32 v[42:43], 1, v[42:43]
	v_dual_mov_b32 v49, v7 :: v_dual_add_nc_u32 v2, 2, v3
	v_lshlrev_b64_e32 v[44:45], 1, v[44:45]
	v_add_co_u32 v52, vcc_lo, s56, v52
	v_dual_mov_b32 v51, v7 :: v_dual_add_nc_u32 v38, 6, v3
	v_lshlrev_b64_e32 v[46:47], 1, v[46:47]
	s_wait_alu 0xfffd
	v_add_co_ci_u32_e64 v53, null, s57, v53, vcc_lo
	v_add_co_u32 v40, vcc_lo, s56, v40
	v_lshlrev_b64_e32 v[48:49], 1, v[48:49]
	s_wait_alu 0xfffd
	v_add_co_ci_u32_e64 v41, null, s57, v41, vcc_lo
	v_add_co_u32 v42, vcc_lo, s56, v42
	;; [unrolled: 4-line block ×3, first 2 shown]
	s_wait_alu 0xfffd
	v_add_co_ci_u32_e64 v45, null, s57, v45, vcc_lo
	v_add_co_u32 v46, vcc_lo, s56, v46
	s_wait_alu 0xfffd
	v_add_co_ci_u32_e64 v47, null, s57, v47, vcc_lo
	v_add_co_u32 v48, vcc_lo, s56, v48
	s_wait_alu 0xfffd
	v_add_co_ci_u32_e64 v49, null, s57, v49, vcc_lo
	v_add_co_u32 v50, vcc_lo, s56, v50
	s_wait_alu 0xfffd
	v_add_co_ci_u32_e64 v51, null, s57, v51, vcc_lo
	s_clause 0x6
	global_load_d16_hi_b16 v39, v[52:53], off
	global_load_u16 v40, v[40:41], off
	global_load_u16 v41, v[42:43], off
	;; [unrolled: 1-line block ×6, first 2 shown]
	v_add_nc_u32_e32 v6, 12, v4
	v_add_nc_u32_e32 v48, 14, v4
	;; [unrolled: 1-line block ×3, first 2 shown]
	v_dual_mov_b32 v47, v7 :: v_dual_add_nc_u32 v54, 8, v3
	s_delay_alu instid0(VALU_DEP_4)
	v_mul_lo_u32 v46, v6, s39
	v_mul_lo_u32 v6, v2, s38
	;; [unrolled: 1-line block ×3, first 2 shown]
	v_dual_mov_b32 v49, v7 :: v_dual_add_nc_u32 v56, 10, v3
	v_add_nc_u32_e32 v58, 12, v3
	v_add_nc_u32_e32 v60, 14, v3
	v_add_nc_u32_e32 v36, -8, v36
	v_lshlrev_b64_e32 v[46:47], 1, v[46:47]
	v_lshlrev_b64_e32 v[50:51], 1, v[6:7]
	v_mul_lo_u32 v6, v35, s38
	v_lshlrev_b64_e32 v[48:49], 1, v[48:49]
	v_add_nc_u32_e32 v4, 16, v4
	v_add_nc_u32_e32 v3, 16, v3
	v_add_co_u32 v46, vcc_lo, s56, v46
	s_wait_alu 0xfffd
	v_add_co_ci_u32_e64 v47, null, s57, v47, vcc_lo
	v_lshlrev_b64_e32 v[52:53], 1, v[6:7]
	v_mul_lo_u32 v6, v38, s38
	v_add_co_u32 v48, vcc_lo, s56, v48
	s_wait_alu 0xfffd
	v_add_co_ci_u32_e64 v49, null, s57, v49, vcc_lo
	v_add_co_u32 v50, vcc_lo, s56, v50
	s_wait_alu 0xfffd
	v_add_co_ci_u32_e64 v51, null, s57, v51, vcc_lo
	global_load_u16 v2, v[46:47], off
	v_add_co_u32 v46, vcc_lo, s56, v52
	s_wait_alu 0xfffd
	v_add_co_ci_u32_e64 v47, null, s57, v53, vcc_lo
	v_lshlrev_b64_e32 v[52:53], 1, v[6:7]
	v_mul_lo_u32 v6, v54, s38
	s_delay_alu instid0(VALU_DEP_2) | instskip(SKIP_1) | instid1(VALU_DEP_3)
	v_add_co_u32 v52, vcc_lo, s56, v52
	s_wait_alu 0xfffd
	v_add_co_ci_u32_e64 v53, null, s57, v53, vcc_lo
	s_delay_alu instid0(VALU_DEP_3) | instskip(SKIP_1) | instid1(VALU_DEP_2)
	v_lshlrev_b64_e32 v[54:55], 1, v[6:7]
	v_mul_lo_u32 v6, v56, s38
	v_add_co_u32 v54, vcc_lo, s56, v54
	s_wait_alu 0xfffd
	s_delay_alu instid0(VALU_DEP_3) | instskip(NEXT) | instid1(VALU_DEP_3)
	v_add_co_ci_u32_e64 v55, null, s57, v55, vcc_lo
	v_lshlrev_b64_e32 v[56:57], 1, v[6:7]
	v_mul_lo_u32 v6, v58, s38
	s_delay_alu instid0(VALU_DEP_2) | instskip(SKIP_1) | instid1(VALU_DEP_3)
	v_add_co_u32 v56, vcc_lo, s56, v56
	s_wait_alu 0xfffd
	v_add_co_ci_u32_e64 v57, null, s57, v57, vcc_lo
	s_delay_alu instid0(VALU_DEP_3) | instskip(SKIP_1) | instid1(VALU_DEP_2)
	v_lshlrev_b64_e32 v[58:59], 1, v[6:7]
	v_mul_lo_u32 v6, v60, s38
	v_add_co_u32 v58, vcc_lo, s56, v58
	s_wait_alu 0xfffd
	s_delay_alu instid0(VALU_DEP_3) | instskip(NEXT) | instid1(VALU_DEP_3)
	v_add_co_ci_u32_e64 v59, null, s57, v59, vcc_lo
	v_lshlrev_b64_e32 v[60:61], 1, v[6:7]
	s_wait_alu 0xfffe
	v_mov_b32_e32 v6, s19
	s_delay_alu instid0(VALU_DEP_2) | instskip(SKIP_1) | instid1(VALU_DEP_3)
	v_add_co_u32 v60, vcc_lo, s56, v60
	s_wait_alu 0xfffd
	v_add_co_ci_u32_e64 v61, null, s57, v61, vcc_lo
	v_cmp_eq_u32_e32 vcc_lo, 0, v36
	s_wait_loadcnt 0x6
	global_load_d16_hi_b16 v40, v[50:51], off
	s_wait_loadcnt 0x6
	global_load_d16_hi_b16 v41, v[46:47], off
	;; [unrolled: 2-line block ×3, first 2 shown]
	s_wait_loadcnt 0x6
	s_clause 0x1
	global_load_d16_hi_b16 v43, v[54:55], off
	global_load_u16 v38, v[60:61], off
	s_wait_loadcnt 0x7
	global_load_d16_hi_b16 v44, v[56:57], off
	s_wait_loadcnt 0x7
	s_clause 0x1
	global_load_d16_hi_b16 v45, v[58:59], off
	global_load_u16 v35, v[48:49], off
	s_or_b32 s18, vcc_lo, s18
	s_wait_loadcnt 0x3
	v_perm_b32 v46, v38, v2, 0x5040100
	ds_store_b128 v37, v[39:42]
	s_wait_loadcnt 0x1
	ds_store_b128 v37, v[43:46] offset:16
	s_wait_loadcnt 0x0
	v_perm_b32 v38, v35, v38, 0x5040100
	v_add_nc_u32_e32 v37, 32, v37
	s_wait_alu 0xfffe
	s_and_not1_b32 exec_lo, exec_lo, s18
	s_cbranch_execnz .LBB106_37
; %bb.38:                               ;   in Loop: Header=BB106_11 Depth=1
	s_or_b32 exec_lo, exec_lo, s18
.LBB106_39:                             ;   in Loop: Header=BB106_11 Depth=1
	s_wait_alu 0xfffe
	s_or_b32 exec_lo, exec_lo, s17
	s_and_saveexec_b32 s17, s6
	s_cbranch_execz .LBB106_43
; %bb.40:                               ;   in Loop: Header=BB106_11 Depth=1
	v_lshl_add_u32 v2, v6, 1, v16
	v_mov_b32_e32 v36, v24
	s_mov_b32 s18, 0
.LBB106_41:                             ;   Parent Loop BB106_11 Depth=1
                                        ; =>  This Inner Loop Header: Depth=2
	v_mul_lo_u32 v6, v3, s38
	v_mul_lo_u32 v39, v4, s39
	v_dual_mov_b32 v40, v7 :: v_dual_add_nc_u32 v3, 2, v3
	v_add_nc_u32_e32 v36, -4, v36
	v_add_nc_u32_e32 v4, 2, v4
	v_lshlrev_b64_e32 v[41:42], 1, v[6:7]
	s_delay_alu instid0(VALU_DEP_4) | instskip(NEXT) | instid1(VALU_DEP_2)
	v_lshlrev_b64_e32 v[39:40], 1, v[39:40]
	v_add_co_u32 v41, vcc_lo, s56, v41
	s_wait_alu 0xfffd
	s_delay_alu instid0(VALU_DEP_3) | instskip(NEXT) | instid1(VALU_DEP_3)
	v_add_co_ci_u32_e64 v42, null, s57, v42, vcc_lo
	v_add_co_u32 v39, vcc_lo, s56, v39
	s_wait_alu 0xfffd
	v_add_co_ci_u32_e64 v40, null, s57, v40, vcc_lo
	s_clause 0x1
	global_load_u16 v6, v[41:42], off
	global_load_u16 v35, v[39:40], off
	v_cmp_eq_u32_e32 vcc_lo, 0, v36
	s_wait_alu 0xfffe
	s_or_b32 s18, vcc_lo, s18
	s_wait_loadcnt 0x1
	v_alignbit_b32 v37, v6, v38, 16
	s_wait_loadcnt 0x0
	v_perm_b32 v38, v35, v6, 0x5040100
	ds_store_b32 v2, v37
	v_add_nc_u32_e32 v2, 4, v2
	s_wait_alu 0xfffe
	s_and_not1_b32 exec_lo, exec_lo, s18
	s_cbranch_execnz .LBB106_41
; %bb.42:                               ;   in Loop: Header=BB106_11 Depth=1
	s_or_b32 exec_lo, exec_lo, s18
.LBB106_43:                             ;   in Loop: Header=BB106_11 Depth=1
	s_wait_alu 0xfffe
	s_or_b32 exec_lo, exec_lo, s17
	v_add_nc_u32_e32 v1, v1, v20
	s_or_not1_b32 s17, s7, exec_lo
	s_delay_alu instid0(VALU_DEP_1)
	v_dual_mov_b32 v2, v21 :: v_dual_add_nc_u32 v3, -1, v1
.LBB106_44:                             ;   in Loop: Header=BB106_11 Depth=1
	s_wait_alu 0xfffe
	s_or_b32 exec_lo, exec_lo, s11
	v_mov_b32_e32 v4, s15
	s_wait_loadcnt 0x0
	v_mov_b32_e32 v36, v35
	s_and_b32 s11, s17, exec_lo
	s_and_not1_saveexec_b32 s16, s16
	s_cbranch_execz .LBB106_30
.LBB106_45:                             ;   in Loop: Header=BB106_11 Depth=1
	s_wait_alu 0xfffe
	v_mov_b32_e32 v4, s15
	s_wait_loadcnt 0x0
	v_mov_b32_e32 v36, v35
	v_mov_b32_e32 v2, v0
	s_or_b32 s11, s11, exec_lo
	s_or_b32 exec_lo, exec_lo, s16
	s_wait_alu 0xfffe
	s_and_saveexec_b32 s15, s11
	s_cbranch_execz .LBB106_49
.LBB106_46:                             ;   in Loop: Header=BB106_11 Depth=1
	v_mul_lo_u32 v6, s38, v1
	s_mov_b32 s16, 0
	s_sub_co_i32 s11, 0, s14
.LBB106_47:                             ;   Parent Loop BB106_11 Depth=1
                                        ; =>  This Inner Loop Header: Depth=2
	s_delay_alu instid0(VALU_DEP_1) | instskip(SKIP_2) | instid1(VALU_DEP_2)
	v_lshlrev_b64_e32 v[37:38], 1, v[6:7]
	v_dual_mov_b32 v3, v1 :: v_dual_lshlrev_b32 v2, 1, v2
	v_add_nc_u32_e32 v6, v6, v4
	v_add_nc_u32_e32 v1, s14, v3
	s_delay_alu instid0(VALU_DEP_4)
	v_add_co_u32 v37, vcc_lo, s56, v37
	s_wait_alu 0xfffd
	v_add_co_ci_u32_e64 v38, null, s57, v38, vcc_lo
	ds_store_b16 v2, v36
	v_mov_b32_e32 v2, v3
	v_cmp_le_u32_e32 vcc_lo, s36, v1
	s_wait_loadcnt 0x0
	global_load_u16 v35, v[37:38], off
	s_wait_alu 0xfffe
	s_or_b32 s16, vcc_lo, s16
	s_wait_loadcnt 0x0
	v_mov_b32_e32 v36, v35
	s_wait_alu 0xfffe
	s_and_not1_b32 exec_lo, exec_lo, s16
	s_cbranch_execnz .LBB106_47
; %bb.48:                               ;   in Loop: Header=BB106_11 Depth=1
	s_or_b32 exec_lo, exec_lo, s16
	v_add_nc_u32_e32 v3, s11, v1
.LBB106_49:                             ;   in Loop: Header=BB106_11 Depth=1
	s_wait_alu 0xfffe
	s_or_b32 exec_lo, exec_lo, s15
.LBB106_50:                             ;   in Loop: Header=BB106_11 Depth=1
	s_wait_alu 0xfffe
	s_or_b32 exec_lo, exec_lo, s13
	v_lshlrev_b32_e32 v1, 1, v3
	s_wait_loadcnt 0x0
	ds_store_b16 v1, v35
.LBB106_51:                             ;   in Loop: Header=BB106_11 Depth=1
	s_wait_alu 0xfffe
	s_or_b32 exec_lo, exec_lo, s12
	s_wait_loadcnt_dscnt 0x0
	s_barrier_signal -1
	s_barrier_wait -1
	global_inv scope:SCOPE_SE
	s_and_saveexec_b32 s11, s2
; %bb.52:                               ;   in Loop: Header=BB106_11 Depth=1
	v_mov_b32_e32 v1, s36
	ds_store_b32 v7, v1 offset:4104
; %bb.53:                               ;   in Loop: Header=BB106_11 Depth=1
	s_wait_alu 0xfffe
	s_or_b32 exec_lo, exec_lo, s11
	s_mov_b32 s11, -1
	s_wait_loadcnt_dscnt 0x0
	s_barrier_signal -1
	s_barrier_wait -1
.LBB106_54:                             ;   in Loop: Header=BB106_11 Depth=1
	s_wait_alu 0xfffe
	s_and_b32 vcc_lo, exec_lo, s11
	s_mov_b32 s62, 0
	s_wait_alu 0xfffe
	s_cbranch_vccz .LBB106_56
; %bb.55:                               ;   in Loop: Header=BB106_11 Depth=1
	s_wait_loadcnt 0x0
	global_inv scope:SCOPE_SE
	ds_load_b32 v1, v7 offset:4104
	s_wait_dscnt 0x0
	v_readfirstlane_b32 s62, v1
.LBB106_56:                             ;   in Loop: Header=BB106_11 Depth=1
	s_delay_alu instid0(VALU_DEP_1)
	s_cmp_lt_i32 s62, 1
	s_mov_b32 s11, -1
                                        ; implicit-def: $vgpr1
	s_cbranch_scc1 .LBB106_66
; %bb.57:                               ;   in Loop: Header=BB106_11 Depth=1
	s_wait_alu 0xfffe
	s_and_b32 vcc_lo, exec_lo, s11
	s_wait_alu 0xfffe
	s_cbranch_vccnz .LBB106_77
.LBB106_58:                             ;   in Loop: Header=BB106_11 Depth=1
	v_lshlrev_b32_e32 v6, 7, v31
	s_and_saveexec_b32 s11, s1
.LBB106_59:                             ;   in Loop: Header=BB106_11 Depth=1
	s_delay_alu instid0(VALU_DEP_1)
	v_lshl_add_u32 v35, v6, 2, v19
	ds_store_b128 v35, v[1:4]
.LBB106_60:                             ;   in Loop: Header=BB106_11 Depth=1
	s_wait_alu 0xfffe
	s_or_b32 exec_lo, exec_lo, s11
	s_wait_loadcnt_dscnt 0x0
	s_barrier_signal -1
	s_barrier_wait -1
	global_inv scope:SCOPE_SE
	s_and_saveexec_b32 s11, s47
	s_cbranch_execz .LBB106_90
; %bb.61:                               ;   in Loop: Header=BB106_11 Depth=1
	v_mov_b32_e32 v1, 0
	s_and_not1_b32 vcc_lo, exec_lo, s70
	s_wait_alu 0xfffe
	s_cbranch_vccnz .LBB106_89
; %bb.62:                               ;   in Loop: Header=BB106_11 Depth=1
	s_and_not1_b32 vcc_lo, exec_lo, s72
	s_wait_alu 0xfffe
	s_cbranch_vccnz .LBB106_86
; %bb.63:                               ;   in Loop: Header=BB106_11 Depth=1
	v_lshl_add_u32 v2, v31, 9, v30
	v_mov_b32_e32 v1, 0
	s_mov_b32 s12, 0
.LBB106_64:                             ;   Parent Loop BB106_11 Depth=1
                                        ; =>  This Inner Loop Header: Depth=2
	ds_load_2addr_b32 v[3:4], v2 offset1:4
	ds_load_2addr_b32 v[35:36], v2 offset0:8 offset1:12
	ds_load_2addr_b32 v[37:38], v2 offset0:16 offset1:20
	;; [unrolled: 1-line block ×3, first 2 shown]
	v_add_nc_u32_e32 v2, 0x80, v2
	s_wait_alu 0xfffe
	s_add_co_i32 s12, s12, 8
	s_wait_alu 0xfffe
	s_cmp_eq_u32 s73, s12
	s_wait_dscnt 0x3
	v_add3_u32 v1, v3, v1, v4
	s_wait_dscnt 0x2
	s_delay_alu instid0(VALU_DEP_1) | instskip(SKIP_1) | instid1(VALU_DEP_1)
	v_add3_u32 v1, v35, v1, v36
	s_wait_dscnt 0x1
	v_add3_u32 v1, v37, v1, v38
	s_wait_dscnt 0x0
	s_delay_alu instid0(VALU_DEP_1)
	v_add3_u32 v1, v39, v1, v40
	s_cbranch_scc0 .LBB106_64
; %bb.65:                               ;   in Loop: Header=BB106_11 Depth=1
	s_mov_b32 s12, s73
	s_and_not1_b32 vcc_lo, exec_lo, s74
	s_wait_alu 0xfffe
	s_cbranch_vccz .LBB106_87
	s_branch .LBB106_89
.LBB106_66:                             ;   in Loop: Header=BB106_11 Depth=1
	v_dual_mov_b32 v1, 0 :: v_dual_mov_b32 v2, 0
	v_dual_mov_b32 v3, 0 :: v_dual_mov_b32 v4, 0
	s_and_saveexec_b32 s22, s8
	s_cbranch_execz .LBB106_70
; %bb.67:                               ;   in Loop: Header=BB106_11 Depth=1
	v_mov_b32_e32 v35, v15
	s_mov_b32 s23, 0
	s_mov_b32 s24, 0
	;; [unrolled: 1-line block ×6, first 2 shown]
.LBB106_68:                             ;   Parent Loop BB106_11 Depth=1
                                        ; =>  This Inner Loop Header: Depth=2
	s_wait_alu 0xfffe
	v_add_nc_u32_e32 v6, s24, v27
	s_delay_alu instid0(VALU_DEP_1) | instskip(SKIP_1) | instid1(VALU_DEP_1)
	v_lshlrev_b64_e32 v[1:2], 1, v[6:7]
	v_add_nc_u32_e32 v6, s24, v12
	v_lshlrev_b64_e32 v[3:4], 1, v[6:7]
	v_add_nc_u32_e32 v6, s24, v25
	s_delay_alu instid0(VALU_DEP_4) | instskip(SKIP_2) | instid1(VALU_DEP_3)
	v_add_co_u32 v1, vcc_lo, s56, v1
	s_wait_alu 0xfffd
	v_add_co_ci_u32_e64 v2, null, s57, v2, vcc_lo
	v_lshlrev_b64_e32 v[36:37], 1, v[6:7]
	v_add_nc_u32_e32 v6, s24, v26
	s_add_co_i32 s24, s24, s77
	global_load_i16 v38, v[1:2], off
	v_add_co_u32 v1, vcc_lo, s56, v3
	s_wait_alu 0xfffd
	v_add_co_ci_u32_e64 v2, null, s57, v4, vcc_lo
	v_add_co_u32 v36, vcc_lo, s56, v36
	s_wait_alu 0xfffd
	v_add_co_ci_u32_e64 v37, null, s57, v37, vcc_lo
	v_lshlrev_b64_e32 v[3:4], 1, v[6:7]
	s_clause 0x1
	global_load_i16 v6, v[1:2], off
	global_load_i16 v36, v[36:37], off
	v_add_co_u32 v1, vcc_lo, s56, v3
	s_wait_alu 0xfffd
	v_add_co_ci_u32_e64 v2, null, s57, v4, vcc_lo
	global_load_i16 v1, v[1:2], off
	s_wait_loadcnt 0x3
	v_add_nc_u32_e32 v2, 0x8000, v38
	s_delay_alu instid0(VALU_DEP_1)
	v_and_b32_e32 v3, v2, v32
	v_bfe_u32 v2, v2, s87, 2
	s_wait_loadcnt 0x2
	v_add_nc_u32_e32 v4, 0x8000, v6
	s_wait_loadcnt 0x1
	v_add_nc_u32_e32 v6, 0x8000, v36
	v_cmp_eq_u32_e64 s11, v3, v13
	v_cmp_eq_u32_e64 s12, 0, v2
	;; [unrolled: 1-line block ×3, first 2 shown]
	v_and_b32_e32 v3, v4, v32
	v_bfe_u32 v4, v4, s87, 2
	v_cmp_eq_u32_e64 s14, 2, v2
	v_cmp_eq_u32_e64 s15, 3, v2
	v_and_b32_e32 v2, v6, v32
	v_cmp_eq_u32_e64 s16, v3, v13
	v_bfe_u32 v3, v6, s87, 2
	s_and_b32 s12, s11, s12
	s_wait_loadcnt 0x0
	v_add_nc_u32_e32 v1, 0x8000, v1
	v_cmp_eq_u32_e64 s17, 0, v4
	s_wait_alu 0xfffe
	v_cndmask_b32_e64 v6, 0, 1, s12
	v_cmp_eq_u32_e64 s12, 1, v4
	s_and_b32 s13, s11, s13
	s_and_b32 s14, s11, s14
	s_and_b32 s11, s11, s15
	s_wait_alu 0xfffe
	v_cndmask_b32_e64 v36, 0, 1, s13
	v_cmp_eq_u32_e64 s13, 2, v4
	v_cndmask_b32_e64 v37, 0, 1, s14
	v_cmp_eq_u32_e64 s14, 3, v4
	;; [unrolled: 2-line block ×3, first 2 shown]
	v_cmp_eq_u32_e64 s15, 0, v3
	v_and_b32_e32 v2, v1, v32
	v_bfe_u32 v1, v1, s87, 2
	s_and_b32 s17, s16, s17
	s_and_b32 s12, s16, s12
	v_cmp_ne_u32_e64 s18, 0, v6
	s_wait_alu 0xfffe
	v_cndmask_b32_e64 v6, 0, 1, s17
	v_cmp_eq_u32_e64 s17, 1, v3
	v_cmp_ne_u32_e64 s19, 0, v36
	v_cndmask_b32_e64 v36, 0, 1, s12
	v_cmp_eq_u32_e64 s12, 2, v3
	s_and_b32 s13, s16, s13
	s_and_b32 s14, s16, s14
	;; [unrolled: 1-line block ×3, first 2 shown]
	v_cmp_ne_u32_e64 s20, 0, v37
	s_wait_alu 0xfffe
	v_cndmask_b32_e64 v37, 0, 1, s13
	v_cmp_eq_u32_e64 s13, 3, v3
	v_cndmask_b32_e64 v3, 0, 1, s14
	v_cmp_eq_u32_e64 s14, v2, v13
	;; [unrolled: 2-line block ×3, first 2 shown]
	v_cmp_ne_u32_e64 s21, 0, v4
	v_cmp_eq_u32_e64 s16, 0, v1
	s_and_b32 s17, s11, s17
	s_and_b32 s12, s11, s12
	s_bcnt1_i32_b32 s29, s18
	v_cmp_ne_u32_e64 s18, 0, v6
	s_wait_alu 0xfffe
	v_cndmask_b32_e64 v4, 0, 1, s17
	v_cmp_eq_u32_e64 s17, 2, v1
	v_cndmask_b32_e64 v6, 0, 1, s12
	v_cmp_eq_u32_e64 s12, 3, v1
	s_and_b32 s11, s11, s13
	s_and_b32 s15, s14, s15
	s_bcnt1_i32_b32 s89, s21
	v_cmp_ne_u32_e64 s21, 0, v3
	s_wait_alu 0xfffe
	v_cndmask_b32_e64 v1, 0, 1, s11
	v_cndmask_b32_e64 v3, 0, 1, s15
	s_bcnt1_i32_b32 s30, s19
	v_cmp_ne_u32_e64 s19, 0, v36
	s_and_b32 s13, s14, s16
	v_cmp_ne_u32_e64 s11, 0, v2
	s_wait_alu 0xfffe
	v_cndmask_b32_e64 v2, 0, 1, s13
	v_cmp_ne_u32_e64 s13, 0, v4
	s_and_b32 s16, s14, s17
	s_and_b32 s12, s14, s12
	s_wait_alu 0xfffe
	v_cndmask_b32_e64 v4, 0, 1, s16
	v_cmp_ne_u32_e64 s16, 0, v1
	v_cndmask_b32_e64 v1, 0, 1, s12
	v_cmp_ne_u32_e64 s12, 0, v3
	s_bcnt1_i32_b32 s88, s20
	v_cmp_ne_u32_e64 s20, 0, v37
	s_add_co_i32 s27, s30, s27
	s_add_co_i32 s25, s89, s25
	s_bcnt1_i32_b32 s19, s19
	s_bcnt1_i32_b32 s17, s21
	v_cmp_ne_u32_e64 s15, 0, v6
	s_wait_alu 0xfffe
	s_add_co_i32 s19, s27, s19
	s_add_co_i32 s17, s25, s17
	s_bcnt1_i32_b32 s25, s13
	s_bcnt1_i32_b32 s21, s11
	v_cmp_ne_u32_e64 s11, 0, v2
	v_cmp_ne_u32_e64 s13, 0, v4
	;; [unrolled: 1-line block ×3, first 2 shown]
	s_wait_alu 0xfffe
	s_add_co_i32 s19, s19, s25
	s_bcnt1_i32_b32 s12, s12
	s_add_co_i32 s28, s29, s28
	s_add_co_i32 s26, s88, s26
	s_bcnt1_i32_b32 s18, s18
	s_bcnt1_i32_b32 s20, s20
	s_wait_alu 0xfffe
	s_add_co_i32 s27, s19, s12
	s_wait_alu 0xfffe
	v_dual_mov_b32 v2, s27 :: v_dual_add_nc_u32 v35, s43, v35
	s_add_co_i32 s18, s28, s18
	s_add_co_i32 s20, s26, s20
	s_bcnt1_i32_b32 s15, s15
	s_bcnt1_i32_b32 s16, s16
	s_wait_alu 0xfffe
	s_add_co_i32 s18, s18, s21
	s_add_co_i32 s15, s20, s15
	;; [unrolled: 1-line block ×3, first 2 shown]
	s_bcnt1_i32_b32 s11, s11
	s_bcnt1_i32_b32 s13, s13
	;; [unrolled: 1-line block ×3, first 2 shown]
	v_cmp_le_u32_e32 vcc_lo, s75, v35
	s_wait_alu 0xfffe
	s_add_co_i32 s28, s18, s11
	s_add_co_i32 s26, s15, s13
	;; [unrolled: 1-line block ×3, first 2 shown]
	s_wait_alu 0xfffe
	v_mov_b32_e32 v1, s28
	v_dual_mov_b32 v3, s26 :: v_dual_mov_b32 v4, s25
	s_or_b32 s23, vcc_lo, s23
	s_wait_alu 0xfffe
	s_and_not1_b32 exec_lo, exec_lo, s23
	s_cbranch_execnz .LBB106_68
; %bb.69:                               ;   in Loop: Header=BB106_11 Depth=1
	s_or_b32 exec_lo, exec_lo, s23
.LBB106_70:                             ;   in Loop: Header=BB106_11 Depth=1
	s_wait_alu 0xfffe
	s_or_b32 exec_lo, exec_lo, s22
	s_and_saveexec_b32 s15, s9
	s_cbranch_execz .LBB106_76
; %bb.71:                               ;   in Loop: Header=BB106_11 Depth=1
	global_load_u16 v37, v[10:11], off
	v_dual_mov_b32 v6, v28 :: v_dual_mov_b32 v35, v22
	s_mov_b32 s16, 0
	s_branch .LBB106_73
.LBB106_72:                             ;   in Loop: Header=BB106_73 Depth=2
	s_wait_alu 0xfffe
	s_or_b32 exec_lo, exec_lo, s12
	s_wait_loadcnt 0x0
	v_bfe_i32 v37, v37, 0, 16
	s_and_b32 s12, exec_lo, vcc_lo
	v_add_nc_u32_e32 v6, s60, v6
	s_wait_alu 0xfffe
	s_or_b32 s16, s12, s16
	v_add_nc_u32_e32 v37, 0x8000, v37
	s_delay_alu instid0(VALU_DEP_1) | instskip(SKIP_1) | instid1(VALU_DEP_2)
	v_and_b32_e32 v38, v37, v32
	v_bfe_u32 v37, v37, s87, 2
	v_cmp_eq_u32_e32 vcc_lo, v38, v13
	s_delay_alu instid0(VALU_DEP_2)
	v_cmp_eq_u32_e64 s11, 0, v37
	v_cmp_eq_u32_e64 s12, 1, v37
	;; [unrolled: 1-line block ×4, first 2 shown]
	s_and_b32 s11, vcc_lo, s11
	s_wait_alu 0xfffe
	v_cndmask_b32_e64 v37, 0, 1, s11
	s_and_b32 s11, vcc_lo, s12
	s_wait_alu 0xfffe
	v_cndmask_b32_e64 v38, 0, 1, s11
	;; [unrolled: 3-line block ×3, first 2 shown]
	s_and_b32 s11, vcc_lo, s14
	v_cmp_ne_u32_e32 vcc_lo, 0, v37
	s_wait_alu 0xfffe
	v_cndmask_b32_e64 v40, 0, 1, s11
	v_cmp_ne_u32_e64 s11, 0, v38
	v_cmp_ne_u32_e64 s12, 0, v39
	v_mov_b32_e32 v37, v36
	s_bcnt1_i32_b32 s14, vcc_lo
	v_cmp_ne_u32_e64 s13, 0, v40
	s_bcnt1_i32_b32 s11, s11
	s_bcnt1_i32_b32 s12, s12
	s_wait_alu 0xfffe
	v_add_nc_u32_e32 v1, s14, v1
	v_add_nc_u32_e32 v2, s11, v2
	s_bcnt1_i32_b32 s13, s13
	v_add_nc_u32_e32 v3, s12, v3
	s_wait_alu 0xfffe
	v_add_nc_u32_e32 v4, s13, v4
	s_and_not1_b32 exec_lo, exec_lo, s16
	s_cbranch_execz .LBB106_75
.LBB106_73:                             ;   Parent Loop BB106_11 Depth=1
                                        ; =>  This Inner Loop Header: Depth=2
	s_delay_alu instid0(VALU_DEP_1) | instskip(SKIP_1) | instid1(VALU_DEP_1)
	v_dual_mov_b32 v36, 0 :: v_dual_add_nc_u32 v35, s37, v35
	s_mov_b32 s12, exec_lo
	v_cmp_le_u32_e32 vcc_lo, s36, v35
	v_cmpx_gt_u32_e64 s36, v35
	s_cbranch_execz .LBB106_72
; %bb.74:                               ;   in Loop: Header=BB106_73 Depth=2
	v_lshlrev_b64_e32 v[38:39], 1, v[6:7]
	s_delay_alu instid0(VALU_DEP_1) | instskip(SKIP_1) | instid1(VALU_DEP_2)
	v_add_co_u32 v38, s11, s56, v38
	s_wait_alu 0xf1fe
	v_add_co_ci_u32_e64 v39, null, s57, v39, s11
	global_load_u16 v36, v[38:39], off
	s_branch .LBB106_72
.LBB106_75:                             ;   in Loop: Header=BB106_11 Depth=1
	s_or_b32 exec_lo, exec_lo, s16
.LBB106_76:                             ;   in Loop: Header=BB106_11 Depth=1
	s_wait_alu 0xfffe
	s_or_b32 exec_lo, exec_lo, s15
	s_branch .LBB106_58
.LBB106_77:                             ;   in Loop: Header=BB106_11 Depth=1
	s_mul_u64 s[12:13], s[62:63], s[64:65]
	v_dual_mov_b32 v1, 0 :: v_dual_mov_b32 v2, 0
	s_wait_alu 0xfffe
	s_mul_i32 s11, s13, s43
	v_dual_mov_b32 v3, 0 :: v_dual_mov_b32 v4, 0
	s_wait_alu 0xfffe
	s_sub_co_i32 s11, s62, s11
	s_mov_b32 s89, exec_lo
	s_wait_alu 0xfffe
	s_sub_co_i32 s12, s11, s43
	s_cmp_ge_u32 s11, s43
	s_wait_alu 0xfffe
	s_cselect_b32 s11, s12, s11
	s_wait_alu 0xfffe
	s_sub_co_i32 s12, s11, s43
	s_cmp_ge_u32 s11, s43
	s_wait_alu 0xfffe
	s_cselect_b32 s11, s12, s11
	s_wait_alu 0xfffe
	s_sub_co_i32 s88, s62, s11
	s_wait_alu 0xfffe
	v_cmpx_gt_u32_e64 s88, v15
	s_cbranch_execz .LBB106_81
; %bb.78:                               ;   in Loop: Header=BB106_11 Depth=1
	v_dual_mov_b32 v6, v29 :: v_dual_mov_b32 v35, v15
	s_mov_b32 s90, 0
	s_mov_b32 s91, 0
	;; [unrolled: 1-line block ×5, first 2 shown]
.LBB106_79:                             ;   Parent Loop BB106_11 Depth=1
                                        ; =>  This Inner Loop Header: Depth=2
	ds_load_b64 v[1:2], v6
	s_wait_dscnt 0x0
	v_bfe_i32 v3, v1, 0, 16
	v_ashrrev_i32_e32 v1, 16, v1
	v_bfe_i32 v4, v2, 0, 16
	v_ashrrev_i32_e32 v2, 16, v2
	s_delay_alu instid0(VALU_DEP_4) | instskip(NEXT) | instid1(VALU_DEP_4)
	v_add_nc_u32_e32 v3, 0x8000, v3
	v_add_nc_u32_e32 v1, 0x8000, v1
	s_delay_alu instid0(VALU_DEP_4) | instskip(NEXT) | instid1(VALU_DEP_4)
	v_add_nc_u32_e32 v4, 0x8000, v4
	v_add_nc_u32_e32 v2, 0x8000, v2
	s_delay_alu instid0(VALU_DEP_4)
	v_and_b32_e32 v36, v3, v32
	v_bfe_u32 v3, v3, s87, 2
	v_and_b32_e32 v37, v1, v32
	v_bfe_u32 v1, v1, s87, 2
	;; [unrolled: 2-line block ×3, first 2 shown]
	v_cmp_eq_u32_e64 s11, v36, v13
	v_cmp_eq_u32_e64 s15, 0, v3
	v_and_b32_e32 v39, v2, v32
	v_bfe_u32 v2, v2, s87, 2
	v_cmp_eq_u32_e64 s12, v37, v13
	v_cmp_eq_u32_e64 s16, 0, v1
	v_cmp_eq_u32_e64 s13, v38, v13
	v_cmp_eq_u32_e64 s17, 0, v4
	s_and_b32 s15, s11, s15
	v_cmp_eq_u32_e64 s14, v39, v13
	v_cmp_eq_u32_e64 s18, 0, v2
	;; [unrolled: 1-line block ×5, first 2 shown]
	s_wait_alu 0xfffe
	v_cndmask_b32_e64 v1, 0, 1, s15
	s_and_b32 s15, s12, s16
	v_cmp_eq_u32_e64 s19, 1, v3
	v_cmp_eq_u32_e64 s22, 1, v2
	;; [unrolled: 1-line block ×4, first 2 shown]
	s_wait_alu 0xfffe
	v_cndmask_b32_e64 v2, 0, 1, s15
	s_and_b32 s15, s13, s17
	v_cmp_eq_u32_e64 s23, 2, v3
	v_cmp_eq_u32_e64 s27, 3, v3
	s_wait_alu 0xfffe
	v_cndmask_b32_e64 v3, 0, 1, s15
	s_and_b32 s15, s14, s18
	v_cmp_eq_u32_e64 s21, 1, v4
	v_cmp_eq_u32_e64 s25, 2, v4
	;; [unrolled: 1-line block ×3, first 2 shown]
	s_wait_alu 0xfffe
	v_cndmask_b32_e64 v4, 0, 1, s15
	s_and_b32 s15, s11, s19
	s_wait_alu 0xfffe
	v_cndmask_b32_e64 v36, 0, 1, s15
	s_and_b32 s15, s12, s20
	;; [unrolled: 3-line block ×4, first 2 shown]
	v_cmp_ne_u32_e64 s16, 0, v37
	s_wait_alu 0xfffe
	v_cndmask_b32_e64 v39, 0, 1, s15
	s_and_b32 s15, s11, s23
	s_and_b32 s11, s11, s27
	s_wait_alu 0xfffe
	v_cndmask_b32_e64 v40, 0, 1, s15
	s_and_b32 s15, s12, s24
	v_cndmask_b32_e64 v44, 0, 1, s11
	s_and_b32 s11, s12, s28
	s_wait_alu 0xfffe
	v_cndmask_b32_e64 v41, 0, 1, s15
	s_and_b32 s15, s13, s25
	v_cndmask_b32_e64 v45, 0, 1, s11
	s_and_b32 s11, s13, s29
	s_wait_alu 0xfffe
	v_cndmask_b32_e64 v42, 0, 1, s15
	s_and_b32 s15, s14, s26
	v_cndmask_b32_e64 v46, 0, 1, s11
	s_and_b32 s11, s14, s30
	s_wait_alu 0xfffe
	v_cndmask_b32_e64 v43, 0, 1, s15
	v_cndmask_b32_e64 v47, 0, 1, s11
	v_cmp_ne_u32_e64 s11, 0, v1
	v_cmp_ne_u32_e64 s15, 0, v36
	;; [unrolled: 1-line block ×6, first 2 shown]
	s_bcnt1_i32_b32 s11, s11
	s_bcnt1_i32_b32 s15, s15
	v_cmp_ne_u32_e64 s18, 0, v39
	v_cmp_ne_u32_e64 s20, 0, v41
	;; [unrolled: 1-line block ×3, first 2 shown]
	s_bcnt1_i32_b32 s12, s12
	s_bcnt1_i32_b32 s16, s16
	s_wait_alu 0xfffe
	s_add_co_i32 s11, s11, s94
	s_add_co_i32 s15, s15, s93
	v_cmp_ne_u32_e64 s13, 0, v3
	v_cmp_ne_u32_e64 s21, 0, v42
	v_cmp_ne_u32_e64 s25, 0, v46
	s_bcnt1_i32_b32 s17, s17
	s_wait_alu 0xfffe
	s_add_co_i32 s11, s11, s12
	s_add_co_i32 s12, s15, s16
	s_bcnt1_i32_b32 s19, s19
	s_bcnt1_i32_b32 s23, s23
	v_cmp_ne_u32_e64 s14, 0, v4
	v_cmp_ne_u32_e64 s22, 0, v43
	;; [unrolled: 1-line block ×3, first 2 shown]
	s_bcnt1_i32_b32 s18, s18
	s_wait_alu 0xfffe
	s_add_co_i32 s12, s12, s17
	s_bcnt1_i32_b32 s20, s20
	s_bcnt1_i32_b32 s24, s24
	s_add_co_i32 s19, s19, s92
	s_add_co_i32 s23, s23, s91
	s_wait_alu 0xfffe
	s_add_co_i32 s93, s12, s18
	s_wait_alu 0xfffe
	v_dual_mov_b32 v2, s93 :: v_dual_add_nc_u32 v35, s43, v35
	s_bcnt1_i32_b32 s13, s13
	s_bcnt1_i32_b32 s21, s21
	;; [unrolled: 1-line block ×3, first 2 shown]
	s_add_co_i32 s15, s19, s20
	s_add_co_i32 s16, s23, s24
	s_bcnt1_i32_b32 s14, s14
	s_bcnt1_i32_b32 s22, s22
	;; [unrolled: 1-line block ×3, first 2 shown]
	s_wait_alu 0xfffe
	s_add_co_i32 s11, s11, s13
	s_add_co_i32 s13, s15, s21
	s_add_co_i32 s15, s16, s25
	v_cmp_le_u32_e32 vcc_lo, s88, v35
	s_wait_alu 0xfffe
	s_add_co_i32 s94, s11, s14
	s_add_co_i32 s92, s13, s22
	;; [unrolled: 1-line block ×3, first 2 shown]
	s_wait_alu 0xfffe
	v_dual_mov_b32 v1, s94 :: v_dual_add_nc_u32 v6, s78, v6
	v_dual_mov_b32 v3, s92 :: v_dual_mov_b32 v4, s91
	s_or_b32 s90, vcc_lo, s90
	s_wait_alu 0xfffe
	s_and_not1_b32 exec_lo, exec_lo, s90
	s_cbranch_execnz .LBB106_79
; %bb.80:                               ;   in Loop: Header=BB106_11 Depth=1
	s_or_b32 exec_lo, exec_lo, s90
.LBB106_81:                             ;   in Loop: Header=BB106_11 Depth=1
	s_delay_alu instid0(SALU_CYCLE_1) | instskip(SKIP_2) | instid1(VALU_DEP_1)
	s_or_b32 exec_lo, exec_lo, s89
	v_add_nc_u32_e32 v6, s88, v0
	s_mov_b32 s16, exec_lo
	v_cmpx_gt_u32_e64 s62, v6
	s_cbranch_execz .LBB106_85
; %bb.82:                               ;   in Loop: Header=BB106_11 Depth=1
	v_lshlrev_b32_e32 v35, 1, v6
	s_mov_b32 s17, 0
.LBB106_83:                             ;   Parent Loop BB106_11 Depth=1
                                        ; =>  This Inner Loop Header: Depth=2
	ds_load_i16 v36, v35
	v_add_nc_u32_e32 v6, s37, v6
	v_add_nc_u32_e32 v35, s79, v35
	s_delay_alu instid0(VALU_DEP_2) | instskip(SKIP_2) | instid1(VALU_DEP_1)
	v_cmp_le_u32_e32 vcc_lo, s62, v6
	s_wait_dscnt 0x0
	v_add_nc_u32_e32 v36, 0x8000, v36
	v_and_b32_e32 v37, v36, v32
	v_bfe_u32 v36, v36, s87, 2
	s_delay_alu instid0(VALU_DEP_2) | instskip(NEXT) | instid1(VALU_DEP_2)
	v_cmp_eq_u32_e64 s11, v37, v13
	v_cmp_eq_u32_e64 s12, 0, v36
	;; [unrolled: 1-line block ×5, first 2 shown]
	s_and_b32 s12, s11, s12
	s_wait_alu 0xfffe
	v_cndmask_b32_e64 v36, 0, 1, s12
	s_and_b32 s12, s11, s13
	s_wait_alu 0xfffe
	v_cndmask_b32_e64 v37, 0, 1, s12
	s_and_b32 s12, s11, s14
	s_and_b32 s11, s11, s15
	s_wait_alu 0xfffe
	v_cndmask_b32_e64 v38, 0, 1, s12
	v_cndmask_b32_e64 v39, 0, 1, s11
	v_cmp_ne_u32_e64 s11, 0, v36
	v_cmp_ne_u32_e64 s12, 0, v37
	s_delay_alu instid0(VALU_DEP_4) | instskip(NEXT) | instid1(VALU_DEP_4)
	v_cmp_ne_u32_e64 s13, 0, v38
	v_cmp_ne_u32_e64 s14, 0, v39
	s_bcnt1_i32_b32 s11, s11
	s_bcnt1_i32_b32 s12, s12
	s_wait_alu 0xfffe
	v_add_nc_u32_e32 v1, s11, v1
	s_bcnt1_i32_b32 s13, s13
	s_bcnt1_i32_b32 s14, s14
	v_add_nc_u32_e32 v2, s12, v2
	s_wait_alu 0xfffe
	v_add_nc_u32_e32 v3, s13, v3
	v_add_nc_u32_e32 v4, s14, v4
	s_or_b32 s17, vcc_lo, s17
	s_wait_alu 0xfffe
	s_and_not1_b32 exec_lo, exec_lo, s17
	s_cbranch_execnz .LBB106_83
; %bb.84:                               ;   in Loop: Header=BB106_11 Depth=1
	s_or_b32 exec_lo, exec_lo, s17
.LBB106_85:                             ;   in Loop: Header=BB106_11 Depth=1
	s_wait_alu 0xfffe
	s_or_b32 exec_lo, exec_lo, s16
	v_lshlrev_b32_e32 v6, 7, v31
	s_and_saveexec_b32 s11, s1
	s_cbranch_execnz .LBB106_59
	s_branch .LBB106_60
.LBB106_86:                             ;   in Loop: Header=BB106_11 Depth=1
	v_mov_b32_e32 v1, 0
	s_mov_b32 s12, 0
	s_and_not1_b32 vcc_lo, exec_lo, s74
	s_wait_alu 0xfffe
	s_cbranch_vccnz .LBB106_89
.LBB106_87:                             ;   in Loop: Header=BB106_11 Depth=1
	v_lshlrev_b32_e32 v2, 9, v31
	s_lshl_b32 s12, s12, 4
	s_wait_alu 0xfffe
	s_delay_alu instid0(VALU_DEP_1)
	v_add3_u32 v2, v2, s12, v30
	s_mov_b32 s12, s71
.LBB106_88:                             ;   Parent Loop BB106_11 Depth=1
                                        ; =>  This Inner Loop Header: Depth=2
	ds_load_b32 v3, v2
	v_add_nc_u32_e32 v2, 16, v2
	s_wait_alu 0xfffe
	s_add_co_i32 s12, s12, -1
	s_wait_alu 0xfffe
	s_cmp_lg_u32 s12, 0
	s_wait_dscnt 0x0
	v_add_nc_u32_e32 v1, v3, v1
	s_cbranch_scc1 .LBB106_88
.LBB106_89:                             ;   in Loop: Header=BB106_11 Depth=1
	v_add_lshl_u32 v2, v6, v14, 2
	ds_store_b32 v2, v1 offset:3072
.LBB106_90:                             ;   in Loop: Header=BB106_11 Depth=1
	s_wait_alu 0xfffe
	s_or_b32 exec_lo, exec_lo, s11
	v_lshlrev_b32_e32 v1, 2, v6
	s_wait_loadcnt_dscnt 0x0
	s_barrier_signal -1
	s_barrier_wait -1
	global_inv scope:SCOPE_SE
	ds_load_b128 v[1:4], v1 offset:3072
	s_lshl_b32 s12, 3, s87
	v_cmp_eq_u32_e32 vcc_lo, 1, v34
	s_wait_alu 0xfffe
	s_not_b32 s19, s12
	s_mov_b32 s15, -1
	s_mov_b32 s23, -1
                                        ; implicit-def: $sgpr20
                                        ; implicit-def: $sgpr17
	s_wait_dscnt 0x0
	v_readfirstlane_b32 s14, v1
	v_readfirstlane_b32 s21, v2
	;; [unrolled: 1-line block ×4, first 2 shown]
	s_cmp_eq_u32 s14, 1
	s_cselect_b32 s13, -1, 0
	s_wait_alu 0xfffe
	s_and_b32 s16, s13, vcc_lo
	s_wait_alu 0xfffe
	s_and_saveexec_b32 s13, s16
	s_cbranch_execz .LBB106_116
; %bb.91:                               ;   in Loop: Header=BB106_11 Depth=1
	ds_load_b32 v1, v7 offset:4104
	s_wait_loadcnt_dscnt 0x0
	s_barrier_signal -1
	s_barrier_wait -1
	global_inv scope:SCOPE_SE
	v_readfirstlane_b32 s23, v1
	s_and_saveexec_b32 s17, s3
; %bb.92:                               ;   in Loop: Header=BB106_11 Depth=1
	ds_store_b16 v17, v7
; %bb.93:                               ;   in Loop: Header=BB106_11 Depth=1
	s_wait_alu 0xfffe
	s_or_b32 exec_lo, exec_lo, s17
	v_and_b32_e32 v13, s19, v13
	v_or_b32_e32 v32, s12, v32
	s_mov_b32 s17, -1
	s_mov_b32 s20, 0
	s_cmp_eq_u32 s23, 0
	s_mov_b32 s22, 0
	s_mov_b32 s24, -1
	s_wait_loadcnt_dscnt 0x0
	s_barrier_signal -1
	s_barrier_wait -1
	global_inv scope:SCOPE_SE
                                        ; implicit-def: $vgpr33
	s_cbranch_scc1 .LBB106_104
; %bb.94:                               ;   in Loop: Header=BB106_11 Depth=1
	s_add_co_i32 s62, s23, s51
                                        ; implicit-def: $vgpr33
	s_wait_alu 0xfffe
	s_mul_u64 s[24:25], s[62:63], s[66:67]
	s_wait_alu 0xfffe
	s_mul_i32 s22, s25, s37
	s_mov_b32 s25, exec_lo
	s_wait_alu 0xfffe
	s_sub_co_i32 s22, s62, s22
	s_wait_alu 0xfffe
	s_sub_co_i32 s24, s22, s37
	s_cmp_ge_u32 s22, s37
	s_wait_alu 0xfffe
	s_cselect_b32 s22, s24, s22
	s_wait_alu 0xfffe
	s_sub_co_i32 s24, s22, s37
	s_cmp_ge_u32 s22, s37
	s_wait_alu 0xfffe
	s_cselect_b32 s22, s24, s22
	s_mov_b32 s24, 0
	s_wait_alu 0xfffe
	s_sub_co_i32 s26, s62, s22
	s_mov_b32 s22, 0
	s_wait_alu 0xfffe
	v_cmpx_gt_u32_e64 s26, v0
	s_cbranch_execz .LBB106_103
; %bb.95:                               ;   in Loop: Header=BB106_11 Depth=1
	v_dual_mov_b32 v1, v16 :: v_dual_mov_b32 v2, v0
                                        ; implicit-def: $sgpr27
	s_branch .LBB106_98
.LBB106_96:                             ;   in Loop: Header=BB106_98 Depth=2
	s_wait_alu 0xfffe
	s_or_b32 exec_lo, exec_lo, s28
	s_wait_loadcnt_dscnt 0x0
	s_barrier_signal -1
	s_barrier_wait -1
	global_inv scope:SCOPE_SE
	ds_load_b32 v3, v7 offset:3072
	s_mov_b32 s28, -1
	s_mov_b32 s29, -1
	s_wait_loadcnt_dscnt 0x0
	s_barrier_signal -1
	s_barrier_wait -1
	global_inv scope:SCOPE_SE
	v_and_b32_e32 v4, 0xffff, v3
	s_delay_alu instid0(VALU_DEP_1)
	v_cmp_ne_u32_e32 vcc_lo, 0, v4
	s_cbranch_vccz .LBB106_101
.LBB106_97:                             ;   in Loop: Header=BB106_98 Depth=2
	s_wait_alu 0xfffe
	s_and_b32 s28, exec_lo, s28
	s_wait_alu 0xfffe
	s_or_b32 s22, s28, s22
	s_and_not1_b32 s27, s27, exec_lo
	s_and_b32 s28, s29, exec_lo
	s_wait_alu 0xfffe
	s_or_b32 s27, s27, s28
	s_and_not1_b32 exec_lo, exec_lo, s22
	s_cbranch_execz .LBB106_102
.LBB106_98:                             ;   Parent Loop BB106_11 Depth=1
                                        ; =>  This Inner Loop Header: Depth=2
	s_mov_b32 s28, exec_lo
	s_delay_alu instid0(VALU_DEP_1)
	v_cmpx_gt_u32_e64 s23, v2
	s_cbranch_execz .LBB106_96
; %bb.99:                               ;   in Loop: Header=BB106_98 Depth=2
	ds_load_u16 v3, v1
	s_wait_dscnt 0x0
	v_bfe_i32 v4, v3, 0, 16
	s_delay_alu instid0(VALU_DEP_1) | instskip(NEXT) | instid1(VALU_DEP_1)
	v_add_nc_u32_e32 v4, 0x8000, v4
	v_and_b32_e32 v4, v4, v32
	s_delay_alu instid0(VALU_DEP_1)
	v_cmp_eq_u32_e32 vcc_lo, v4, v13
	s_and_b32 exec_lo, exec_lo, vcc_lo
	s_cbranch_execz .LBB106_96
; %bb.100:                              ;   in Loop: Header=BB106_98 Depth=2
	v_perm_b32 v3, v3, 1, 0x5040100
	ds_store_b32 v7, v3 offset:3072
	s_branch .LBB106_96
.LBB106_101:                            ;   in Loop: Header=BB106_98 Depth=2
	v_add_nc_u32_e32 v2, s37, v2
	v_add_nc_u32_e32 v1, s79, v1
	s_mov_b32 s29, 0
	s_delay_alu instid0(VALU_DEP_2)
	v_cmp_le_u32_e32 vcc_lo, s26, v2
	s_or_not1_b32 s28, vcc_lo, exec_lo
	s_branch .LBB106_97
.LBB106_102:                            ;   in Loop: Header=BB106_11 Depth=1
	s_or_b32 exec_lo, exec_lo, s22
	v_lshrrev_b32_e32 v33, 16, v3
	s_wait_alu 0xfffe
	s_and_b32 s22, s27, exec_lo
.LBB106_103:                            ;   in Loop: Header=BB106_11 Depth=1
	s_or_b32 exec_lo, exec_lo, s25
.LBB106_104:                            ;   in Loop: Header=BB106_11 Depth=1
	s_wait_alu 0xfffe
	s_and_b32 vcc_lo, exec_lo, s24
	s_wait_alu 0xfffe
	s_cbranch_vccz .LBB106_115
; %bb.105:                              ;   in Loop: Header=BB106_11 Depth=1
                                        ; implicit-def: $vgpr33
	s_and_saveexec_b32 s17, s10
	s_cbranch_execz .LBB106_114
; %bb.106:                              ;   in Loop: Header=BB106_11 Depth=1
	v_dual_mov_b32 v6, v5 :: v_dual_mov_b32 v1, v0
	s_mov_b32 s20, 0
                                        ; implicit-def: $sgpr23
	s_branch .LBB106_109
.LBB106_107:                            ;   in Loop: Header=BB106_109 Depth=2
	s_wait_alu 0xfffe
	s_or_b32 exec_lo, exec_lo, s24
	s_wait_loadcnt_dscnt 0x0
	s_barrier_signal -1
	s_barrier_wait -1
	global_inv scope:SCOPE_SE
	ds_load_b32 v2, v7 offset:3072
	s_mov_b32 s24, -1
	s_mov_b32 s25, -1
	s_wait_loadcnt_dscnt 0x0
	s_barrier_signal -1
	s_barrier_wait -1
	global_inv scope:SCOPE_SE
	v_and_b32_e32 v3, 0xffff, v2
	s_delay_alu instid0(VALU_DEP_1)
	v_cmp_ne_u32_e32 vcc_lo, 0, v3
	s_cbranch_vccz .LBB106_112
.LBB106_108:                            ;   in Loop: Header=BB106_109 Depth=2
	s_wait_alu 0xfffe
	s_and_b32 s24, exec_lo, s24
	s_wait_alu 0xfffe
	s_or_b32 s20, s24, s20
	s_and_not1_b32 s23, s23, exec_lo
	s_and_b32 s24, s25, exec_lo
	s_wait_alu 0xfffe
	s_or_b32 s23, s23, s24
	s_and_not1_b32 exec_lo, exec_lo, s20
	s_cbranch_execz .LBB106_113
.LBB106_109:                            ;   Parent Loop BB106_11 Depth=1
                                        ; =>  This Inner Loop Header: Depth=2
	s_mov_b32 s24, exec_lo
	s_delay_alu instid0(VALU_DEP_1)
	v_cmpx_gt_u32_e64 s36, v1
	s_cbranch_execz .LBB106_107
; %bb.110:                              ;   in Loop: Header=BB106_109 Depth=2
	v_lshlrev_b64_e32 v[2:3], 1, v[6:7]
	s_delay_alu instid0(VALU_DEP_1) | instskip(SKIP_1) | instid1(VALU_DEP_2)
	v_add_co_u32 v2, vcc_lo, s56, v2
	s_wait_alu 0xfffd
	v_add_co_ci_u32_e64 v3, null, s57, v3, vcc_lo
	global_load_u16 v2, v[2:3], off
	s_wait_loadcnt 0x0
	v_bfe_i32 v3, v2, 0, 16
	s_delay_alu instid0(VALU_DEP_1) | instskip(NEXT) | instid1(VALU_DEP_1)
	v_add_nc_u32_e32 v3, 0x8000, v3
	v_and_b32_e32 v3, v3, v32
	s_delay_alu instid0(VALU_DEP_1)
	v_cmp_eq_u32_e32 vcc_lo, v3, v13
	s_and_b32 exec_lo, exec_lo, vcc_lo
	s_cbranch_execz .LBB106_107
; %bb.111:                              ;   in Loop: Header=BB106_109 Depth=2
	v_perm_b32 v2, v2, 1, 0x5040100
	ds_store_b32 v7, v2 offset:3072
	s_branch .LBB106_107
.LBB106_112:                            ;   in Loop: Header=BB106_109 Depth=2
	v_add_nc_u32_e32 v1, s37, v1
	v_add_nc_u32_e32 v6, s60, v6
	s_mov_b32 s25, 0
	s_delay_alu instid0(VALU_DEP_2)
	v_cmp_le_u32_e32 vcc_lo, s76, v1
	s_or_not1_b32 s24, vcc_lo, exec_lo
	s_branch .LBB106_108
.LBB106_113:                            ;   in Loop: Header=BB106_11 Depth=1
	s_or_b32 exec_lo, exec_lo, s20
	v_lshrrev_b32_e32 v33, 16, v2
	s_and_not1_b32 s20, s22, exec_lo
	s_wait_alu 0xfffe
	s_and_b32 s22, s23, exec_lo
	s_wait_alu 0xfffe
	s_or_b32 s22, s20, s22
.LBB106_114:                            ;   in Loop: Header=BB106_11 Depth=1
	s_wait_alu 0xfffe
	s_or_b32 exec_lo, exec_lo, s17
	s_mov_b32 s17, 0
	s_mov_b32 s20, -1
.LBB106_115:                            ;   in Loop: Header=BB106_11 Depth=1
	s_or_not1_b32 s23, s22, exec_lo
.LBB106_116:                            ;   in Loop: Header=BB106_11 Depth=1
	s_wait_alu 0xfffe
	s_or_b32 exec_lo, exec_lo, s13
	v_readfirstlane_b32 s22, v0
	s_and_not1_b32 s13, s85, exec_lo
	s_and_b32 s20, s20, exec_lo
	s_and_not1_b32 s24, s83, exec_lo
	s_and_b32 s17, s17, exec_lo
	s_and_not1_b32 s82, s82, exec_lo
	s_wait_alu 0xfffe
	s_or_b32 s85, s13, s20
	s_or_b32 s83, s24, s17
                                        ; implicit-def: $vgpr2
	s_and_saveexec_b32 s13, s23
	s_cbranch_execz .LBB106_10
; %bb.117:                              ;   in Loop: Header=BB106_11 Depth=1
	v_dual_mov_b32 v2, 1 :: v_dual_mov_b32 v1, 1
	s_xor_b32 s16, s16, -1
	s_mov_b32 s22, 0
	s_wait_alu 0xfffe
	s_and_saveexec_b32 s15, s16
	s_cbranch_execz .LBB106_126
; %bb.118:                              ;   in Loop: Header=BB106_11 Depth=1
	s_mov_b32 s16, exec_lo
	v_cmpx_ge_u32_e64 s14, v34
	s_wait_alu 0xfffe
	s_xor_b32 s16, exec_lo, s16
	s_cbranch_execz .LBB106_123
; %bb.119:                              ;   in Loop: Header=BB106_11 Depth=1
	ds_load_b32 v1, v7 offset:4104
	v_and_b32_e32 v13, s19, v13
	v_or_b32_e32 v32, s12, v32
	s_wait_dscnt 0x0
	v_cmp_ne_u32_e32 vcc_lo, 0, v1
	s_cbranch_vccnz .LBB106_123
; %bb.120:                              ;   in Loop: Header=BB106_11 Depth=1
	s_and_saveexec_b32 s17, s2
; %bb.121:                              ;   in Loop: Header=BB106_11 Depth=1
	v_mov_b32_e32 v1, s14
	ds_store_b32 v7, v1 offset:4108
; %bb.122:                              ;   in Loop: Header=BB106_11 Depth=1
	s_wait_alu 0xfffe
	s_or_b32 exec_lo, exec_lo, s17
	s_wait_loadcnt_dscnt 0x0
	s_barrier_signal -1
	s_barrier_wait -1
	global_inv scope:SCOPE_SE
.LBB106_123:                            ;   in Loop: Header=BB106_11 Depth=1
	s_wait_alu 0xfffe
	s_or_saveexec_b32 s16, s16
	v_mov_b32_e32 v1, 8
	s_mov_b32 s17, 0
	s_wait_alu 0xfffe
	s_xor_b32 exec_lo, exec_lo, s16
; %bb.124:                              ;   in Loop: Header=BB106_11 Depth=1
	v_subrev_nc_u32_e32 v34, s14, v34
	v_mov_b32_e32 v1, 0
	s_mov_b32 s17, exec_lo
; %bb.125:                              ;   in Loop: Header=BB106_11 Depth=1
	s_or_b32 exec_lo, exec_lo, s16
	s_delay_alu instid0(VALU_DEP_2)
	v_mov_b32_e32 v2, v34
	s_wait_alu 0xfffe
	s_and_b32 s22, s17, exec_lo
.LBB106_126:                            ;   in Loop: Header=BB106_11 Depth=1
	s_wait_alu 0xfffe
	s_or_b32 exec_lo, exec_lo, s15
	s_mov_b32 s14, -1
	s_mov_b32 s20, -1
                                        ; implicit-def: $sgpr16
                                        ; implicit-def: $sgpr17
	s_and_saveexec_b32 s15, s22
	s_wait_alu 0xfffe
	s_xor_b32 s15, exec_lo, s15
	s_cbranch_execz .LBB106_243
; %bb.127:                              ;   in Loop: Header=BB106_11 Depth=1
	v_cmp_eq_u32_e32 vcc_lo, 1, v2
	s_cmp_eq_u32 s21, 1
	s_mov_b32 s23, -1
	s_cselect_b32 s16, -1, 0
                                        ; implicit-def: $sgpr17
	s_wait_alu 0xfffe
	s_and_b32 s22, s16, vcc_lo
                                        ; implicit-def: $sgpr16
	s_wait_alu 0xfffe
	s_and_saveexec_b32 s20, s22
	s_cbranch_execz .LBB106_153
; %bb.128:                              ;   in Loop: Header=BB106_11 Depth=1
	ds_load_b32 v3, v7 offset:4104
	s_wait_loadcnt_dscnt 0x0
	s_barrier_signal -1
	s_barrier_wait -1
	global_inv scope:SCOPE_SE
	v_readfirstlane_b32 s24, v3
	s_and_saveexec_b32 s16, s3
; %bb.129:                              ;   in Loop: Header=BB106_11 Depth=1
	ds_store_b16 v17, v7
; %bb.130:                              ;   in Loop: Header=BB106_11 Depth=1
	s_wait_alu 0xfffe
	s_or_b32 exec_lo, exec_lo, s16
	s_lshl_b32 s16, 1, s87
	v_or_b32_e32 v32, s12, v32
	s_wait_alu 0xfffe
	v_and_or_b32 v13, v13, s19, s16
	s_mov_b32 s16, -1
	s_mov_b32 s17, 0
	s_cmp_eq_u32 s24, 0
	s_mov_b32 s23, 0
	s_mov_b32 s25, -1
	s_wait_loadcnt_dscnt 0x0
	s_barrier_signal -1
	s_barrier_wait -1
	global_inv scope:SCOPE_SE
                                        ; implicit-def: $vgpr33
	s_cbranch_scc1 .LBB106_141
; %bb.131:                              ;   in Loop: Header=BB106_11 Depth=1
	s_add_co_i32 s62, s24, s51
                                        ; implicit-def: $vgpr33
	s_wait_alu 0xfffe
	s_mul_u64 s[26:27], s[62:63], s[66:67]
	s_mov_b32 s26, exec_lo
	s_wait_alu 0xfffe
	s_mul_i32 s23, s27, s37
	s_wait_alu 0xfffe
	s_sub_co_i32 s23, s62, s23
	s_wait_alu 0xfffe
	s_sub_co_i32 s25, s23, s37
	s_cmp_ge_u32 s23, s37
	s_wait_alu 0xfffe
	s_cselect_b32 s23, s25, s23
	s_wait_alu 0xfffe
	s_sub_co_i32 s25, s23, s37
	s_cmp_ge_u32 s23, s37
	s_wait_alu 0xfffe
	s_cselect_b32 s23, s25, s23
	s_mov_b32 s25, 0
	s_wait_alu 0xfffe
	s_sub_co_i32 s27, s62, s23
	s_mov_b32 s23, 0
	s_wait_alu 0xfffe
	v_cmpx_gt_u32_e64 s27, v0
	s_cbranch_execz .LBB106_140
; %bb.132:                              ;   in Loop: Header=BB106_11 Depth=1
	v_dual_mov_b32 v3, v16 :: v_dual_mov_b32 v4, v0
                                        ; implicit-def: $sgpr28
	s_branch .LBB106_135
.LBB106_133:                            ;   in Loop: Header=BB106_135 Depth=2
	s_wait_alu 0xfffe
	s_or_b32 exec_lo, exec_lo, s29
	s_wait_loadcnt_dscnt 0x0
	s_barrier_signal -1
	s_barrier_wait -1
	global_inv scope:SCOPE_SE
	ds_load_b32 v6, v7 offset:3072
	s_mov_b32 s29, -1
	s_mov_b32 s30, -1
	s_wait_loadcnt_dscnt 0x0
	s_barrier_signal -1
	s_barrier_wait -1
	global_inv scope:SCOPE_SE
	v_and_b32_e32 v33, 0xffff, v6
	s_delay_alu instid0(VALU_DEP_1)
	v_cmp_ne_u32_e32 vcc_lo, 0, v33
	s_cbranch_vccz .LBB106_138
.LBB106_134:                            ;   in Loop: Header=BB106_135 Depth=2
	s_wait_alu 0xfffe
	s_and_b32 s29, exec_lo, s29
	s_wait_alu 0xfffe
	s_or_b32 s23, s29, s23
	s_and_not1_b32 s28, s28, exec_lo
	s_and_b32 s29, s30, exec_lo
	s_wait_alu 0xfffe
	s_or_b32 s28, s28, s29
	s_and_not1_b32 exec_lo, exec_lo, s23
	s_cbranch_execz .LBB106_139
.LBB106_135:                            ;   Parent Loop BB106_11 Depth=1
                                        ; =>  This Inner Loop Header: Depth=2
	s_mov_b32 s29, exec_lo
	s_delay_alu instid0(VALU_DEP_1)
	v_cmpx_gt_u32_e64 s24, v4
	s_cbranch_execz .LBB106_133
; %bb.136:                              ;   in Loop: Header=BB106_135 Depth=2
	ds_load_u16 v6, v3
	s_wait_dscnt 0x0
	v_bfe_i32 v33, v6, 0, 16
	s_delay_alu instid0(VALU_DEP_1) | instskip(NEXT) | instid1(VALU_DEP_1)
	v_add_nc_u32_e32 v33, 0x8000, v33
	v_and_b32_e32 v33, v33, v32
	s_delay_alu instid0(VALU_DEP_1)
	v_cmp_eq_u32_e32 vcc_lo, v33, v13
	s_and_b32 exec_lo, exec_lo, vcc_lo
	s_cbranch_execz .LBB106_133
; %bb.137:                              ;   in Loop: Header=BB106_135 Depth=2
	v_perm_b32 v6, v6, 1, 0x5040100
	ds_store_b32 v7, v6 offset:3072
	s_branch .LBB106_133
.LBB106_138:                            ;   in Loop: Header=BB106_135 Depth=2
	v_add_nc_u32_e32 v4, s37, v4
	v_add_nc_u32_e32 v3, s79, v3
	s_mov_b32 s30, 0
	s_delay_alu instid0(VALU_DEP_2)
	v_cmp_le_u32_e32 vcc_lo, s27, v4
	s_or_not1_b32 s29, vcc_lo, exec_lo
	s_branch .LBB106_134
.LBB106_139:                            ;   in Loop: Header=BB106_11 Depth=1
	s_or_b32 exec_lo, exec_lo, s23
	v_lshrrev_b32_e32 v33, 16, v6
	s_wait_alu 0xfffe
	s_and_b32 s23, s28, exec_lo
.LBB106_140:                            ;   in Loop: Header=BB106_11 Depth=1
	s_or_b32 exec_lo, exec_lo, s26
.LBB106_141:                            ;   in Loop: Header=BB106_11 Depth=1
	s_wait_alu 0xfffe
	s_and_b32 vcc_lo, exec_lo, s25
	s_wait_alu 0xfffe
	s_cbranch_vccz .LBB106_152
; %bb.142:                              ;   in Loop: Header=BB106_11 Depth=1
                                        ; implicit-def: $vgpr33
	s_and_saveexec_b32 s16, s10
	s_cbranch_execz .LBB106_151
; %bb.143:                              ;   in Loop: Header=BB106_11 Depth=1
	v_dual_mov_b32 v6, v5 :: v_dual_mov_b32 v3, v0
	s_mov_b32 s17, 0
                                        ; implicit-def: $sgpr24
	s_branch .LBB106_146
.LBB106_144:                            ;   in Loop: Header=BB106_146 Depth=2
	s_wait_alu 0xfffe
	s_or_b32 exec_lo, exec_lo, s25
	s_wait_loadcnt_dscnt 0x0
	s_barrier_signal -1
	s_barrier_wait -1
	global_inv scope:SCOPE_SE
	ds_load_b32 v4, v7 offset:3072
	s_mov_b32 s25, -1
	s_mov_b32 s26, -1
	s_wait_loadcnt_dscnt 0x0
	s_barrier_signal -1
	s_barrier_wait -1
	global_inv scope:SCOPE_SE
	v_and_b32_e32 v33, 0xffff, v4
	s_delay_alu instid0(VALU_DEP_1)
	v_cmp_eq_u32_e32 vcc_lo, 0, v33
	s_cbranch_vccnz .LBB106_149
.LBB106_145:                            ;   in Loop: Header=BB106_146 Depth=2
	s_wait_alu 0xfffe
	s_and_b32 s25, exec_lo, s25
	s_wait_alu 0xfffe
	s_or_b32 s17, s25, s17
	s_and_not1_b32 s24, s24, exec_lo
	s_and_b32 s25, s26, exec_lo
	s_wait_alu 0xfffe
	s_or_b32 s24, s24, s25
	s_and_not1_b32 exec_lo, exec_lo, s17
	s_cbranch_execz .LBB106_150
.LBB106_146:                            ;   Parent Loop BB106_11 Depth=1
                                        ; =>  This Inner Loop Header: Depth=2
	s_mov_b32 s25, exec_lo
	s_delay_alu instid0(VALU_DEP_1)
	v_cmpx_gt_u32_e64 s36, v3
	s_cbranch_execz .LBB106_144
; %bb.147:                              ;   in Loop: Header=BB106_146 Depth=2
	v_lshlrev_b64_e32 v[33:34], 1, v[6:7]
	s_delay_alu instid0(VALU_DEP_1) | instskip(SKIP_1) | instid1(VALU_DEP_2)
	v_add_co_u32 v33, vcc_lo, s56, v33
	s_wait_alu 0xfffd
	v_add_co_ci_u32_e64 v34, null, s57, v34, vcc_lo
	global_load_u16 v4, v[33:34], off
	s_wait_loadcnt 0x0
	v_bfe_i32 v33, v4, 0, 16
	s_delay_alu instid0(VALU_DEP_1) | instskip(NEXT) | instid1(VALU_DEP_1)
	v_add_nc_u32_e32 v33, 0x8000, v33
	v_and_b32_e32 v33, v33, v32
	s_delay_alu instid0(VALU_DEP_1)
	v_cmp_eq_u32_e32 vcc_lo, v33, v13
	s_and_b32 exec_lo, exec_lo, vcc_lo
	s_cbranch_execz .LBB106_144
; %bb.148:                              ;   in Loop: Header=BB106_146 Depth=2
	v_perm_b32 v4, v4, 1, 0x5040100
	ds_store_b32 v7, v4 offset:3072
	s_branch .LBB106_144
.LBB106_149:                            ;   in Loop: Header=BB106_146 Depth=2
	v_add_nc_u32_e32 v3, s37, v3
	v_add_nc_u32_e32 v6, s60, v6
	s_mov_b32 s26, 0
	s_delay_alu instid0(VALU_DEP_2)
	v_cmp_le_u32_e32 vcc_lo, s76, v3
	s_or_not1_b32 s25, vcc_lo, exec_lo
	s_branch .LBB106_145
.LBB106_150:                            ;   in Loop: Header=BB106_11 Depth=1
	s_or_b32 exec_lo, exec_lo, s17
	v_lshrrev_b32_e32 v33, 16, v4
	s_and_not1_b32 s17, s23, exec_lo
	s_wait_alu 0xfffe
	s_and_b32 s23, s24, exec_lo
	s_wait_alu 0xfffe
	s_or_b32 s23, s17, s23
.LBB106_151:                            ;   in Loop: Header=BB106_11 Depth=1
	s_wait_alu 0xfffe
	s_or_b32 exec_lo, exec_lo, s16
	s_mov_b32 s16, 0
	s_mov_b32 s17, -1
.LBB106_152:                            ;   in Loop: Header=BB106_11 Depth=1
	s_or_not1_b32 s23, s23, exec_lo
.LBB106_153:                            ;   in Loop: Header=BB106_11 Depth=1
	s_wait_alu 0xfffe
	s_or_b32 exec_lo, exec_lo, s20
	s_mov_b32 s24, 0
	s_and_saveexec_b32 s20, s23
	s_cbranch_execz .LBB106_242
; %bb.154:                              ;   in Loop: Header=BB106_11 Depth=1
	v_mov_b32_e32 v3, 1
	v_mov_b32_e32 v1, 1
	s_xor_b32 s23, s22, -1
	s_mov_b32 s25, 0
	s_wait_alu 0xfffe
	s_and_saveexec_b32 s22, s23
	s_cbranch_execz .LBB106_163
; %bb.155:                              ;   in Loop: Header=BB106_11 Depth=1
	s_mov_b32 s23, exec_lo
	v_cmpx_ge_u32_e64 s21, v2
	s_wait_alu 0xfffe
	s_xor_b32 s23, exec_lo, s23
	s_cbranch_execz .LBB106_160
; %bb.156:                              ;   in Loop: Header=BB106_11 Depth=1
	ds_load_b32 v1, v7 offset:4104
	s_lshl_b32 s24, 1, s87
	v_or_b32_e32 v32, s12, v32
	s_wait_alu 0xfffe
	v_and_or_b32 v13, v13, s19, s24
	s_wait_dscnt 0x0
	v_cmp_ne_u32_e32 vcc_lo, 0, v1
	s_cbranch_vccnz .LBB106_160
; %bb.157:                              ;   in Loop: Header=BB106_11 Depth=1
	s_and_saveexec_b32 s24, s2
; %bb.158:                              ;   in Loop: Header=BB106_11 Depth=1
	v_mov_b32_e32 v1, s21
	ds_store_b32 v7, v1 offset:4108
; %bb.159:                              ;   in Loop: Header=BB106_11 Depth=1
	s_wait_alu 0xfffe
	s_or_b32 exec_lo, exec_lo, s24
	s_wait_loadcnt_dscnt 0x0
	s_barrier_signal -1
	s_barrier_wait -1
	global_inv scope:SCOPE_SE
.LBB106_160:                            ;   in Loop: Header=BB106_11 Depth=1
	s_wait_alu 0xfffe
	s_or_saveexec_b32 s23, s23
	v_mov_b32_e32 v1, 8
	s_mov_b32 s24, 0
	s_wait_alu 0xfffe
	s_xor_b32 exec_lo, exec_lo, s23
; %bb.161:                              ;   in Loop: Header=BB106_11 Depth=1
	v_subrev_nc_u32_e32 v2, s21, v2
	v_mov_b32_e32 v1, 0
	s_mov_b32 s24, exec_lo
; %bb.162:                              ;   in Loop: Header=BB106_11 Depth=1
	s_or_b32 exec_lo, exec_lo, s23
	s_delay_alu instid0(VALU_DEP_2)
	v_mov_b32_e32 v3, v2
	s_wait_alu 0xfffe
	s_and_b32 s25, s24, exec_lo
.LBB106_163:                            ;   in Loop: Header=BB106_11 Depth=1
	s_wait_alu 0xfffe
	s_or_b32 exec_lo, exec_lo, s22
	s_mov_b32 s24, -1
                                        ; implicit-def: $sgpr22
                                        ; implicit-def: $sgpr23
	s_and_saveexec_b32 s21, s25
	s_cbranch_execz .LBB106_241
; %bb.164:                              ;   in Loop: Header=BB106_11 Depth=1
	v_cmp_eq_u32_e32 vcc_lo, 1, v3
	s_cmp_eq_u32 s18, 1
	s_mov_b32 s26, -1
	s_cselect_b32 s22, -1, 0
                                        ; implicit-def: $sgpr23
	s_wait_alu 0xfffe
	s_and_b32 s25, s22, vcc_lo
                                        ; implicit-def: $sgpr22
	s_wait_alu 0xfffe
	s_and_saveexec_b32 s24, s25
	s_cbranch_execz .LBB106_190
; %bb.165:                              ;   in Loop: Header=BB106_11 Depth=1
	ds_load_b32 v2, v7 offset:4104
	s_wait_loadcnt_dscnt 0x0
	s_barrier_signal -1
	s_barrier_wait -1
	global_inv scope:SCOPE_SE
	v_readfirstlane_b32 s27, v2
	s_and_saveexec_b32 s22, s3
; %bb.166:                              ;   in Loop: Header=BB106_11 Depth=1
	ds_store_b16 v17, v7
; %bb.167:                              ;   in Loop: Header=BB106_11 Depth=1
	s_wait_alu 0xfffe
	s_or_b32 exec_lo, exec_lo, s22
	s_lshl_b32 s22, 2, s87
	v_or_b32_e32 v32, s12, v32
	s_wait_alu 0xfffe
	v_and_or_b32 v13, v13, s19, s22
	s_mov_b32 s22, -1
	s_mov_b32 s23, 0
	s_cmp_eq_u32 s27, 0
	s_mov_b32 s26, 0
	s_mov_b32 s28, -1
	s_wait_loadcnt_dscnt 0x0
	s_barrier_signal -1
	s_barrier_wait -1
	global_inv scope:SCOPE_SE
                                        ; implicit-def: $vgpr33
	s_cbranch_scc1 .LBB106_178
; %bb.168:                              ;   in Loop: Header=BB106_11 Depth=1
	s_add_co_i32 s62, s27, s51
                                        ; implicit-def: $vgpr33
	s_wait_alu 0xfffe
	s_mul_u64 s[28:29], s[62:63], s[66:67]
	s_wait_alu 0xfffe
	s_mul_i32 s26, s29, s37
	s_mov_b32 s29, exec_lo
	s_wait_alu 0xfffe
	s_sub_co_i32 s26, s62, s26
	s_wait_alu 0xfffe
	s_sub_co_i32 s28, s26, s37
	s_cmp_ge_u32 s26, s37
	s_wait_alu 0xfffe
	s_cselect_b32 s26, s28, s26
	s_wait_alu 0xfffe
	s_sub_co_i32 s28, s26, s37
	s_cmp_ge_u32 s26, s37
	s_wait_alu 0xfffe
	s_cselect_b32 s26, s28, s26
	s_mov_b32 s28, 0
	s_wait_alu 0xfffe
	s_sub_co_i32 s30, s62, s26
	s_mov_b32 s26, 0
	s_wait_alu 0xfffe
	v_cmpx_gt_u32_e64 s30, v0
	s_cbranch_execz .LBB106_177
; %bb.169:                              ;   in Loop: Header=BB106_11 Depth=1
	v_mov_b32_e32 v2, v16
	v_mov_b32_e32 v4, v0
                                        ; implicit-def: $sgpr62
	s_branch .LBB106_172
.LBB106_170:                            ;   in Loop: Header=BB106_172 Depth=2
	s_wait_alu 0xfffe
	s_or_b32 exec_lo, exec_lo, s88
	s_wait_loadcnt_dscnt 0x0
	s_barrier_signal -1
	s_barrier_wait -1
	global_inv scope:SCOPE_SE
	ds_load_b32 v6, v7 offset:3072
	s_mov_b32 s88, -1
	s_mov_b32 s89, -1
	s_wait_loadcnt_dscnt 0x0
	s_barrier_signal -1
	s_barrier_wait -1
	global_inv scope:SCOPE_SE
	v_and_b32_e32 v33, 0xffff, v6
	s_delay_alu instid0(VALU_DEP_1)
	v_cmp_ne_u32_e32 vcc_lo, 0, v33
	s_cbranch_vccz .LBB106_175
.LBB106_171:                            ;   in Loop: Header=BB106_172 Depth=2
	s_wait_alu 0xfffe
	s_and_b32 s88, exec_lo, s88
	s_wait_alu 0xfffe
	s_or_b32 s26, s88, s26
	s_and_not1_b32 s62, s62, exec_lo
	s_and_b32 s88, s89, exec_lo
	s_wait_alu 0xfffe
	s_or_b32 s62, s62, s88
	s_and_not1_b32 exec_lo, exec_lo, s26
	s_cbranch_execz .LBB106_176
.LBB106_172:                            ;   Parent Loop BB106_11 Depth=1
                                        ; =>  This Inner Loop Header: Depth=2
	s_mov_b32 s88, exec_lo
	s_delay_alu instid0(VALU_DEP_1)
	v_cmpx_gt_u32_e64 s27, v4
	s_cbranch_execz .LBB106_170
; %bb.173:                              ;   in Loop: Header=BB106_172 Depth=2
	ds_load_u16 v6, v2
	s_wait_dscnt 0x0
	v_bfe_i32 v33, v6, 0, 16
	s_delay_alu instid0(VALU_DEP_1) | instskip(NEXT) | instid1(VALU_DEP_1)
	v_add_nc_u32_e32 v33, 0x8000, v33
	v_and_b32_e32 v33, v33, v32
	s_delay_alu instid0(VALU_DEP_1)
	v_cmp_eq_u32_e32 vcc_lo, v33, v13
	s_and_b32 exec_lo, exec_lo, vcc_lo
	s_cbranch_execz .LBB106_170
; %bb.174:                              ;   in Loop: Header=BB106_172 Depth=2
	v_perm_b32 v6, v6, 1, 0x5040100
	ds_store_b32 v7, v6 offset:3072
	s_branch .LBB106_170
.LBB106_175:                            ;   in Loop: Header=BB106_172 Depth=2
	v_add_nc_u32_e32 v4, s37, v4
	v_add_nc_u32_e32 v2, s79, v2
	s_mov_b32 s89, 0
	s_delay_alu instid0(VALU_DEP_2)
	v_cmp_le_u32_e32 vcc_lo, s30, v4
	s_or_not1_b32 s88, vcc_lo, exec_lo
	s_branch .LBB106_171
.LBB106_176:                            ;   in Loop: Header=BB106_11 Depth=1
	s_or_b32 exec_lo, exec_lo, s26
	v_lshrrev_b32_e32 v33, 16, v6
	s_wait_alu 0xfffe
	s_and_b32 s26, s62, exec_lo
.LBB106_177:                            ;   in Loop: Header=BB106_11 Depth=1
	s_or_b32 exec_lo, exec_lo, s29
.LBB106_178:                            ;   in Loop: Header=BB106_11 Depth=1
	s_wait_alu 0xfffe
	s_and_b32 vcc_lo, exec_lo, s28
	s_wait_alu 0xfffe
	s_cbranch_vccz .LBB106_189
; %bb.179:                              ;   in Loop: Header=BB106_11 Depth=1
                                        ; implicit-def: $vgpr33
	s_and_saveexec_b32 s22, s10
	s_cbranch_execz .LBB106_188
; %bb.180:                              ;   in Loop: Header=BB106_11 Depth=1
	v_mov_b32_e32 v6, v5
	v_mov_b32_e32 v2, v0
	s_mov_b32 s23, 0
                                        ; implicit-def: $sgpr27
	s_branch .LBB106_183
.LBB106_181:                            ;   in Loop: Header=BB106_183 Depth=2
	s_wait_alu 0xfffe
	s_or_b32 exec_lo, exec_lo, s28
	s_wait_loadcnt_dscnt 0x0
	s_barrier_signal -1
	s_barrier_wait -1
	global_inv scope:SCOPE_SE
	ds_load_b32 v4, v7 offset:3072
	s_mov_b32 s28, -1
	s_mov_b32 s29, -1
	s_wait_loadcnt_dscnt 0x0
	s_barrier_signal -1
	s_barrier_wait -1
	global_inv scope:SCOPE_SE
	v_and_b32_e32 v33, 0xffff, v4
	s_delay_alu instid0(VALU_DEP_1)
	v_cmp_eq_u32_e32 vcc_lo, 0, v33
	s_cbranch_vccnz .LBB106_186
.LBB106_182:                            ;   in Loop: Header=BB106_183 Depth=2
	s_wait_alu 0xfffe
	s_and_b32 s28, exec_lo, s28
	s_wait_alu 0xfffe
	s_or_b32 s23, s28, s23
	s_and_not1_b32 s27, s27, exec_lo
	s_and_b32 s28, s29, exec_lo
	s_wait_alu 0xfffe
	s_or_b32 s27, s27, s28
	s_and_not1_b32 exec_lo, exec_lo, s23
	s_cbranch_execz .LBB106_187
.LBB106_183:                            ;   Parent Loop BB106_11 Depth=1
                                        ; =>  This Inner Loop Header: Depth=2
	s_mov_b32 s28, exec_lo
	s_delay_alu instid0(VALU_DEP_1)
	v_cmpx_gt_u32_e64 s36, v2
	s_cbranch_execz .LBB106_181
; %bb.184:                              ;   in Loop: Header=BB106_183 Depth=2
	v_lshlrev_b64_e32 v[33:34], 1, v[6:7]
	s_delay_alu instid0(VALU_DEP_1) | instskip(SKIP_1) | instid1(VALU_DEP_2)
	v_add_co_u32 v33, vcc_lo, s56, v33
	s_wait_alu 0xfffd
	v_add_co_ci_u32_e64 v34, null, s57, v34, vcc_lo
	global_load_u16 v4, v[33:34], off
	s_wait_loadcnt 0x0
	v_bfe_i32 v33, v4, 0, 16
	s_delay_alu instid0(VALU_DEP_1) | instskip(NEXT) | instid1(VALU_DEP_1)
	v_add_nc_u32_e32 v33, 0x8000, v33
	v_and_b32_e32 v33, v33, v32
	s_delay_alu instid0(VALU_DEP_1)
	v_cmp_eq_u32_e32 vcc_lo, v33, v13
	s_and_b32 exec_lo, exec_lo, vcc_lo
	s_cbranch_execz .LBB106_181
; %bb.185:                              ;   in Loop: Header=BB106_183 Depth=2
	v_perm_b32 v4, v4, 1, 0x5040100
	ds_store_b32 v7, v4 offset:3072
	s_branch .LBB106_181
.LBB106_186:                            ;   in Loop: Header=BB106_183 Depth=2
	v_add_nc_u32_e32 v2, s37, v2
	v_add_nc_u32_e32 v6, s60, v6
	s_mov_b32 s29, 0
	s_delay_alu instid0(VALU_DEP_2)
	v_cmp_le_u32_e32 vcc_lo, s76, v2
	s_or_not1_b32 s28, vcc_lo, exec_lo
	s_branch .LBB106_182
.LBB106_187:                            ;   in Loop: Header=BB106_11 Depth=1
	s_or_b32 exec_lo, exec_lo, s23
	v_lshrrev_b32_e32 v33, 16, v4
	s_and_not1_b32 s23, s26, exec_lo
	s_wait_alu 0xfffe
	s_and_b32 s26, s27, exec_lo
	s_wait_alu 0xfffe
	s_or_b32 s26, s23, s26
.LBB106_188:                            ;   in Loop: Header=BB106_11 Depth=1
	s_wait_alu 0xfffe
	s_or_b32 exec_lo, exec_lo, s22
	s_mov_b32 s22, 0
	s_mov_b32 s23, -1
.LBB106_189:                            ;   in Loop: Header=BB106_11 Depth=1
	s_or_not1_b32 s26, s26, exec_lo
.LBB106_190:                            ;   in Loop: Header=BB106_11 Depth=1
	s_wait_alu 0xfffe
	s_or_b32 exec_lo, exec_lo, s24
	s_mov_b32 s27, 0
	s_and_saveexec_b32 s24, s26
	s_cbranch_execz .LBB106_240
; %bb.191:                              ;   in Loop: Header=BB106_11 Depth=1
	v_dual_mov_b32 v2, 1 :: v_dual_mov_b32 v1, 1
	s_xor_b32 s26, s25, -1
	s_wait_alu 0xfffe
	s_and_saveexec_b32 s25, s26
	s_cbranch_execz .LBB106_200
; %bb.192:                              ;   in Loop: Header=BB106_11 Depth=1
	s_mov_b32 s26, exec_lo
	v_cmpx_ge_u32_e64 s18, v3
	s_wait_alu 0xfffe
	s_xor_b32 s26, exec_lo, s26
	s_cbranch_execz .LBB106_197
; %bb.193:                              ;   in Loop: Header=BB106_11 Depth=1
	ds_load_b32 v1, v7 offset:4104
	s_lshl_b32 s27, 2, s87
	v_or_b32_e32 v32, s12, v32
	s_wait_alu 0xfffe
	v_and_or_b32 v13, v13, s19, s27
	s_wait_dscnt 0x0
	v_cmp_ne_u32_e32 vcc_lo, 0, v1
	s_cbranch_vccnz .LBB106_197
; %bb.194:                              ;   in Loop: Header=BB106_11 Depth=1
	s_and_saveexec_b32 s19, s2
; %bb.195:                              ;   in Loop: Header=BB106_11 Depth=1
	v_mov_b32_e32 v1, s18
	ds_store_b32 v7, v1 offset:4108
; %bb.196:                              ;   in Loop: Header=BB106_11 Depth=1
	s_wait_alu 0xfffe
	s_or_b32 exec_lo, exec_lo, s19
	s_wait_loadcnt_dscnt 0x0
	s_barrier_signal -1
	s_barrier_wait -1
	global_inv scope:SCOPE_SE
.LBB106_197:                            ;   in Loop: Header=BB106_11 Depth=1
	s_wait_alu 0xfffe
	s_or_saveexec_b32 s19, s26
	v_mov_b32_e32 v1, 8
	s_mov_b32 s26, 0
	s_wait_alu 0xfffe
	s_xor_b32 exec_lo, exec_lo, s19
; %bb.198:                              ;   in Loop: Header=BB106_11 Depth=1
	v_subrev_nc_u32_e32 v3, s18, v3
	v_mov_b32_e32 v1, 0
	s_mov_b32 s26, exec_lo
; %bb.199:                              ;   in Loop: Header=BB106_11 Depth=1
	s_or_b32 exec_lo, exec_lo, s19
	s_delay_alu instid0(VALU_DEP_2)
	v_mov_b32_e32 v2, v3
	s_wait_alu 0xfffe
	s_and_b32 s27, s26, exec_lo
.LBB106_200:                            ;   in Loop: Header=BB106_11 Depth=1
	s_wait_alu 0xfffe
	s_or_b32 exec_lo, exec_lo, s25
	s_mov_b32 s19, -1
                                        ; implicit-def: $sgpr26
                                        ; implicit-def: $sgpr25
	s_and_saveexec_b32 s18, s27
	s_cbranch_execz .LBB106_239
; %bb.201:                              ;   in Loop: Header=BB106_11 Depth=1
	v_cmp_eq_u32_e32 vcc_lo, 1, v2
	s_cmp_eq_u32 s11, 1
	s_mov_b32 s28, -1
	s_cselect_b32 s19, -1, 0
                                        ; implicit-def: $sgpr26
                                        ; implicit-def: $sgpr25
	s_wait_alu 0xfffe
	s_and_b32 s19, s19, vcc_lo
	s_wait_alu 0xfffe
	s_and_saveexec_b32 s27, s19
	s_cbranch_execz .LBB106_227
; %bb.202:                              ;   in Loop: Header=BB106_11 Depth=1
	ds_load_b32 v3, v7 offset:4104
	s_wait_loadcnt_dscnt 0x0
	s_barrier_signal -1
	s_barrier_wait -1
	global_inv scope:SCOPE_SE
	v_readfirstlane_b32 s29, v3
	s_and_saveexec_b32 s25, s3
; %bb.203:                              ;   in Loop: Header=BB106_11 Depth=1
	ds_store_b16 v17, v7
; %bb.204:                              ;   in Loop: Header=BB106_11 Depth=1
	s_wait_alu 0xfffe
	s_or_b32 exec_lo, exec_lo, s25
	v_or_b32_e32 v13, s12, v13
	v_or_b32_e32 v32, s12, v32
	s_mov_b32 s25, -1
	s_mov_b32 s26, 0
	s_cmp_eq_u32 s29, 0
	s_mov_b32 s28, 0
	s_mov_b32 s30, -1
	s_wait_loadcnt_dscnt 0x0
	s_barrier_signal -1
	s_barrier_wait -1
	global_inv scope:SCOPE_SE
                                        ; implicit-def: $vgpr33
	s_cbranch_scc1 .LBB106_215
; %bb.205:                              ;   in Loop: Header=BB106_11 Depth=1
	s_add_co_i32 s62, s29, s51
                                        ; implicit-def: $vgpr33
	s_wait_alu 0xfffe
	s_mul_u64 s[88:89], s[62:63], s[66:67]
	s_wait_alu 0xfffe
	s_mul_i32 s28, s89, s37
	s_wait_alu 0xfffe
	s_sub_co_i32 s28, s62, s28
	s_wait_alu 0xfffe
	s_sub_co_i32 s30, s28, s37
	s_cmp_ge_u32 s28, s37
	s_wait_alu 0xfffe
	s_cselect_b32 s28, s30, s28
	s_wait_alu 0xfffe
	s_sub_co_i32 s30, s28, s37
	s_cmp_ge_u32 s28, s37
	s_wait_alu 0xfffe
	s_cselect_b32 s28, s30, s28
	s_mov_b32 s30, 0
	s_wait_alu 0xfffe
	s_sub_co_i32 s88, s62, s28
	s_mov_b32 s28, 0
	s_mov_b32 s62, exec_lo
	s_wait_alu 0xfffe
	v_cmpx_gt_u32_e64 s88, v0
	s_cbranch_execz .LBB106_214
; %bb.206:                              ;   in Loop: Header=BB106_11 Depth=1
	v_dual_mov_b32 v3, v16 :: v_dual_mov_b32 v4, v0
                                        ; implicit-def: $sgpr89
	s_branch .LBB106_209
.LBB106_207:                            ;   in Loop: Header=BB106_209 Depth=2
	s_wait_alu 0xfffe
	s_or_b32 exec_lo, exec_lo, s90
	s_wait_loadcnt_dscnt 0x0
	s_barrier_signal -1
	s_barrier_wait -1
	global_inv scope:SCOPE_SE
	ds_load_b32 v6, v7 offset:3072
	s_mov_b32 s90, -1
	s_mov_b32 s91, -1
	s_wait_loadcnt_dscnt 0x0
	s_barrier_signal -1
	s_barrier_wait -1
	global_inv scope:SCOPE_SE
	v_and_b32_e32 v33, 0xffff, v6
	s_delay_alu instid0(VALU_DEP_1)
	v_cmp_ne_u32_e32 vcc_lo, 0, v33
	s_cbranch_vccz .LBB106_212
.LBB106_208:                            ;   in Loop: Header=BB106_209 Depth=2
	s_wait_alu 0xfffe
	s_and_b32 s90, exec_lo, s90
	s_wait_alu 0xfffe
	s_or_b32 s28, s90, s28
	s_and_not1_b32 s89, s89, exec_lo
	s_and_b32 s90, s91, exec_lo
	s_wait_alu 0xfffe
	s_or_b32 s89, s89, s90
	s_and_not1_b32 exec_lo, exec_lo, s28
	s_cbranch_execz .LBB106_213
.LBB106_209:                            ;   Parent Loop BB106_11 Depth=1
                                        ; =>  This Inner Loop Header: Depth=2
	s_mov_b32 s90, exec_lo
	s_delay_alu instid0(VALU_DEP_1)
	v_cmpx_gt_u32_e64 s29, v4
	s_cbranch_execz .LBB106_207
; %bb.210:                              ;   in Loop: Header=BB106_209 Depth=2
	ds_load_u16 v6, v3
	s_wait_dscnt 0x0
	v_bfe_i32 v33, v6, 0, 16
	s_delay_alu instid0(VALU_DEP_1) | instskip(NEXT) | instid1(VALU_DEP_1)
	v_add_nc_u32_e32 v33, 0x8000, v33
	v_and_b32_e32 v33, v33, v32
	s_delay_alu instid0(VALU_DEP_1)
	v_cmp_eq_u32_e32 vcc_lo, v33, v13
	s_and_b32 exec_lo, exec_lo, vcc_lo
	s_cbranch_execz .LBB106_207
; %bb.211:                              ;   in Loop: Header=BB106_209 Depth=2
	v_perm_b32 v6, v6, 1, 0x5040100
	ds_store_b32 v7, v6 offset:3072
	s_branch .LBB106_207
.LBB106_212:                            ;   in Loop: Header=BB106_209 Depth=2
	v_add_nc_u32_e32 v4, s37, v4
	v_add_nc_u32_e32 v3, s79, v3
	s_mov_b32 s91, 0
	s_delay_alu instid0(VALU_DEP_2)
	v_cmp_le_u32_e32 vcc_lo, s88, v4
	s_or_not1_b32 s90, vcc_lo, exec_lo
	s_branch .LBB106_208
.LBB106_213:                            ;   in Loop: Header=BB106_11 Depth=1
	s_or_b32 exec_lo, exec_lo, s28
	v_lshrrev_b32_e32 v33, 16, v6
	s_wait_alu 0xfffe
	s_and_b32 s28, s89, exec_lo
.LBB106_214:                            ;   in Loop: Header=BB106_11 Depth=1
	s_or_b32 exec_lo, exec_lo, s62
.LBB106_215:                            ;   in Loop: Header=BB106_11 Depth=1
	s_wait_alu 0xfffe
	s_and_b32 vcc_lo, exec_lo, s30
	s_wait_alu 0xfffe
	s_cbranch_vccz .LBB106_226
; %bb.216:                              ;   in Loop: Header=BB106_11 Depth=1
                                        ; implicit-def: $vgpr33
	s_and_saveexec_b32 s25, s10
	s_cbranch_execz .LBB106_225
; %bb.217:                              ;   in Loop: Header=BB106_11 Depth=1
	v_dual_mov_b32 v6, v5 :: v_dual_mov_b32 v3, v0
	s_mov_b32 s26, 0
                                        ; implicit-def: $sgpr29
	s_branch .LBB106_220
.LBB106_218:                            ;   in Loop: Header=BB106_220 Depth=2
	s_wait_alu 0xfffe
	s_or_b32 exec_lo, exec_lo, s30
	s_wait_loadcnt_dscnt 0x0
	s_barrier_signal -1
	s_barrier_wait -1
	global_inv scope:SCOPE_SE
	ds_load_b32 v4, v7 offset:3072
	s_mov_b32 s30, -1
	s_mov_b32 s62, -1
	s_wait_loadcnt_dscnt 0x0
	s_barrier_signal -1
	s_barrier_wait -1
	global_inv scope:SCOPE_SE
	v_and_b32_e32 v33, 0xffff, v4
	s_delay_alu instid0(VALU_DEP_1)
	v_cmp_eq_u32_e32 vcc_lo, 0, v33
	s_cbranch_vccnz .LBB106_223
.LBB106_219:                            ;   in Loop: Header=BB106_220 Depth=2
	s_wait_alu 0xfffe
	s_and_b32 s30, exec_lo, s30
	s_wait_alu 0xfffe
	s_or_b32 s26, s30, s26
	s_and_not1_b32 s29, s29, exec_lo
	s_and_b32 s30, s62, exec_lo
	s_wait_alu 0xfffe
	s_or_b32 s29, s29, s30
	s_and_not1_b32 exec_lo, exec_lo, s26
	s_cbranch_execz .LBB106_224
.LBB106_220:                            ;   Parent Loop BB106_11 Depth=1
                                        ; =>  This Inner Loop Header: Depth=2
	s_mov_b32 s30, exec_lo
	s_delay_alu instid0(VALU_DEP_1)
	v_cmpx_gt_u32_e64 s36, v3
	s_cbranch_execz .LBB106_218
; %bb.221:                              ;   in Loop: Header=BB106_220 Depth=2
	v_lshlrev_b64_e32 v[33:34], 1, v[6:7]
	s_delay_alu instid0(VALU_DEP_1) | instskip(SKIP_1) | instid1(VALU_DEP_2)
	v_add_co_u32 v33, vcc_lo, s56, v33
	s_wait_alu 0xfffd
	v_add_co_ci_u32_e64 v34, null, s57, v34, vcc_lo
	global_load_u16 v4, v[33:34], off
	s_wait_loadcnt 0x0
	v_bfe_i32 v33, v4, 0, 16
	s_delay_alu instid0(VALU_DEP_1) | instskip(NEXT) | instid1(VALU_DEP_1)
	v_add_nc_u32_e32 v33, 0x8000, v33
	v_and_b32_e32 v33, v33, v32
	s_delay_alu instid0(VALU_DEP_1)
	v_cmp_eq_u32_e32 vcc_lo, v33, v13
	s_and_b32 exec_lo, exec_lo, vcc_lo
	s_cbranch_execz .LBB106_218
; %bb.222:                              ;   in Loop: Header=BB106_220 Depth=2
	v_perm_b32 v4, v4, 1, 0x5040100
	ds_store_b32 v7, v4 offset:3072
	s_branch .LBB106_218
.LBB106_223:                            ;   in Loop: Header=BB106_220 Depth=2
	v_add_nc_u32_e32 v3, s37, v3
	v_add_nc_u32_e32 v6, s60, v6
	s_mov_b32 s62, 0
	s_delay_alu instid0(VALU_DEP_2)
	v_cmp_le_u32_e32 vcc_lo, s76, v3
	s_or_not1_b32 s30, vcc_lo, exec_lo
	s_branch .LBB106_219
.LBB106_224:                            ;   in Loop: Header=BB106_11 Depth=1
	s_or_b32 exec_lo, exec_lo, s26
	v_lshrrev_b32_e32 v33, 16, v4
	s_and_not1_b32 s26, s28, exec_lo
	s_wait_alu 0xfffe
	s_and_b32 s28, s29, exec_lo
	s_wait_alu 0xfffe
	s_or_b32 s28, s26, s28
.LBB106_225:                            ;   in Loop: Header=BB106_11 Depth=1
	s_wait_alu 0xfffe
	s_or_b32 exec_lo, exec_lo, s25
	s_mov_b32 s25, 0
	s_mov_b32 s26, -1
.LBB106_226:                            ;   in Loop: Header=BB106_11 Depth=1
	s_or_not1_b32 s28, s28, exec_lo
.LBB106_227:                            ;   in Loop: Header=BB106_11 Depth=1
	s_wait_alu 0xfffe
	s_or_b32 exec_lo, exec_lo, s27
	s_mov_b32 s29, 0
	s_and_saveexec_b32 s27, s28
	s_cbranch_execz .LBB106_238
; %bb.228:                              ;   in Loop: Header=BB106_11 Depth=1
	v_mov_b32_e32 v1, 1
	v_mov_b32_e32 v3, 1
	s_xor_b32 s28, s19, -1
	s_wait_alu 0xfffe
	s_and_saveexec_b32 s19, s28
	s_cbranch_execz .LBB106_237
; %bb.229:                              ;   in Loop: Header=BB106_11 Depth=1
	s_mov_b32 s28, exec_lo
	v_cmpx_ge_u32_e64 s11, v2
	s_wait_alu 0xfffe
	s_xor_b32 s28, exec_lo, s28
	s_cbranch_execz .LBB106_234
; %bb.230:                              ;   in Loop: Header=BB106_11 Depth=1
	ds_load_b32 v1, v7 offset:4104
	v_or_b32_e32 v13, s12, v13
	v_or_b32_e32 v32, s12, v32
	s_wait_dscnt 0x0
	v_cmp_ne_u32_e32 vcc_lo, 0, v1
	s_cbranch_vccnz .LBB106_234
; %bb.231:                              ;   in Loop: Header=BB106_11 Depth=1
	s_and_saveexec_b32 s12, s2
; %bb.232:                              ;   in Loop: Header=BB106_11 Depth=1
	v_mov_b32_e32 v1, s11
	ds_store_b32 v7, v1 offset:4108
; %bb.233:                              ;   in Loop: Header=BB106_11 Depth=1
	s_wait_alu 0xfffe
	s_or_b32 exec_lo, exec_lo, s12
	s_wait_loadcnt_dscnt 0x0
	s_barrier_signal -1
	s_barrier_wait -1
	global_inv scope:SCOPE_SE
.LBB106_234:                            ;   in Loop: Header=BB106_11 Depth=1
	s_wait_alu 0xfffe
	s_and_not1_saveexec_b32 s12, s28
; %bb.235:                              ;   in Loop: Header=BB106_11 Depth=1
	v_subrev_nc_u32_e32 v2, s11, v2
; %bb.236:                              ;   in Loop: Header=BB106_11 Depth=1
	s_wait_alu 0xfffe
	s_or_b32 exec_lo, exec_lo, s12
	v_mov_b32_e32 v1, 8
	s_delay_alu instid0(VALU_DEP_2)
	v_mov_b32_e32 v3, v2
.LBB106_237:                            ;   in Loop: Header=BB106_11 Depth=1
	s_wait_alu 0xfffe
	s_or_b32 exec_lo, exec_lo, s19
	s_delay_alu instid0(VALU_DEP_1)
	v_mov_b32_e32 v2, v3
	s_mov_b32 s29, exec_lo
.LBB106_238:                            ;   in Loop: Header=BB106_11 Depth=1
	s_wait_alu 0xfffe
	s_or_b32 exec_lo, exec_lo, s27
	s_delay_alu instid0(SALU_CYCLE_1)
	s_or_not1_b32 s19, s29, exec_lo
.LBB106_239:                            ;   in Loop: Header=BB106_11 Depth=1
	s_wait_alu 0xfffe
	s_or_b32 exec_lo, exec_lo, s18
	v_mov_b32_e32 v3, v2
	s_and_not1_b32 s11, s23, exec_lo
	s_and_b32 s12, s26, exec_lo
	s_and_not1_b32 s18, s22, exec_lo
	s_and_b32 s22, s25, exec_lo
	s_wait_alu 0xfffe
	s_or_b32 s23, s11, s12
	s_or_b32 s22, s18, s22
	s_and_b32 s27, s19, exec_lo
.LBB106_240:                            ;   in Loop: Header=BB106_11 Depth=1
	s_wait_alu 0xfffe
	s_or_b32 exec_lo, exec_lo, s24
	s_delay_alu instid0(SALU_CYCLE_1)
	s_or_not1_b32 s24, s27, exec_lo
.LBB106_241:                            ;   in Loop: Header=BB106_11 Depth=1
	s_wait_alu 0xfffe
	s_or_b32 exec_lo, exec_lo, s21
	v_mov_b32_e32 v2, v3
	s_and_not1_b32 s11, s17, exec_lo
	s_and_b32 s12, s23, exec_lo
	s_and_not1_b32 s16, s16, exec_lo
	s_and_b32 s18, s22, exec_lo
	s_wait_alu 0xfffe
	s_or_b32 s17, s11, s12
	s_or_b32 s16, s16, s18
	s_and_b32 s24, s24, exec_lo
.LBB106_242:                            ;   in Loop: Header=BB106_11 Depth=1
	s_wait_alu 0xfffe
	s_or_b32 exec_lo, exec_lo, s20
	s_delay_alu instid0(SALU_CYCLE_1)
	s_or_not1_b32 s20, s24, exec_lo
.LBB106_243:                            ;   in Loop: Header=BB106_11 Depth=1
	s_wait_alu 0xfffe
	s_or_b32 exec_lo, exec_lo, s15
	s_mov_b32 s12, 0
                                        ; implicit-def: $sgpr22
	s_and_saveexec_b32 s11, s20
	s_wait_alu 0xfffe
	s_xor_b32 s11, exec_lo, s11
	s_cbranch_execz .LBB106_9
; %bb.244:                              ;   in Loop: Header=BB106_11 Depth=1
	v_and_b32_e32 v1, 7, v1
	s_mov_b32 s14, -1
	s_mov_b32 s12, -1
	s_mov_b32 s15, exec_lo
                                        ; implicit-def: $sgpr22
	s_delay_alu instid0(VALU_DEP_1)
	v_cmpx_eq_u32_e32 0, v1
	s_cbranch_execz .LBB106_8
; %bb.245:                              ;   in Loop: Header=BB106_11 Depth=1
	s_add_co_i32 s22, s87, -2
	s_cmp_eq_u32 s87, 0
	v_xor_b32_e32 v31, 1, v31
	s_cselect_b32 s14, -1, 0
	s_xor_b32 s12, exec_lo, -1
	s_wait_alu 0xfffe
	s_or_not1_b32 s14, s14, exec_lo
	s_branch .LBB106_8
.LBB106_246:
	s_or_b32 exec_lo, exec_lo, s80
	s_wait_alu 0xfffe
	s_xor_b32 s4, s86, -1
	s_xor_b32 s1, s84, -1
	;; [unrolled: 1-line block ×3, first 2 shown]
	s_mov_b32 s2, 0
	s_and_saveexec_b32 s5, s1
	s_wait_alu 0xfffe
	s_xor_b32 s1, exec_lo, s5
	s_cbranch_execnz .LBB106_251
; %bb.247:
	s_and_not1_saveexec_b32 s0, s1
	s_cbranch_execnz .LBB106_264
.LBB106_248:
	s_or_b32 exec_lo, exec_lo, s0
	s_wait_alu 0xfffe
	s_and_saveexec_b32 s0, s2
.LBB106_249:
	; divergent unreachable
.LBB106_250:
	s_endpgm
.LBB106_251:
	s_and_saveexec_b32 s2, s4
	s_wait_alu 0xfffe
	s_xor_b32 s4, exec_lo, s2
	s_cbranch_execz .LBB106_262
; %bb.252:
	s_and_saveexec_b32 s2, s3
	s_wait_alu 0xfffe
	s_xor_b32 s2, exec_lo, s2
; %bb.253:
	v_xor_b32_e32 v33, 0xffff8000, v13
; %bb.254:
	s_wait_alu 0xfffe
	s_or_b32 exec_lo, exec_lo, s2
	s_mul_i32 s3, s61, s48
	s_mul_i32 s2, s52, s49
	s_wait_alu 0xfffe
	s_sub_co_i32 s3, s52, s3
	s_sub_co_i32 s2, s33, s2
	s_add_co_i32 s5, s61, 1
	s_wait_alu 0xfffe
	s_sub_co_i32 s6, s3, s48
	s_cmp_ge_u32 s3, s48
	s_wait_kmcnt 0x0
	s_mul_i32 s2, s2, s46
	s_cselect_b32 s5, s5, s61
	s_wait_alu 0xfffe
	s_cselect_b32 s3, s6, s3
	s_add_co_i32 s6, s5, 1
	s_wait_alu 0xfffe
	s_cmp_ge_u32 s3, s48
	v_mov_b32_e32 v6, 0
	s_cselect_b32 s3, s6, s5
	s_wait_alu 0xfffe
	s_mul_i32 s5, s3, s48
	s_mul_i32 s3, s3, s44
	s_wait_alu 0xfffe
	s_sub_co_i32 s5, s52, s5
	s_wait_alu 0xfffe
	s_mul_i32 s5, s5, s45
	s_wait_alu 0xfffe
	s_add_co_i32 s2, s5, s2
	s_wait_alu 0xfffe
	s_add_co_i32 s2, s2, s3
	s_mov_b32 s3, 0
	s_wait_alu 0xfffe
	s_lshl_b64 s[6:7], s[2:3], 1
	s_wait_alu 0xfffe
	s_add_nc_u64 s[6:7], s[58:59], s[6:7]
	global_store_b16 v6, v33, s[6:7]
	s_and_saveexec_b32 s2, s0
	s_cbranch_execz .LBB106_261
; %bb.255:
                                        ; implicit-def: $sgpr0
                                        ; implicit-def: $sgpr6
                                        ; implicit-def: $sgpr5
	s_branch .LBB106_257
.LBB106_256:                            ;   in Loop: Header=BB106_257 Depth=1
	s_wait_alu 0xfffe
	s_or_b32 exec_lo, exec_lo, s7
	s_delay_alu instid0(SALU_CYCLE_1)
	s_and_b32 s7, exec_lo, s6
	s_wait_alu 0xfffe
	s_or_b32 s3, s7, s3
	s_and_not1_b32 s0, s0, exec_lo
	s_and_b32 s7, s5, exec_lo
	s_wait_alu 0xfffe
	s_or_b32 s0, s0, s7
	s_and_not1_b32 exec_lo, exec_lo, s3
	s_cbranch_execz .LBB106_259
.LBB106_257:                            ; =>This Inner Loop Header: Depth=1
	v_lshlrev_b64_e32 v[1:2], 1, v[5:6]
	s_or_b32 s5, s5, exec_lo
	s_wait_alu 0xfffe
	s_or_b32 s6, s6, exec_lo
	s_mov_b32 s7, exec_lo
	s_delay_alu instid0(VALU_DEP_1)
	v_add_co_u32 v1, vcc_lo, s56, v1
	s_wait_alu 0xfffd
	v_add_co_ci_u32_e64 v2, null, s57, v2, vcc_lo
	global_load_u16 v2, v[1:2], off
	v_mov_b32_e32 v1, v0
                                        ; implicit-def: $vgpr0
	s_wait_loadcnt 0x0
	v_cmpx_ne_u16_e64 v2, v33
	s_cbranch_execz .LBB106_256
; %bb.258:                              ;   in Loop: Header=BB106_257 Depth=1
	s_delay_alu instid0(VALU_DEP_2)
	v_add_nc_u32_e32 v0, s37, v1
	v_add_nc_u32_e32 v5, s60, v5
	s_wait_alu 0xfffe
	s_and_not1_b32 s6, s6, exec_lo
	s_and_not1_b32 s5, s5, exec_lo
	v_cmp_le_u32_e32 vcc_lo, s36, v0
	s_and_b32 s8, vcc_lo, exec_lo
	s_wait_alu 0xfffe
	s_or_b32 s6, s6, s8
	s_branch .LBB106_256
.LBB106_259:
	s_or_b32 exec_lo, exec_lo, s3
	s_and_saveexec_b32 s3, s0
	s_wait_alu 0xfffe
	s_xor_b32 s3, exec_lo, s3
	s_cbranch_execz .LBB106_261
; %bb.260:
	s_mul_i32 s3, s31, s34
	s_mul_i32 s0, s50, s35
	s_wait_alu 0xfffe
	s_sub_co_i32 s3, s50, s3
	s_sub_co_i32 s0, s33, s0
	s_add_co_i32 s5, s31, 1
	s_wait_alu 0xfffe
	s_sub_co_i32 s6, s3, s34
	s_cmp_ge_u32 s3, s34
	s_mul_i32 s0, s0, s42
	s_cselect_b32 s5, s5, s31
	s_wait_alu 0xfffe
	s_cselect_b32 s3, s6, s3
	s_add_co_i32 s6, s5, 1
	s_wait_alu 0xfffe
	s_cmp_ge_u32 s3, s34
	s_mov_b32 s7, 0
	s_cselect_b32 s3, s6, s5
	v_mov_b32_e32 v2, 0
	s_wait_alu 0xfffe
	s_mul_i32 s5, s3, s34
	s_mul_i32 s3, s3, s40
	s_wait_alu 0xfffe
	s_sub_co_i32 s5, s50, s5
	s_wait_alu 0xfffe
	s_mul_i32 s5, s5, s41
	s_wait_alu 0xfffe
	s_add_co_i32 s0, s5, s0
	s_delay_alu instid0(SALU_CYCLE_1)
	s_add_co_i32 s6, s0, s3
	s_wait_alu 0xfffe
	s_lshl_b64 s[6:7], s[6:7], 3
	s_wait_alu 0xfffe
	s_add_nc_u64 s[6:7], s[54:55], s[6:7]
	global_store_b64 v2, v[1:2], s[6:7]
.LBB106_261:
	s_wait_alu 0xfffe
	s_or_b32 exec_lo, exec_lo, s2
.LBB106_262:
	s_wait_alu 0xfffe
	s_or_saveexec_b32 s0, s4
	s_mov_b32 s2, 0
	s_xor_b32 exec_lo, exec_lo, s0
	s_cbranch_execnz .LBB106_265
.LBB106_263:
	s_or_b32 exec_lo, exec_lo, s0
	s_wait_alu 0xfffe
	s_and_b32 s2, s2, exec_lo
	s_and_not1_saveexec_b32 s0, s1
	s_cbranch_execz .LBB106_248
.LBB106_264:
	s_wait_alu 0xfffe
	s_or_b32 s2, s2, exec_lo
	s_trap 2
	s_or_b32 exec_lo, exec_lo, s0
	s_wait_alu 0xfffe
	s_and_saveexec_b32 s0, s2
	s_cbranch_execnz .LBB106_249
	s_branch .LBB106_250
.LBB106_265:
	s_mov_b32 s2, exec_lo
	s_trap 2
	s_branch .LBB106_263
	.section	.rodata,"a",@progbits
	.p2align	6, 0x0
	.amdhsa_kernel _ZN2at6native12_GLOBAL__N_112gatherMedianIsjLi3EEEvNS_4cuda6detail10TensorInfoIT_T0_EENS5_IlS7_EENS5_IKS6_S7_EES7_S7_S7_b
		.amdhsa_group_segment_fixed_size 4120
		.amdhsa_private_segment_fixed_size 0
		.amdhsa_kernarg_size 920
		.amdhsa_user_sgpr_count 2
		.amdhsa_user_sgpr_dispatch_ptr 0
		.amdhsa_user_sgpr_queue_ptr 0
		.amdhsa_user_sgpr_kernarg_segment_ptr 1
		.amdhsa_user_sgpr_dispatch_id 0
		.amdhsa_user_sgpr_private_segment_size 0
		.amdhsa_wavefront_size32 1
		.amdhsa_uses_dynamic_stack 0
		.amdhsa_enable_private_segment 0
		.amdhsa_system_sgpr_workgroup_id_x 1
		.amdhsa_system_sgpr_workgroup_id_y 1
		.amdhsa_system_sgpr_workgroup_id_z 1
		.amdhsa_system_sgpr_workgroup_info 0
		.amdhsa_system_vgpr_workitem_id 0
		.amdhsa_next_free_vgpr 62
		.amdhsa_next_free_sgpr 95
		.amdhsa_reserve_vcc 1
		.amdhsa_float_round_mode_32 0
		.amdhsa_float_round_mode_16_64 0
		.amdhsa_float_denorm_mode_32 3
		.amdhsa_float_denorm_mode_16_64 3
		.amdhsa_fp16_overflow 0
		.amdhsa_workgroup_processor_mode 1
		.amdhsa_memory_ordered 1
		.amdhsa_forward_progress 1
		.amdhsa_inst_pref_size 105
		.amdhsa_round_robin_scheduling 0
		.amdhsa_exception_fp_ieee_invalid_op 0
		.amdhsa_exception_fp_denorm_src 0
		.amdhsa_exception_fp_ieee_div_zero 0
		.amdhsa_exception_fp_ieee_overflow 0
		.amdhsa_exception_fp_ieee_underflow 0
		.amdhsa_exception_fp_ieee_inexact 0
		.amdhsa_exception_int_div_zero 0
	.end_amdhsa_kernel
	.section	.text._ZN2at6native12_GLOBAL__N_112gatherMedianIsjLi3EEEvNS_4cuda6detail10TensorInfoIT_T0_EENS5_IlS7_EENS5_IKS6_S7_EES7_S7_S7_b,"axG",@progbits,_ZN2at6native12_GLOBAL__N_112gatherMedianIsjLi3EEEvNS_4cuda6detail10TensorInfoIT_T0_EENS5_IlS7_EENS5_IKS6_S7_EES7_S7_S7_b,comdat
.Lfunc_end106:
	.size	_ZN2at6native12_GLOBAL__N_112gatherMedianIsjLi3EEEvNS_4cuda6detail10TensorInfoIT_T0_EENS5_IlS7_EENS5_IKS6_S7_EES7_S7_S7_b, .Lfunc_end106-_ZN2at6native12_GLOBAL__N_112gatherMedianIsjLi3EEEvNS_4cuda6detail10TensorInfoIT_T0_EENS5_IlS7_EENS5_IKS6_S7_EES7_S7_S7_b
                                        ; -- End function
	.set _ZN2at6native12_GLOBAL__N_112gatherMedianIsjLi3EEEvNS_4cuda6detail10TensorInfoIT_T0_EENS5_IlS7_EENS5_IKS6_S7_EES7_S7_S7_b.num_vgpr, 62
	.set _ZN2at6native12_GLOBAL__N_112gatherMedianIsjLi3EEEvNS_4cuda6detail10TensorInfoIT_T0_EENS5_IlS7_EENS5_IKS6_S7_EES7_S7_S7_b.num_agpr, 0
	.set _ZN2at6native12_GLOBAL__N_112gatherMedianIsjLi3EEEvNS_4cuda6detail10TensorInfoIT_T0_EENS5_IlS7_EENS5_IKS6_S7_EES7_S7_S7_b.numbered_sgpr, 95
	.set _ZN2at6native12_GLOBAL__N_112gatherMedianIsjLi3EEEvNS_4cuda6detail10TensorInfoIT_T0_EENS5_IlS7_EENS5_IKS6_S7_EES7_S7_S7_b.num_named_barrier, 0
	.set _ZN2at6native12_GLOBAL__N_112gatherMedianIsjLi3EEEvNS_4cuda6detail10TensorInfoIT_T0_EENS5_IlS7_EENS5_IKS6_S7_EES7_S7_S7_b.private_seg_size, 0
	.set _ZN2at6native12_GLOBAL__N_112gatherMedianIsjLi3EEEvNS_4cuda6detail10TensorInfoIT_T0_EENS5_IlS7_EENS5_IKS6_S7_EES7_S7_S7_b.uses_vcc, 1
	.set _ZN2at6native12_GLOBAL__N_112gatherMedianIsjLi3EEEvNS_4cuda6detail10TensorInfoIT_T0_EENS5_IlS7_EENS5_IKS6_S7_EES7_S7_S7_b.uses_flat_scratch, 0
	.set _ZN2at6native12_GLOBAL__N_112gatherMedianIsjLi3EEEvNS_4cuda6detail10TensorInfoIT_T0_EENS5_IlS7_EENS5_IKS6_S7_EES7_S7_S7_b.has_dyn_sized_stack, 0
	.set _ZN2at6native12_GLOBAL__N_112gatherMedianIsjLi3EEEvNS_4cuda6detail10TensorInfoIT_T0_EENS5_IlS7_EENS5_IKS6_S7_EES7_S7_S7_b.has_recursion, 0
	.set _ZN2at6native12_GLOBAL__N_112gatherMedianIsjLi3EEEvNS_4cuda6detail10TensorInfoIT_T0_EENS5_IlS7_EENS5_IKS6_S7_EES7_S7_S7_b.has_indirect_call, 0
	.section	.AMDGPU.csdata,"",@progbits
; Kernel info:
; codeLenInByte = 13440
; TotalNumSgprs: 97
; NumVgprs: 62
; ScratchSize: 0
; MemoryBound: 0
; FloatMode: 240
; IeeeMode: 1
; LDSByteSize: 4120 bytes/workgroup (compile time only)
; SGPRBlocks: 0
; VGPRBlocks: 7
; NumSGPRsForWavesPerEU: 97
; NumVGPRsForWavesPerEU: 62
; Occupancy: 16
; WaveLimiterHint : 1
; COMPUTE_PGM_RSRC2:SCRATCH_EN: 0
; COMPUTE_PGM_RSRC2:USER_SGPR: 2
; COMPUTE_PGM_RSRC2:TRAP_HANDLER: 0
; COMPUTE_PGM_RSRC2:TGID_X_EN: 1
; COMPUTE_PGM_RSRC2:TGID_Y_EN: 1
; COMPUTE_PGM_RSRC2:TGID_Z_EN: 1
; COMPUTE_PGM_RSRC2:TIDIG_COMP_CNT: 0
	.section	.text._ZN2at6native12_GLOBAL__N_112gatherMedianIsjLin1EEEvNS_4cuda6detail10TensorInfoIT_T0_EENS5_IlS7_EENS5_IKS6_S7_EES7_S7_S7_b,"axG",@progbits,_ZN2at6native12_GLOBAL__N_112gatherMedianIsjLin1EEEvNS_4cuda6detail10TensorInfoIT_T0_EENS5_IlS7_EENS5_IKS6_S7_EES7_S7_S7_b,comdat
	.globl	_ZN2at6native12_GLOBAL__N_112gatherMedianIsjLin1EEEvNS_4cuda6detail10TensorInfoIT_T0_EENS5_IlS7_EENS5_IKS6_S7_EES7_S7_S7_b ; -- Begin function _ZN2at6native12_GLOBAL__N_112gatherMedianIsjLin1EEEvNS_4cuda6detail10TensorInfoIT_T0_EENS5_IlS7_EENS5_IKS6_S7_EES7_S7_S7_b
	.p2align	8
	.type	_ZN2at6native12_GLOBAL__N_112gatherMedianIsjLin1EEEvNS_4cuda6detail10TensorInfoIT_T0_EENS5_IlS7_EENS5_IKS6_S7_EES7_S7_S7_b,@function
_ZN2at6native12_GLOBAL__N_112gatherMedianIsjLin1EEEvNS_4cuda6detail10TensorInfoIT_T0_EENS5_IlS7_EENS5_IKS6_S7_EES7_S7_S7_b: ; @_ZN2at6native12_GLOBAL__N_112gatherMedianIsjLin1EEEvNS_4cuda6detail10TensorInfoIT_T0_EENS5_IlS7_EENS5_IKS6_S7_EES7_S7_S7_b
; %bb.0:
	s_clause 0x1
	s_load_b64 s[4:5], s[0:1], 0x298
	s_load_b128 s[36:39], s[0:1], 0x288
	s_lshr_b32 s2, ttmp7, 16
	s_and_b32 s3, ttmp7, 0xffff
	s_wait_kmcnt 0x0
	s_mul_i32 s2, s5, s2
	s_delay_alu instid0(SALU_CYCLE_1) | instskip(NEXT) | instid1(SALU_CYCLE_1)
	s_add_co_i32 s2, s2, s3
	s_mul_i32 s2, s2, s4
	s_delay_alu instid0(SALU_CYCLE_1) | instskip(NEXT) | instid1(SALU_CYCLE_1)
	s_add_co_i32 s5, s2, ttmp9
	s_cmp_ge_u32 s5, s37
	s_cbranch_scc1 .LBB107_259
; %bb.1:
	s_load_b32 s2, s[0:1], 0xd0
	s_mov_b32 s31, 0
	s_mov_b32 s33, s5
	s_wait_kmcnt 0x0
	s_cmp_lt_i32 s2, 2
	s_cbranch_scc1 .LBB107_4
; %bb.2:
	s_add_co_i32 s30, s2, -1
	s_mov_b32 s33, s5
	s_lshl_b64 s[6:7], s[30:31], 2
	s_delay_alu instid0(SALU_CYCLE_1)
	s_add_nc_u64 s[8:9], s[0:1], s[6:7]
	s_add_co_i32 s6, s2, 1
	s_add_nc_u64 s[2:3], s[8:9], 8
.LBB107_3:                              ; =>This Inner Loop Header: Depth=1
	s_clause 0x1
	s_load_b32 s7, s[2:3], 0x0
	s_load_b32 s8, s[2:3], 0x64
	s_mov_b32 s11, s33
	s_add_nc_u64 s[2:3], s[2:3], -4
	s_wait_kmcnt 0x0
	s_cvt_f32_u32 s9, s7
	s_sub_co_i32 s10, 0, s7
	s_wait_alu 0xfffe
	s_delay_alu instid0(SALU_CYCLE_1) | instskip(NEXT) | instid1(TRANS32_DEP_1)
	v_rcp_iflag_f32_e32 v1, s9
	v_readfirstlane_b32 s9, v1
	s_mul_f32 s9, s9, 0x4f7ffffe
	s_wait_alu 0xfffe
	s_delay_alu instid0(SALU_CYCLE_2) | instskip(SKIP_1) | instid1(SALU_CYCLE_2)
	s_cvt_u32_f32 s9, s9
	s_wait_alu 0xfffe
	s_mul_i32 s10, s10, s9
	s_delay_alu instid0(SALU_CYCLE_1) | instskip(NEXT) | instid1(SALU_CYCLE_1)
	s_mul_hi_u32 s10, s9, s10
	s_add_co_i32 s9, s9, s10
	s_wait_alu 0xfffe
	s_mul_hi_u32 s9, s33, s9
	s_wait_alu 0xfffe
	s_mul_i32 s10, s9, s7
	s_add_co_i32 s12, s9, 1
	s_sub_co_i32 s10, s33, s10
	s_delay_alu instid0(SALU_CYCLE_1)
	s_sub_co_i32 s13, s10, s7
	s_cmp_ge_u32 s10, s7
	s_cselect_b32 s9, s12, s9
	s_cselect_b32 s10, s13, s10
	s_wait_alu 0xfffe
	s_add_co_i32 s12, s9, 1
	s_cmp_ge_u32 s10, s7
	s_cselect_b32 s33, s12, s9
	s_add_co_i32 s6, s6, -1
	s_mul_i32 s7, s33, s7
	s_delay_alu instid0(SALU_CYCLE_1) | instskip(NEXT) | instid1(SALU_CYCLE_1)
	s_sub_co_i32 s7, s11, s7
	s_mul_i32 s7, s8, s7
	s_delay_alu instid0(SALU_CYCLE_1)
	s_add_co_i32 s31, s7, s31
	s_cmp_gt_u32 s6, 2
	s_cbranch_scc1 .LBB107_3
.LBB107_4:
	s_load_b32 s2, s[0:1], 0x1a8
	s_add_nc_u64 s[12:13], s[0:1], 0x298
	s_add_nc_u64 s[6:7], s[0:1], 0xd8
	s_mov_b32 s35, 0
	s_mov_b32 s34, s5
	s_wait_kmcnt 0x0
	s_cmp_lt_i32 s2, 2
	s_cbranch_scc1 .LBB107_7
; %bb.5:
	s_add_co_i32 s34, s2, -1
	s_delay_alu instid0(SALU_CYCLE_1)
	s_lshl_b64 s[8:9], s[34:35], 2
	s_mov_b32 s34, s5
	s_wait_alu 0xfffe
	s_add_nc_u64 s[10:11], s[6:7], s[8:9]
	s_add_co_i32 s8, s2, 1
	s_add_nc_u64 s[2:3], s[10:11], 8
.LBB107_6:                              ; =>This Inner Loop Header: Depth=1
	s_clause 0x1
	s_load_b32 s9, s[2:3], 0x0
	s_load_b32 s10, s[2:3], 0x64
	s_mov_b32 s15, s34
	s_add_nc_u64 s[2:3], s[2:3], -4
	s_wait_kmcnt 0x0
	s_cvt_f32_u32 s11, s9
	s_sub_co_i32 s14, 0, s9
	s_wait_alu 0xfffe
	s_delay_alu instid0(SALU_CYCLE_1) | instskip(NEXT) | instid1(TRANS32_DEP_1)
	v_rcp_iflag_f32_e32 v1, s11
	v_readfirstlane_b32 s11, v1
	s_mul_f32 s11, s11, 0x4f7ffffe
	s_wait_alu 0xfffe
	s_delay_alu instid0(SALU_CYCLE_2) | instskip(SKIP_1) | instid1(SALU_CYCLE_2)
	s_cvt_u32_f32 s11, s11
	s_wait_alu 0xfffe
	s_mul_i32 s14, s14, s11
	s_delay_alu instid0(SALU_CYCLE_1) | instskip(NEXT) | instid1(SALU_CYCLE_1)
	s_mul_hi_u32 s14, s11, s14
	s_add_co_i32 s11, s11, s14
	s_wait_alu 0xfffe
	s_mul_hi_u32 s11, s34, s11
	s_wait_alu 0xfffe
	s_mul_i32 s14, s11, s9
	s_add_co_i32 s16, s11, 1
	s_sub_co_i32 s14, s34, s14
	s_delay_alu instid0(SALU_CYCLE_1)
	s_sub_co_i32 s17, s14, s9
	s_cmp_ge_u32 s14, s9
	s_cselect_b32 s11, s16, s11
	s_cselect_b32 s14, s17, s14
	s_wait_alu 0xfffe
	s_add_co_i32 s16, s11, 1
	s_cmp_ge_u32 s14, s9
	s_cselect_b32 s34, s16, s11
	s_add_co_i32 s8, s8, -1
	s_mul_i32 s9, s34, s9
	s_wait_alu 0xfffe
	s_sub_co_i32 s9, s15, s9
	s_wait_alu 0xfffe
	s_mul_i32 s9, s10, s9
	s_wait_alu 0xfffe
	s_add_co_i32 s35, s9, s35
	s_cmp_gt_u32 s8, 2
	s_cbranch_scc1 .LBB107_6
.LBB107_7:
	s_clause 0x1
	s_load_b32 s54, s[0:1], 0x6c
	s_load_b32 s8, s[0:1], 0x280
	s_mov_b32 s3, 0
	s_wait_kmcnt 0x0
	s_cmp_lt_i32 s8, 2
	s_cbranch_scc1 .LBB107_10
; %bb.8:
	s_add_co_i32 s2, s8, -1
	s_add_nc_u64 s[10:11], s[0:1], 0x1b0
	s_lshl_b64 s[14:15], s[2:3], 2
	s_add_co_i32 s2, s8, 1
	s_wait_alu 0xfffe
	s_add_nc_u64 s[10:11], s[10:11], s[14:15]
	s_wait_alu 0xfffe
	s_add_nc_u64 s[8:9], s[10:11], 8
.LBB107_9:                              ; =>This Inner Loop Header: Depth=1
	s_clause 0x1
	s_load_b32 s10, s[8:9], 0x0
	s_load_b32 s11, s[8:9], 0x64
	s_mov_b32 s16, s5
	s_add_nc_u64 s[8:9], s[8:9], -4
	s_wait_kmcnt 0x0
	s_cvt_f32_u32 s14, s10
	s_sub_co_i32 s15, 0, s10
	s_wait_alu 0xfffe
	s_delay_alu instid0(SALU_CYCLE_1) | instskip(NEXT) | instid1(TRANS32_DEP_1)
	v_rcp_iflag_f32_e32 v1, s14
	v_readfirstlane_b32 s14, v1
	s_mul_f32 s14, s14, 0x4f7ffffe
	s_wait_alu 0xfffe
	s_delay_alu instid0(SALU_CYCLE_2) | instskip(SKIP_1) | instid1(SALU_CYCLE_2)
	s_cvt_u32_f32 s14, s14
	s_wait_alu 0xfffe
	s_mul_i32 s15, s15, s14
	s_wait_alu 0xfffe
	s_mul_hi_u32 s15, s14, s15
	s_wait_alu 0xfffe
	s_add_co_i32 s14, s14, s15
	s_wait_alu 0xfffe
	s_mul_hi_u32 s5, s5, s14
	s_delay_alu instid0(SALU_CYCLE_1)
	s_mul_i32 s14, s5, s10
	s_add_co_i32 s15, s5, 1
	s_wait_alu 0xfffe
	s_sub_co_i32 s14, s16, s14
	s_wait_alu 0xfffe
	s_sub_co_i32 s17, s14, s10
	s_cmp_ge_u32 s14, s10
	s_cselect_b32 s5, s15, s5
	s_cselect_b32 s14, s17, s14
	s_add_co_i32 s15, s5, 1
	s_wait_alu 0xfffe
	s_cmp_ge_u32 s14, s10
	s_cselect_b32 s5, s15, s5
	s_add_co_i32 s2, s2, -1
	s_mul_i32 s10, s5, s10
	s_wait_alu 0xfffe
	s_sub_co_i32 s10, s16, s10
	s_wait_alu 0xfffe
	s_mul_i32 s10, s11, s10
	s_wait_alu 0xfffe
	s_add_co_i32 s3, s10, s3
	s_cmp_gt_u32 s2, 2
	s_cbranch_scc1 .LBB107_9
.LBB107_10:
	s_load_b32 s55, s[6:7], 0x6c
	v_cmp_eq_u32_e64 s2, 0, v0
	s_and_saveexec_b32 s6, s2
; %bb.11:
	v_mov_b32_e32 v1, 0
	s_delay_alu instid0(VALU_DEP_1)
	v_mov_b32_e32 v2, v1
	ds_store_b64 v1, v[1:2] offset:4096
; %bb.12:
	s_or_b32 exec_lo, exec_lo, s6
	v_mov_b32_e32 v1, 0
	s_wait_dscnt 0x0
	s_barrier_signal -1
	s_barrier_wait -1
	global_inv scope:SCOPE_SE
	s_wait_loadcnt 0x0
	s_barrier_signal -1
	s_barrier_wait -1
	global_inv scope:SCOPE_SE
	ds_load_b64 v[1:2], v1 offset:4096
	s_bitcmp1_b32 s39, 0
	s_mov_b32 s11, s36
	s_cselect_b32 s9, -1, 0
	s_wait_dscnt 0x0
	v_readfirstlane_b32 s6, v1
	v_readfirstlane_b32 s7, v2
	s_delay_alu instid0(VALU_DEP_1)
	v_cmp_lt_i64_e64 s8, s[6:7], 1
	s_wait_alu 0xfffe
	s_or_b32 s8, s9, s8
	s_wait_alu 0xfffe
	s_and_not1_b32 vcc_lo, exec_lo, s8
	s_cbranch_vccnz .LBB107_14
; %bb.13:
	s_not_b64 s[6:7], s[6:7]
	s_mov_b32 s37, 0
	s_wait_alu 0xfffe
	s_add_nc_u64 s[6:7], s[6:7], s[36:37]
	s_mov_b32 s9, s37
	s_wait_alu 0xfffe
	s_lshr_b32 s8, s7, 31
	s_wait_alu 0xfffe
	s_add_nc_u64 s[6:7], s[6:7], s[8:9]
	s_wait_alu 0xfffe
	s_lshr_b64 s[6:7], s[6:7], 1
	s_wait_alu 0xfffe
	s_add_co_i32 s11, s6, 1
.LBB107_14:
	s_clause 0x1
	s_load_b32 s8, s[0:1], 0x21c
	s_load_b64 s[6:7], s[0:1], 0x1b0
	s_and_saveexec_b32 s9, s2
	s_cbranch_execz .LBB107_16
; %bb.15:
	v_dual_mov_b32 v1, 0 :: v_dual_mov_b32 v2, s36
	ds_store_b32 v1, v1 offset:4112
	ds_store_b64 v1, v[1:2] offset:4104
.LBB107_16:
	s_wait_alu 0xfffe
	s_or_b32 exec_lo, exec_lo, s9
	s_wait_loadcnt_dscnt 0x0
	s_barrier_signal -1
	s_barrier_wait -1
	global_inv scope:SCOPE_SE
	s_load_b32 s10, s[12:13], 0xc
	s_clause 0x1
	s_load_b64 s[44:45], s[0:1], 0x0
	s_load_b64 s[40:41], s[0:1], 0xd8
	v_dual_mov_b32 v7, 0 :: v_dual_lshlrev_b32 v14, 2, v0
	v_mbcnt_lo_u32_b32 v15, -1, 0
	v_mul_lo_u32 v5, s38, v0
	s_wait_kmcnt 0x0
	s_mul_i32 s1, s8, s5
	s_mov_b32 s47, 0
	s_add_co_i32 s46, s1, s3
	v_dual_mov_b32 v33, 0 :: v_dual_lshlrev_b32 v16, 1, v0
	v_mov_b32_e32 v6, v7
	s_lshl_b64 s[8:9], s[46:47], 1
	v_lshlrev_b64_e64 v[3:4], v15, -1
	s_wait_alu 0xfffe
	s_add_nc_u64 s[42:43], s[6:7], s[8:9]
	v_add_nc_u32_e32 v17, 0xc00, v16
	v_lshlrev_b64_e32 v[1:2], 1, v[5:6]
	v_cmp_gt_u32_e32 vcc_lo, 32, v0
	v_cmp_gt_i32_e64 s3, 4, v15
	s_and_b32 s37, s10, 0xffff
	v_not_b32_e32 v18, v3
	s_wait_alu 0xfffe
	s_lshl_b32 s56, s37, 2
	s_add_co_i32 s58, s37, -1
	s_cvt_f32_u32 s6, s56
	s_and_b32 s57, vcc_lo, s3
	v_add_co_u32 v8, vcc_lo, s42, v1
	s_wait_alu 0xfffe
	v_rcp_iflag_f32_e32 v3, s6
	s_bfe_u32 s5, s10, 0xb0005
	s_add_co_i32 s10, s58, s36
	s_cmp_gt_u32 s36, 0x600
	v_add_co_ci_u32_e64 v9, null, s43, v2, vcc_lo
	v_lshrrev_b32_e32 v2, 1, v0
	s_cselect_b32 s59, -1, 0
	s_cmp_gt_u32 s37, 31
	s_movk_i32 s6, 0x1f0
	s_cselect_b32 s61, -1, 0
	s_cmp_lt_u32 ttmp9, s4
	s_wait_alu 0xfffe
	v_and_or_b32 v19, v2, s6, 0xc00
	v_readfirstlane_b32 s6, v3
	s_cselect_b32 s46, 12, 18
	s_add_co_i32 s4, s5, -1
	s_bfe_u32 s62, s37, 0x30005
	s_and_b32 s4, s4, 0xffff
	v_dual_mov_b32 v34, s11 :: v_dual_add_nc_u32 v1, 2, v0
	s_cmp_gt_u32 s4, 6
	s_mul_f32 s4, s6, 0x4f7ffffe
	s_cselect_b32 s63, -1, 0
	s_and_b32 s64, s5, 0x7f8
	s_cmp_lg_u32 s62, 0
	s_cvt_u32_f32 s4, s4
	s_cselect_b32 s65, -1, 0
	s_cvt_f32_u32 s5, s37
	s_sub_co_i32 s6, 0, s56
	v_max_u32_e32 v1, s36, v1
	s_wait_alu 0xfffe
	s_mul_i32 s6, s6, s4
	v_rcp_iflag_f32_e32 v4, s5
	s_wait_alu 0xfffe
	s_mul_hi_u32 s5, s4, s6
	s_mov_b32 s39, s38
	s_wait_alu 0xfffe
	s_add_co_i32 s48, s4, s5
	v_xad_u32 v1, v0, -1, v1
	s_mul_hi_u32 s5, s36, s48
	v_mad_co_u64_u32 v[12:13], null, s38, v14, s[38:39]
	s_wait_alu 0xfffe
	s_mul_i32 s5, s5, s56
	v_dual_mov_b32 v31, 0 :: v_dual_add_nc_u32 v2, -2, v1
	s_wait_alu 0xfffe
	s_sub_co_i32 s5, s36, s5
	v_readfirstlane_b32 s6, v4
	s_wait_alu 0xfffe
	s_sub_co_i32 s7, s5, s56
	s_cmp_ge_u32 s5, s56
	v_dual_mov_b32 v13, 0 :: v_dual_and_b32 v20, -2, v1
	s_wait_alu 0xfffe
	s_cselect_b32 s7, s7, s5
	s_mul_f32 s6, s6, 0x4f7ffffe
	s_wait_alu 0xfffe
	s_sub_co_i32 s8, s7, s56
	s_cmp_ge_u32 s7, s56
	v_lshrrev_b32_e32 v3, 1, v2
	s_wait_alu 0xfffe
	s_cselect_b32 s14, s8, s7
	s_cvt_u32_f32 s6, s6
	s_wait_alu 0xfffe
	s_sub_co_i32 s66, s36, s14
	s_sub_co_i32 s7, 0, s37
	v_add_nc_u32_e32 v22, s66, v0
	s_wait_alu 0xfffe
	s_mul_i32 s7, s7, s6
	v_cmp_lt_u32_e64 s4, 31, v1
	s_wait_alu 0xfffe
	s_mul_hi_u32 s7, s6, s7
	v_cmp_lt_u32_e64 s5, 13, v2
	v_mul_lo_u32 v6, v22, s38
	s_wait_alu 0xfffe
	s_add_co_i32 s50, s6, s7
	v_dual_mov_b32 v32, 0 :: v_dual_add_nc_u32 v3, 1, v3
	s_mul_hi_u32 s7, s10, s50
	v_cmp_gt_u32_e64 s0, s36, v0
	s_wait_alu 0xfffe
	s_mul_i32 s8, s7, s37
	v_cmp_ne_u32_e64 s7, v1, v20
	v_lshlrev_b64_e32 v[1:2], 1, v[6:7]
	s_wait_alu 0xfffe
	s_sub_co_i32 s9, s10, s8
	v_and_b32_e32 v4, 7, v3
	s_wait_alu 0xfffe
	s_sub_co_i32 s15, s9, s37
	s_cmp_ge_u32 s9, s37
	v_and_b32_e32 v23, -8, v3
	v_add_co_u32 v10, vcc_lo, s42, v1
	v_add3_u32 v1, s37, s36, v0
	s_wait_alu 0xfffe
	s_cselect_b32 s15, s15, s9
	s_wait_alu 0xfffd
	v_add_co_ci_u32_e64 v11, null, s43, v2, vcc_lo
	v_or_b32_e32 v2, 2, v14
	v_or_b32_e32 v3, 3, v14
	v_subrev_nc_u32_e32 v1, s14, v1
	s_wait_alu 0xfffe
	s_sub_co_i32 s16, s15, s37
	s_cmp_ge_u32 s15, s37
	v_mul_lo_u32 v25, s38, v2
	s_cselect_b32 s15, s16, s15
	v_mul_lo_u32 v26, s38, v3
	v_mul_lo_u32 v28, s38, v1
	s_wait_alu 0xfffe
	s_sub_co_i32 s67, s10, s15
	v_cmp_eq_u32_e64 s1, 0, v15
	v_cmp_gt_u32_e64 s3, 2, v0
	v_add_nc_u32_e32 v21, v0, v20
	v_cmp_ne_u32_e64 s6, 0, v4
	v_cmp_gt_u32_e64 s8, s66, v14
	v_cmp_gt_u32_e64 s9, s36, v22
	s_wait_alu 0xfffe
	v_cmp_gt_u32_e64 s10, s67, v0
	v_lshlrev_b32_e32 v24, 2, v4
	v_lshlrev_b32_e32 v27, 2, v5
	;; [unrolled: 1-line block ×3, first 2 shown]
	v_lshl_or_b32 v30, v15, 2, 0xc00
	s_mul_i32 s60, s38, s37
	s_mov_b32 s49, s47
	s_mov_b32 s51, s47
	s_lshl_b32 s68, s60, 2
	s_lshl_b32 s69, s37, 3
	;; [unrolled: 1-line block ×3, first 2 shown]
	s_mov_b32 s78, 14
	s_add_nc_u64 s[52:53], s[12:13], s[46:47]
	s_mov_b32 s71, 0
                                        ; implicit-def: $sgpr75
                                        ; implicit-def: $sgpr77
                                        ; implicit-def: $sgpr72
                                        ; implicit-def: $sgpr74
                                        ; implicit-def: $sgpr76
                                        ; implicit-def: $sgpr73
	s_branch .LBB107_20
.LBB107_17:                             ;   in Loop: Header=BB107_20 Depth=1
	s_wait_alu 0xfffe
	s_or_b32 exec_lo, exec_lo, s15
	s_delay_alu instid0(SALU_CYCLE_1)
	s_and_b32 s12, s12, exec_lo
	s_and_not1_b32 s17, s17, exec_lo
	s_and_not1_b32 s16, s16, exec_lo
	s_or_not1_b32 s14, s14, exec_lo
.LBB107_18:                             ;   in Loop: Header=BB107_20 Depth=1
	s_wait_alu 0xfffe
	s_or_b32 exec_lo, exec_lo, s11
	s_delay_alu instid0(SALU_CYCLE_1)
	s_and_not1_b32 s11, s73, exec_lo
	s_and_b32 s12, s12, exec_lo
	s_and_not1_b32 s15, s74, exec_lo
	s_wait_alu 0xfffe
	s_or_b32 s73, s11, s12
	s_and_not1_b32 s11, s76, exec_lo
	s_and_b32 s12, s17, exec_lo
	s_and_b32 s16, s16, exec_lo
	s_wait_alu 0xfffe
	s_or_b32 s76, s11, s12
	s_or_b32 s74, s15, s16
	s_or_not1_b32 s15, s14, exec_lo
.LBB107_19:                             ;   in Loop: Header=BB107_20 Depth=1
	s_wait_alu 0xfffe
	s_or_b32 exec_lo, exec_lo, s13
	s_delay_alu instid0(SALU_CYCLE_1)
	s_and_b32 s11, exec_lo, s15
	v_mov_b32_e32 v34, v2
	s_wait_alu 0xfffe
	s_or_b32 s71, s11, s71
	s_and_not1_b32 s11, s72, exec_lo
	s_and_b32 s12, s73, exec_lo
	s_and_not1_b32 s13, s77, exec_lo
	s_wait_alu 0xfffe
	s_or_b32 s72, s11, s12
	s_and_b32 s11, s76, exec_lo
	s_and_not1_b32 s12, s75, exec_lo
	s_and_b32 s14, s74, exec_lo
	s_wait_alu 0xfffe
	s_or_b32 s77, s13, s11
	s_or_b32 s75, s12, s14
	s_mov_b32 s78, s22
	s_and_not1_b32 exec_lo, exec_lo, s71
	s_cbranch_execz .LBB107_255
.LBB107_20:                             ; =>This Loop Header: Depth=1
                                        ;     Child Loop BB107_25 Depth 2
                                        ;     Child Loop BB107_46 Depth 2
	;; [unrolled: 1-line block ×18, first 2 shown]
	ds_load_b64 v[1:2], v7 offset:4104
	s_wait_dscnt 0x0
	v_readfirstlane_b32 s46, v1
	s_cmp_lg_u32 s46, 0
	s_cbranch_scc1 .LBB107_65
; %bb.21:                               ;   in Loop: Header=BB107_20 Depth=1
	s_and_b32 vcc_lo, exec_lo, s59
	s_wait_alu 0xfffe
	s_cbranch_vccz .LBB107_33
; %bb.22:                               ;   in Loop: Header=BB107_20 Depth=1
	v_cmp_gt_u32_e32 vcc_lo, 0x601, v2
	s_mov_b32 s13, 0
	s_mov_b32 s11, 0
	s_cbranch_vccz .LBB107_34
; %bb.23:                               ;   in Loop: Header=BB107_20 Depth=1
	global_load_u16 v1, v[8:9], off
	s_load_u16 s14, s[52:53], 0x0
	s_mov_b32 s15, 0
	s_wait_kmcnt 0x0
	v_add_nc_u32_e32 v2, s14, v0
	s_mul_i32 s16, s38, s14
	s_delay_alu instid0(VALU_DEP_1)
	v_mul_lo_u32 v6, s38, v2
	v_mov_b32_e32 v2, v0
	s_branch .LBB107_25
.LBB107_24:                             ;   in Loop: Header=BB107_25 Depth=2
	s_wait_alu 0xfffe
	s_or_b32 exec_lo, exec_lo, s12
	v_dual_mov_b32 v1, v3 :: v_dual_add_nc_u32 v6, s16, v6
	s_and_not1_b32 exec_lo, exec_lo, s15
	s_cbranch_execz .LBB107_40
.LBB107_25:                             ;   Parent Loop BB107_20 Depth=1
                                        ; =>  This Inner Loop Header: Depth=2
	s_delay_alu instid0(VALU_DEP_1) | instskip(SKIP_3) | instid1(VALU_DEP_2)
	v_dual_mov_b32 v3, 0 :: v_dual_add_nc_u32 v2, s14, v2
	s_wait_dscnt 0x0
	v_mov_b32_e32 v4, 0
	s_mov_b32 s12, exec_lo
	v_cmp_le_u32_e32 vcc_lo, s36, v2
	v_cmpx_gt_u32_e64 s36, v2
	s_cbranch_execz .LBB107_27
; %bb.26:                               ;   in Loop: Header=BB107_25 Depth=2
	v_lshlrev_b64_e32 v[35:36], 1, v[6:7]
	s_delay_alu instid0(VALU_DEP_1) | instskip(SKIP_1) | instid1(VALU_DEP_2)
	v_add_co_u32 v35, s11, s42, v35
	s_wait_alu 0xf1ff
	v_add_co_ci_u32_e64 v36, null, s43, v36, s11
	global_load_u16 v3, v[35:36], off
.LBB107_27:                             ;   in Loop: Header=BB107_25 Depth=2
	s_wait_alu 0xfffe
	s_or_b32 exec_lo, exec_lo, s12
	s_wait_loadcnt 0x0
	v_bfe_i32 v35, v1, 0, 16
	s_delay_alu instid0(VALU_DEP_1) | instskip(NEXT) | instid1(VALU_DEP_1)
	v_add_nc_u32_e32 v35, 0x8000, v35
	v_and_b32_e32 v35, v35, v32
	s_delay_alu instid0(VALU_DEP_1)
	v_cmp_eq_u32_e64 s11, v35, v13
	s_cmp_lg_u32 s11, 0
	s_cselect_b32 s12, -1, 0
	s_wait_alu 0xfffe
	s_and_b32 s12, s1, s12
	s_wait_alu 0xfffe
	s_and_saveexec_b32 s17, s12
	s_cbranch_execz .LBB107_31
; %bb.28:                               ;   in Loop: Header=BB107_25 Depth=2
	s_mov_b32 s20, exec_lo
	s_bcnt1_i32_b32 s18, s11
	s_wait_alu 0xfffe
	v_mbcnt_lo_u32_b32 v4, s20, 0
	s_mov_b32 s19, exec_lo
                                        ; implicit-def: $vgpr35
	s_delay_alu instid0(VALU_DEP_1)
	v_cmpx_eq_u32_e32 0, v4
; %bb.29:                               ;   in Loop: Header=BB107_25 Depth=2
	s_bcnt1_i32_b32 s12, s20
	s_wait_alu 0xfffe
	s_mul_i32 s12, s18, s12
	s_wait_alu 0xfffe
	v_mov_b32_e32 v35, s12
	ds_add_rtn_u32 v35, v7, v35 offset:4112
; %bb.30:                               ;   in Loop: Header=BB107_25 Depth=2
	s_or_b32 exec_lo, exec_lo, s19
	s_wait_dscnt 0x0
	v_readfirstlane_b32 s12, v35
	s_wait_alu 0xf1ff
	s_delay_alu instid0(VALU_DEP_1)
	v_mad_u32_u24 v4, s18, v4, s12
.LBB107_31:                             ;   in Loop: Header=BB107_25 Depth=2
	s_wait_alu 0xfffe
	s_or_b32 exec_lo, exec_lo, s17
	ds_bpermute_b32 v4, v7, v4
	s_and_b32 s12, exec_lo, vcc_lo
	s_wait_alu 0xfffe
	s_or_b32 s15, s12, s15
	s_and_saveexec_b32 s12, s11
	s_cbranch_execz .LBB107_24
; %bb.32:                               ;   in Loop: Header=BB107_25 Depth=2
	v_and_b32_e32 v35, s11, v18
	s_delay_alu instid0(VALU_DEP_1) | instskip(NEXT) | instid1(VALU_DEP_1)
	v_bcnt_u32_b32 v35, v35, 0
	v_lshlrev_b32_e32 v35, 1, v35
	s_wait_dscnt 0x0
	s_delay_alu instid0(VALU_DEP_1)
	v_lshl_add_u32 v4, v4, 1, v35
	ds_store_b16 v4, v1
	s_branch .LBB107_24
.LBB107_33:                             ;   in Loop: Header=BB107_20 Depth=1
	s_mov_b32 s13, -1
	s_mov_b32 s11, 0
.LBB107_34:                             ;   in Loop: Header=BB107_20 Depth=1
	s_wait_alu 0xfffe
	s_and_b32 vcc_lo, exec_lo, s13
	s_wait_alu 0xfffe
	s_cbranch_vccz .LBB107_63
.LBB107_35:                             ;   in Loop: Header=BB107_20 Depth=1
	s_and_saveexec_b32 s12, s0
	s_cbranch_execz .LBB107_60
; %bb.36:                               ;   in Loop: Header=BB107_20 Depth=1
	global_load_u16 v35, v[8:9], off
	s_load_u16 s14, s[52:53], 0x0
	v_mov_b32_e32 v3, v0
	s_mov_b32 s13, exec_lo
	s_wait_kmcnt 0x0
	v_add_nc_u32_e32 v1, s14, v0
	s_delay_alu instid0(VALU_DEP_1)
	v_cmpx_gt_u32_e64 s36, v1
	s_cbranch_execz .LBB107_59
; %bb.37:                               ;   in Loop: Header=BB107_20 Depth=1
	s_mov_b32 s11, 0
	s_mul_i32 s15, s38, s14
                                        ; implicit-def: $vgpr3
                                        ; implicit-def: $vgpr36
                                        ; implicit-def: $vgpr2
                                        ; implicit-def: $vgpr4
	s_and_saveexec_b32 s16, s4
	s_wait_alu 0xfffe
	s_xor_b32 s16, exec_lo, s16
	s_cbranch_execnz .LBB107_43
; %bb.38:                               ;   in Loop: Header=BB107_20 Depth=1
	s_wait_alu 0xfffe
	s_and_not1_saveexec_b32 s16, s16
	s_cbranch_execnz .LBB107_54
.LBB107_39:                             ;   in Loop: Header=BB107_20 Depth=1
	s_wait_alu 0xfffe
	s_or_b32 exec_lo, exec_lo, s16
	s_and_saveexec_b32 s15, s11
	s_cbranch_execnz .LBB107_55
	s_branch .LBB107_58
.LBB107_40:                             ;   in Loop: Header=BB107_20 Depth=1
	s_or_b32 exec_lo, exec_lo, s15
	s_wait_dscnt 0x0
	s_barrier_signal -1
	s_barrier_wait -1
	global_inv scope:SCOPE_SE
	s_and_saveexec_b32 s11, s2
	s_cbranch_execz .LBB107_42
; %bb.41:                               ;   in Loop: Header=BB107_20 Depth=1
	ds_load_b32 v1, v7 offset:4112
	s_wait_dscnt 0x0
	ds_store_b32 v7, v1 offset:4104
.LBB107_42:                             ;   in Loop: Header=BB107_20 Depth=1
	s_wait_alu 0xfffe
	s_or_b32 exec_lo, exec_lo, s11
	s_wait_loadcnt_dscnt 0x0
	s_barrier_signal -1
	s_mov_b32 s11, -1
	s_barrier_wait -1
	s_and_b32 vcc_lo, exec_lo, s13
	s_wait_alu 0xfffe
	s_cbranch_vccnz .LBB107_35
	s_branch .LBB107_63
.LBB107_43:                             ;   in Loop: Header=BB107_20 Depth=1
	v_add_nc_u32_e32 v2, s14, v1
	s_cvt_f32_u32 s11, s14
	s_wait_alu 0xfffe
	s_delay_alu instid0(SALU_CYCLE_2) | instskip(NEXT) | instid1(VALU_DEP_1)
	v_rcp_iflag_f32_e32 v3, s11
	v_max_u32_e32 v2, s36, v2
	s_lshl_b32 s11, s14, 1
	s_delay_alu instid0(VALU_DEP_1) | instskip(NEXT) | instid1(TRANS32_DEP_1)
	v_sub_nc_u32_e32 v2, v2, v0
	v_readfirstlane_b32 s17, v3
	s_wait_alu 0xfffe
	s_delay_alu instid0(VALU_DEP_2) | instskip(SKIP_3) | instid1(VALU_DEP_1)
	v_cmp_ne_u32_e32 vcc_lo, s11, v2
	s_mul_f32 s17, s17, 0x4f7ffffe
	s_wait_alu 0xfffd
	v_cndmask_b32_e64 v3, 0, 1, vcc_lo
	v_or_b32_e32 v3, s11, v3
	s_wait_alu 0xfffe
	s_cvt_u32_f32 s11, s17
	s_sub_co_i32 s17, 0, s14
	s_wait_alu 0xfffe
	s_delay_alu instid0(SALU_CYCLE_1)
	s_mul_i32 s17, s17, s11
	v_sub_nc_u32_e32 v2, v2, v3
	s_wait_alu 0xfffe
	s_mul_hi_u32 s17, s11, s17
	s_wait_alu 0xfffe
	s_add_co_i32 s11, s11, s17
	s_not_b32 s17, s15
	s_wait_alu 0xfffe
	v_mul_hi_u32 v3, v2, s11
	s_delay_alu instid0(VALU_DEP_1) | instskip(NEXT) | instid1(VALU_DEP_1)
	v_mul_lo_u32 v4, v3, s14
	v_sub_nc_u32_e32 v2, v2, v4
	v_add_nc_u32_e32 v4, 1, v3
	s_delay_alu instid0(VALU_DEP_2) | instskip(SKIP_2) | instid1(VALU_DEP_1)
	v_subrev_nc_u32_e32 v6, s14, v2
	v_cmp_le_u32_e64 s11, s14, v2
	s_wait_alu 0xf1ff
	v_cndmask_b32_e64 v3, v3, v4, s11
	s_delay_alu instid0(VALU_DEP_3) | instskip(NEXT) | instid1(VALU_DEP_2)
	v_cndmask_b32_e64 v2, v2, v6, s11
	v_add_nc_u32_e32 v4, 1, v3
	s_delay_alu instid0(VALU_DEP_2) | instskip(SKIP_1) | instid1(VALU_DEP_1)
	v_cmp_le_u32_e64 s11, s14, v2
	s_wait_alu 0xf1ff
	v_cndmask_b32_e64 v2, v3, v4, s11
	v_mul_lo_u32 v3, s38, v1
	s_abs_i32 s11, s15
	s_delay_alu instid0(VALU_DEP_2) | instskip(SKIP_1) | instid1(VALU_DEP_1)
	v_add_co_ci_u32_e64 v2, null, 0, v2, vcc_lo
	s_wait_alu 0xfffe
	v_mul_hi_u32 v4, s11, v2
	v_mul_lo_u32 v2, s11, v2
	s_ashr_i32 s11, s17, 31
	s_cmp_eq_u32 s14, 1
	s_wait_alu 0xfffe
	v_xor_b32_e32 v3, s11, v3
	s_cselect_b32 s17, -1, 0
	s_delay_alu instid0(VALU_DEP_3) | instskip(NEXT) | instid1(VALU_DEP_2)
	v_cmp_eq_u32_e32 vcc_lo, 0, v4
	v_cmp_le_u32_e64 s11, v2, v3
	v_mov_b32_e32 v2, v0
                                        ; implicit-def: $vgpr3
	s_wait_alu 0xfffe
	s_and_b32 s17, vcc_lo, s17
	s_wait_alu 0xfffe
	s_and_b32 s18, s17, s11
	s_mov_b32 s17, -1
	s_wait_alu 0xfffe
	s_and_saveexec_b32 s11, s18
	s_cbranch_execz .LBB107_53
; %bb.44:                               ;   in Loop: Header=BB107_20 Depth=1
	v_add_nc_u32_e32 v2, 1, v1
	s_wait_loadcnt 0x0
	v_lshlrev_b32_e32 v38, 16, v35
	v_mov_b32_e32 v6, 0
                                        ; implicit-def: $vgpr35
	s_delay_alu instid0(VALU_DEP_3)
	v_dual_mov_b32 v4, v2 :: v_dual_mov_b32 v3, v1
	s_and_saveexec_b32 s17, s5
	s_cbranch_execz .LBB107_48
; %bb.45:                               ;   in Loop: Header=BB107_20 Depth=1
	v_dual_mov_b32 v36, v23 :: v_dual_mov_b32 v37, v16
	v_dual_mov_b32 v4, v2 :: v_dual_mov_b32 v3, v1
	s_mov_b32 s18, 0
	s_mov_b32 s19, 0
.LBB107_46:                             ;   Parent Loop BB107_20 Depth=1
                                        ; =>  This Inner Loop Header: Depth=2
	s_delay_alu instid0(VALU_DEP_1) | instskip(NEXT) | instid1(VALU_DEP_2)
	v_dual_mov_b32 v41, v7 :: v_dual_add_nc_u32 v2, 2, v4
	v_mul_lo_u32 v6, v3, s38
	s_wait_alu 0xfffe
	s_add_co_i32 s19, s19, 16
	v_add_nc_u32_e32 v35, 4, v4
	v_mul_lo_u32 v40, v4, s39
	v_lshrrev_b32_e32 v39, 16, v38
	v_dual_mov_b32 v43, v7 :: v_dual_add_nc_u32 v38, 6, v4
	v_mul_lo_u32 v42, v2, s39
	v_dual_mov_b32 v45, v7 :: v_dual_add_nc_u32 v48, 8, v4
	v_mul_lo_u32 v44, v35, s39
	;; [unrolled: 2-line block ×3, first 2 shown]
	v_lshlrev_b64_e32 v[52:53], 1, v[6:7]
	v_mul_lo_u32 v48, v48, s39
	v_lshlrev_b64_e32 v[40:41], 1, v[40:41]
	v_mul_lo_u32 v50, v50, s39
	v_lshlrev_b64_e32 v[42:43], 1, v[42:43]
	v_dual_mov_b32 v49, v7 :: v_dual_add_nc_u32 v2, 2, v3
	v_lshlrev_b64_e32 v[44:45], 1, v[44:45]
	v_add_co_u32 v52, vcc_lo, s42, v52
	v_dual_mov_b32 v51, v7 :: v_dual_add_nc_u32 v38, 6, v3
	v_lshlrev_b64_e32 v[46:47], 1, v[46:47]
	s_wait_alu 0xfffd
	v_add_co_ci_u32_e64 v53, null, s43, v53, vcc_lo
	v_add_co_u32 v40, vcc_lo, s42, v40
	v_lshlrev_b64_e32 v[48:49], 1, v[48:49]
	s_wait_alu 0xfffd
	v_add_co_ci_u32_e64 v41, null, s43, v41, vcc_lo
	v_add_co_u32 v42, vcc_lo, s42, v42
	;; [unrolled: 4-line block ×3, first 2 shown]
	s_wait_alu 0xfffd
	v_add_co_ci_u32_e64 v45, null, s43, v45, vcc_lo
	v_add_co_u32 v46, vcc_lo, s42, v46
	s_wait_alu 0xfffd
	v_add_co_ci_u32_e64 v47, null, s43, v47, vcc_lo
	v_add_co_u32 v48, vcc_lo, s42, v48
	;; [unrolled: 3-line block ×3, first 2 shown]
	s_wait_alu 0xfffd
	v_add_co_ci_u32_e64 v51, null, s43, v51, vcc_lo
	s_clause 0x6
	global_load_d16_hi_b16 v39, v[52:53], off
	global_load_u16 v40, v[40:41], off
	global_load_u16 v41, v[42:43], off
	;; [unrolled: 1-line block ×6, first 2 shown]
	v_add_nc_u32_e32 v6, 12, v4
	v_add_nc_u32_e32 v48, 14, v4
	;; [unrolled: 1-line block ×3, first 2 shown]
	v_dual_mov_b32 v47, v7 :: v_dual_add_nc_u32 v54, 8, v3
	s_delay_alu instid0(VALU_DEP_4)
	v_mul_lo_u32 v46, v6, s39
	v_mul_lo_u32 v6, v2, s38
	;; [unrolled: 1-line block ×3, first 2 shown]
	v_dual_mov_b32 v49, v7 :: v_dual_add_nc_u32 v56, 10, v3
	v_add_nc_u32_e32 v58, 12, v3
	v_add_nc_u32_e32 v60, 14, v3
	v_add_nc_u32_e32 v36, -8, v36
	v_lshlrev_b64_e32 v[46:47], 1, v[46:47]
	v_lshlrev_b64_e32 v[50:51], 1, v[6:7]
	v_mul_lo_u32 v6, v35, s38
	v_lshlrev_b64_e32 v[48:49], 1, v[48:49]
	v_add_nc_u32_e32 v4, 16, v4
	v_add_nc_u32_e32 v3, 16, v3
	v_add_co_u32 v46, vcc_lo, s42, v46
	s_wait_alu 0xfffd
	v_add_co_ci_u32_e64 v47, null, s43, v47, vcc_lo
	v_lshlrev_b64_e32 v[52:53], 1, v[6:7]
	v_mul_lo_u32 v6, v38, s38
	v_add_co_u32 v48, vcc_lo, s42, v48
	s_wait_alu 0xfffd
	v_add_co_ci_u32_e64 v49, null, s43, v49, vcc_lo
	v_add_co_u32 v50, vcc_lo, s42, v50
	s_wait_alu 0xfffd
	v_add_co_ci_u32_e64 v51, null, s43, v51, vcc_lo
	global_load_u16 v2, v[46:47], off
	v_add_co_u32 v46, vcc_lo, s42, v52
	s_wait_alu 0xfffd
	v_add_co_ci_u32_e64 v47, null, s43, v53, vcc_lo
	v_lshlrev_b64_e32 v[52:53], 1, v[6:7]
	v_mul_lo_u32 v6, v54, s38
	s_delay_alu instid0(VALU_DEP_2) | instskip(SKIP_1) | instid1(VALU_DEP_3)
	v_add_co_u32 v52, vcc_lo, s42, v52
	s_wait_alu 0xfffd
	v_add_co_ci_u32_e64 v53, null, s43, v53, vcc_lo
	s_delay_alu instid0(VALU_DEP_3) | instskip(SKIP_1) | instid1(VALU_DEP_2)
	v_lshlrev_b64_e32 v[54:55], 1, v[6:7]
	v_mul_lo_u32 v6, v56, s38
	v_add_co_u32 v54, vcc_lo, s42, v54
	s_wait_alu 0xfffd
	s_delay_alu instid0(VALU_DEP_3) | instskip(NEXT) | instid1(VALU_DEP_3)
	v_add_co_ci_u32_e64 v55, null, s43, v55, vcc_lo
	v_lshlrev_b64_e32 v[56:57], 1, v[6:7]
	v_mul_lo_u32 v6, v58, s38
	s_delay_alu instid0(VALU_DEP_2) | instskip(SKIP_1) | instid1(VALU_DEP_3)
	v_add_co_u32 v56, vcc_lo, s42, v56
	s_wait_alu 0xfffd
	v_add_co_ci_u32_e64 v57, null, s43, v57, vcc_lo
	s_delay_alu instid0(VALU_DEP_3) | instskip(SKIP_1) | instid1(VALU_DEP_2)
	v_lshlrev_b64_e32 v[58:59], 1, v[6:7]
	v_mul_lo_u32 v6, v60, s38
	v_add_co_u32 v58, vcc_lo, s42, v58
	s_wait_alu 0xfffd
	s_delay_alu instid0(VALU_DEP_3) | instskip(NEXT) | instid1(VALU_DEP_3)
	v_add_co_ci_u32_e64 v59, null, s43, v59, vcc_lo
	v_lshlrev_b64_e32 v[60:61], 1, v[6:7]
	s_wait_alu 0xfffe
	v_mov_b32_e32 v6, s19
	s_delay_alu instid0(VALU_DEP_2) | instskip(SKIP_1) | instid1(VALU_DEP_3)
	v_add_co_u32 v60, vcc_lo, s42, v60
	s_wait_alu 0xfffd
	v_add_co_ci_u32_e64 v61, null, s43, v61, vcc_lo
	v_cmp_eq_u32_e32 vcc_lo, 0, v36
	s_wait_loadcnt 0x6
	global_load_d16_hi_b16 v40, v[50:51], off
	s_wait_loadcnt 0x6
	global_load_d16_hi_b16 v41, v[46:47], off
	;; [unrolled: 2-line block ×3, first 2 shown]
	s_wait_loadcnt 0x6
	s_clause 0x1
	global_load_d16_hi_b16 v43, v[54:55], off
	global_load_u16 v38, v[60:61], off
	s_wait_loadcnt 0x7
	global_load_d16_hi_b16 v44, v[56:57], off
	s_wait_loadcnt 0x7
	s_clause 0x1
	global_load_d16_hi_b16 v45, v[58:59], off
	global_load_u16 v35, v[48:49], off
	s_or_b32 s18, vcc_lo, s18
	s_wait_loadcnt 0x3
	v_perm_b32 v46, v38, v2, 0x5040100
	ds_store_b128 v37, v[39:42]
	s_wait_loadcnt 0x1
	ds_store_b128 v37, v[43:46] offset:16
	s_wait_loadcnt 0x0
	v_perm_b32 v38, v35, v38, 0x5040100
	v_add_nc_u32_e32 v37, 32, v37
	s_wait_alu 0xfffe
	s_and_not1_b32 exec_lo, exec_lo, s18
	s_cbranch_execnz .LBB107_46
; %bb.47:                               ;   in Loop: Header=BB107_20 Depth=1
	s_or_b32 exec_lo, exec_lo, s18
.LBB107_48:                             ;   in Loop: Header=BB107_20 Depth=1
	s_wait_alu 0xfffe
	s_or_b32 exec_lo, exec_lo, s17
	s_and_saveexec_b32 s17, s6
	s_cbranch_execz .LBB107_52
; %bb.49:                               ;   in Loop: Header=BB107_20 Depth=1
	v_lshl_add_u32 v2, v6, 1, v16
	v_mov_b32_e32 v36, v24
	s_mov_b32 s18, 0
.LBB107_50:                             ;   Parent Loop BB107_20 Depth=1
                                        ; =>  This Inner Loop Header: Depth=2
	v_mul_lo_u32 v6, v3, s38
	v_mul_lo_u32 v39, v4, s39
	v_dual_mov_b32 v40, v7 :: v_dual_add_nc_u32 v3, 2, v3
	v_add_nc_u32_e32 v36, -4, v36
	v_add_nc_u32_e32 v4, 2, v4
	v_lshlrev_b64_e32 v[41:42], 1, v[6:7]
	s_delay_alu instid0(VALU_DEP_4) | instskip(NEXT) | instid1(VALU_DEP_2)
	v_lshlrev_b64_e32 v[39:40], 1, v[39:40]
	v_add_co_u32 v41, vcc_lo, s42, v41
	s_wait_alu 0xfffd
	s_delay_alu instid0(VALU_DEP_3) | instskip(NEXT) | instid1(VALU_DEP_3)
	v_add_co_ci_u32_e64 v42, null, s43, v42, vcc_lo
	v_add_co_u32 v39, vcc_lo, s42, v39
	s_wait_alu 0xfffd
	v_add_co_ci_u32_e64 v40, null, s43, v40, vcc_lo
	s_clause 0x1
	global_load_u16 v6, v[41:42], off
	global_load_u16 v35, v[39:40], off
	v_cmp_eq_u32_e32 vcc_lo, 0, v36
	s_wait_alu 0xfffe
	s_or_b32 s18, vcc_lo, s18
	s_wait_loadcnt 0x1
	v_alignbit_b32 v37, v6, v38, 16
	s_wait_loadcnt 0x0
	v_perm_b32 v38, v35, v6, 0x5040100
	ds_store_b32 v2, v37
	v_add_nc_u32_e32 v2, 4, v2
	s_wait_alu 0xfffe
	s_and_not1_b32 exec_lo, exec_lo, s18
	s_cbranch_execnz .LBB107_50
; %bb.51:                               ;   in Loop: Header=BB107_20 Depth=1
	s_or_b32 exec_lo, exec_lo, s18
.LBB107_52:                             ;   in Loop: Header=BB107_20 Depth=1
	s_wait_alu 0xfffe
	s_or_b32 exec_lo, exec_lo, s17
	v_add_nc_u32_e32 v1, v1, v20
	s_or_not1_b32 s17, s7, exec_lo
	s_delay_alu instid0(VALU_DEP_1)
	v_dual_mov_b32 v2, v21 :: v_dual_add_nc_u32 v3, -1, v1
.LBB107_53:                             ;   in Loop: Header=BB107_20 Depth=1
	s_wait_alu 0xfffe
	s_or_b32 exec_lo, exec_lo, s11
	v_mov_b32_e32 v4, s15
	s_wait_loadcnt 0x0
	v_mov_b32_e32 v36, v35
	s_and_b32 s11, s17, exec_lo
	s_and_not1_saveexec_b32 s16, s16
	s_cbranch_execz .LBB107_39
.LBB107_54:                             ;   in Loop: Header=BB107_20 Depth=1
	s_wait_alu 0xfffe
	v_mov_b32_e32 v4, s15
	s_wait_loadcnt 0x0
	v_mov_b32_e32 v36, v35
	v_mov_b32_e32 v2, v0
	s_or_b32 s11, s11, exec_lo
	s_or_b32 exec_lo, exec_lo, s16
	s_wait_alu 0xfffe
	s_and_saveexec_b32 s15, s11
	s_cbranch_execz .LBB107_58
.LBB107_55:                             ;   in Loop: Header=BB107_20 Depth=1
	v_mul_lo_u32 v6, s38, v1
	s_mov_b32 s16, 0
	s_sub_co_i32 s11, 0, s14
.LBB107_56:                             ;   Parent Loop BB107_20 Depth=1
                                        ; =>  This Inner Loop Header: Depth=2
	s_delay_alu instid0(VALU_DEP_1) | instskip(SKIP_2) | instid1(VALU_DEP_2)
	v_lshlrev_b64_e32 v[37:38], 1, v[6:7]
	v_dual_mov_b32 v3, v1 :: v_dual_lshlrev_b32 v2, 1, v2
	v_add_nc_u32_e32 v6, v6, v4
	v_add_nc_u32_e32 v1, s14, v3
	s_delay_alu instid0(VALU_DEP_4)
	v_add_co_u32 v37, vcc_lo, s42, v37
	s_wait_alu 0xfffd
	v_add_co_ci_u32_e64 v38, null, s43, v38, vcc_lo
	ds_store_b16 v2, v36
	v_mov_b32_e32 v2, v3
	v_cmp_le_u32_e32 vcc_lo, s36, v1
	s_wait_loadcnt 0x0
	global_load_u16 v35, v[37:38], off
	s_wait_alu 0xfffe
	s_or_b32 s16, vcc_lo, s16
	s_wait_loadcnt 0x0
	v_mov_b32_e32 v36, v35
	s_wait_alu 0xfffe
	s_and_not1_b32 exec_lo, exec_lo, s16
	s_cbranch_execnz .LBB107_56
; %bb.57:                               ;   in Loop: Header=BB107_20 Depth=1
	s_or_b32 exec_lo, exec_lo, s16
	v_add_nc_u32_e32 v3, s11, v1
.LBB107_58:                             ;   in Loop: Header=BB107_20 Depth=1
	s_wait_alu 0xfffe
	s_or_b32 exec_lo, exec_lo, s15
.LBB107_59:                             ;   in Loop: Header=BB107_20 Depth=1
	s_wait_alu 0xfffe
	s_or_b32 exec_lo, exec_lo, s13
	v_lshlrev_b32_e32 v1, 1, v3
	s_wait_loadcnt 0x0
	ds_store_b16 v1, v35
.LBB107_60:                             ;   in Loop: Header=BB107_20 Depth=1
	s_wait_alu 0xfffe
	s_or_b32 exec_lo, exec_lo, s12
	s_wait_loadcnt_dscnt 0x0
	s_barrier_signal -1
	s_barrier_wait -1
	global_inv scope:SCOPE_SE
	s_and_saveexec_b32 s11, s2
; %bb.61:                               ;   in Loop: Header=BB107_20 Depth=1
	v_mov_b32_e32 v1, s36
	ds_store_b32 v7, v1 offset:4104
; %bb.62:                               ;   in Loop: Header=BB107_20 Depth=1
	s_wait_alu 0xfffe
	s_or_b32 exec_lo, exec_lo, s11
	s_mov_b32 s11, -1
	s_wait_loadcnt_dscnt 0x0
	s_barrier_signal -1
	s_barrier_wait -1
.LBB107_63:                             ;   in Loop: Header=BB107_20 Depth=1
	s_wait_alu 0xfffe
	s_and_b32 vcc_lo, exec_lo, s11
	s_mov_b32 s46, 0
	s_wait_alu 0xfffe
	s_cbranch_vccz .LBB107_65
; %bb.64:                               ;   in Loop: Header=BB107_20 Depth=1
	s_wait_loadcnt 0x0
	global_inv scope:SCOPE_SE
	ds_load_b32 v1, v7 offset:4104
	s_wait_dscnt 0x0
	v_readfirstlane_b32 s46, v1
.LBB107_65:                             ;   in Loop: Header=BB107_20 Depth=1
	s_delay_alu instid0(VALU_DEP_1)
	s_cmp_lt_i32 s46, 1
	s_mov_b32 s11, -1
                                        ; implicit-def: $vgpr1
	s_cbranch_scc1 .LBB107_75
; %bb.66:                               ;   in Loop: Header=BB107_20 Depth=1
	s_wait_alu 0xfffe
	s_and_b32 vcc_lo, exec_lo, s11
	s_wait_alu 0xfffe
	s_cbranch_vccnz .LBB107_86
.LBB107_67:                             ;   in Loop: Header=BB107_20 Depth=1
	v_lshlrev_b32_e32 v6, 7, v31
	s_and_saveexec_b32 s11, s1
.LBB107_68:                             ;   in Loop: Header=BB107_20 Depth=1
	s_delay_alu instid0(VALU_DEP_1)
	v_lshl_add_u32 v35, v6, 2, v19
	ds_store_b128 v35, v[1:4]
.LBB107_69:                             ;   in Loop: Header=BB107_20 Depth=1
	s_wait_alu 0xfffe
	s_or_b32 exec_lo, exec_lo, s11
	s_wait_loadcnt_dscnt 0x0
	s_barrier_signal -1
	s_barrier_wait -1
	global_inv scope:SCOPE_SE
	s_and_saveexec_b32 s11, s57
	s_cbranch_execz .LBB107_99
; %bb.70:                               ;   in Loop: Header=BB107_20 Depth=1
	v_mov_b32_e32 v1, 0
	s_and_not1_b32 vcc_lo, exec_lo, s61
	s_wait_alu 0xfffe
	s_cbranch_vccnz .LBB107_98
; %bb.71:                               ;   in Loop: Header=BB107_20 Depth=1
	s_and_not1_b32 vcc_lo, exec_lo, s63
	s_wait_alu 0xfffe
	s_cbranch_vccnz .LBB107_95
; %bb.72:                               ;   in Loop: Header=BB107_20 Depth=1
	v_lshl_add_u32 v2, v31, 9, v30
	v_mov_b32_e32 v1, 0
	s_mov_b32 s12, 0
.LBB107_73:                             ;   Parent Loop BB107_20 Depth=1
                                        ; =>  This Inner Loop Header: Depth=2
	ds_load_2addr_b32 v[3:4], v2 offset1:4
	ds_load_2addr_b32 v[35:36], v2 offset0:8 offset1:12
	ds_load_2addr_b32 v[37:38], v2 offset0:16 offset1:20
	;; [unrolled: 1-line block ×3, first 2 shown]
	v_add_nc_u32_e32 v2, 0x80, v2
	s_wait_alu 0xfffe
	s_add_co_i32 s12, s12, 8
	s_wait_alu 0xfffe
	s_cmp_eq_u32 s64, s12
	s_wait_dscnt 0x3
	v_add3_u32 v1, v3, v1, v4
	s_wait_dscnt 0x2
	s_delay_alu instid0(VALU_DEP_1) | instskip(SKIP_1) | instid1(VALU_DEP_1)
	v_add3_u32 v1, v35, v1, v36
	s_wait_dscnt 0x1
	v_add3_u32 v1, v37, v1, v38
	s_wait_dscnt 0x0
	s_delay_alu instid0(VALU_DEP_1)
	v_add3_u32 v1, v39, v1, v40
	s_cbranch_scc0 .LBB107_73
; %bb.74:                               ;   in Loop: Header=BB107_20 Depth=1
	s_mov_b32 s12, s64
	s_and_not1_b32 vcc_lo, exec_lo, s65
	s_wait_alu 0xfffe
	s_cbranch_vccz .LBB107_96
	s_branch .LBB107_98
.LBB107_75:                             ;   in Loop: Header=BB107_20 Depth=1
	v_dual_mov_b32 v1, 0 :: v_dual_mov_b32 v2, 0
	v_dual_mov_b32 v3, 0 :: v_dual_mov_b32 v4, 0
	s_and_saveexec_b32 s22, s8
	s_cbranch_execz .LBB107_79
; %bb.76:                               ;   in Loop: Header=BB107_20 Depth=1
	v_mov_b32_e32 v35, v14
	s_mov_b32 s23, 0
	s_mov_b32 s24, 0
	s_mov_b32 s25, 0
	s_mov_b32 s26, 0
	s_mov_b32 s27, 0
	s_mov_b32 s28, 0
.LBB107_77:                             ;   Parent Loop BB107_20 Depth=1
                                        ; =>  This Inner Loop Header: Depth=2
	s_wait_alu 0xfffe
	v_add_nc_u32_e32 v6, s24, v27
	s_delay_alu instid0(VALU_DEP_1) | instskip(SKIP_1) | instid1(VALU_DEP_1)
	v_lshlrev_b64_e32 v[1:2], 1, v[6:7]
	v_add_nc_u32_e32 v6, s24, v12
	v_lshlrev_b64_e32 v[3:4], 1, v[6:7]
	v_add_nc_u32_e32 v6, s24, v25
	s_delay_alu instid0(VALU_DEP_4) | instskip(SKIP_2) | instid1(VALU_DEP_3)
	v_add_co_u32 v1, vcc_lo, s42, v1
	s_wait_alu 0xfffd
	v_add_co_ci_u32_e64 v2, null, s43, v2, vcc_lo
	v_lshlrev_b64_e32 v[36:37], 1, v[6:7]
	v_add_nc_u32_e32 v6, s24, v26
	s_add_co_i32 s24, s24, s68
	global_load_i16 v38, v[1:2], off
	v_add_co_u32 v1, vcc_lo, s42, v3
	s_wait_alu 0xfffd
	v_add_co_ci_u32_e64 v2, null, s43, v4, vcc_lo
	v_add_co_u32 v36, vcc_lo, s42, v36
	s_wait_alu 0xfffd
	v_add_co_ci_u32_e64 v37, null, s43, v37, vcc_lo
	v_lshlrev_b64_e32 v[3:4], 1, v[6:7]
	s_clause 0x1
	global_load_i16 v6, v[1:2], off
	global_load_i16 v36, v[36:37], off
	v_add_co_u32 v1, vcc_lo, s42, v3
	s_wait_alu 0xfffd
	v_add_co_ci_u32_e64 v2, null, s43, v4, vcc_lo
	global_load_i16 v1, v[1:2], off
	s_wait_loadcnt 0x3
	v_add_nc_u32_e32 v2, 0x8000, v38
	s_delay_alu instid0(VALU_DEP_1)
	v_and_b32_e32 v3, v2, v32
	v_bfe_u32 v2, v2, s78, 2
	s_wait_loadcnt 0x2
	v_add_nc_u32_e32 v4, 0x8000, v6
	s_wait_loadcnt 0x1
	v_add_nc_u32_e32 v6, 0x8000, v36
	v_cmp_eq_u32_e64 s11, v3, v13
	v_cmp_eq_u32_e64 s12, 0, v2
	;; [unrolled: 1-line block ×3, first 2 shown]
	v_and_b32_e32 v3, v4, v32
	v_bfe_u32 v4, v4, s78, 2
	v_cmp_eq_u32_e64 s14, 2, v2
	v_cmp_eq_u32_e64 s15, 3, v2
	v_and_b32_e32 v2, v6, v32
	v_cmp_eq_u32_e64 s16, v3, v13
	v_bfe_u32 v3, v6, s78, 2
	s_and_b32 s12, s11, s12
	s_wait_loadcnt 0x0
	v_add_nc_u32_e32 v1, 0x8000, v1
	v_cmp_eq_u32_e64 s17, 0, v4
	s_wait_alu 0xfffe
	v_cndmask_b32_e64 v6, 0, 1, s12
	v_cmp_eq_u32_e64 s12, 1, v4
	s_and_b32 s13, s11, s13
	s_and_b32 s14, s11, s14
	;; [unrolled: 1-line block ×3, first 2 shown]
	s_wait_alu 0xfffe
	v_cndmask_b32_e64 v36, 0, 1, s13
	v_cmp_eq_u32_e64 s13, 2, v4
	v_cndmask_b32_e64 v37, 0, 1, s14
	v_cmp_eq_u32_e64 s14, 3, v4
	;; [unrolled: 2-line block ×3, first 2 shown]
	v_cmp_eq_u32_e64 s15, 0, v3
	v_and_b32_e32 v2, v1, v32
	v_bfe_u32 v1, v1, s78, 2
	s_and_b32 s17, s16, s17
	s_and_b32 s12, s16, s12
	v_cmp_ne_u32_e64 s18, 0, v6
	s_wait_alu 0xfffe
	v_cndmask_b32_e64 v6, 0, 1, s17
	v_cmp_eq_u32_e64 s17, 1, v3
	v_cmp_ne_u32_e64 s19, 0, v36
	v_cndmask_b32_e64 v36, 0, 1, s12
	v_cmp_eq_u32_e64 s12, 2, v3
	s_and_b32 s13, s16, s13
	s_and_b32 s14, s16, s14
	;; [unrolled: 1-line block ×3, first 2 shown]
	v_cmp_ne_u32_e64 s20, 0, v37
	s_wait_alu 0xfffe
	v_cndmask_b32_e64 v37, 0, 1, s13
	v_cmp_eq_u32_e64 s13, 3, v3
	v_cndmask_b32_e64 v3, 0, 1, s14
	v_cmp_eq_u32_e64 s14, v2, v13
	;; [unrolled: 2-line block ×3, first 2 shown]
	v_cmp_ne_u32_e64 s21, 0, v4
	v_cmp_eq_u32_e64 s16, 0, v1
	s_and_b32 s17, s11, s17
	s_and_b32 s12, s11, s12
	s_bcnt1_i32_b32 s29, s18
	v_cmp_ne_u32_e64 s18, 0, v6
	s_wait_alu 0xfffe
	v_cndmask_b32_e64 v4, 0, 1, s17
	v_cmp_eq_u32_e64 s17, 2, v1
	v_cndmask_b32_e64 v6, 0, 1, s12
	v_cmp_eq_u32_e64 s12, 3, v1
	s_and_b32 s11, s11, s13
	s_and_b32 s15, s14, s15
	s_bcnt1_i32_b32 s80, s21
	v_cmp_ne_u32_e64 s21, 0, v3
	s_wait_alu 0xfffe
	v_cndmask_b32_e64 v1, 0, 1, s11
	v_cndmask_b32_e64 v3, 0, 1, s15
	s_bcnt1_i32_b32 s30, s19
	v_cmp_ne_u32_e64 s19, 0, v36
	s_and_b32 s13, s14, s16
	v_cmp_ne_u32_e64 s11, 0, v2
	s_wait_alu 0xfffe
	v_cndmask_b32_e64 v2, 0, 1, s13
	v_cmp_ne_u32_e64 s13, 0, v4
	s_and_b32 s16, s14, s17
	s_and_b32 s12, s14, s12
	s_wait_alu 0xfffe
	v_cndmask_b32_e64 v4, 0, 1, s16
	v_cmp_ne_u32_e64 s16, 0, v1
	v_cndmask_b32_e64 v1, 0, 1, s12
	v_cmp_ne_u32_e64 s12, 0, v3
	s_bcnt1_i32_b32 s79, s20
	v_cmp_ne_u32_e64 s20, 0, v37
	s_add_co_i32 s27, s30, s27
	s_add_co_i32 s25, s80, s25
	s_bcnt1_i32_b32 s19, s19
	s_bcnt1_i32_b32 s17, s21
	v_cmp_ne_u32_e64 s15, 0, v6
	s_wait_alu 0xfffe
	s_add_co_i32 s19, s27, s19
	s_add_co_i32 s17, s25, s17
	s_bcnt1_i32_b32 s25, s13
	s_bcnt1_i32_b32 s21, s11
	v_cmp_ne_u32_e64 s11, 0, v2
	v_cmp_ne_u32_e64 s13, 0, v4
	;; [unrolled: 1-line block ×3, first 2 shown]
	s_wait_alu 0xfffe
	s_add_co_i32 s19, s19, s25
	s_bcnt1_i32_b32 s12, s12
	s_add_co_i32 s28, s29, s28
	s_add_co_i32 s26, s79, s26
	s_bcnt1_i32_b32 s18, s18
	s_bcnt1_i32_b32 s20, s20
	s_wait_alu 0xfffe
	s_add_co_i32 s27, s19, s12
	s_wait_alu 0xfffe
	v_dual_mov_b32 v2, s27 :: v_dual_add_nc_u32 v35, s56, v35
	s_add_co_i32 s18, s28, s18
	s_add_co_i32 s20, s26, s20
	s_bcnt1_i32_b32 s15, s15
	s_bcnt1_i32_b32 s16, s16
	s_wait_alu 0xfffe
	s_add_co_i32 s18, s18, s21
	s_add_co_i32 s15, s20, s15
	;; [unrolled: 1-line block ×3, first 2 shown]
	s_bcnt1_i32_b32 s11, s11
	s_bcnt1_i32_b32 s13, s13
	;; [unrolled: 1-line block ×3, first 2 shown]
	v_cmp_le_u32_e32 vcc_lo, s66, v35
	s_wait_alu 0xfffe
	s_add_co_i32 s28, s18, s11
	s_add_co_i32 s26, s15, s13
	s_add_co_i32 s25, s16, s14
	s_wait_alu 0xfffe
	v_mov_b32_e32 v1, s28
	v_dual_mov_b32 v3, s26 :: v_dual_mov_b32 v4, s25
	s_or_b32 s23, vcc_lo, s23
	s_wait_alu 0xfffe
	s_and_not1_b32 exec_lo, exec_lo, s23
	s_cbranch_execnz .LBB107_77
; %bb.78:                               ;   in Loop: Header=BB107_20 Depth=1
	s_or_b32 exec_lo, exec_lo, s23
.LBB107_79:                             ;   in Loop: Header=BB107_20 Depth=1
	s_wait_alu 0xfffe
	s_or_b32 exec_lo, exec_lo, s22
	s_and_saveexec_b32 s15, s9
	s_cbranch_execz .LBB107_85
; %bb.80:                               ;   in Loop: Header=BB107_20 Depth=1
	global_load_u16 v37, v[10:11], off
	v_dual_mov_b32 v6, v28 :: v_dual_mov_b32 v35, v22
	s_mov_b32 s16, 0
	s_branch .LBB107_82
.LBB107_81:                             ;   in Loop: Header=BB107_82 Depth=2
	s_wait_alu 0xfffe
	s_or_b32 exec_lo, exec_lo, s12
	s_wait_loadcnt 0x0
	v_bfe_i32 v37, v37, 0, 16
	s_and_b32 s12, exec_lo, vcc_lo
	v_add_nc_u32_e32 v6, s60, v6
	s_wait_alu 0xfffe
	s_or_b32 s16, s12, s16
	v_add_nc_u32_e32 v37, 0x8000, v37
	s_delay_alu instid0(VALU_DEP_1) | instskip(SKIP_1) | instid1(VALU_DEP_2)
	v_and_b32_e32 v38, v37, v32
	v_bfe_u32 v37, v37, s78, 2
	v_cmp_eq_u32_e32 vcc_lo, v38, v13
	s_delay_alu instid0(VALU_DEP_2)
	v_cmp_eq_u32_e64 s11, 0, v37
	v_cmp_eq_u32_e64 s12, 1, v37
	;; [unrolled: 1-line block ×4, first 2 shown]
	s_and_b32 s11, vcc_lo, s11
	s_wait_alu 0xfffe
	v_cndmask_b32_e64 v37, 0, 1, s11
	s_and_b32 s11, vcc_lo, s12
	s_wait_alu 0xfffe
	v_cndmask_b32_e64 v38, 0, 1, s11
	;; [unrolled: 3-line block ×3, first 2 shown]
	s_and_b32 s11, vcc_lo, s14
	v_cmp_ne_u32_e32 vcc_lo, 0, v37
	s_wait_alu 0xfffe
	v_cndmask_b32_e64 v40, 0, 1, s11
	v_cmp_ne_u32_e64 s11, 0, v38
	v_cmp_ne_u32_e64 s12, 0, v39
	v_mov_b32_e32 v37, v36
	s_bcnt1_i32_b32 s14, vcc_lo
	v_cmp_ne_u32_e64 s13, 0, v40
	s_bcnt1_i32_b32 s11, s11
	s_bcnt1_i32_b32 s12, s12
	s_wait_alu 0xfffe
	v_add_nc_u32_e32 v1, s14, v1
	v_add_nc_u32_e32 v2, s11, v2
	s_bcnt1_i32_b32 s13, s13
	v_add_nc_u32_e32 v3, s12, v3
	s_wait_alu 0xfffe
	v_add_nc_u32_e32 v4, s13, v4
	s_and_not1_b32 exec_lo, exec_lo, s16
	s_cbranch_execz .LBB107_84
.LBB107_82:                             ;   Parent Loop BB107_20 Depth=1
                                        ; =>  This Inner Loop Header: Depth=2
	s_delay_alu instid0(VALU_DEP_1) | instskip(SKIP_1) | instid1(VALU_DEP_1)
	v_dual_mov_b32 v36, 0 :: v_dual_add_nc_u32 v35, s37, v35
	s_mov_b32 s12, exec_lo
	v_cmp_le_u32_e32 vcc_lo, s36, v35
	v_cmpx_gt_u32_e64 s36, v35
	s_cbranch_execz .LBB107_81
; %bb.83:                               ;   in Loop: Header=BB107_82 Depth=2
	v_lshlrev_b64_e32 v[38:39], 1, v[6:7]
	s_delay_alu instid0(VALU_DEP_1) | instskip(SKIP_1) | instid1(VALU_DEP_2)
	v_add_co_u32 v38, s11, s42, v38
	s_wait_alu 0xf1fe
	v_add_co_ci_u32_e64 v39, null, s43, v39, s11
	global_load_u16 v36, v[38:39], off
	s_branch .LBB107_81
.LBB107_84:                             ;   in Loop: Header=BB107_20 Depth=1
	s_or_b32 exec_lo, exec_lo, s16
.LBB107_85:                             ;   in Loop: Header=BB107_20 Depth=1
	s_wait_alu 0xfffe
	s_or_b32 exec_lo, exec_lo, s15
	s_branch .LBB107_67
.LBB107_86:                             ;   in Loop: Header=BB107_20 Depth=1
	s_mul_u64 s[12:13], s[46:47], s[48:49]
	v_dual_mov_b32 v1, 0 :: v_dual_mov_b32 v2, 0
	s_wait_alu 0xfffe
	s_mul_i32 s11, s13, s56
	v_dual_mov_b32 v3, 0 :: v_dual_mov_b32 v4, 0
	s_wait_alu 0xfffe
	s_sub_co_i32 s11, s46, s11
	s_mov_b32 s80, exec_lo
	s_wait_alu 0xfffe
	s_sub_co_i32 s12, s11, s56
	s_cmp_ge_u32 s11, s56
	s_wait_alu 0xfffe
	s_cselect_b32 s11, s12, s11
	s_wait_alu 0xfffe
	s_sub_co_i32 s12, s11, s56
	s_cmp_ge_u32 s11, s56
	s_wait_alu 0xfffe
	s_cselect_b32 s11, s12, s11
	s_wait_alu 0xfffe
	s_sub_co_i32 s79, s46, s11
	s_wait_alu 0xfffe
	v_cmpx_gt_u32_e64 s79, v14
	s_cbranch_execz .LBB107_90
; %bb.87:                               ;   in Loop: Header=BB107_20 Depth=1
	v_dual_mov_b32 v6, v29 :: v_dual_mov_b32 v35, v14
	s_mov_b32 s81, 0
	s_mov_b32 s82, 0
	;; [unrolled: 1-line block ×5, first 2 shown]
.LBB107_88:                             ;   Parent Loop BB107_20 Depth=1
                                        ; =>  This Inner Loop Header: Depth=2
	ds_load_b64 v[1:2], v6
	s_wait_dscnt 0x0
	v_bfe_i32 v3, v1, 0, 16
	v_ashrrev_i32_e32 v1, 16, v1
	v_bfe_i32 v4, v2, 0, 16
	v_ashrrev_i32_e32 v2, 16, v2
	s_delay_alu instid0(VALU_DEP_4) | instskip(NEXT) | instid1(VALU_DEP_4)
	v_add_nc_u32_e32 v3, 0x8000, v3
	v_add_nc_u32_e32 v1, 0x8000, v1
	s_delay_alu instid0(VALU_DEP_4) | instskip(NEXT) | instid1(VALU_DEP_4)
	v_add_nc_u32_e32 v4, 0x8000, v4
	v_add_nc_u32_e32 v2, 0x8000, v2
	s_delay_alu instid0(VALU_DEP_4)
	v_and_b32_e32 v36, v3, v32
	v_bfe_u32 v3, v3, s78, 2
	v_and_b32_e32 v37, v1, v32
	v_bfe_u32 v1, v1, s78, 2
	;; [unrolled: 2-line block ×3, first 2 shown]
	v_cmp_eq_u32_e64 s11, v36, v13
	v_cmp_eq_u32_e64 s15, 0, v3
	v_and_b32_e32 v39, v2, v32
	v_bfe_u32 v2, v2, s78, 2
	v_cmp_eq_u32_e64 s12, v37, v13
	v_cmp_eq_u32_e64 s16, 0, v1
	;; [unrolled: 1-line block ×4, first 2 shown]
	s_and_b32 s15, s11, s15
	v_cmp_eq_u32_e64 s14, v39, v13
	v_cmp_eq_u32_e64 s18, 0, v2
	;; [unrolled: 1-line block ×5, first 2 shown]
	s_wait_alu 0xfffe
	v_cndmask_b32_e64 v1, 0, 1, s15
	s_and_b32 s15, s12, s16
	v_cmp_eq_u32_e64 s19, 1, v3
	v_cmp_eq_u32_e64 s22, 1, v2
	;; [unrolled: 1-line block ×4, first 2 shown]
	s_wait_alu 0xfffe
	v_cndmask_b32_e64 v2, 0, 1, s15
	s_and_b32 s15, s13, s17
	v_cmp_eq_u32_e64 s23, 2, v3
	v_cmp_eq_u32_e64 s27, 3, v3
	s_wait_alu 0xfffe
	v_cndmask_b32_e64 v3, 0, 1, s15
	s_and_b32 s15, s14, s18
	v_cmp_eq_u32_e64 s21, 1, v4
	v_cmp_eq_u32_e64 s25, 2, v4
	;; [unrolled: 1-line block ×3, first 2 shown]
	s_wait_alu 0xfffe
	v_cndmask_b32_e64 v4, 0, 1, s15
	s_and_b32 s15, s11, s19
	s_wait_alu 0xfffe
	v_cndmask_b32_e64 v36, 0, 1, s15
	s_and_b32 s15, s12, s20
	;; [unrolled: 3-line block ×4, first 2 shown]
	v_cmp_ne_u32_e64 s16, 0, v37
	s_wait_alu 0xfffe
	v_cndmask_b32_e64 v39, 0, 1, s15
	s_and_b32 s15, s11, s23
	s_and_b32 s11, s11, s27
	s_wait_alu 0xfffe
	v_cndmask_b32_e64 v40, 0, 1, s15
	s_and_b32 s15, s12, s24
	v_cndmask_b32_e64 v44, 0, 1, s11
	s_and_b32 s11, s12, s28
	s_wait_alu 0xfffe
	v_cndmask_b32_e64 v41, 0, 1, s15
	s_and_b32 s15, s13, s25
	v_cndmask_b32_e64 v45, 0, 1, s11
	;; [unrolled: 5-line block ×3, first 2 shown]
	s_and_b32 s11, s14, s30
	s_wait_alu 0xfffe
	v_cndmask_b32_e64 v43, 0, 1, s15
	v_cndmask_b32_e64 v47, 0, 1, s11
	v_cmp_ne_u32_e64 s11, 0, v1
	v_cmp_ne_u32_e64 s15, 0, v36
	;; [unrolled: 1-line block ×6, first 2 shown]
	s_bcnt1_i32_b32 s11, s11
	s_bcnt1_i32_b32 s15, s15
	v_cmp_ne_u32_e64 s18, 0, v39
	v_cmp_ne_u32_e64 s20, 0, v41
	;; [unrolled: 1-line block ×3, first 2 shown]
	s_bcnt1_i32_b32 s12, s12
	s_bcnt1_i32_b32 s16, s16
	s_wait_alu 0xfffe
	s_add_co_i32 s11, s11, s85
	s_add_co_i32 s15, s15, s84
	v_cmp_ne_u32_e64 s13, 0, v3
	v_cmp_ne_u32_e64 s21, 0, v42
	;; [unrolled: 1-line block ×3, first 2 shown]
	s_bcnt1_i32_b32 s17, s17
	s_wait_alu 0xfffe
	s_add_co_i32 s11, s11, s12
	s_add_co_i32 s12, s15, s16
	s_bcnt1_i32_b32 s19, s19
	s_bcnt1_i32_b32 s23, s23
	v_cmp_ne_u32_e64 s14, 0, v4
	v_cmp_ne_u32_e64 s22, 0, v43
	;; [unrolled: 1-line block ×3, first 2 shown]
	s_bcnt1_i32_b32 s18, s18
	s_wait_alu 0xfffe
	s_add_co_i32 s12, s12, s17
	s_bcnt1_i32_b32 s20, s20
	s_bcnt1_i32_b32 s24, s24
	s_add_co_i32 s19, s19, s83
	s_add_co_i32 s23, s23, s82
	s_wait_alu 0xfffe
	s_add_co_i32 s84, s12, s18
	s_wait_alu 0xfffe
	v_dual_mov_b32 v2, s84 :: v_dual_add_nc_u32 v35, s56, v35
	s_bcnt1_i32_b32 s13, s13
	s_bcnt1_i32_b32 s21, s21
	;; [unrolled: 1-line block ×3, first 2 shown]
	s_add_co_i32 s15, s19, s20
	s_add_co_i32 s16, s23, s24
	s_bcnt1_i32_b32 s14, s14
	s_bcnt1_i32_b32 s22, s22
	;; [unrolled: 1-line block ×3, first 2 shown]
	s_wait_alu 0xfffe
	s_add_co_i32 s11, s11, s13
	s_add_co_i32 s13, s15, s21
	;; [unrolled: 1-line block ×3, first 2 shown]
	v_cmp_le_u32_e32 vcc_lo, s79, v35
	s_wait_alu 0xfffe
	s_add_co_i32 s85, s11, s14
	s_add_co_i32 s83, s13, s22
	;; [unrolled: 1-line block ×3, first 2 shown]
	s_wait_alu 0xfffe
	v_dual_mov_b32 v1, s85 :: v_dual_add_nc_u32 v6, s69, v6
	v_dual_mov_b32 v3, s83 :: v_dual_mov_b32 v4, s82
	s_or_b32 s81, vcc_lo, s81
	s_delay_alu instid0(SALU_CYCLE_1)
	s_and_not1_b32 exec_lo, exec_lo, s81
	s_cbranch_execnz .LBB107_88
; %bb.89:                               ;   in Loop: Header=BB107_20 Depth=1
	s_or_b32 exec_lo, exec_lo, s81
.LBB107_90:                             ;   in Loop: Header=BB107_20 Depth=1
	s_delay_alu instid0(SALU_CYCLE_1) | instskip(SKIP_2) | instid1(VALU_DEP_1)
	s_or_b32 exec_lo, exec_lo, s80
	v_add_nc_u32_e32 v6, s79, v0
	s_mov_b32 s16, exec_lo
	v_cmpx_gt_u32_e64 s46, v6
	s_cbranch_execz .LBB107_94
; %bb.91:                               ;   in Loop: Header=BB107_20 Depth=1
	v_lshlrev_b32_e32 v35, 1, v6
	s_mov_b32 s17, 0
.LBB107_92:                             ;   Parent Loop BB107_20 Depth=1
                                        ; =>  This Inner Loop Header: Depth=2
	ds_load_i16 v36, v35
	v_add_nc_u32_e32 v6, s37, v6
	v_add_nc_u32_e32 v35, s70, v35
	s_delay_alu instid0(VALU_DEP_2) | instskip(SKIP_2) | instid1(VALU_DEP_1)
	v_cmp_le_u32_e32 vcc_lo, s46, v6
	s_wait_dscnt 0x0
	v_add_nc_u32_e32 v36, 0x8000, v36
	v_and_b32_e32 v37, v36, v32
	v_bfe_u32 v36, v36, s78, 2
	s_delay_alu instid0(VALU_DEP_2) | instskip(NEXT) | instid1(VALU_DEP_2)
	v_cmp_eq_u32_e64 s11, v37, v13
	v_cmp_eq_u32_e64 s12, 0, v36
	;; [unrolled: 1-line block ×5, first 2 shown]
	s_and_b32 s12, s11, s12
	s_wait_alu 0xfffe
	v_cndmask_b32_e64 v36, 0, 1, s12
	s_and_b32 s12, s11, s13
	s_wait_alu 0xfffe
	v_cndmask_b32_e64 v37, 0, 1, s12
	s_and_b32 s12, s11, s14
	s_and_b32 s11, s11, s15
	s_wait_alu 0xfffe
	v_cndmask_b32_e64 v38, 0, 1, s12
	v_cndmask_b32_e64 v39, 0, 1, s11
	v_cmp_ne_u32_e64 s11, 0, v36
	v_cmp_ne_u32_e64 s12, 0, v37
	s_delay_alu instid0(VALU_DEP_4) | instskip(NEXT) | instid1(VALU_DEP_4)
	v_cmp_ne_u32_e64 s13, 0, v38
	v_cmp_ne_u32_e64 s14, 0, v39
	s_bcnt1_i32_b32 s11, s11
	s_bcnt1_i32_b32 s12, s12
	s_wait_alu 0xfffe
	v_add_nc_u32_e32 v1, s11, v1
	s_bcnt1_i32_b32 s13, s13
	s_bcnt1_i32_b32 s14, s14
	v_add_nc_u32_e32 v2, s12, v2
	s_wait_alu 0xfffe
	v_add_nc_u32_e32 v3, s13, v3
	v_add_nc_u32_e32 v4, s14, v4
	s_or_b32 s17, vcc_lo, s17
	s_wait_alu 0xfffe
	s_and_not1_b32 exec_lo, exec_lo, s17
	s_cbranch_execnz .LBB107_92
; %bb.93:                               ;   in Loop: Header=BB107_20 Depth=1
	s_or_b32 exec_lo, exec_lo, s17
.LBB107_94:                             ;   in Loop: Header=BB107_20 Depth=1
	s_wait_alu 0xfffe
	s_or_b32 exec_lo, exec_lo, s16
	v_lshlrev_b32_e32 v6, 7, v31
	s_and_saveexec_b32 s11, s1
	s_cbranch_execnz .LBB107_68
	s_branch .LBB107_69
.LBB107_95:                             ;   in Loop: Header=BB107_20 Depth=1
	v_mov_b32_e32 v1, 0
	s_mov_b32 s12, 0
	s_and_not1_b32 vcc_lo, exec_lo, s65
	s_wait_alu 0xfffe
	s_cbranch_vccnz .LBB107_98
.LBB107_96:                             ;   in Loop: Header=BB107_20 Depth=1
	v_lshlrev_b32_e32 v2, 9, v31
	s_lshl_b32 s12, s12, 4
	s_wait_alu 0xfffe
	s_delay_alu instid0(VALU_DEP_1)
	v_add3_u32 v2, v2, s12, v30
	s_mov_b32 s12, s62
.LBB107_97:                             ;   Parent Loop BB107_20 Depth=1
                                        ; =>  This Inner Loop Header: Depth=2
	ds_load_b32 v3, v2
	v_add_nc_u32_e32 v2, 16, v2
	s_wait_alu 0xfffe
	s_add_co_i32 s12, s12, -1
	s_wait_alu 0xfffe
	s_cmp_lg_u32 s12, 0
	s_wait_dscnt 0x0
	v_add_nc_u32_e32 v1, v3, v1
	s_cbranch_scc1 .LBB107_97
.LBB107_98:                             ;   in Loop: Header=BB107_20 Depth=1
	v_add_lshl_u32 v2, v6, v15, 2
	ds_store_b32 v2, v1 offset:3072
.LBB107_99:                             ;   in Loop: Header=BB107_20 Depth=1
	s_wait_alu 0xfffe
	s_or_b32 exec_lo, exec_lo, s11
	v_lshlrev_b32_e32 v1, 2, v6
	s_wait_loadcnt_dscnt 0x0
	s_barrier_signal -1
	s_barrier_wait -1
	global_inv scope:SCOPE_SE
	ds_load_b128 v[1:4], v1 offset:3072
	s_lshl_b32 s12, 3, s78
	v_cmp_eq_u32_e32 vcc_lo, 1, v34
	s_wait_alu 0xfffe
	s_not_b32 s19, s12
	s_mov_b32 s15, -1
	s_mov_b32 s23, -1
                                        ; implicit-def: $sgpr20
                                        ; implicit-def: $sgpr17
	s_wait_dscnt 0x0
	v_readfirstlane_b32 s14, v1
	v_readfirstlane_b32 s21, v2
	;; [unrolled: 1-line block ×4, first 2 shown]
	s_cmp_eq_u32 s14, 1
	s_cselect_b32 s13, -1, 0
	s_wait_alu 0xfffe
	s_and_b32 s16, s13, vcc_lo
	s_wait_alu 0xfffe
	s_and_saveexec_b32 s13, s16
	s_cbranch_execz .LBB107_125
; %bb.100:                              ;   in Loop: Header=BB107_20 Depth=1
	ds_load_b32 v1, v7 offset:4104
	s_wait_loadcnt_dscnt 0x0
	s_barrier_signal -1
	s_barrier_wait -1
	global_inv scope:SCOPE_SE
	v_readfirstlane_b32 s23, v1
	s_and_saveexec_b32 s17, s3
; %bb.101:                              ;   in Loop: Header=BB107_20 Depth=1
	ds_store_b16 v17, v7
; %bb.102:                              ;   in Loop: Header=BB107_20 Depth=1
	s_wait_alu 0xfffe
	s_or_b32 exec_lo, exec_lo, s17
	v_and_b32_e32 v13, s19, v13
	v_or_b32_e32 v32, s12, v32
	s_mov_b32 s17, -1
	s_mov_b32 s20, 0
	s_cmp_eq_u32 s23, 0
	s_mov_b32 s22, 0
	s_mov_b32 s24, -1
	s_wait_loadcnt_dscnt 0x0
	s_barrier_signal -1
	s_barrier_wait -1
	global_inv scope:SCOPE_SE
                                        ; implicit-def: $vgpr33
	s_cbranch_scc1 .LBB107_113
; %bb.103:                              ;   in Loop: Header=BB107_20 Depth=1
	s_add_co_i32 s46, s23, s58
                                        ; implicit-def: $vgpr33
	s_wait_alu 0xfffe
	s_mul_u64 s[24:25], s[46:47], s[50:51]
	s_wait_alu 0xfffe
	s_mul_i32 s22, s25, s37
	s_mov_b32 s25, exec_lo
	s_wait_alu 0xfffe
	s_sub_co_i32 s22, s46, s22
	s_wait_alu 0xfffe
	s_sub_co_i32 s24, s22, s37
	s_cmp_ge_u32 s22, s37
	s_wait_alu 0xfffe
	s_cselect_b32 s22, s24, s22
	s_wait_alu 0xfffe
	s_sub_co_i32 s24, s22, s37
	s_cmp_ge_u32 s22, s37
	s_wait_alu 0xfffe
	s_cselect_b32 s22, s24, s22
	s_mov_b32 s24, 0
	s_wait_alu 0xfffe
	s_sub_co_i32 s26, s46, s22
	s_mov_b32 s22, 0
	s_wait_alu 0xfffe
	v_cmpx_gt_u32_e64 s26, v0
	s_cbranch_execz .LBB107_112
; %bb.104:                              ;   in Loop: Header=BB107_20 Depth=1
	v_dual_mov_b32 v1, v16 :: v_dual_mov_b32 v2, v0
                                        ; implicit-def: $sgpr27
	s_branch .LBB107_107
.LBB107_105:                            ;   in Loop: Header=BB107_107 Depth=2
	s_wait_alu 0xfffe
	s_or_b32 exec_lo, exec_lo, s28
	s_wait_loadcnt_dscnt 0x0
	s_barrier_signal -1
	s_barrier_wait -1
	global_inv scope:SCOPE_SE
	ds_load_b32 v3, v7 offset:3072
	s_mov_b32 s28, -1
	s_mov_b32 s29, -1
	s_wait_loadcnt_dscnt 0x0
	s_barrier_signal -1
	s_barrier_wait -1
	global_inv scope:SCOPE_SE
	v_and_b32_e32 v4, 0xffff, v3
	s_delay_alu instid0(VALU_DEP_1)
	v_cmp_ne_u32_e32 vcc_lo, 0, v4
	s_cbranch_vccz .LBB107_110
.LBB107_106:                            ;   in Loop: Header=BB107_107 Depth=2
	s_wait_alu 0xfffe
	s_and_b32 s28, exec_lo, s28
	s_wait_alu 0xfffe
	s_or_b32 s22, s28, s22
	s_and_not1_b32 s27, s27, exec_lo
	s_and_b32 s28, s29, exec_lo
	s_wait_alu 0xfffe
	s_or_b32 s27, s27, s28
	s_and_not1_b32 exec_lo, exec_lo, s22
	s_cbranch_execz .LBB107_111
.LBB107_107:                            ;   Parent Loop BB107_20 Depth=1
                                        ; =>  This Inner Loop Header: Depth=2
	s_mov_b32 s28, exec_lo
	s_delay_alu instid0(VALU_DEP_1)
	v_cmpx_gt_u32_e64 s23, v2
	s_cbranch_execz .LBB107_105
; %bb.108:                              ;   in Loop: Header=BB107_107 Depth=2
	ds_load_u16 v3, v1
	s_wait_dscnt 0x0
	v_bfe_i32 v4, v3, 0, 16
	s_delay_alu instid0(VALU_DEP_1) | instskip(NEXT) | instid1(VALU_DEP_1)
	v_add_nc_u32_e32 v4, 0x8000, v4
	v_and_b32_e32 v4, v4, v32
	s_delay_alu instid0(VALU_DEP_1)
	v_cmp_eq_u32_e32 vcc_lo, v4, v13
	s_and_b32 exec_lo, exec_lo, vcc_lo
	s_cbranch_execz .LBB107_105
; %bb.109:                              ;   in Loop: Header=BB107_107 Depth=2
	v_perm_b32 v3, v3, 1, 0x5040100
	ds_store_b32 v7, v3 offset:3072
	s_branch .LBB107_105
.LBB107_110:                            ;   in Loop: Header=BB107_107 Depth=2
	v_add_nc_u32_e32 v2, s37, v2
	v_add_nc_u32_e32 v1, s70, v1
	s_mov_b32 s29, 0
	s_delay_alu instid0(VALU_DEP_2)
	v_cmp_le_u32_e32 vcc_lo, s26, v2
	s_or_not1_b32 s28, vcc_lo, exec_lo
	s_branch .LBB107_106
.LBB107_111:                            ;   in Loop: Header=BB107_20 Depth=1
	s_or_b32 exec_lo, exec_lo, s22
	v_lshrrev_b32_e32 v33, 16, v3
	s_wait_alu 0xfffe
	s_and_b32 s22, s27, exec_lo
.LBB107_112:                            ;   in Loop: Header=BB107_20 Depth=1
	s_or_b32 exec_lo, exec_lo, s25
.LBB107_113:                            ;   in Loop: Header=BB107_20 Depth=1
	s_wait_alu 0xfffe
	s_and_b32 vcc_lo, exec_lo, s24
	s_wait_alu 0xfffe
	s_cbranch_vccz .LBB107_124
; %bb.114:                              ;   in Loop: Header=BB107_20 Depth=1
                                        ; implicit-def: $vgpr33
	s_and_saveexec_b32 s17, s10
	s_cbranch_execz .LBB107_123
; %bb.115:                              ;   in Loop: Header=BB107_20 Depth=1
	v_dual_mov_b32 v6, v5 :: v_dual_mov_b32 v1, v0
	s_mov_b32 s20, 0
                                        ; implicit-def: $sgpr23
	s_branch .LBB107_118
.LBB107_116:                            ;   in Loop: Header=BB107_118 Depth=2
	s_wait_alu 0xfffe
	s_or_b32 exec_lo, exec_lo, s24
	s_wait_loadcnt_dscnt 0x0
	s_barrier_signal -1
	s_barrier_wait -1
	global_inv scope:SCOPE_SE
	ds_load_b32 v2, v7 offset:3072
	s_mov_b32 s24, -1
	s_mov_b32 s25, -1
	s_wait_loadcnt_dscnt 0x0
	s_barrier_signal -1
	s_barrier_wait -1
	global_inv scope:SCOPE_SE
	v_and_b32_e32 v3, 0xffff, v2
	s_delay_alu instid0(VALU_DEP_1)
	v_cmp_ne_u32_e32 vcc_lo, 0, v3
	s_cbranch_vccz .LBB107_121
.LBB107_117:                            ;   in Loop: Header=BB107_118 Depth=2
	s_wait_alu 0xfffe
	s_and_b32 s24, exec_lo, s24
	s_wait_alu 0xfffe
	s_or_b32 s20, s24, s20
	s_and_not1_b32 s23, s23, exec_lo
	s_and_b32 s24, s25, exec_lo
	s_wait_alu 0xfffe
	s_or_b32 s23, s23, s24
	s_and_not1_b32 exec_lo, exec_lo, s20
	s_cbranch_execz .LBB107_122
.LBB107_118:                            ;   Parent Loop BB107_20 Depth=1
                                        ; =>  This Inner Loop Header: Depth=2
	s_mov_b32 s24, exec_lo
	s_delay_alu instid0(VALU_DEP_1)
	v_cmpx_gt_u32_e64 s36, v1
	s_cbranch_execz .LBB107_116
; %bb.119:                              ;   in Loop: Header=BB107_118 Depth=2
	v_lshlrev_b64_e32 v[2:3], 1, v[6:7]
	s_delay_alu instid0(VALU_DEP_1) | instskip(SKIP_1) | instid1(VALU_DEP_2)
	v_add_co_u32 v2, vcc_lo, s42, v2
	s_wait_alu 0xfffd
	v_add_co_ci_u32_e64 v3, null, s43, v3, vcc_lo
	global_load_u16 v2, v[2:3], off
	s_wait_loadcnt 0x0
	v_bfe_i32 v3, v2, 0, 16
	s_delay_alu instid0(VALU_DEP_1) | instskip(NEXT) | instid1(VALU_DEP_1)
	v_add_nc_u32_e32 v3, 0x8000, v3
	v_and_b32_e32 v3, v3, v32
	s_delay_alu instid0(VALU_DEP_1)
	v_cmp_eq_u32_e32 vcc_lo, v3, v13
	s_and_b32 exec_lo, exec_lo, vcc_lo
	s_cbranch_execz .LBB107_116
; %bb.120:                              ;   in Loop: Header=BB107_118 Depth=2
	v_perm_b32 v2, v2, 1, 0x5040100
	ds_store_b32 v7, v2 offset:3072
	s_branch .LBB107_116
.LBB107_121:                            ;   in Loop: Header=BB107_118 Depth=2
	v_add_nc_u32_e32 v1, s37, v1
	v_add_nc_u32_e32 v6, s60, v6
	s_mov_b32 s25, 0
	s_delay_alu instid0(VALU_DEP_2)
	v_cmp_le_u32_e32 vcc_lo, s67, v1
	s_or_not1_b32 s24, vcc_lo, exec_lo
	s_branch .LBB107_117
.LBB107_122:                            ;   in Loop: Header=BB107_20 Depth=1
	s_or_b32 exec_lo, exec_lo, s20
	v_lshrrev_b32_e32 v33, 16, v2
	s_and_not1_b32 s20, s22, exec_lo
	s_wait_alu 0xfffe
	s_and_b32 s22, s23, exec_lo
	s_wait_alu 0xfffe
	s_or_b32 s22, s20, s22
.LBB107_123:                            ;   in Loop: Header=BB107_20 Depth=1
	s_wait_alu 0xfffe
	s_or_b32 exec_lo, exec_lo, s17
	s_mov_b32 s17, 0
	s_mov_b32 s20, -1
.LBB107_124:                            ;   in Loop: Header=BB107_20 Depth=1
	s_or_not1_b32 s23, s22, exec_lo
.LBB107_125:                            ;   in Loop: Header=BB107_20 Depth=1
	s_wait_alu 0xfffe
	s_or_b32 exec_lo, exec_lo, s13
	v_readfirstlane_b32 s22, v0
	s_and_not1_b32 s13, s76, exec_lo
	s_and_b32 s20, s20, exec_lo
	s_and_not1_b32 s24, s74, exec_lo
	s_and_b32 s17, s17, exec_lo
	s_and_not1_b32 s73, s73, exec_lo
	s_wait_alu 0xfffe
	s_or_b32 s76, s13, s20
	s_or_b32 s74, s24, s17
                                        ; implicit-def: $vgpr2
	s_and_saveexec_b32 s13, s23
	s_cbranch_execz .LBB107_19
; %bb.126:                              ;   in Loop: Header=BB107_20 Depth=1
	v_dual_mov_b32 v2, 1 :: v_dual_mov_b32 v1, 1
	s_xor_b32 s16, s16, -1
	s_mov_b32 s22, 0
	s_wait_alu 0xfffe
	s_and_saveexec_b32 s15, s16
	s_cbranch_execz .LBB107_135
; %bb.127:                              ;   in Loop: Header=BB107_20 Depth=1
	s_mov_b32 s16, exec_lo
	v_cmpx_ge_u32_e64 s14, v34
	s_wait_alu 0xfffe
	s_xor_b32 s16, exec_lo, s16
	s_cbranch_execz .LBB107_132
; %bb.128:                              ;   in Loop: Header=BB107_20 Depth=1
	ds_load_b32 v1, v7 offset:4104
	v_and_b32_e32 v13, s19, v13
	v_or_b32_e32 v32, s12, v32
	s_wait_dscnt 0x0
	v_cmp_ne_u32_e32 vcc_lo, 0, v1
	s_cbranch_vccnz .LBB107_132
; %bb.129:                              ;   in Loop: Header=BB107_20 Depth=1
	s_and_saveexec_b32 s17, s2
; %bb.130:                              ;   in Loop: Header=BB107_20 Depth=1
	v_mov_b32_e32 v1, s14
	ds_store_b32 v7, v1 offset:4108
; %bb.131:                              ;   in Loop: Header=BB107_20 Depth=1
	s_wait_alu 0xfffe
	s_or_b32 exec_lo, exec_lo, s17
	s_wait_loadcnt_dscnt 0x0
	s_barrier_signal -1
	s_barrier_wait -1
	global_inv scope:SCOPE_SE
.LBB107_132:                            ;   in Loop: Header=BB107_20 Depth=1
	s_wait_alu 0xfffe
	s_or_saveexec_b32 s16, s16
	v_mov_b32_e32 v1, 8
	s_mov_b32 s17, 0
	s_wait_alu 0xfffe
	s_xor_b32 exec_lo, exec_lo, s16
; %bb.133:                              ;   in Loop: Header=BB107_20 Depth=1
	v_subrev_nc_u32_e32 v34, s14, v34
	v_mov_b32_e32 v1, 0
	s_mov_b32 s17, exec_lo
; %bb.134:                              ;   in Loop: Header=BB107_20 Depth=1
	s_or_b32 exec_lo, exec_lo, s16
	s_delay_alu instid0(VALU_DEP_2)
	v_mov_b32_e32 v2, v34
	s_wait_alu 0xfffe
	s_and_b32 s22, s17, exec_lo
.LBB107_135:                            ;   in Loop: Header=BB107_20 Depth=1
	s_wait_alu 0xfffe
	s_or_b32 exec_lo, exec_lo, s15
	s_mov_b32 s14, -1
	s_mov_b32 s20, -1
                                        ; implicit-def: $sgpr16
                                        ; implicit-def: $sgpr17
	s_and_saveexec_b32 s15, s22
	s_wait_alu 0xfffe
	s_xor_b32 s15, exec_lo, s15
	s_cbranch_execz .LBB107_252
; %bb.136:                              ;   in Loop: Header=BB107_20 Depth=1
	v_cmp_eq_u32_e32 vcc_lo, 1, v2
	s_cmp_eq_u32 s21, 1
	s_mov_b32 s23, -1
	s_cselect_b32 s16, -1, 0
                                        ; implicit-def: $sgpr17
	s_wait_alu 0xfffe
	s_and_b32 s22, s16, vcc_lo
                                        ; implicit-def: $sgpr16
	s_wait_alu 0xfffe
	s_and_saveexec_b32 s20, s22
	s_cbranch_execz .LBB107_162
; %bb.137:                              ;   in Loop: Header=BB107_20 Depth=1
	ds_load_b32 v3, v7 offset:4104
	s_wait_loadcnt_dscnt 0x0
	s_barrier_signal -1
	s_barrier_wait -1
	global_inv scope:SCOPE_SE
	v_readfirstlane_b32 s24, v3
	s_and_saveexec_b32 s16, s3
; %bb.138:                              ;   in Loop: Header=BB107_20 Depth=1
	ds_store_b16 v17, v7
; %bb.139:                              ;   in Loop: Header=BB107_20 Depth=1
	s_wait_alu 0xfffe
	s_or_b32 exec_lo, exec_lo, s16
	s_lshl_b32 s16, 1, s78
	v_or_b32_e32 v32, s12, v32
	s_wait_alu 0xfffe
	v_and_or_b32 v13, v13, s19, s16
	s_mov_b32 s16, -1
	s_mov_b32 s17, 0
	s_cmp_eq_u32 s24, 0
	s_mov_b32 s23, 0
	s_mov_b32 s25, -1
	s_wait_loadcnt_dscnt 0x0
	s_barrier_signal -1
	s_barrier_wait -1
	global_inv scope:SCOPE_SE
                                        ; implicit-def: $vgpr33
	s_cbranch_scc1 .LBB107_150
; %bb.140:                              ;   in Loop: Header=BB107_20 Depth=1
	s_add_co_i32 s46, s24, s58
                                        ; implicit-def: $vgpr33
	s_wait_alu 0xfffe
	s_mul_u64 s[26:27], s[46:47], s[50:51]
	s_mov_b32 s26, exec_lo
	s_wait_alu 0xfffe
	s_mul_i32 s23, s27, s37
	s_wait_alu 0xfffe
	s_sub_co_i32 s23, s46, s23
	s_wait_alu 0xfffe
	s_sub_co_i32 s25, s23, s37
	s_cmp_ge_u32 s23, s37
	s_wait_alu 0xfffe
	s_cselect_b32 s23, s25, s23
	s_wait_alu 0xfffe
	s_sub_co_i32 s25, s23, s37
	s_cmp_ge_u32 s23, s37
	s_wait_alu 0xfffe
	s_cselect_b32 s23, s25, s23
	s_mov_b32 s25, 0
	s_wait_alu 0xfffe
	s_sub_co_i32 s27, s46, s23
	s_mov_b32 s23, 0
	s_wait_alu 0xfffe
	v_cmpx_gt_u32_e64 s27, v0
	s_cbranch_execz .LBB107_149
; %bb.141:                              ;   in Loop: Header=BB107_20 Depth=1
	v_dual_mov_b32 v3, v16 :: v_dual_mov_b32 v4, v0
                                        ; implicit-def: $sgpr28
	s_branch .LBB107_144
.LBB107_142:                            ;   in Loop: Header=BB107_144 Depth=2
	s_wait_alu 0xfffe
	s_or_b32 exec_lo, exec_lo, s29
	s_wait_loadcnt_dscnt 0x0
	s_barrier_signal -1
	s_barrier_wait -1
	global_inv scope:SCOPE_SE
	ds_load_b32 v6, v7 offset:3072
	s_mov_b32 s29, -1
	s_mov_b32 s30, -1
	s_wait_loadcnt_dscnt 0x0
	s_barrier_signal -1
	s_barrier_wait -1
	global_inv scope:SCOPE_SE
	v_and_b32_e32 v33, 0xffff, v6
	s_delay_alu instid0(VALU_DEP_1)
	v_cmp_ne_u32_e32 vcc_lo, 0, v33
	s_cbranch_vccz .LBB107_147
.LBB107_143:                            ;   in Loop: Header=BB107_144 Depth=2
	s_wait_alu 0xfffe
	s_and_b32 s29, exec_lo, s29
	s_wait_alu 0xfffe
	s_or_b32 s23, s29, s23
	s_and_not1_b32 s28, s28, exec_lo
	s_and_b32 s29, s30, exec_lo
	s_wait_alu 0xfffe
	s_or_b32 s28, s28, s29
	s_and_not1_b32 exec_lo, exec_lo, s23
	s_cbranch_execz .LBB107_148
.LBB107_144:                            ;   Parent Loop BB107_20 Depth=1
                                        ; =>  This Inner Loop Header: Depth=2
	s_mov_b32 s29, exec_lo
	s_delay_alu instid0(VALU_DEP_1)
	v_cmpx_gt_u32_e64 s24, v4
	s_cbranch_execz .LBB107_142
; %bb.145:                              ;   in Loop: Header=BB107_144 Depth=2
	ds_load_u16 v6, v3
	s_wait_dscnt 0x0
	v_bfe_i32 v33, v6, 0, 16
	s_delay_alu instid0(VALU_DEP_1) | instskip(NEXT) | instid1(VALU_DEP_1)
	v_add_nc_u32_e32 v33, 0x8000, v33
	v_and_b32_e32 v33, v33, v32
	s_delay_alu instid0(VALU_DEP_1)
	v_cmp_eq_u32_e32 vcc_lo, v33, v13
	s_and_b32 exec_lo, exec_lo, vcc_lo
	s_cbranch_execz .LBB107_142
; %bb.146:                              ;   in Loop: Header=BB107_144 Depth=2
	v_perm_b32 v6, v6, 1, 0x5040100
	ds_store_b32 v7, v6 offset:3072
	s_branch .LBB107_142
.LBB107_147:                            ;   in Loop: Header=BB107_144 Depth=2
	v_add_nc_u32_e32 v4, s37, v4
	v_add_nc_u32_e32 v3, s70, v3
	s_mov_b32 s30, 0
	s_delay_alu instid0(VALU_DEP_2)
	v_cmp_le_u32_e32 vcc_lo, s27, v4
	s_or_not1_b32 s29, vcc_lo, exec_lo
	s_branch .LBB107_143
.LBB107_148:                            ;   in Loop: Header=BB107_20 Depth=1
	s_or_b32 exec_lo, exec_lo, s23
	v_lshrrev_b32_e32 v33, 16, v6
	s_wait_alu 0xfffe
	s_and_b32 s23, s28, exec_lo
.LBB107_149:                            ;   in Loop: Header=BB107_20 Depth=1
	s_or_b32 exec_lo, exec_lo, s26
.LBB107_150:                            ;   in Loop: Header=BB107_20 Depth=1
	s_wait_alu 0xfffe
	s_and_b32 vcc_lo, exec_lo, s25
	s_wait_alu 0xfffe
	s_cbranch_vccz .LBB107_161
; %bb.151:                              ;   in Loop: Header=BB107_20 Depth=1
                                        ; implicit-def: $vgpr33
	s_and_saveexec_b32 s16, s10
	s_cbranch_execz .LBB107_160
; %bb.152:                              ;   in Loop: Header=BB107_20 Depth=1
	v_dual_mov_b32 v6, v5 :: v_dual_mov_b32 v3, v0
	s_mov_b32 s17, 0
                                        ; implicit-def: $sgpr24
	s_branch .LBB107_155
.LBB107_153:                            ;   in Loop: Header=BB107_155 Depth=2
	s_wait_alu 0xfffe
	s_or_b32 exec_lo, exec_lo, s25
	s_wait_loadcnt_dscnt 0x0
	s_barrier_signal -1
	s_barrier_wait -1
	global_inv scope:SCOPE_SE
	ds_load_b32 v4, v7 offset:3072
	s_mov_b32 s25, -1
	s_mov_b32 s26, -1
	s_wait_loadcnt_dscnt 0x0
	s_barrier_signal -1
	s_barrier_wait -1
	global_inv scope:SCOPE_SE
	v_and_b32_e32 v33, 0xffff, v4
	s_delay_alu instid0(VALU_DEP_1)
	v_cmp_eq_u32_e32 vcc_lo, 0, v33
	s_cbranch_vccnz .LBB107_158
.LBB107_154:                            ;   in Loop: Header=BB107_155 Depth=2
	s_wait_alu 0xfffe
	s_and_b32 s25, exec_lo, s25
	s_wait_alu 0xfffe
	s_or_b32 s17, s25, s17
	s_and_not1_b32 s24, s24, exec_lo
	s_and_b32 s25, s26, exec_lo
	s_wait_alu 0xfffe
	s_or_b32 s24, s24, s25
	s_and_not1_b32 exec_lo, exec_lo, s17
	s_cbranch_execz .LBB107_159
.LBB107_155:                            ;   Parent Loop BB107_20 Depth=1
                                        ; =>  This Inner Loop Header: Depth=2
	s_mov_b32 s25, exec_lo
	s_delay_alu instid0(VALU_DEP_1)
	v_cmpx_gt_u32_e64 s36, v3
	s_cbranch_execz .LBB107_153
; %bb.156:                              ;   in Loop: Header=BB107_155 Depth=2
	v_lshlrev_b64_e32 v[33:34], 1, v[6:7]
	s_delay_alu instid0(VALU_DEP_1) | instskip(SKIP_1) | instid1(VALU_DEP_2)
	v_add_co_u32 v33, vcc_lo, s42, v33
	s_wait_alu 0xfffd
	v_add_co_ci_u32_e64 v34, null, s43, v34, vcc_lo
	global_load_u16 v4, v[33:34], off
	s_wait_loadcnt 0x0
	v_bfe_i32 v33, v4, 0, 16
	s_delay_alu instid0(VALU_DEP_1) | instskip(NEXT) | instid1(VALU_DEP_1)
	v_add_nc_u32_e32 v33, 0x8000, v33
	v_and_b32_e32 v33, v33, v32
	s_delay_alu instid0(VALU_DEP_1)
	v_cmp_eq_u32_e32 vcc_lo, v33, v13
	s_and_b32 exec_lo, exec_lo, vcc_lo
	s_cbranch_execz .LBB107_153
; %bb.157:                              ;   in Loop: Header=BB107_155 Depth=2
	v_perm_b32 v4, v4, 1, 0x5040100
	ds_store_b32 v7, v4 offset:3072
	s_branch .LBB107_153
.LBB107_158:                            ;   in Loop: Header=BB107_155 Depth=2
	v_add_nc_u32_e32 v3, s37, v3
	v_add_nc_u32_e32 v6, s60, v6
	s_mov_b32 s26, 0
	s_delay_alu instid0(VALU_DEP_2)
	v_cmp_le_u32_e32 vcc_lo, s67, v3
	s_or_not1_b32 s25, vcc_lo, exec_lo
	s_branch .LBB107_154
.LBB107_159:                            ;   in Loop: Header=BB107_20 Depth=1
	s_or_b32 exec_lo, exec_lo, s17
	v_lshrrev_b32_e32 v33, 16, v4
	s_and_not1_b32 s17, s23, exec_lo
	s_wait_alu 0xfffe
	s_and_b32 s23, s24, exec_lo
	s_wait_alu 0xfffe
	s_or_b32 s23, s17, s23
.LBB107_160:                            ;   in Loop: Header=BB107_20 Depth=1
	s_wait_alu 0xfffe
	s_or_b32 exec_lo, exec_lo, s16
	s_mov_b32 s16, 0
	s_mov_b32 s17, -1
.LBB107_161:                            ;   in Loop: Header=BB107_20 Depth=1
	s_or_not1_b32 s23, s23, exec_lo
.LBB107_162:                            ;   in Loop: Header=BB107_20 Depth=1
	s_wait_alu 0xfffe
	s_or_b32 exec_lo, exec_lo, s20
	s_mov_b32 s24, 0
	s_and_saveexec_b32 s20, s23
	s_cbranch_execz .LBB107_251
; %bb.163:                              ;   in Loop: Header=BB107_20 Depth=1
	v_mov_b32_e32 v3, 1
	v_mov_b32_e32 v1, 1
	s_xor_b32 s23, s22, -1
	s_mov_b32 s25, 0
	s_wait_alu 0xfffe
	s_and_saveexec_b32 s22, s23
	s_cbranch_execz .LBB107_172
; %bb.164:                              ;   in Loop: Header=BB107_20 Depth=1
	s_mov_b32 s23, exec_lo
	v_cmpx_ge_u32_e64 s21, v2
	s_wait_alu 0xfffe
	s_xor_b32 s23, exec_lo, s23
	s_cbranch_execz .LBB107_169
; %bb.165:                              ;   in Loop: Header=BB107_20 Depth=1
	ds_load_b32 v1, v7 offset:4104
	s_lshl_b32 s24, 1, s78
	v_or_b32_e32 v32, s12, v32
	s_wait_alu 0xfffe
	v_and_or_b32 v13, v13, s19, s24
	s_wait_dscnt 0x0
	v_cmp_ne_u32_e32 vcc_lo, 0, v1
	s_cbranch_vccnz .LBB107_169
; %bb.166:                              ;   in Loop: Header=BB107_20 Depth=1
	s_and_saveexec_b32 s24, s2
; %bb.167:                              ;   in Loop: Header=BB107_20 Depth=1
	v_mov_b32_e32 v1, s21
	ds_store_b32 v7, v1 offset:4108
; %bb.168:                              ;   in Loop: Header=BB107_20 Depth=1
	s_wait_alu 0xfffe
	s_or_b32 exec_lo, exec_lo, s24
	s_wait_loadcnt_dscnt 0x0
	s_barrier_signal -1
	s_barrier_wait -1
	global_inv scope:SCOPE_SE
.LBB107_169:                            ;   in Loop: Header=BB107_20 Depth=1
	s_wait_alu 0xfffe
	s_or_saveexec_b32 s23, s23
	v_mov_b32_e32 v1, 8
	s_mov_b32 s24, 0
	s_wait_alu 0xfffe
	s_xor_b32 exec_lo, exec_lo, s23
; %bb.170:                              ;   in Loop: Header=BB107_20 Depth=1
	v_subrev_nc_u32_e32 v2, s21, v2
	v_mov_b32_e32 v1, 0
	s_mov_b32 s24, exec_lo
; %bb.171:                              ;   in Loop: Header=BB107_20 Depth=1
	s_or_b32 exec_lo, exec_lo, s23
	s_delay_alu instid0(VALU_DEP_2)
	v_mov_b32_e32 v3, v2
	s_wait_alu 0xfffe
	s_and_b32 s25, s24, exec_lo
.LBB107_172:                            ;   in Loop: Header=BB107_20 Depth=1
	s_wait_alu 0xfffe
	s_or_b32 exec_lo, exec_lo, s22
	s_mov_b32 s24, -1
                                        ; implicit-def: $sgpr22
                                        ; implicit-def: $sgpr23
	s_and_saveexec_b32 s21, s25
	s_cbranch_execz .LBB107_250
; %bb.173:                              ;   in Loop: Header=BB107_20 Depth=1
	v_cmp_eq_u32_e32 vcc_lo, 1, v3
	s_cmp_eq_u32 s18, 1
	s_mov_b32 s26, -1
	s_cselect_b32 s22, -1, 0
                                        ; implicit-def: $sgpr23
	s_wait_alu 0xfffe
	s_and_b32 s25, s22, vcc_lo
                                        ; implicit-def: $sgpr22
	s_wait_alu 0xfffe
	s_and_saveexec_b32 s24, s25
	s_cbranch_execz .LBB107_199
; %bb.174:                              ;   in Loop: Header=BB107_20 Depth=1
	ds_load_b32 v2, v7 offset:4104
	s_wait_loadcnt_dscnt 0x0
	s_barrier_signal -1
	s_barrier_wait -1
	global_inv scope:SCOPE_SE
	v_readfirstlane_b32 s27, v2
	s_and_saveexec_b32 s22, s3
; %bb.175:                              ;   in Loop: Header=BB107_20 Depth=1
	ds_store_b16 v17, v7
; %bb.176:                              ;   in Loop: Header=BB107_20 Depth=1
	s_wait_alu 0xfffe
	s_or_b32 exec_lo, exec_lo, s22
	s_lshl_b32 s22, 2, s78
	v_or_b32_e32 v32, s12, v32
	s_wait_alu 0xfffe
	v_and_or_b32 v13, v13, s19, s22
	s_mov_b32 s22, -1
	s_mov_b32 s23, 0
	s_cmp_eq_u32 s27, 0
	s_mov_b32 s26, 0
	s_mov_b32 s28, -1
	s_wait_loadcnt_dscnt 0x0
	s_barrier_signal -1
	s_barrier_wait -1
	global_inv scope:SCOPE_SE
                                        ; implicit-def: $vgpr33
	s_cbranch_scc1 .LBB107_187
; %bb.177:                              ;   in Loop: Header=BB107_20 Depth=1
	s_add_co_i32 s46, s27, s58
                                        ; implicit-def: $vgpr33
	s_wait_alu 0xfffe
	s_mul_u64 s[28:29], s[46:47], s[50:51]
	s_wait_alu 0xfffe
	s_mul_i32 s26, s29, s37
	s_mov_b32 s29, exec_lo
	s_wait_alu 0xfffe
	s_sub_co_i32 s26, s46, s26
	s_wait_alu 0xfffe
	s_sub_co_i32 s28, s26, s37
	s_cmp_ge_u32 s26, s37
	s_wait_alu 0xfffe
	s_cselect_b32 s26, s28, s26
	s_wait_alu 0xfffe
	s_sub_co_i32 s28, s26, s37
	s_cmp_ge_u32 s26, s37
	s_wait_alu 0xfffe
	s_cselect_b32 s26, s28, s26
	s_mov_b32 s28, 0
	s_wait_alu 0xfffe
	s_sub_co_i32 s30, s46, s26
	s_mov_b32 s26, 0
	s_wait_alu 0xfffe
	v_cmpx_gt_u32_e64 s30, v0
	s_cbranch_execz .LBB107_186
; %bb.178:                              ;   in Loop: Header=BB107_20 Depth=1
	v_mov_b32_e32 v2, v16
	v_mov_b32_e32 v4, v0
                                        ; implicit-def: $sgpr46
	s_branch .LBB107_181
.LBB107_179:                            ;   in Loop: Header=BB107_181 Depth=2
	s_wait_alu 0xfffe
	s_or_b32 exec_lo, exec_lo, s79
	s_wait_loadcnt_dscnt 0x0
	s_barrier_signal -1
	s_barrier_wait -1
	global_inv scope:SCOPE_SE
	ds_load_b32 v6, v7 offset:3072
	s_mov_b32 s79, -1
	s_mov_b32 s80, -1
	s_wait_loadcnt_dscnt 0x0
	s_barrier_signal -1
	s_barrier_wait -1
	global_inv scope:SCOPE_SE
	v_and_b32_e32 v33, 0xffff, v6
	s_delay_alu instid0(VALU_DEP_1)
	v_cmp_ne_u32_e32 vcc_lo, 0, v33
	s_cbranch_vccz .LBB107_184
.LBB107_180:                            ;   in Loop: Header=BB107_181 Depth=2
	s_wait_alu 0xfffe
	s_and_b32 s79, exec_lo, s79
	s_wait_alu 0xfffe
	s_or_b32 s26, s79, s26
	s_and_not1_b32 s46, s46, exec_lo
	s_and_b32 s79, s80, exec_lo
	s_wait_alu 0xfffe
	s_or_b32 s46, s46, s79
	s_and_not1_b32 exec_lo, exec_lo, s26
	s_cbranch_execz .LBB107_185
.LBB107_181:                            ;   Parent Loop BB107_20 Depth=1
                                        ; =>  This Inner Loop Header: Depth=2
	s_mov_b32 s79, exec_lo
	s_delay_alu instid0(VALU_DEP_1)
	v_cmpx_gt_u32_e64 s27, v4
	s_cbranch_execz .LBB107_179
; %bb.182:                              ;   in Loop: Header=BB107_181 Depth=2
	ds_load_u16 v6, v2
	s_wait_dscnt 0x0
	v_bfe_i32 v33, v6, 0, 16
	s_delay_alu instid0(VALU_DEP_1) | instskip(NEXT) | instid1(VALU_DEP_1)
	v_add_nc_u32_e32 v33, 0x8000, v33
	v_and_b32_e32 v33, v33, v32
	s_delay_alu instid0(VALU_DEP_1)
	v_cmp_eq_u32_e32 vcc_lo, v33, v13
	s_and_b32 exec_lo, exec_lo, vcc_lo
	s_cbranch_execz .LBB107_179
; %bb.183:                              ;   in Loop: Header=BB107_181 Depth=2
	v_perm_b32 v6, v6, 1, 0x5040100
	ds_store_b32 v7, v6 offset:3072
	s_branch .LBB107_179
.LBB107_184:                            ;   in Loop: Header=BB107_181 Depth=2
	v_add_nc_u32_e32 v4, s37, v4
	v_add_nc_u32_e32 v2, s70, v2
	s_mov_b32 s80, 0
	s_delay_alu instid0(VALU_DEP_2)
	v_cmp_le_u32_e32 vcc_lo, s30, v4
	s_or_not1_b32 s79, vcc_lo, exec_lo
	s_branch .LBB107_180
.LBB107_185:                            ;   in Loop: Header=BB107_20 Depth=1
	s_or_b32 exec_lo, exec_lo, s26
	v_lshrrev_b32_e32 v33, 16, v6
	s_wait_alu 0xfffe
	s_and_b32 s26, s46, exec_lo
.LBB107_186:                            ;   in Loop: Header=BB107_20 Depth=1
	s_or_b32 exec_lo, exec_lo, s29
.LBB107_187:                            ;   in Loop: Header=BB107_20 Depth=1
	s_wait_alu 0xfffe
	s_and_b32 vcc_lo, exec_lo, s28
	s_wait_alu 0xfffe
	s_cbranch_vccz .LBB107_198
; %bb.188:                              ;   in Loop: Header=BB107_20 Depth=1
                                        ; implicit-def: $vgpr33
	s_and_saveexec_b32 s22, s10
	s_cbranch_execz .LBB107_197
; %bb.189:                              ;   in Loop: Header=BB107_20 Depth=1
	v_mov_b32_e32 v6, v5
	v_mov_b32_e32 v2, v0
	s_mov_b32 s23, 0
                                        ; implicit-def: $sgpr27
	s_branch .LBB107_192
.LBB107_190:                            ;   in Loop: Header=BB107_192 Depth=2
	s_wait_alu 0xfffe
	s_or_b32 exec_lo, exec_lo, s28
	s_wait_loadcnt_dscnt 0x0
	s_barrier_signal -1
	s_barrier_wait -1
	global_inv scope:SCOPE_SE
	ds_load_b32 v4, v7 offset:3072
	s_mov_b32 s28, -1
	s_mov_b32 s29, -1
	s_wait_loadcnt_dscnt 0x0
	s_barrier_signal -1
	s_barrier_wait -1
	global_inv scope:SCOPE_SE
	v_and_b32_e32 v33, 0xffff, v4
	s_delay_alu instid0(VALU_DEP_1)
	v_cmp_eq_u32_e32 vcc_lo, 0, v33
	s_cbranch_vccnz .LBB107_195
.LBB107_191:                            ;   in Loop: Header=BB107_192 Depth=2
	s_wait_alu 0xfffe
	s_and_b32 s28, exec_lo, s28
	s_wait_alu 0xfffe
	s_or_b32 s23, s28, s23
	s_and_not1_b32 s27, s27, exec_lo
	s_and_b32 s28, s29, exec_lo
	s_wait_alu 0xfffe
	s_or_b32 s27, s27, s28
	s_and_not1_b32 exec_lo, exec_lo, s23
	s_cbranch_execz .LBB107_196
.LBB107_192:                            ;   Parent Loop BB107_20 Depth=1
                                        ; =>  This Inner Loop Header: Depth=2
	s_mov_b32 s28, exec_lo
	s_delay_alu instid0(VALU_DEP_1)
	v_cmpx_gt_u32_e64 s36, v2
	s_cbranch_execz .LBB107_190
; %bb.193:                              ;   in Loop: Header=BB107_192 Depth=2
	v_lshlrev_b64_e32 v[33:34], 1, v[6:7]
	s_delay_alu instid0(VALU_DEP_1) | instskip(SKIP_1) | instid1(VALU_DEP_2)
	v_add_co_u32 v33, vcc_lo, s42, v33
	s_wait_alu 0xfffd
	v_add_co_ci_u32_e64 v34, null, s43, v34, vcc_lo
	global_load_u16 v4, v[33:34], off
	s_wait_loadcnt 0x0
	v_bfe_i32 v33, v4, 0, 16
	s_delay_alu instid0(VALU_DEP_1) | instskip(NEXT) | instid1(VALU_DEP_1)
	v_add_nc_u32_e32 v33, 0x8000, v33
	v_and_b32_e32 v33, v33, v32
	s_delay_alu instid0(VALU_DEP_1)
	v_cmp_eq_u32_e32 vcc_lo, v33, v13
	s_and_b32 exec_lo, exec_lo, vcc_lo
	s_cbranch_execz .LBB107_190
; %bb.194:                              ;   in Loop: Header=BB107_192 Depth=2
	v_perm_b32 v4, v4, 1, 0x5040100
	ds_store_b32 v7, v4 offset:3072
	s_branch .LBB107_190
.LBB107_195:                            ;   in Loop: Header=BB107_192 Depth=2
	v_add_nc_u32_e32 v2, s37, v2
	v_add_nc_u32_e32 v6, s60, v6
	s_mov_b32 s29, 0
	s_delay_alu instid0(VALU_DEP_2)
	v_cmp_le_u32_e32 vcc_lo, s67, v2
	s_or_not1_b32 s28, vcc_lo, exec_lo
	s_branch .LBB107_191
.LBB107_196:                            ;   in Loop: Header=BB107_20 Depth=1
	s_or_b32 exec_lo, exec_lo, s23
	v_lshrrev_b32_e32 v33, 16, v4
	s_and_not1_b32 s23, s26, exec_lo
	s_wait_alu 0xfffe
	s_and_b32 s26, s27, exec_lo
	s_wait_alu 0xfffe
	s_or_b32 s26, s23, s26
.LBB107_197:                            ;   in Loop: Header=BB107_20 Depth=1
	s_wait_alu 0xfffe
	s_or_b32 exec_lo, exec_lo, s22
	s_mov_b32 s22, 0
	s_mov_b32 s23, -1
.LBB107_198:                            ;   in Loop: Header=BB107_20 Depth=1
	s_or_not1_b32 s26, s26, exec_lo
.LBB107_199:                            ;   in Loop: Header=BB107_20 Depth=1
	s_wait_alu 0xfffe
	s_or_b32 exec_lo, exec_lo, s24
	s_mov_b32 s27, 0
	s_and_saveexec_b32 s24, s26
	s_cbranch_execz .LBB107_249
; %bb.200:                              ;   in Loop: Header=BB107_20 Depth=1
	v_dual_mov_b32 v2, 1 :: v_dual_mov_b32 v1, 1
	s_xor_b32 s26, s25, -1
	s_wait_alu 0xfffe
	s_and_saveexec_b32 s25, s26
	s_cbranch_execz .LBB107_209
; %bb.201:                              ;   in Loop: Header=BB107_20 Depth=1
	s_mov_b32 s26, exec_lo
	v_cmpx_ge_u32_e64 s18, v3
	s_wait_alu 0xfffe
	s_xor_b32 s26, exec_lo, s26
	s_cbranch_execz .LBB107_206
; %bb.202:                              ;   in Loop: Header=BB107_20 Depth=1
	ds_load_b32 v1, v7 offset:4104
	s_lshl_b32 s27, 2, s78
	v_or_b32_e32 v32, s12, v32
	s_wait_alu 0xfffe
	v_and_or_b32 v13, v13, s19, s27
	s_wait_dscnt 0x0
	v_cmp_ne_u32_e32 vcc_lo, 0, v1
	s_cbranch_vccnz .LBB107_206
; %bb.203:                              ;   in Loop: Header=BB107_20 Depth=1
	s_and_saveexec_b32 s19, s2
; %bb.204:                              ;   in Loop: Header=BB107_20 Depth=1
	v_mov_b32_e32 v1, s18
	ds_store_b32 v7, v1 offset:4108
; %bb.205:                              ;   in Loop: Header=BB107_20 Depth=1
	s_wait_alu 0xfffe
	s_or_b32 exec_lo, exec_lo, s19
	s_wait_loadcnt_dscnt 0x0
	s_barrier_signal -1
	s_barrier_wait -1
	global_inv scope:SCOPE_SE
.LBB107_206:                            ;   in Loop: Header=BB107_20 Depth=1
	s_wait_alu 0xfffe
	s_or_saveexec_b32 s19, s26
	v_mov_b32_e32 v1, 8
	s_mov_b32 s26, 0
	s_wait_alu 0xfffe
	s_xor_b32 exec_lo, exec_lo, s19
; %bb.207:                              ;   in Loop: Header=BB107_20 Depth=1
	v_subrev_nc_u32_e32 v3, s18, v3
	v_mov_b32_e32 v1, 0
	s_mov_b32 s26, exec_lo
; %bb.208:                              ;   in Loop: Header=BB107_20 Depth=1
	s_or_b32 exec_lo, exec_lo, s19
	s_delay_alu instid0(VALU_DEP_2)
	v_mov_b32_e32 v2, v3
	s_wait_alu 0xfffe
	s_and_b32 s27, s26, exec_lo
.LBB107_209:                            ;   in Loop: Header=BB107_20 Depth=1
	s_wait_alu 0xfffe
	s_or_b32 exec_lo, exec_lo, s25
	s_mov_b32 s19, -1
                                        ; implicit-def: $sgpr26
                                        ; implicit-def: $sgpr25
	s_and_saveexec_b32 s18, s27
	s_cbranch_execz .LBB107_248
; %bb.210:                              ;   in Loop: Header=BB107_20 Depth=1
	v_cmp_eq_u32_e32 vcc_lo, 1, v2
	s_cmp_eq_u32 s11, 1
	s_mov_b32 s28, -1
	s_cselect_b32 s19, -1, 0
                                        ; implicit-def: $sgpr26
                                        ; implicit-def: $sgpr25
	s_wait_alu 0xfffe
	s_and_b32 s19, s19, vcc_lo
	s_wait_alu 0xfffe
	s_and_saveexec_b32 s27, s19
	s_cbranch_execz .LBB107_236
; %bb.211:                              ;   in Loop: Header=BB107_20 Depth=1
	ds_load_b32 v3, v7 offset:4104
	s_wait_loadcnt_dscnt 0x0
	s_barrier_signal -1
	s_barrier_wait -1
	global_inv scope:SCOPE_SE
	v_readfirstlane_b32 s29, v3
	s_and_saveexec_b32 s25, s3
; %bb.212:                              ;   in Loop: Header=BB107_20 Depth=1
	ds_store_b16 v17, v7
; %bb.213:                              ;   in Loop: Header=BB107_20 Depth=1
	s_wait_alu 0xfffe
	s_or_b32 exec_lo, exec_lo, s25
	v_or_b32_e32 v13, s12, v13
	v_or_b32_e32 v32, s12, v32
	s_mov_b32 s25, -1
	s_mov_b32 s26, 0
	s_cmp_eq_u32 s29, 0
	s_mov_b32 s28, 0
	s_mov_b32 s30, -1
	s_wait_loadcnt_dscnt 0x0
	s_barrier_signal -1
	s_barrier_wait -1
	global_inv scope:SCOPE_SE
                                        ; implicit-def: $vgpr33
	s_cbranch_scc1 .LBB107_224
; %bb.214:                              ;   in Loop: Header=BB107_20 Depth=1
	s_add_co_i32 s46, s29, s58
                                        ; implicit-def: $vgpr33
	s_wait_alu 0xfffe
	s_mul_u64 s[80:81], s[46:47], s[50:51]
	s_delay_alu instid0(SALU_CYCLE_1)
	s_mul_i32 s28, s81, s37
	s_wait_alu 0xfffe
	s_sub_co_i32 s28, s46, s28
	s_wait_alu 0xfffe
	s_sub_co_i32 s30, s28, s37
	s_cmp_ge_u32 s28, s37
	s_wait_alu 0xfffe
	s_cselect_b32 s28, s30, s28
	s_wait_alu 0xfffe
	s_sub_co_i32 s30, s28, s37
	s_cmp_ge_u32 s28, s37
	s_wait_alu 0xfffe
	s_cselect_b32 s28, s30, s28
	s_mov_b32 s30, 0
	s_wait_alu 0xfffe
	s_sub_co_i32 s79, s46, s28
	s_mov_b32 s28, 0
	s_mov_b32 s46, exec_lo
	s_wait_alu 0xfffe
	v_cmpx_gt_u32_e64 s79, v0
	s_cbranch_execz .LBB107_223
; %bb.215:                              ;   in Loop: Header=BB107_20 Depth=1
	v_dual_mov_b32 v3, v16 :: v_dual_mov_b32 v4, v0
                                        ; implicit-def: $sgpr80
	s_branch .LBB107_218
.LBB107_216:                            ;   in Loop: Header=BB107_218 Depth=2
	s_or_b32 exec_lo, exec_lo, s81
	s_wait_loadcnt_dscnt 0x0
	s_barrier_signal -1
	s_barrier_wait -1
	global_inv scope:SCOPE_SE
	ds_load_b32 v6, v7 offset:3072
	s_mov_b32 s81, -1
	s_mov_b32 s82, -1
	s_wait_loadcnt_dscnt 0x0
	s_barrier_signal -1
	s_barrier_wait -1
	global_inv scope:SCOPE_SE
	v_and_b32_e32 v33, 0xffff, v6
	s_delay_alu instid0(VALU_DEP_1)
	v_cmp_ne_u32_e32 vcc_lo, 0, v33
	s_cbranch_vccz .LBB107_221
.LBB107_217:                            ;   in Loop: Header=BB107_218 Depth=2
	s_and_b32 s81, exec_lo, s81
	s_delay_alu instid0(SALU_CYCLE_1) | instskip(SKIP_3) | instid1(SALU_CYCLE_1)
	s_or_b32 s28, s81, s28
	s_and_not1_b32 s80, s80, exec_lo
	s_wait_alu 0xfffe
	s_and_b32 s81, s82, exec_lo
	s_or_b32 s80, s80, s81
	s_and_not1_b32 exec_lo, exec_lo, s28
	s_cbranch_execz .LBB107_222
.LBB107_218:                            ;   Parent Loop BB107_20 Depth=1
                                        ; =>  This Inner Loop Header: Depth=2
	s_mov_b32 s81, exec_lo
	s_delay_alu instid0(VALU_DEP_1)
	v_cmpx_gt_u32_e64 s29, v4
	s_cbranch_execz .LBB107_216
; %bb.219:                              ;   in Loop: Header=BB107_218 Depth=2
	ds_load_u16 v6, v3
	s_wait_dscnt 0x0
	v_bfe_i32 v33, v6, 0, 16
	s_delay_alu instid0(VALU_DEP_1) | instskip(NEXT) | instid1(VALU_DEP_1)
	v_add_nc_u32_e32 v33, 0x8000, v33
	v_and_b32_e32 v33, v33, v32
	s_delay_alu instid0(VALU_DEP_1)
	v_cmp_eq_u32_e32 vcc_lo, v33, v13
	s_and_b32 exec_lo, exec_lo, vcc_lo
	s_cbranch_execz .LBB107_216
; %bb.220:                              ;   in Loop: Header=BB107_218 Depth=2
	v_perm_b32 v6, v6, 1, 0x5040100
	ds_store_b32 v7, v6 offset:3072
	s_branch .LBB107_216
.LBB107_221:                            ;   in Loop: Header=BB107_218 Depth=2
	v_add_nc_u32_e32 v4, s37, v4
	v_add_nc_u32_e32 v3, s70, v3
	s_mov_b32 s82, 0
	s_delay_alu instid0(VALU_DEP_2)
	v_cmp_le_u32_e32 vcc_lo, s79, v4
	s_or_not1_b32 s81, vcc_lo, exec_lo
	s_branch .LBB107_217
.LBB107_222:                            ;   in Loop: Header=BB107_20 Depth=1
	s_or_b32 exec_lo, exec_lo, s28
	v_lshrrev_b32_e32 v33, 16, v6
	s_and_b32 s28, s80, exec_lo
.LBB107_223:                            ;   in Loop: Header=BB107_20 Depth=1
	s_or_b32 exec_lo, exec_lo, s46
.LBB107_224:                            ;   in Loop: Header=BB107_20 Depth=1
	s_wait_alu 0xfffe
	s_and_b32 vcc_lo, exec_lo, s30
	s_wait_alu 0xfffe
	s_cbranch_vccz .LBB107_235
; %bb.225:                              ;   in Loop: Header=BB107_20 Depth=1
                                        ; implicit-def: $vgpr33
	s_and_saveexec_b32 s25, s10
	s_cbranch_execz .LBB107_234
; %bb.226:                              ;   in Loop: Header=BB107_20 Depth=1
	v_dual_mov_b32 v6, v5 :: v_dual_mov_b32 v3, v0
	s_mov_b32 s26, 0
                                        ; implicit-def: $sgpr29
	s_branch .LBB107_229
.LBB107_227:                            ;   in Loop: Header=BB107_229 Depth=2
	s_wait_alu 0xfffe
	s_or_b32 exec_lo, exec_lo, s30
	s_wait_loadcnt_dscnt 0x0
	s_barrier_signal -1
	s_barrier_wait -1
	global_inv scope:SCOPE_SE
	ds_load_b32 v4, v7 offset:3072
	s_mov_b32 s30, -1
	s_mov_b32 s46, -1
	s_wait_loadcnt_dscnt 0x0
	s_barrier_signal -1
	s_barrier_wait -1
	global_inv scope:SCOPE_SE
	v_and_b32_e32 v33, 0xffff, v4
	s_delay_alu instid0(VALU_DEP_1)
	v_cmp_eq_u32_e32 vcc_lo, 0, v33
	s_cbranch_vccnz .LBB107_232
.LBB107_228:                            ;   in Loop: Header=BB107_229 Depth=2
	s_wait_alu 0xfffe
	s_and_b32 s30, exec_lo, s30
	s_wait_alu 0xfffe
	s_or_b32 s26, s30, s26
	s_and_not1_b32 s29, s29, exec_lo
	s_and_b32 s30, s46, exec_lo
	s_wait_alu 0xfffe
	s_or_b32 s29, s29, s30
	s_and_not1_b32 exec_lo, exec_lo, s26
	s_cbranch_execz .LBB107_233
.LBB107_229:                            ;   Parent Loop BB107_20 Depth=1
                                        ; =>  This Inner Loop Header: Depth=2
	s_mov_b32 s30, exec_lo
	s_delay_alu instid0(VALU_DEP_1)
	v_cmpx_gt_u32_e64 s36, v3
	s_cbranch_execz .LBB107_227
; %bb.230:                              ;   in Loop: Header=BB107_229 Depth=2
	v_lshlrev_b64_e32 v[33:34], 1, v[6:7]
	s_delay_alu instid0(VALU_DEP_1) | instskip(SKIP_1) | instid1(VALU_DEP_2)
	v_add_co_u32 v33, vcc_lo, s42, v33
	s_wait_alu 0xfffd
	v_add_co_ci_u32_e64 v34, null, s43, v34, vcc_lo
	global_load_u16 v4, v[33:34], off
	s_wait_loadcnt 0x0
	v_bfe_i32 v33, v4, 0, 16
	s_delay_alu instid0(VALU_DEP_1) | instskip(NEXT) | instid1(VALU_DEP_1)
	v_add_nc_u32_e32 v33, 0x8000, v33
	v_and_b32_e32 v33, v33, v32
	s_delay_alu instid0(VALU_DEP_1)
	v_cmp_eq_u32_e32 vcc_lo, v33, v13
	s_and_b32 exec_lo, exec_lo, vcc_lo
	s_cbranch_execz .LBB107_227
; %bb.231:                              ;   in Loop: Header=BB107_229 Depth=2
	v_perm_b32 v4, v4, 1, 0x5040100
	ds_store_b32 v7, v4 offset:3072
	s_branch .LBB107_227
.LBB107_232:                            ;   in Loop: Header=BB107_229 Depth=2
	v_add_nc_u32_e32 v3, s37, v3
	v_add_nc_u32_e32 v6, s60, v6
	s_mov_b32 s46, 0
	s_delay_alu instid0(VALU_DEP_2)
	v_cmp_le_u32_e32 vcc_lo, s67, v3
	s_or_not1_b32 s30, vcc_lo, exec_lo
	s_branch .LBB107_228
.LBB107_233:                            ;   in Loop: Header=BB107_20 Depth=1
	s_or_b32 exec_lo, exec_lo, s26
	v_lshrrev_b32_e32 v33, 16, v4
	s_and_not1_b32 s26, s28, exec_lo
	s_wait_alu 0xfffe
	s_and_b32 s28, s29, exec_lo
	s_wait_alu 0xfffe
	s_or_b32 s28, s26, s28
.LBB107_234:                            ;   in Loop: Header=BB107_20 Depth=1
	s_wait_alu 0xfffe
	s_or_b32 exec_lo, exec_lo, s25
	s_mov_b32 s25, 0
	s_mov_b32 s26, -1
.LBB107_235:                            ;   in Loop: Header=BB107_20 Depth=1
	s_or_not1_b32 s28, s28, exec_lo
.LBB107_236:                            ;   in Loop: Header=BB107_20 Depth=1
	s_wait_alu 0xfffe
	s_or_b32 exec_lo, exec_lo, s27
	s_mov_b32 s29, 0
	s_and_saveexec_b32 s27, s28
	s_cbranch_execz .LBB107_247
; %bb.237:                              ;   in Loop: Header=BB107_20 Depth=1
	v_mov_b32_e32 v1, 1
	v_mov_b32_e32 v3, 1
	s_xor_b32 s28, s19, -1
	s_wait_alu 0xfffe
	s_and_saveexec_b32 s19, s28
	s_cbranch_execz .LBB107_246
; %bb.238:                              ;   in Loop: Header=BB107_20 Depth=1
	s_mov_b32 s28, exec_lo
	v_cmpx_ge_u32_e64 s11, v2
	s_wait_alu 0xfffe
	s_xor_b32 s28, exec_lo, s28
	s_cbranch_execz .LBB107_243
; %bb.239:                              ;   in Loop: Header=BB107_20 Depth=1
	ds_load_b32 v1, v7 offset:4104
	v_or_b32_e32 v13, s12, v13
	v_or_b32_e32 v32, s12, v32
	s_wait_dscnt 0x0
	v_cmp_ne_u32_e32 vcc_lo, 0, v1
	s_cbranch_vccnz .LBB107_243
; %bb.240:                              ;   in Loop: Header=BB107_20 Depth=1
	s_and_saveexec_b32 s12, s2
; %bb.241:                              ;   in Loop: Header=BB107_20 Depth=1
	v_mov_b32_e32 v1, s11
	ds_store_b32 v7, v1 offset:4108
; %bb.242:                              ;   in Loop: Header=BB107_20 Depth=1
	s_wait_alu 0xfffe
	s_or_b32 exec_lo, exec_lo, s12
	s_wait_loadcnt_dscnt 0x0
	s_barrier_signal -1
	s_barrier_wait -1
	global_inv scope:SCOPE_SE
.LBB107_243:                            ;   in Loop: Header=BB107_20 Depth=1
	s_wait_alu 0xfffe
	s_and_not1_saveexec_b32 s12, s28
; %bb.244:                              ;   in Loop: Header=BB107_20 Depth=1
	v_subrev_nc_u32_e32 v2, s11, v2
; %bb.245:                              ;   in Loop: Header=BB107_20 Depth=1
	s_wait_alu 0xfffe
	s_or_b32 exec_lo, exec_lo, s12
	v_mov_b32_e32 v1, 8
	s_delay_alu instid0(VALU_DEP_2)
	v_mov_b32_e32 v3, v2
.LBB107_246:                            ;   in Loop: Header=BB107_20 Depth=1
	s_wait_alu 0xfffe
	s_or_b32 exec_lo, exec_lo, s19
	s_delay_alu instid0(VALU_DEP_1)
	v_mov_b32_e32 v2, v3
	s_mov_b32 s29, exec_lo
.LBB107_247:                            ;   in Loop: Header=BB107_20 Depth=1
	s_wait_alu 0xfffe
	s_or_b32 exec_lo, exec_lo, s27
	s_delay_alu instid0(SALU_CYCLE_1)
	s_or_not1_b32 s19, s29, exec_lo
.LBB107_248:                            ;   in Loop: Header=BB107_20 Depth=1
	s_wait_alu 0xfffe
	s_or_b32 exec_lo, exec_lo, s18
	v_mov_b32_e32 v3, v2
	s_and_not1_b32 s11, s23, exec_lo
	s_and_b32 s12, s26, exec_lo
	s_and_not1_b32 s18, s22, exec_lo
	s_and_b32 s22, s25, exec_lo
	s_wait_alu 0xfffe
	s_or_b32 s23, s11, s12
	s_or_b32 s22, s18, s22
	s_and_b32 s27, s19, exec_lo
.LBB107_249:                            ;   in Loop: Header=BB107_20 Depth=1
	s_wait_alu 0xfffe
	s_or_b32 exec_lo, exec_lo, s24
	s_delay_alu instid0(SALU_CYCLE_1)
	s_or_not1_b32 s24, s27, exec_lo
.LBB107_250:                            ;   in Loop: Header=BB107_20 Depth=1
	s_wait_alu 0xfffe
	s_or_b32 exec_lo, exec_lo, s21
	v_mov_b32_e32 v2, v3
	s_and_not1_b32 s11, s17, exec_lo
	s_and_b32 s12, s23, exec_lo
	s_and_not1_b32 s16, s16, exec_lo
	s_and_b32 s18, s22, exec_lo
	s_wait_alu 0xfffe
	s_or_b32 s17, s11, s12
	s_or_b32 s16, s16, s18
	s_and_b32 s24, s24, exec_lo
.LBB107_251:                            ;   in Loop: Header=BB107_20 Depth=1
	s_wait_alu 0xfffe
	s_or_b32 exec_lo, exec_lo, s20
	s_delay_alu instid0(SALU_CYCLE_1)
	s_or_not1_b32 s20, s24, exec_lo
.LBB107_252:                            ;   in Loop: Header=BB107_20 Depth=1
	s_wait_alu 0xfffe
	s_or_b32 exec_lo, exec_lo, s15
	s_mov_b32 s12, 0
                                        ; implicit-def: $sgpr22
	s_and_saveexec_b32 s11, s20
	s_wait_alu 0xfffe
	s_xor_b32 s11, exec_lo, s11
	s_cbranch_execz .LBB107_18
; %bb.253:                              ;   in Loop: Header=BB107_20 Depth=1
	v_and_b32_e32 v1, 7, v1
	s_mov_b32 s14, -1
	s_mov_b32 s12, -1
	s_mov_b32 s15, exec_lo
                                        ; implicit-def: $sgpr22
	s_delay_alu instid0(VALU_DEP_1)
	v_cmpx_eq_u32_e32 0, v1
	s_cbranch_execz .LBB107_17
; %bb.254:                              ;   in Loop: Header=BB107_20 Depth=1
	s_add_co_i32 s22, s78, -2
	s_cmp_eq_u32 s78, 0
	v_xor_b32_e32 v31, 1, v31
	s_cselect_b32 s14, -1, 0
	s_xor_b32 s12, exec_lo, -1
	s_wait_alu 0xfffe
	s_or_not1_b32 s14, s14, exec_lo
	s_branch .LBB107_17
.LBB107_255:
	s_or_b32 exec_lo, exec_lo, s71
	s_xor_b32 s4, s77, -1
	s_xor_b32 s1, s75, -1
	;; [unrolled: 1-line block ×3, first 2 shown]
	s_mov_b32 s2, 0
	s_and_saveexec_b32 s5, s1
	s_wait_alu 0xfffe
	s_xor_b32 s1, exec_lo, s5
	s_cbranch_execnz .LBB107_260
; %bb.256:
	s_and_not1_saveexec_b32 s0, s1
	s_cbranch_execnz .LBB107_273
.LBB107_257:
	s_or_b32 exec_lo, exec_lo, s0
	s_and_saveexec_b32 s0, s2
.LBB107_258:
	; divergent unreachable
.LBB107_259:
	s_endpgm
.LBB107_260:
	s_and_saveexec_b32 s2, s4
	s_delay_alu instid0(SALU_CYCLE_1)
	s_xor_b32 s4, exec_lo, s2
	s_cbranch_execz .LBB107_271
; %bb.261:
	s_and_saveexec_b32 s2, s3
	s_delay_alu instid0(SALU_CYCLE_1)
	s_xor_b32 s2, exec_lo, s2
; %bb.262:
	v_xor_b32_e32 v33, 0xffff8000, v13
; %bb.263:
	s_or_b32 exec_lo, exec_lo, s2
	s_mul_i32 s2, s54, s33
	s_mov_b32 s3, 0
	s_add_co_i32 s2, s2, s31
	v_mov_b32_e32 v6, 0
	s_lshl_b64 s[6:7], s[2:3], 1
	s_wait_alu 0xfffe
	s_add_nc_u64 s[6:7], s[44:45], s[6:7]
	global_store_b16 v6, v33, s[6:7]
	s_and_saveexec_b32 s2, s0
	s_cbranch_execz .LBB107_270
; %bb.264:
                                        ; implicit-def: $sgpr0
                                        ; implicit-def: $sgpr6
                                        ; implicit-def: $sgpr5
	s_branch .LBB107_266
.LBB107_265:                            ;   in Loop: Header=BB107_266 Depth=1
	s_wait_alu 0xfffe
	s_or_b32 exec_lo, exec_lo, s7
	s_delay_alu instid0(SALU_CYCLE_1)
	s_and_b32 s7, exec_lo, s6
	s_wait_alu 0xfffe
	s_or_b32 s3, s7, s3
	s_and_not1_b32 s0, s0, exec_lo
	s_and_b32 s7, s5, exec_lo
	s_wait_alu 0xfffe
	s_or_b32 s0, s0, s7
	s_and_not1_b32 exec_lo, exec_lo, s3
	s_cbranch_execz .LBB107_268
.LBB107_266:                            ; =>This Inner Loop Header: Depth=1
	v_lshlrev_b64_e32 v[1:2], 1, v[5:6]
	s_or_b32 s5, s5, exec_lo
	s_wait_alu 0xfffe
	s_or_b32 s6, s6, exec_lo
	s_mov_b32 s7, exec_lo
	s_delay_alu instid0(VALU_DEP_1)
	v_add_co_u32 v1, vcc_lo, s42, v1
	s_wait_alu 0xfffd
	v_add_co_ci_u32_e64 v2, null, s43, v2, vcc_lo
	global_load_u16 v2, v[1:2], off
	v_mov_b32_e32 v1, v0
                                        ; implicit-def: $vgpr0
	s_wait_loadcnt 0x0
	v_cmpx_ne_u16_e64 v2, v33
	s_cbranch_execz .LBB107_265
; %bb.267:                              ;   in Loop: Header=BB107_266 Depth=1
	s_delay_alu instid0(VALU_DEP_2)
	v_add_nc_u32_e32 v0, s37, v1
	v_add_nc_u32_e32 v5, s60, v5
	s_wait_alu 0xfffe
	s_and_not1_b32 s6, s6, exec_lo
	s_and_not1_b32 s5, s5, exec_lo
	v_cmp_le_u32_e32 vcc_lo, s36, v0
	s_and_b32 s8, vcc_lo, exec_lo
	s_wait_alu 0xfffe
	s_or_b32 s6, s6, s8
	s_branch .LBB107_265
.LBB107_268:
	s_or_b32 exec_lo, exec_lo, s3
	s_and_saveexec_b32 s3, s0
	s_delay_alu instid0(SALU_CYCLE_1)
	s_xor_b32 s3, exec_lo, s3
	s_cbranch_execz .LBB107_270
; %bb.269:
	s_mul_i32 s0, s55, s34
	s_mov_b32 s7, 0
	s_add_co_i32 s6, s0, s35
	v_mov_b32_e32 v2, 0
	s_wait_alu 0xfffe
	s_lshl_b64 s[6:7], s[6:7], 3
	s_wait_alu 0xfffe
	s_add_nc_u64 s[6:7], s[40:41], s[6:7]
	global_store_b64 v2, v[1:2], s[6:7]
.LBB107_270:
	s_or_b32 exec_lo, exec_lo, s2
.LBB107_271:
	s_wait_alu 0xfffe
	s_or_saveexec_b32 s0, s4
	s_mov_b32 s2, 0
	s_xor_b32 exec_lo, exec_lo, s0
	s_cbranch_execnz .LBB107_274
.LBB107_272:
	s_or_b32 exec_lo, exec_lo, s0
	s_delay_alu instid0(SALU_CYCLE_1)
	s_and_b32 s2, s2, exec_lo
	s_and_not1_saveexec_b32 s0, s1
	s_cbranch_execz .LBB107_257
.LBB107_273:
	s_or_b32 s2, s2, exec_lo
	s_trap 2
	s_or_b32 exec_lo, exec_lo, s0
	s_and_saveexec_b32 s0, s2
	s_cbranch_execnz .LBB107_258
	s_branch .LBB107_259
.LBB107_274:
	s_mov_b32 s2, exec_lo
	s_trap 2
	s_branch .LBB107_272
	.section	.rodata,"a",@progbits
	.p2align	6, 0x0
	.amdhsa_kernel _ZN2at6native12_GLOBAL__N_112gatherMedianIsjLin1EEEvNS_4cuda6detail10TensorInfoIT_T0_EENS5_IlS7_EENS5_IKS6_S7_EES7_S7_S7_b
		.amdhsa_group_segment_fixed_size 4120
		.amdhsa_private_segment_fixed_size 0
		.amdhsa_kernarg_size 920
		.amdhsa_user_sgpr_count 2
		.amdhsa_user_sgpr_dispatch_ptr 0
		.amdhsa_user_sgpr_queue_ptr 0
		.amdhsa_user_sgpr_kernarg_segment_ptr 1
		.amdhsa_user_sgpr_dispatch_id 0
		.amdhsa_user_sgpr_private_segment_size 0
		.amdhsa_wavefront_size32 1
		.amdhsa_uses_dynamic_stack 0
		.amdhsa_enable_private_segment 0
		.amdhsa_system_sgpr_workgroup_id_x 1
		.amdhsa_system_sgpr_workgroup_id_y 1
		.amdhsa_system_sgpr_workgroup_id_z 1
		.amdhsa_system_sgpr_workgroup_info 0
		.amdhsa_system_vgpr_workitem_id 0
		.amdhsa_next_free_vgpr 62
		.amdhsa_next_free_sgpr 86
		.amdhsa_reserve_vcc 1
		.amdhsa_float_round_mode_32 0
		.amdhsa_float_round_mode_16_64 0
		.amdhsa_float_denorm_mode_32 3
		.amdhsa_float_denorm_mode_16_64 3
		.amdhsa_fp16_overflow 0
		.amdhsa_workgroup_processor_mode 1
		.amdhsa_memory_ordered 1
		.amdhsa_forward_progress 1
		.amdhsa_inst_pref_size 104
		.amdhsa_round_robin_scheduling 0
		.amdhsa_exception_fp_ieee_invalid_op 0
		.amdhsa_exception_fp_denorm_src 0
		.amdhsa_exception_fp_ieee_div_zero 0
		.amdhsa_exception_fp_ieee_overflow 0
		.amdhsa_exception_fp_ieee_underflow 0
		.amdhsa_exception_fp_ieee_inexact 0
		.amdhsa_exception_int_div_zero 0
	.end_amdhsa_kernel
	.section	.text._ZN2at6native12_GLOBAL__N_112gatherMedianIsjLin1EEEvNS_4cuda6detail10TensorInfoIT_T0_EENS5_IlS7_EENS5_IKS6_S7_EES7_S7_S7_b,"axG",@progbits,_ZN2at6native12_GLOBAL__N_112gatherMedianIsjLin1EEEvNS_4cuda6detail10TensorInfoIT_T0_EENS5_IlS7_EENS5_IKS6_S7_EES7_S7_S7_b,comdat
.Lfunc_end107:
	.size	_ZN2at6native12_GLOBAL__N_112gatherMedianIsjLin1EEEvNS_4cuda6detail10TensorInfoIT_T0_EENS5_IlS7_EENS5_IKS6_S7_EES7_S7_S7_b, .Lfunc_end107-_ZN2at6native12_GLOBAL__N_112gatherMedianIsjLin1EEEvNS_4cuda6detail10TensorInfoIT_T0_EENS5_IlS7_EENS5_IKS6_S7_EES7_S7_S7_b
                                        ; -- End function
	.set _ZN2at6native12_GLOBAL__N_112gatherMedianIsjLin1EEEvNS_4cuda6detail10TensorInfoIT_T0_EENS5_IlS7_EENS5_IKS6_S7_EES7_S7_S7_b.num_vgpr, 62
	.set _ZN2at6native12_GLOBAL__N_112gatherMedianIsjLin1EEEvNS_4cuda6detail10TensorInfoIT_T0_EENS5_IlS7_EENS5_IKS6_S7_EES7_S7_S7_b.num_agpr, 0
	.set _ZN2at6native12_GLOBAL__N_112gatherMedianIsjLin1EEEvNS_4cuda6detail10TensorInfoIT_T0_EENS5_IlS7_EENS5_IKS6_S7_EES7_S7_S7_b.numbered_sgpr, 86
	.set _ZN2at6native12_GLOBAL__N_112gatherMedianIsjLin1EEEvNS_4cuda6detail10TensorInfoIT_T0_EENS5_IlS7_EENS5_IKS6_S7_EES7_S7_S7_b.num_named_barrier, 0
	.set _ZN2at6native12_GLOBAL__N_112gatherMedianIsjLin1EEEvNS_4cuda6detail10TensorInfoIT_T0_EENS5_IlS7_EENS5_IKS6_S7_EES7_S7_S7_b.private_seg_size, 0
	.set _ZN2at6native12_GLOBAL__N_112gatherMedianIsjLin1EEEvNS_4cuda6detail10TensorInfoIT_T0_EENS5_IlS7_EENS5_IKS6_S7_EES7_S7_S7_b.uses_vcc, 1
	.set _ZN2at6native12_GLOBAL__N_112gatherMedianIsjLin1EEEvNS_4cuda6detail10TensorInfoIT_T0_EENS5_IlS7_EENS5_IKS6_S7_EES7_S7_S7_b.uses_flat_scratch, 0
	.set _ZN2at6native12_GLOBAL__N_112gatherMedianIsjLin1EEEvNS_4cuda6detail10TensorInfoIT_T0_EENS5_IlS7_EENS5_IKS6_S7_EES7_S7_S7_b.has_dyn_sized_stack, 0
	.set _ZN2at6native12_GLOBAL__N_112gatherMedianIsjLin1EEEvNS_4cuda6detail10TensorInfoIT_T0_EENS5_IlS7_EENS5_IKS6_S7_EES7_S7_S7_b.has_recursion, 0
	.set _ZN2at6native12_GLOBAL__N_112gatherMedianIsjLin1EEEvNS_4cuda6detail10TensorInfoIT_T0_EENS5_IlS7_EENS5_IKS6_S7_EES7_S7_S7_b.has_indirect_call, 0
	.section	.AMDGPU.csdata,"",@progbits
; Kernel info:
; codeLenInByte = 13312
; TotalNumSgprs: 88
; NumVgprs: 62
; ScratchSize: 0
; MemoryBound: 0
; FloatMode: 240
; IeeeMode: 1
; LDSByteSize: 4120 bytes/workgroup (compile time only)
; SGPRBlocks: 0
; VGPRBlocks: 7
; NumSGPRsForWavesPerEU: 88
; NumVGPRsForWavesPerEU: 62
; Occupancy: 16
; WaveLimiterHint : 1
; COMPUTE_PGM_RSRC2:SCRATCH_EN: 0
; COMPUTE_PGM_RSRC2:USER_SGPR: 2
; COMPUTE_PGM_RSRC2:TRAP_HANDLER: 0
; COMPUTE_PGM_RSRC2:TGID_X_EN: 1
; COMPUTE_PGM_RSRC2:TGID_Y_EN: 1
; COMPUTE_PGM_RSRC2:TGID_Z_EN: 1
; COMPUTE_PGM_RSRC2:TIDIG_COMP_CNT: 0
	.section	.text._ZN2at6native12_GLOBAL__N_112gatherMedianIsmLi1EEEvNS_4cuda6detail10TensorInfoIT_T0_EENS5_IlS7_EENS5_IKS6_S7_EES7_S7_S7_b,"axG",@progbits,_ZN2at6native12_GLOBAL__N_112gatherMedianIsmLi1EEEvNS_4cuda6detail10TensorInfoIT_T0_EENS5_IlS7_EENS5_IKS6_S7_EES7_S7_S7_b,comdat
	.globl	_ZN2at6native12_GLOBAL__N_112gatherMedianIsmLi1EEEvNS_4cuda6detail10TensorInfoIT_T0_EENS5_IlS7_EENS5_IKS6_S7_EES7_S7_S7_b ; -- Begin function _ZN2at6native12_GLOBAL__N_112gatherMedianIsmLi1EEEvNS_4cuda6detail10TensorInfoIT_T0_EENS5_IlS7_EENS5_IKS6_S7_EES7_S7_S7_b
	.p2align	8
	.type	_ZN2at6native12_GLOBAL__N_112gatherMedianIsmLi1EEEvNS_4cuda6detail10TensorInfoIT_T0_EENS5_IlS7_EENS5_IKS6_S7_EES7_S7_S7_b,@function
_ZN2at6native12_GLOBAL__N_112gatherMedianIsmLi1EEEvNS_4cuda6detail10TensorInfoIT_T0_EENS5_IlS7_EENS5_IKS6_S7_EES7_S7_S7_b: ; @_ZN2at6native12_GLOBAL__N_112gatherMedianIsmLi1EEEvNS_4cuda6detail10TensorInfoIT_T0_EENS5_IlS7_EENS5_IKS6_S7_EES7_S7_S7_b
; %bb.0:
	s_clause 0x1
	s_load_b64 s[4:5], s[0:1], 0x500
	s_load_b128 s[28:31], s[0:1], 0x4e0
	s_lshr_b32 s2, ttmp7, 16
	s_and_b32 s3, ttmp7, 0xffff
	s_mov_b32 s27, 0
	s_wait_kmcnt 0x0
	s_mul_i32 s2, s5, s2
	s_delay_alu instid0(SALU_CYCLE_1) | instskip(NEXT) | instid1(SALU_CYCLE_1)
	s_add_co_i32 s2, s2, s3
	s_mul_i32 s2, s2, s4
	s_delay_alu instid0(SALU_CYCLE_1) | instskip(NEXT) | instid1(SALU_CYCLE_1)
	s_add_co_i32 s26, s2, ttmp9
	v_cmp_le_u64_e64 s2, s[30:31], s[26:27]
	s_and_b32 vcc_lo, exec_lo, s2
	s_cbranch_vccnz .LBB108_277
; %bb.1:
	s_load_b64 s[36:37], s[0:1], 0x4f0
	v_cmp_eq_u32_e64 s2, 0, v0
	s_and_saveexec_b32 s3, s2
; %bb.2:
	v_mov_b32_e32 v1, 0
	s_delay_alu instid0(VALU_DEP_1)
	v_mov_b32_e32 v2, v1
	ds_store_b64 v1, v[1:2] offset:5136
; %bb.3:
	s_or_b32 exec_lo, exec_lo, s3
	v_dual_mov_b32 v1, 0 :: v_dual_mov_b32 v26, s28
	s_wait_dscnt 0x0
	s_barrier_signal -1
	s_barrier_wait -1
	global_inv scope:SCOPE_SE
	s_wait_loadcnt 0x0
	s_barrier_signal -1
	s_barrier_wait -1
	global_inv scope:SCOPE_SE
	ds_load_b64 v[1:2], v1 offset:5136
	s_load_b32 s3, s[0:1], 0x4f8
	v_mov_b32_e32 v27, s29
	s_wait_dscnt 0x0
	v_cmp_gt_i64_e32 vcc_lo, 1, v[1:2]
	s_wait_kmcnt 0x0
	s_bitcmp1_b32 s3, 0
	s_cselect_b32 s3, -1, 0
	s_delay_alu instid0(SALU_CYCLE_1) | instskip(NEXT) | instid1(SALU_CYCLE_1)
	s_or_b32 s3, s3, vcc_lo
	s_and_not1_b32 vcc_lo, exec_lo, s3
	s_cbranch_vccnz .LBB108_5
; %bb.4:
	v_not_b32_e32 v1, v1
	v_not_b32_e32 v2, v2
	s_delay_alu instid0(VALU_DEP_2) | instskip(NEXT) | instid1(VALU_DEP_1)
	v_add_co_u32 v1, vcc_lo, s28, v1
	v_add_co_ci_u32_e64 v2, null, s29, v2, vcc_lo
	s_delay_alu instid0(VALU_DEP_1) | instskip(NEXT) | instid1(VALU_DEP_1)
	v_lshrrev_b64 v[1:2], 1, v[1:2]
	v_add_co_u32 v26, vcc_lo, v1, 1
	s_wait_alu 0xfffd
	s_delay_alu instid0(VALU_DEP_2)
	v_add_co_ci_u32_e64 v27, null, 0, v2, vcc_lo
.LBB108_5:
	s_clause 0x1
	s_load_b64 s[10:11], s[0:1], 0x410
	s_load_b64 s[8:9], s[0:1], 0x340
	s_add_nc_u64 s[6:7], s[0:1], 0x500
	s_and_saveexec_b32 s3, s2
	s_cbranch_execz .LBB108_7
; %bb.6:
	v_dual_mov_b32 v1, 0 :: v_dual_mov_b32 v4, s29
	s_delay_alu instid0(VALU_DEP_1)
	v_dual_mov_b32 v3, s28 :: v_dual_mov_b32 v2, v1
	ds_store_b32 v1, v1 offset:5144
	ds_store_b128 v1, v[1:4] offset:5120
.LBB108_7:
	s_or_b32 exec_lo, exec_lo, s3
	v_mad_co_u64_u32 v[4:5], null, s36, v0, 0
	v_mov_b32_e32 v3, 0
	v_mbcnt_lo_u32_b32 v32, -1, 0
	v_lshlrev_b32_e32 v37, 3, v0
	s_wait_kmcnt 0x0
	s_mul_u64 s[10:11], s[10:11], s[26:27]
	v_cmp_gt_u32_e32 vcc_lo, 32, v0
	s_lshl_b64 s[10:11], s[10:11], 1
	v_mov_b32_e32 v2, v5
	v_cmp_gt_i32_e64 s3, 4, v32
	v_or_b32_e32 v25, 4, v37
	s_add_nc_u64 s[44:45], s[8:9], s[10:11]
	v_lshlrev_b64_e64 v[8:9], v32, -1
	v_mad_co_u64_u32 v[5:6], null, s37, v0, v[2:3]
	v_dual_mov_b32 v15, v3 :: v_dual_add_nc_u32 v2, 2, v0
	s_and_b32 s33, vcc_lo, s3
	v_mad_co_u64_u32 v[21:22], null, s36, v25, 0
	s_clause 0x3
	s_load_b64 s[34:35], s[0:1], 0x270
	s_load_b64 s[30:31], s[0:1], 0x1a0
	;; [unrolled: 1-line block ×4, first 2 shown]
	v_lshlrev_b64_e32 v[6:7], 1, v[4:5]
	s_wait_loadcnt_dscnt 0x0
	s_barrier_signal -1
	s_barrier_wait -1
	global_inv scope:SCOPE_SE
	s_load_b32 s5, s[6:7], 0xc
	v_add_co_u32 v12, vcc_lo, s44, v6
	s_wait_alu 0xfffd
	v_add_co_ci_u32_e64 v13, null, s45, v7, vcc_lo
	v_cmp_gt_u64_e32 vcc_lo, s[28:29], v[2:3]
	v_not_b32_e32 v6, v0
	v_not_b32_e32 v35, v8
	v_mov_b32_e32 v8, v22
	v_or_b32_e32 v28, 2, v37
	v_or_b32_e32 v10, 6, v37
	s_wait_alu 0xfffd
	v_cndmask_b32_e64 v2, v2, s28, vcc_lo
	v_cndmask_b32_e64 v7, 0, s29, vcc_lo
	s_movk_i32 s8, 0x3e0
	v_mad_co_u64_u32 v[23:24], null, s36, v28, 0
	s_delay_alu instid0(VALU_DEP_3) | instskip(SKIP_3) | instid1(VALU_DEP_3)
	v_add_co_u32 v6, vcc_lo, v2, v6
	v_mad_co_u64_u32 v[19:20], null, s36, v10, 0
	s_wait_alu 0xfffd
	v_add_co_ci_u32_e64 v7, null, -1, v7, vcc_lo
	v_dual_mov_b32 v9, v24 :: v_dual_and_b32 v16, -2, v6
	v_lshlrev_b32_e32 v33, 1, v0
	s_wait_kmcnt 0x0
	s_and_b32 s38, s5, 0xffff
	s_bfe_u32 s5, s5, 0xb0005
	v_add_co_u32 v18, vcc_lo, v16, v0
	s_wait_alu 0xfffd
	v_add_co_ci_u32_e64 v2, null, 0, v7, vcc_lo
	v_mov_b32_e32 v2, v20
	s_cmp_gt_u32 s38, 31
	v_and_or_b32 v36, v0, s8, 0xc00
	s_cselect_b32 s75, -1, 0
	s_cmp_lt_u32 ttmp9, s4
	v_mad_co_u64_u32 v[10:11], null, s37, v10, v[2:3]
	s_cselect_b32 s46, 12, 18
	s_add_co_i32 s8, s5, -1
	s_bfe_u32 s77, s38, 0x30005
	s_wait_alu 0xfffe
	s_and_b32 s8, s8, 0xffff
	v_mad_co_u64_u32 v[24:25], null, s37, v25, v[8:9]
	s_wait_alu 0xfffe
	s_cmp_gt_u32 s8, 6
	v_mad_co_u64_u32 v[8:9], null, s37, v28, v[9:10]
	s_cselect_b32 s79, -1, 0
	s_and_b32 s80, s5, 0x7f8
	s_cmp_lg_u32 s77, 0
	v_dual_mov_b32 v1, v3 :: v_dual_add_nc_u32 v34, 0xc00, v33
	v_dual_mov_b32 v17, v7 :: v_dual_lshlrev_b32 v14, 2, v0
	s_cselect_b32 s81, -1, 0
	s_lshl_b64 s[54:55], s[36:37], 1
	s_mov_b32 s47, 0
	v_mul_lo_u32 v41, 0, s54
	v_cmp_gt_u64_e64 s0, s[28:29], v[0:1]
	v_cmp_lt_u64_e64 s74, 0x600, s[28:29]
	s_mov_b32 s39, s47
	v_cmp_lt_u64_e64 s4, 1, v[6:7]
	v_cmp_ne_u64_e64 s5, v[6:7], v[16:17]
	v_dual_mov_b32 v38, v24 :: v_dual_mov_b32 v43, 0
	v_lshlrev_b64_e32 v[24:25], 3, v[4:5]
	v_cmp_eq_u32_e64 s1, 0, v32
	v_cmp_gt_u32_e64 s3, 2, v0
	v_dual_mov_b32 v22, v10 :: v_dual_mov_b32 v39, v8
	v_lshl_or_b32 v40, v32, 3, 0xc00
	v_mov_b32_e32 v20, 0
	v_mov_b32_e32 v42, 0
	s_add_nc_u64 s[50:51], s[38:39], -1
	s_mul_u64 s[8:9], s[36:37], s[38:39]
	s_add_nc_u64 s[52:53], s[50:51], s[28:29]
	s_mov_b32 s76, s36
	s_mov_b32 s78, s37
	s_lshl_b64 s[56:57], s[36:37], 3
	s_lshl_b32 s82, s38, 1
	s_wait_alu 0xfffe
	s_lshl_b64 s[48:49], s[8:9], 1
	s_mov_b32 s83, 14
	s_add_nc_u64 s[58:59], s[6:7], s[46:47]
	s_mov_b32 s85, 0x4f800000
	s_mov_b32 s84, 0
	;; [unrolled: 1-line block ×3, first 2 shown]
                                        ; implicit-def: $sgpr90
                                        ; implicit-def: $sgpr92
                                        ; implicit-def: $sgpr87
                                        ; implicit-def: $sgpr89
                                        ; implicit-def: $sgpr91
                                        ; implicit-def: $sgpr88
	s_branch .LBB108_11
.LBB108_8:                              ;   in Loop: Header=BB108_11 Depth=1
	s_wait_alu 0xfffe
	s_or_b32 exec_lo, exec_lo, s9
	s_delay_alu instid0(SALU_CYCLE_1)
	s_and_b32 s7, s7, exec_lo
	s_and_not1_b32 s22, s22, exec_lo
	s_and_not1_b32 s21, s21, exec_lo
	s_or_not1_b32 s18, s8, exec_lo
.LBB108_9:                              ;   in Loop: Header=BB108_11 Depth=1
	s_wait_alu 0xfffe
	s_or_b32 exec_lo, exec_lo, s6
	s_delay_alu instid0(SALU_CYCLE_1)
	s_and_not1_b32 s6, s88, exec_lo
	s_and_b32 s7, s7, exec_lo
	s_and_not1_b32 s8, s89, exec_lo
	s_wait_alu 0xfffe
	s_or_b32 s88, s6, s7
	s_and_not1_b32 s6, s91, exec_lo
	s_and_b32 s7, s22, exec_lo
	s_and_b32 s9, s21, exec_lo
	s_wait_alu 0xfffe
	s_or_b32 s91, s6, s7
	s_or_b32 s89, s8, s9
	s_or_not1_b32 s18, s18, exec_lo
.LBB108_10:                             ;   in Loop: Header=BB108_11 Depth=1
	s_wait_alu 0xfffe
	s_or_b32 exec_lo, exec_lo, s17
	s_delay_alu instid0(SALU_CYCLE_1)
	s_and_b32 s6, exec_lo, s18
	v_dual_mov_b32 v27, v9 :: v_dual_mov_b32 v26, v8
	s_wait_alu 0xfffe
	s_or_b32 s84, s6, s84
	s_and_not1_b32 s6, s87, exec_lo
	s_and_b32 s7, s88, exec_lo
	s_and_not1_b32 s8, s92, exec_lo
	s_wait_alu 0xfffe
	s_or_b32 s87, s6, s7
	s_and_b32 s6, s91, exec_lo
	s_and_not1_b32 s7, s90, exec_lo
	s_and_b32 s9, s89, exec_lo
	s_wait_alu 0xfffe
	s_or_b32 s92, s8, s6
	s_or_b32 s90, s7, s9
	s_and_not1_b32 exec_lo, exec_lo, s84
	s_cbranch_execz .LBB108_273
.LBB108_11:                             ; =>This Loop Header: Depth=1
                                        ;     Child Loop BB108_16 Depth 2
                                        ;     Child Loop BB108_30 Depth 2
	;; [unrolled: 1-line block ×17, first 2 shown]
	ds_load_b128 v[4:7], v3 offset:5120
	s_wait_dscnt 0x0
	v_readfirstlane_b32 s61, v5
	v_readfirstlane_b32 s60, v4
	s_cmp_lg_u64 s[60:61], 0
	s_cbranch_scc1 .LBB108_43
; %bb.12:                               ;   in Loop: Header=BB108_11 Depth=1
	s_and_b32 vcc_lo, exec_lo, s74
	s_wait_alu 0xfffe
	s_cbranch_vccz .LBB108_24
; %bb.13:                               ;   in Loop: Header=BB108_11 Depth=1
	v_cmp_gt_u64_e32 vcc_lo, 0x601, v[6:7]
	s_mov_b32 s8, 0
	s_mov_b32 s6, 0
	s_cbranch_vccz .LBB108_25
; %bb.14:                               ;   in Loop: Header=BB108_11 Depth=1
	global_load_u16 v2, v3, s[58:59]
	global_load_u16 v8, v[12:13], off
	s_mov_b32 s9, 0
	s_wait_loadcnt 0x1
	v_and_b32_e32 v2, 0xffff, v2
	s_delay_alu instid0(VALU_DEP_1) | instskip(SKIP_3) | instid1(VALU_DEP_3)
	v_add_co_u32 v4, s6, v0, v2
	s_wait_alu 0xf1fe
	v_add_co_ci_u32_e64 v5, null, 0, 0, s6
	v_mul_lo_u32 v6, v2, s55
	v_mul_lo_u32 v10, s55, v4
	v_mul_hi_u32 v11, v2, s54
	s_delay_alu instid0(VALU_DEP_4) | instskip(SKIP_2) | instid1(VALU_DEP_2)
	v_mul_lo_u32 v7, s54, v5
	v_mad_co_u64_u32 v[4:5], null, s54, v4, s[44:45]
	v_add_nc_u32_e32 v6, v6, v41
	v_add3_u32 v5, v10, v5, v7
	s_delay_alu instid0(VALU_DEP_2)
	v_dual_mov_b32 v7, v1 :: v_dual_add_nc_u32 v10, v6, v11
	v_mul_lo_u32 v9, v2, s54
	v_mov_b32_e32 v6, v0
	s_branch .LBB108_16
.LBB108_15:                             ;   in Loop: Header=BB108_16 Depth=2
	s_wait_alu 0xfffe
	s_or_b32 exec_lo, exec_lo, s7
	v_add_co_u32 v4, vcc_lo, v4, v9
	s_wait_alu 0xfffd
	v_add_co_ci_u32_e64 v5, null, v5, v10, vcc_lo
	v_mov_b32_e32 v8, v11
	s_and_not1_b32 exec_lo, exec_lo, s9
	s_cbranch_execz .LBB108_140
.LBB108_16:                             ;   Parent Loop BB108_11 Depth=1
                                        ; =>  This Inner Loop Header: Depth=2
	s_delay_alu instid0(VALU_DEP_1)
	v_add_co_u32 v6, vcc_lo, v6, v2
	s_wait_alu 0xfffd
	v_add_co_ci_u32_e64 v7, null, 0, v7, vcc_lo
	s_wait_dscnt 0x0
	v_dual_mov_b32 v28, 0 :: v_dual_mov_b32 v11, 0
	s_mov_b32 s7, exec_lo
	s_delay_alu instid0(VALU_DEP_2)
	v_cmp_le_u64_e32 vcc_lo, s[28:29], v[6:7]
	v_cmpx_gt_u64_e64 s[28:29], v[6:7]
	s_cbranch_execz .LBB108_18
; %bb.17:                               ;   in Loop: Header=BB108_16 Depth=2
	global_load_u16 v11, v[4:5], off
.LBB108_18:                             ;   in Loop: Header=BB108_16 Depth=2
	s_wait_alu 0xfffe
	s_or_b32 exec_lo, exec_lo, s7
	s_wait_loadcnt 0x0
	v_bfe_i32 v29, v8, 0, 16
	s_delay_alu instid0(VALU_DEP_1) | instskip(NEXT) | instid1(VALU_DEP_1)
	v_add_nc_u32_e32 v29, 0x8000, v29
	v_and_b32_e32 v29, v29, v42
	s_delay_alu instid0(VALU_DEP_1)
	v_cmp_eq_u32_e64 s6, v29, v20
	s_cmp_lg_u32 s6, 0
	s_cselect_b32 s7, -1, 0
	s_wait_alu 0xfffe
	s_and_b32 s7, s1, s7
	s_wait_alu 0xfffe
	s_and_saveexec_b32 s10, s7
	s_cbranch_execz .LBB108_22
; %bb.19:                               ;   in Loop: Header=BB108_16 Depth=2
	s_mov_b32 s13, exec_lo
	s_bcnt1_i32_b32 s11, s6
	s_wait_alu 0xfffe
	v_mbcnt_lo_u32_b32 v28, s13, 0
	s_mov_b32 s12, exec_lo
                                        ; implicit-def: $vgpr29
	s_delay_alu instid0(VALU_DEP_1)
	v_cmpx_eq_u32_e32 0, v28
; %bb.20:                               ;   in Loop: Header=BB108_16 Depth=2
	s_bcnt1_i32_b32 s7, s13
	s_wait_alu 0xfffe
	s_mul_i32 s7, s11, s7
	s_wait_alu 0xfffe
	v_mov_b32_e32 v29, s7
	ds_add_rtn_u32 v29, v3, v29 offset:5144
; %bb.21:                               ;   in Loop: Header=BB108_16 Depth=2
	s_or_b32 exec_lo, exec_lo, s12
	s_wait_dscnt 0x0
	v_readfirstlane_b32 s7, v29
	s_wait_alu 0xf1ff
	s_delay_alu instid0(VALU_DEP_1)
	v_mad_u32_u24 v28, s11, v28, s7
.LBB108_22:                             ;   in Loop: Header=BB108_16 Depth=2
	s_wait_alu 0xfffe
	s_or_b32 exec_lo, exec_lo, s10
	ds_bpermute_b32 v28, v3, v28
	s_and_b32 s7, exec_lo, vcc_lo
	s_wait_alu 0xfffe
	s_or_b32 s9, s7, s9
	s_and_saveexec_b32 s7, s6
	s_cbranch_execz .LBB108_15
; %bb.23:                               ;   in Loop: Header=BB108_16 Depth=2
	v_and_b32_e32 v29, s6, v35
	s_delay_alu instid0(VALU_DEP_1) | instskip(NEXT) | instid1(VALU_DEP_1)
	v_bcnt_u32_b32 v29, v29, 0
	v_lshlrev_b32_e32 v29, 1, v29
	s_wait_dscnt 0x0
	s_delay_alu instid0(VALU_DEP_1)
	v_lshl_add_u32 v28, v28, 1, v29
	ds_store_b16 v28, v8
	s_branch .LBB108_15
.LBB108_24:                             ;   in Loop: Header=BB108_11 Depth=1
	s_mov_b32 s8, -1
	s_mov_b32 s6, 0
.LBB108_25:                             ;   in Loop: Header=BB108_11 Depth=1
	s_wait_alu 0xfffe
	s_and_b32 vcc_lo, exec_lo, s8
	s_wait_alu 0xfffe
	s_cbranch_vccz .LBB108_41
.LBB108_26:                             ;   in Loop: Header=BB108_11 Depth=1
	s_and_saveexec_b32 s7, s0
	s_cbranch_execz .LBB108_38
; %bb.27:                               ;   in Loop: Header=BB108_11 Depth=1
	global_load_u16 v4, v3, s[58:59]
	global_load_u16 v28, v[12:13], off
	v_mov_b32_e32 v6, v0
	s_mov_b32 s12, exec_lo
	s_wait_loadcnt 0x1
	v_and_b32_e32 v2, 0xffff, v4
	v_readfirstlane_b32 s6, v4
	s_delay_alu instid0(VALU_DEP_2) | instskip(NEXT) | instid1(VALU_DEP_1)
	v_add_nc_u32_e32 v2, v2, v0
	v_cmpx_gt_u64_e64 s[28:29], v[2:3]
	s_cbranch_execz .LBB108_37
; %bb.28:                               ;   in Loop: Header=BB108_11 Depth=1
	s_and_b32 s46, s6, 0xffff
	v_dual_mov_b32 v9, v1 :: v_dual_mov_b32 v8, v0
	s_wait_alu 0xfffe
	s_cmp_eq_u32 s46, 1
	v_dual_mov_b32 v5, v3 :: v_dual_mov_b32 v4, v2
	s_cselect_b32 s6, -1, 0
                                        ; implicit-def: $vgpr6_vgpr7
	s_wait_alu 0xfffe
	s_and_b32 s9, s4, s6
	s_mov_b32 s6, -1
	s_wait_alu 0xfffe
	s_and_saveexec_b32 s8, s9
	s_cbranch_execz .LBB108_32
; %bb.29:                               ;   in Loop: Header=BB108_11 Depth=1
	v_add_co_u32 v4, s6, v2, 1
	s_wait_alu 0xf1ff
	v_add_co_ci_u32_e64 v5, null, 0, 0, s6
	s_wait_loadcnt 0x0
	v_dual_mov_b32 v8, v16 :: v_dual_lshlrev_b32 v11, 16, v28
	v_dual_mov_b32 v9, v17 :: v_dual_mov_b32 v10, v33
	s_delay_alu instid0(VALU_DEP_3)
	v_mov_b32_e32 v7, v5
	v_dual_mov_b32 v6, v4 :: v_dual_mov_b32 v5, v3
	v_mov_b32_e32 v4, v2
	s_mov_b32 s9, 0
.LBB108_30:                             ;   Parent Loop BB108_11 Depth=1
                                        ; =>  This Inner Loop Header: Depth=2
	s_delay_alu instid0(VALU_DEP_2) | instskip(NEXT) | instid1(VALU_DEP_2)
	v_mul_lo_u32 v44, v5, s36
	v_mul_lo_u32 v45, v4, s37
	v_mad_co_u64_u32 v[28:29], null, v4, s36, 0
	v_mul_lo_u32 v46, v7, s76
	v_mul_lo_u32 v47, v6, s78
	v_mad_co_u64_u32 v[30:31], null, v6, s76, 0
	s_delay_alu instid0(VALU_DEP_4) | instskip(NEXT) | instid1(VALU_DEP_2)
	v_add3_u32 v29, v29, v45, v44
	v_add3_u32 v31, v31, v47, v46
	s_delay_alu instid0(VALU_DEP_2) | instskip(NEXT) | instid1(VALU_DEP_2)
	v_lshlrev_b64_e32 v[28:29], 1, v[28:29]
	v_lshlrev_b64_e32 v[30:31], 1, v[30:31]
	s_delay_alu instid0(VALU_DEP_2) | instskip(SKIP_1) | instid1(VALU_DEP_3)
	v_add_co_u32 v28, vcc_lo, s44, v28
	s_wait_alu 0xfffd
	v_add_co_ci_u32_e64 v29, null, s45, v29, vcc_lo
	s_delay_alu instid0(VALU_DEP_3)
	v_add_co_u32 v30, vcc_lo, s44, v30
	s_wait_alu 0xfffd
	v_add_co_ci_u32_e64 v31, null, s45, v31, vcc_lo
	s_clause 0x1
	global_load_u16 v29, v[28:29], off
	global_load_u16 v28, v[30:31], off
	v_add_co_u32 v8, vcc_lo, v8, -2
	s_wait_alu 0xfffd
	v_add_co_ci_u32_e64 v9, null, -1, v9, vcc_lo
	v_add_co_u32 v6, vcc_lo, v6, 2
	s_wait_alu 0xfffd
	v_add_co_ci_u32_e64 v7, null, 0, v7, vcc_lo
	s_delay_alu instid0(VALU_DEP_3) | instskip(SKIP_4) | instid1(VALU_DEP_3)
	v_cmp_eq_u64_e64 s6, 0, v[8:9]
	v_add_co_u32 v4, vcc_lo, v4, 2
	s_wait_alu 0xfffd
	v_add_co_ci_u32_e64 v5, null, 0, v5, vcc_lo
	s_wait_alu 0xfffe
	s_or_b32 s9, s6, s9
	s_wait_loadcnt 0x1
	v_alignbit_b32 v11, v29, v11, 16
	s_wait_loadcnt 0x0
	v_perm_b32 v29, v28, v29, 0x5040100
	ds_store_b32 v10, v11
	v_dual_mov_b32 v11, v29 :: v_dual_add_nc_u32 v10, 4, v10
	s_wait_alu 0xfffe
	s_and_not1_b32 exec_lo, exec_lo, s9
	s_cbranch_execnz .LBB108_30
; %bb.31:                               ;   in Loop: Header=BB108_11 Depth=1
	s_or_b32 exec_lo, exec_lo, s9
	v_add_co_u32 v4, vcc_lo, v2, v16
	s_wait_alu 0xfffd
	v_add_co_ci_u32_e64 v5, null, 0, v17, vcc_lo
	v_dual_mov_b32 v8, v18 :: v_dual_mov_b32 v9, v19
	s_delay_alu instid0(VALU_DEP_3)
	v_add_co_u32 v6, vcc_lo, v4, -1
	s_or_not1_b32 s6, s5, exec_lo
	s_wait_alu 0xfffd
	v_add_co_ci_u32_e64 v2, null, -1, v5, vcc_lo
.LBB108_32:                             ;   in Loop: Header=BB108_11 Depth=1
	s_wait_alu 0xfffe
	s_or_b32 exec_lo, exec_lo, s8
	s_and_saveexec_b32 s13, s6
	s_cbranch_execz .LBB108_36
; %bb.33:                               ;   in Loop: Header=BB108_11 Depth=1
	v_mad_co_u64_u32 v[10:11], null, s54, v4, s[44:45]
	v_mul_lo_u32 v2, s54, v5
	v_mul_lo_u32 v6, s55, v4
	s_sub_nc_u64 s[8:9], 0, s[46:47]
	s_mul_u64 s[10:11], s[54:55], s[46:47]
	s_mov_b32 s14, 0
	s_delay_alu instid0(VALU_DEP_1)
	v_add3_u32 v11, v6, v11, v2
.LBB108_34:                             ;   Parent Loop BB108_11 Depth=1
                                        ; =>  This Inner Loop Header: Depth=2
	global_load_u16 v2, v[10:11], off
	v_dual_mov_b32 v7, v5 :: v_dual_mov_b32 v6, v4
	v_lshlrev_b32_e32 v8, 1, v8
	s_wait_alu 0xfffe
	v_add_co_u32 v10, vcc_lo, v10, s10
	s_wait_alu 0xfffd
	v_add_co_ci_u32_e64 v11, null, s11, v11, vcc_lo
	v_add_co_u32 v4, s6, v6, s46
	s_wait_alu 0xf1ff
	v_add_co_ci_u32_e64 v5, null, 0, v7, s6
	s_wait_loadcnt 0x1
	ds_store_b16 v8, v28
	v_dual_mov_b32 v9, v7 :: v_dual_mov_b32 v8, v6
	v_cmp_le_u64_e32 vcc_lo, s[28:29], v[4:5]
	v_add_co_u32 v6, s6, s8, v4
	s_wait_alu 0xf1ff
	v_add_co_ci_u32_e64 v7, null, s9, v5, s6
	s_or_b32 s14, vcc_lo, s14
	s_wait_loadcnt 0x0
	v_mov_b32_e32 v28, v2
	s_wait_alu 0xfffe
	s_and_not1_b32 exec_lo, exec_lo, s14
	s_cbranch_execnz .LBB108_34
; %bb.35:                               ;   in Loop: Header=BB108_11 Depth=1
	s_or_b32 exec_lo, exec_lo, s14
	v_mov_b32_e32 v28, v2
.LBB108_36:                             ;   in Loop: Header=BB108_11 Depth=1
	s_wait_alu 0xfffe
	s_or_b32 exec_lo, exec_lo, s13
.LBB108_37:                             ;   in Loop: Header=BB108_11 Depth=1
	s_wait_alu 0xfffe
	s_or_b32 exec_lo, exec_lo, s12
	v_lshlrev_b32_e32 v2, 1, v6
	s_wait_loadcnt 0x0
	ds_store_b16 v2, v28
.LBB108_38:                             ;   in Loop: Header=BB108_11 Depth=1
	s_wait_alu 0xfffe
	s_or_b32 exec_lo, exec_lo, s7
	s_wait_loadcnt_dscnt 0x0
	s_barrier_signal -1
	s_barrier_wait -1
	global_inv scope:SCOPE_SE
	s_and_saveexec_b32 s6, s2
; %bb.39:                               ;   in Loop: Header=BB108_11 Depth=1
	v_dual_mov_b32 v4, s28 :: v_dual_mov_b32 v5, s29
	ds_store_b64 v3, v[4:5] offset:5120
; %bb.40:                               ;   in Loop: Header=BB108_11 Depth=1
	s_wait_alu 0xfffe
	s_or_b32 exec_lo, exec_lo, s6
	s_mov_b32 s6, -1
	s_wait_loadcnt_dscnt 0x0
	s_barrier_signal -1
	s_barrier_wait -1
.LBB108_41:                             ;   in Loop: Header=BB108_11 Depth=1
	s_wait_alu 0xfffe
	s_and_b32 vcc_lo, exec_lo, s6
	s_mov_b64 s[60:61], 0
	s_wait_alu 0xfffe
	s_cbranch_vccz .LBB108_43
; %bb.42:                               ;   in Loop: Header=BB108_11 Depth=1
	s_wait_loadcnt 0x0
	global_inv scope:SCOPE_SE
	ds_load_b64 v[4:5], v3 offset:5120
	s_wait_dscnt 0x0
	v_readfirstlane_b32 s60, v4
.LBB108_43:                             ;   in Loop: Header=BB108_11 Depth=1
	s_delay_alu instid0(VALU_DEP_1)
	s_cmp_lt_i32 s60, 1
	s_mov_b32 s6, -1
                                        ; implicit-def: $vgpr4_vgpr5
                                        ; implicit-def: $vgpr8_vgpr9
	s_cbranch_scc1 .LBB108_53
; %bb.44:                               ;   in Loop: Header=BB108_11 Depth=1
	s_wait_alu 0xfffe
	s_and_b32 vcc_lo, exec_lo, s6
	s_wait_alu 0xfffe
	s_cbranch_vccnz .LBB108_67
.LBB108_45:                             ;   in Loop: Header=BB108_11 Depth=1
	s_lshl_b32 s6, s86, 7
	s_and_saveexec_b32 s7, s1
	s_cbranch_execz .LBB108_47
.LBB108_46:                             ;   in Loop: Header=BB108_11 Depth=1
	s_wait_alu 0xfffe
	v_lshl_add_u32 v2, s6, 3, v36
	ds_store_b128 v2, v[4:7]
	ds_store_b128 v2, v[8:11] offset:16
.LBB108_47:                             ;   in Loop: Header=BB108_11 Depth=1
	s_wait_alu 0xfffe
	s_or_b32 exec_lo, exec_lo, s7
	s_wait_loadcnt_dscnt 0x0
	s_barrier_signal -1
	s_barrier_wait -1
	global_inv scope:SCOPE_SE
	s_and_saveexec_b32 s7, s33
	s_cbranch_execz .LBB108_81
; %bb.48:                               ;   in Loop: Header=BB108_11 Depth=1
	v_mov_b32_e32 v4, 0
	v_mov_b32_e32 v5, 0
	s_and_not1_b32 vcc_lo, exec_lo, s75
	s_wait_alu 0xfffe
	s_cbranch_vccnz .LBB108_80
; %bb.49:                               ;   in Loop: Header=BB108_11 Depth=1
	v_mov_b32_e32 v4, 0
	v_mov_b32_e32 v5, 0
	s_and_not1_b32 vcc_lo, exec_lo, s79
	s_wait_alu 0xfffe
	s_cbranch_vccnz .LBB108_77
; %bb.50:                               ;   in Loop: Header=BB108_11 Depth=1
	v_lshl_add_u32 v2, s86, 10, v40
	s_mov_b32 s8, 0
.LBB108_51:                             ;   Parent Loop BB108_11 Depth=1
                                        ; =>  This Inner Loop Header: Depth=2
	ds_load_2addr_b64 v[6:9], v2 offset1:4
	ds_load_2addr_b64 v[28:31], v2 offset0:8 offset1:12
	ds_load_2addr_b64 v[44:47], v2 offset0:16 offset1:20
	s_wait_alu 0xfffe
	s_add_co_i32 s8, s8, 8
	s_wait_alu 0xfffe
	s_cmp_eq_u32 s80, s8
	s_wait_dscnt 0x2
	v_add_co_u32 v4, vcc_lo, v6, v4
	s_wait_alu 0xfffd
	v_add_co_ci_u32_e64 v5, null, v7, v5, vcc_lo
	s_delay_alu instid0(VALU_DEP_2) | instskip(SKIP_1) | instid1(VALU_DEP_2)
	v_add_co_u32 v8, vcc_lo, v8, v4
	s_wait_alu 0xfffd
	v_add_co_ci_u32_e64 v9, null, v9, v5, vcc_lo
	ds_load_2addr_b64 v[4:7], v2 offset0:24 offset1:28
	s_wait_dscnt 0x2
	v_add_co_u32 v8, vcc_lo, v28, v8
	s_wait_alu 0xfffd
	v_add_co_ci_u32_e64 v9, null, v29, v9, vcc_lo
	v_add_nc_u32_e32 v2, 0x100, v2
	s_delay_alu instid0(VALU_DEP_3) | instskip(SKIP_1) | instid1(VALU_DEP_3)
	v_add_co_u32 v8, vcc_lo, v30, v8
	s_wait_alu 0xfffd
	v_add_co_ci_u32_e64 v9, null, v31, v9, vcc_lo
	s_wait_dscnt 0x1
	s_delay_alu instid0(VALU_DEP_2) | instskip(SKIP_1) | instid1(VALU_DEP_2)
	v_add_co_u32 v8, vcc_lo, v44, v8
	s_wait_alu 0xfffd
	v_add_co_ci_u32_e64 v9, null, v45, v9, vcc_lo
	s_delay_alu instid0(VALU_DEP_2) | instskip(SKIP_1) | instid1(VALU_DEP_2)
	v_add_co_u32 v8, vcc_lo, v46, v8
	s_wait_alu 0xfffd
	v_add_co_ci_u32_e64 v9, null, v47, v9, vcc_lo
	s_wait_dscnt 0x0
	s_delay_alu instid0(VALU_DEP_2) | instskip(SKIP_1) | instid1(VALU_DEP_2)
	v_add_co_u32 v4, vcc_lo, v4, v8
	s_wait_alu 0xfffd
	v_add_co_ci_u32_e64 v5, null, v5, v9, vcc_lo
	s_delay_alu instid0(VALU_DEP_2) | instskip(SKIP_1) | instid1(VALU_DEP_2)
	v_add_co_u32 v4, vcc_lo, v6, v4
	s_wait_alu 0xfffd
	v_add_co_ci_u32_e64 v5, null, v7, v5, vcc_lo
	s_cbranch_scc0 .LBB108_51
; %bb.52:                               ;   in Loop: Header=BB108_11 Depth=1
	s_mov_b32 s8, s80
	s_and_not1_b32 vcc_lo, exec_lo, s81
	s_wait_alu 0xfffe
	s_cbranch_vccz .LBB108_78
	s_branch .LBB108_80
.LBB108_53:                             ;   in Loop: Header=BB108_11 Depth=1
	global_load_u16 v2, v3, s[58:59]
	s_mov_b32 s7, s29
	s_wait_loadcnt 0x0
	v_readfirstlane_b32 s6, v2
	s_wait_alu 0xfffe
	s_and_b32 s8, 0xffff, s6
	s_mov_b32 s6, s47
	s_wait_alu 0xfffe
	s_lshl_b32 s62, s8, 2
	s_cmp_lg_u64 s[6:7], 0
	s_cbranch_scc0 .LBB108_76
; %bb.54:                               ;   in Loop: Header=BB108_11 Depth=1
	s_wait_alu 0xfffe
	s_cvt_f32_u32 s6, s62
	s_mov_b32 s63, s47
	s_wait_alu 0xfffe
	s_sub_nc_u64 s[8:9], 0, s[62:63]
	s_fmamk_f32 s6, s85, 0x0, s6
	s_wait_alu 0xfffe
	s_delay_alu instid0(SALU_CYCLE_2) | instskip(NEXT) | instid1(TRANS32_DEP_1)
	v_s_rcp_f32 s6, s6
	s_mul_f32 s6, s6, 0x5f7ffffc
	s_wait_alu 0xfffe
	s_delay_alu instid0(SALU_CYCLE_2) | instskip(SKIP_1) | instid1(SALU_CYCLE_2)
	s_mul_f32 s7, s6, 0x2f800000
	s_wait_alu 0xfffe
	s_trunc_f32 s7, s7
	s_wait_alu 0xfffe
	s_delay_alu instid0(SALU_CYCLE_2) | instskip(SKIP_2) | instid1(SALU_CYCLE_1)
	s_fmamk_f32 s6, s7, 0xcf800000, s6
	s_cvt_u32_f32 s7, s7
	s_wait_alu 0xfffe
	s_cvt_u32_f32 s6, s6
	s_wait_alu 0xfffe
	s_delay_alu instid0(SALU_CYCLE_2)
	s_mul_u64 s[10:11], s[8:9], s[6:7]
	s_wait_alu 0xfffe
	s_mul_hi_u32 s13, s6, s11
	s_mul_i32 s12, s6, s11
	s_mul_hi_u32 s46, s6, s10
	s_mul_i32 s15, s7, s10
	s_wait_alu 0xfffe
	s_add_nc_u64 s[12:13], s[46:47], s[12:13]
	s_mul_hi_u32 s14, s7, s10
	s_mul_hi_u32 s16, s7, s11
	s_mul_i32 s10, s7, s11
	s_wait_alu 0xfffe
	s_add_co_u32 s11, s12, s15
	s_add_co_ci_u32 s46, s13, s14
	s_add_co_ci_u32 s11, s16, 0
	s_wait_alu 0xfffe
	s_add_nc_u64 s[10:11], s[46:47], s[10:11]
	s_wait_alu 0xfffe
	s_add_co_u32 s6, s6, s10
	s_cselect_b32 s10, -1, 0
	s_wait_alu 0xfffe
	s_cmp_lg_u32 s10, 0
	s_add_co_ci_u32 s7, s7, s11
	s_wait_alu 0xfffe
	s_mul_u64 s[8:9], s[8:9], s[6:7]
	s_wait_alu 0xfffe
	s_mul_hi_u32 s11, s6, s9
	s_mul_i32 s10, s6, s9
	s_mul_hi_u32 s46, s6, s8
	s_mul_i32 s13, s7, s8
	s_wait_alu 0xfffe
	s_add_nc_u64 s[10:11], s[46:47], s[10:11]
	s_mul_hi_u32 s12, s7, s8
	s_mul_hi_u32 s14, s7, s9
	s_mul_i32 s8, s7, s9
	s_wait_alu 0xfffe
	s_add_co_u32 s9, s10, s13
	s_add_co_ci_u32 s46, s11, s12
	s_add_co_ci_u32 s9, s14, 0
	s_wait_alu 0xfffe
	s_add_nc_u64 s[8:9], s[46:47], s[8:9]
	s_wait_alu 0xfffe
	s_add_co_u32 s6, s6, s8
	s_cselect_b32 s8, -1, 0
	s_wait_alu 0xfffe
	s_mul_hi_u32 s46, s28, s6
	s_cmp_lg_u32 s8, 0
	s_mul_hi_u32 s10, s29, s6
	s_add_co_ci_u32 s8, s7, s9
	s_mul_i32 s9, s29, s6
	s_wait_alu 0xfffe
	s_mul_hi_u32 s7, s28, s8
	s_mul_i32 s6, s28, s8
	s_mul_hi_u32 s11, s29, s8
	s_wait_alu 0xfffe
	s_add_nc_u64 s[6:7], s[46:47], s[6:7]
	s_mul_i32 s8, s29, s8
	s_wait_alu 0xfffe
	s_add_co_u32 s6, s6, s9
	s_add_co_ci_u32 s46, s7, s10
	s_add_co_ci_u32 s9, s11, 0
	s_wait_alu 0xfffe
	s_add_nc_u64 s[6:7], s[46:47], s[8:9]
	s_wait_alu 0xfffe
	s_mul_u64 s[6:7], s[62:63], s[6:7]
	s_wait_alu 0xfffe
	s_sub_co_u32 s6, s28, s6
	s_cselect_b32 s8, -1, 0
	s_wait_alu 0xfffe
	s_cmp_lg_u32 s8, 0
	s_sub_co_ci_u32 s7, s29, s7
	s_sub_co_u32 s8, s6, s62
	s_cselect_b32 s9, -1, 0
	s_wait_alu 0xfffe
	s_cmp_lg_u32 s9, 0
	s_sub_co_ci_u32 s9, s7, 0
	;; [unrolled: 5-line block ×3, first 2 shown]
	s_cmp_ge_u32 s8, s62
	s_cselect_b32 s12, -1, 0
	s_cmp_eq_u32 s9, 0
	s_wait_alu 0xfffe
	s_cselect_b32 s12, s12, -1
	s_wait_alu 0xfffe
	s_cmp_lg_u32 s12, 0
	s_cselect_b32 s9, s11, s9
	s_cselect_b32 s8, s10, s8
	s_cmp_ge_u32 s6, s62
	s_cselect_b32 s10, -1, 0
	s_cmp_eq_u32 s7, 0
	s_wait_alu 0xfffe
	s_cselect_b32 s10, s10, -1
	s_wait_alu 0xfffe
	s_cmp_lg_u32 s10, 0
	s_cselect_b32 s7, s9, s7
	s_cselect_b32 s6, s8, s6
	s_cbranch_execnz .LBB108_56
.LBB108_55:                             ;   in Loop: Header=BB108_11 Depth=1
	s_wait_alu 0xfffe
	v_cvt_f32_u32_e32 v4, s62
	s_sub_co_i32 s7, 0, s62
	s_delay_alu instid0(VALU_DEP_1) | instskip(NEXT) | instid1(TRANS32_DEP_1)
	v_rcp_iflag_f32_e32 v4, v4
	v_mul_f32_e32 v4, 0x4f7ffffe, v4
	s_delay_alu instid0(VALU_DEP_1) | instskip(NEXT) | instid1(VALU_DEP_1)
	v_cvt_u32_f32_e32 v4, v4
	v_readfirstlane_b32 s6, v4
	s_wait_alu 0xfffe
	s_mul_i32 s7, s7, s6
	s_wait_alu 0xfffe
	s_mul_hi_u32 s7, s6, s7
	s_wait_alu 0xfffe
	s_add_co_i32 s6, s6, s7
	s_wait_alu 0xfffe
	s_mul_hi_u32 s6, s28, s6
	s_wait_alu 0xfffe
	s_mul_i32 s6, s6, s62
	s_wait_alu 0xfffe
	s_sub_co_i32 s6, s28, s6
	s_wait_alu 0xfffe
	s_sub_co_i32 s7, s6, s62
	s_cmp_ge_u32 s6, s62
	s_wait_alu 0xfffe
	s_cselect_b32 s6, s7, s6
	s_wait_alu 0xfffe
	s_sub_co_i32 s7, s6, s62
	s_cmp_ge_u32 s6, s62
	s_wait_alu 0xfffe
	s_cselect_b32 s46, s7, s6
	s_wait_alu 0xfffe
	s_mov_b64 s[6:7], s[46:47]
.LBB108_56:                             ;   in Loop: Header=BB108_11 Depth=1
	v_mov_b32_e32 v4, 0
	v_dual_mov_b32 v8, 0 :: v_dual_mov_b32 v5, 0
	v_dual_mov_b32 v6, 0 :: v_dual_mov_b32 v9, 0
	;; [unrolled: 1-line block ×3, first 2 shown]
	v_dual_mov_b32 v11, 0 :: v_dual_and_b32 v2, 0xffff, v2
	s_wait_alu 0xfffe
	s_sub_nc_u64 s[64:65], s[28:29], s[6:7]
	s_mov_b32 s61, exec_lo
	s_wait_alu 0xfffe
	v_cmpx_gt_u64_e64 s[64:65], v[14:15]
	s_cbranch_execz .LBB108_60
; %bb.57:                               ;   in Loop: Header=BB108_11 Depth=1
	v_mul_lo_u32 v4, v2, s57
	v_mul_lo_u32 v5, 0, s56
	v_mul_hi_u32 v6, v2, s56
	v_mul_lo_u32 v44, v2, s56
	v_dual_mov_b32 v31, v15 :: v_dual_mov_b32 v30, v14
	s_mov_b64 s[66:67], 0
	s_mov_b32 s63, 0
	s_mov_b64 s[68:69], 0
	s_delay_alu instid0(VALU_DEP_4) | instskip(SKIP_3) | instid1(VALU_DEP_2)
	v_add_nc_u32_e32 v4, v4, v5
	v_dual_mov_b32 v28, s44 :: v_dual_mov_b32 v29, s45
	s_mov_b64 s[70:71], 0
	s_mov_b64 s[72:73], 0
	v_add_nc_u32_e32 v45, v4, v6
.LBB108_58:                             ;   Parent Loop BB108_11 Depth=1
                                        ; =>  This Inner Loop Header: Depth=2
	s_delay_alu instid0(VALU_DEP_2)
	v_add_co_u32 v4, vcc_lo, v28, v24
	s_wait_alu 0xfffd
	v_add_co_ci_u32_e64 v5, null, v29, v25, vcc_lo
	v_add_co_u32 v6, vcc_lo, v28, v23
	s_wait_alu 0xfffd
	v_add_co_ci_u32_e64 v7, null, v29, v39, vcc_lo
	;; [unrolled: 3-line block ×4, first 2 shown]
	s_clause 0x3
	global_load_i16 v4, v[4:5], off
	global_load_i16 v5, v[6:7], off
	;; [unrolled: 1-line block ×4, first 2 shown]
	v_add_co_u32 v30, vcc_lo, v30, s62
	s_wait_alu 0xfffd
	v_add_co_ci_u32_e64 v31, null, 0, v31, vcc_lo
	v_add_co_u32 v28, vcc_lo, v28, v44
	s_wait_alu 0xfffd
	v_add_co_ci_u32_e64 v29, null, v29, v45, vcc_lo
	s_delay_alu instid0(VALU_DEP_3)
	v_cmp_le_u64_e32 vcc_lo, s[64:65], v[30:31]
	s_wait_loadcnt 0x3
	v_add_nc_u32_e32 v4, 0x8000, v4
	s_wait_loadcnt 0x2
	v_add_nc_u32_e32 v5, 0x8000, v5
	;; [unrolled: 2-line block ×4, first 2 shown]
	v_and_b32_e32 v8, v4, v42
	v_bfe_u32 v4, v4, s83, 2
	v_and_b32_e32 v9, v5, v42
	v_bfe_u32 v5, v5, s83, 2
	;; [unrolled: 2-line block ×3, first 2 shown]
	v_cmp_eq_u32_e64 s6, v8, v20
	v_cmp_eq_u32_e64 s10, 0, v4
	v_and_b32_e32 v11, v7, v42
	v_bfe_u32 v7, v7, s83, 2
	v_cmp_eq_u32_e64 s7, v9, v20
	v_cmp_eq_u32_e64 s11, 0, v5
	;; [unrolled: 1-line block ×4, first 2 shown]
	s_and_b32 s10, s6, s10
	v_cmp_eq_u32_e64 s9, v11, v20
	v_cmp_eq_u32_e64 s13, 0, v7
	;; [unrolled: 1-line block ×5, first 2 shown]
	s_wait_alu 0xfffe
	v_cndmask_b32_e64 v4, 0, 1, s10
	s_and_b32 s10, s7, s11
	v_cmp_eq_u32_e64 s15, 1, v5
	v_cmp_eq_u32_e64 s19, 2, v5
	v_cmp_eq_u32_e64 s23, 3, v5
	s_wait_alu 0xfffe
	v_cndmask_b32_e64 v5, 0, 1, s10
	s_and_b32 s10, s8, s12
	v_cmp_eq_u32_e64 s16, 1, v6
	v_cmp_eq_u32_e64 s20, 2, v6
	v_cmp_eq_u32_e64 s24, 3, v6
	;; [unrolled: 6-line block ×3, first 2 shown]
	s_wait_alu 0xfffe
	v_cndmask_b32_e64 v7, 0, 1, s10
	s_and_b32 s10, s6, s14
	s_wait_alu 0xfffe
	v_cndmask_b32_e64 v8, 0, 1, s10
	s_and_b32 s10, s7, s15
	;; [unrolled: 3-line block ×4, first 2 shown]
	v_cmp_ne_u32_e64 s11, 0, v9
	s_wait_alu 0xfffe
	v_cndmask_b32_e64 v11, 0, 1, s10
	s_and_b32 s10, s6, s18
	s_and_b32 s6, s6, s22
	s_wait_alu 0xfffe
	v_cndmask_b32_e64 v46, 0, 1, s10
	v_cndmask_b32_e64 v50, 0, 1, s6
	s_and_b32 s6, s7, s23
	s_and_b32 s10, s7, s19
	s_wait_alu 0xfffe
	v_cndmask_b32_e64 v51, 0, 1, s6
	s_and_b32 s6, s8, s24
	v_cndmask_b32_e64 v47, 0, 1, s10
	s_and_b32 s10, s8, s20
	s_wait_alu 0xfffe
	v_cndmask_b32_e64 v52, 0, 1, s6
	s_and_b32 s6, s9, s25
	v_cndmask_b32_e64 v48, 0, 1, s10
	s_and_b32 s10, s9, s21
	s_wait_alu 0xfffe
	v_cndmask_b32_e64 v53, 0, 1, s6
	v_cmp_ne_u32_e64 s6, 0, v4
	v_cmp_ne_u32_e64 s7, 0, v5
	v_cndmask_b32_e64 v49, 0, 1, s10
	v_cmp_ne_u32_e64 s8, 0, v6
	v_cmp_ne_u32_e64 s10, 0, v8
	;; [unrolled: 1-line block ×6, first 2 shown]
	s_bcnt1_i32_b32 s6, s6
	s_bcnt1_i32_b32 s7, s7
	v_cmp_ne_u32_e64 s13, 0, v11
	v_cmp_ne_u32_e64 s16, 0, v48
	;; [unrolled: 1-line block ×4, first 2 shown]
	s_bcnt1_i32_b32 s8, s8
	s_bcnt1_i32_b32 s10, s10
	;; [unrolled: 1-line block ×3, first 2 shown]
	s_wait_alu 0xfffe
	s_add_co_i32 s6, s7, s6
	v_cmp_ne_u32_e64 s17, 0, v49
	v_cmp_ne_u32_e64 s20, 0, v52
	s_bcnt1_i32_b32 s9, s9
	s_bcnt1_i32_b32 s12, s12
	;; [unrolled: 1-line block ×4, first 2 shown]
	s_add_co_i32 s7, s11, s10
	s_wait_alu 0xfffe
	s_add_co_i32 s6, s6, s8
	v_cmp_ne_u32_e64 s21, 0, v53
	s_bcnt1_i32_b32 s13, s13
	s_bcnt1_i32_b32 s16, s16
	;; [unrolled: 1-line block ×4, first 2 shown]
	s_add_co_i32 s10, s15, s14
	s_add_co_i32 s7, s7, s12
	s_wait_alu 0xfffe
	s_add_co_i32 s46, s6, s9
	s_bcnt1_i32_b32 s17, s17
	s_bcnt1_i32_b32 s20, s20
	s_add_co_i32 s11, s19, s18
	s_add_co_i32 s8, s10, s16
	s_wait_alu 0xfffe
	s_add_nc_u64 s[72:73], s[72:73], s[46:47]
	s_add_co_i32 s46, s7, s13
	s_bcnt1_i32_b32 s21, s21
	s_add_co_i32 s10, s11, s20
	s_wait_alu 0xfffe
	s_add_nc_u64 s[70:71], s[70:71], s[46:47]
	s_add_co_i32 s46, s8, s17
	v_mov_b32_e32 v4, s72
	s_wait_alu 0xfffe
	s_add_nc_u64 s[68:69], s[68:69], s[46:47]
	s_add_co_i32 s46, s10, s21
	v_mov_b32_e32 v6, s70
	s_wait_alu 0xfffe
	s_add_nc_u64 s[66:67], s[66:67], s[46:47]
	v_mov_b32_e32 v8, s68
	s_wait_alu 0xfffe
	v_dual_mov_b32 v10, s66 :: v_dual_mov_b32 v5, s73
	v_mov_b32_e32 v7, s71
	v_mov_b32_e32 v9, s69
	;; [unrolled: 1-line block ×3, first 2 shown]
	s_or_b32 s63, vcc_lo, s63
	s_wait_alu 0xfffe
	s_and_not1_b32 exec_lo, exec_lo, s63
	s_cbranch_execnz .LBB108_58
; %bb.59:                               ;   in Loop: Header=BB108_11 Depth=1
	s_or_b32 exec_lo, exec_lo, s63
.LBB108_60:                             ;   in Loop: Header=BB108_11 Depth=1
	s_delay_alu instid0(SALU_CYCLE_1)
	s_or_b32 exec_lo, exec_lo, s61
	v_add_co_u32 v28, s6, s64, v0
	s_wait_alu 0xf1ff
	v_add_co_ci_u32_e64 v29, null, s65, 0, s6
	s_mov_b32 s10, exec_lo
	v_cmpx_gt_u64_e64 s[28:29], v[28:29]
	s_cbranch_execz .LBB108_66
; %bb.61:                               ;   in Loop: Header=BB108_11 Depth=1
	v_mul_lo_u32 v44, v29, s36
	v_mul_lo_u32 v45, v28, s37
	v_mad_co_u64_u32 v[30:31], null, v28, s36, 0
	s_mov_b32 s11, 0
	v_add3_u32 v31, v31, v45, v44
	s_delay_alu instid0(VALU_DEP_1) | instskip(NEXT) | instid1(VALU_DEP_1)
	v_lshlrev_b64_e32 v[30:31], 1, v[30:31]
	v_add_co_u32 v30, vcc_lo, s44, v30
	s_wait_alu 0xfffd
	s_delay_alu instid0(VALU_DEP_2)
	v_add_co_ci_u32_e64 v31, null, s45, v31, vcc_lo
	global_load_u16 v31, v[30:31], off
	s_branch .LBB108_63
.LBB108_62:                             ;   in Loop: Header=BB108_63 Depth=2
	s_wait_alu 0xfffe
	s_or_b32 exec_lo, exec_lo, s7
	s_wait_loadcnt 0x0
	v_bfe_i32 v31, v31, 0, 16
	s_and_b32 s8, exec_lo, vcc_lo
	s_wait_alu 0xfffe
	s_or_b32 s11, s8, s11
	s_delay_alu instid0(VALU_DEP_1) | instskip(NEXT) | instid1(VALU_DEP_1)
	v_add_nc_u32_e32 v31, 0x8000, v31
	v_and_b32_e32 v44, v31, v42
	v_bfe_u32 v31, v31, s83, 2
	s_delay_alu instid0(VALU_DEP_2) | instskip(NEXT) | instid1(VALU_DEP_2)
	v_cmp_eq_u32_e64 s6, v44, v20
	v_cmp_eq_u32_e64 s7, 0, v31
	v_cmp_eq_u32_e32 vcc_lo, 1, v31
	v_cmp_eq_u32_e64 s8, 2, v31
	s_and_b32 s7, s6, s7
	s_wait_alu 0xfffe
	v_cndmask_b32_e64 v44, 0, 1, s7
	s_and_b32 s7, s6, vcc_lo
	v_cmp_eq_u32_e32 vcc_lo, 3, v31
	s_wait_alu 0xfffe
	v_cndmask_b32_e64 v45, 0, 1, s7
	s_and_b32 s7, s6, s8
	s_wait_alu 0xfffe
	v_cndmask_b32_e64 v46, 0, 1, s7
	v_cmp_ne_u32_e64 s7, 0, v44
	v_cmp_ne_u32_e64 s8, 0, v45
	s_and_b32 s6, s6, vcc_lo
	s_wait_alu 0xfffe
	v_cndmask_b32_e64 v31, 0, 1, s6
	s_bcnt1_i32_b32 s6, s7
	v_cmp_ne_u32_e64 s9, 0, v46
	s_bcnt1_i32_b32 s7, s8
	s_wait_alu 0xfffe
	v_add_co_u32 v4, vcc_lo, v4, s6
	s_wait_alu 0xfffd
	v_add_co_ci_u32_e64 v5, null, 0, v5, vcc_lo
	v_add_co_u32 v6, vcc_lo, v6, s7
	s_wait_alu 0xfffd
	v_add_co_ci_u32_e64 v7, null, 0, v7, vcc_lo
	v_cmp_ne_u32_e32 vcc_lo, 0, v31
	s_bcnt1_i32_b32 s8, s9
	v_mov_b32_e32 v31, v30
	s_wait_alu 0xfffe
	v_add_co_u32 v8, s6, v8, s8
	s_wait_alu 0xf1ff
	v_add_co_ci_u32_e64 v9, null, 0, v9, s6
	s_bcnt1_i32_b32 s6, vcc_lo
	s_wait_alu 0xfffe
	v_add_co_u32 v10, vcc_lo, v10, s6
	s_wait_alu 0xfffd
	v_add_co_ci_u32_e64 v11, null, 0, v11, vcc_lo
	s_and_not1_b32 exec_lo, exec_lo, s11
	s_cbranch_execz .LBB108_65
.LBB108_63:                             ;   Parent Loop BB108_11 Depth=1
                                        ; =>  This Inner Loop Header: Depth=2
	v_add_co_u32 v28, vcc_lo, v28, v2
	s_wait_alu 0xfffd
	v_add_co_ci_u32_e64 v29, null, 0, v29, vcc_lo
	v_mov_b32_e32 v30, 0
	s_mov_b32 s7, exec_lo
	s_delay_alu instid0(VALU_DEP_2)
	v_cmp_le_u64_e32 vcc_lo, s[28:29], v[28:29]
	v_cmpx_gt_u64_e64 s[28:29], v[28:29]
	s_cbranch_execz .LBB108_62
; %bb.64:                               ;   in Loop: Header=BB108_63 Depth=2
	v_mul_lo_u32 v30, v29, s36
	v_mul_lo_u32 v46, v28, s37
	v_mad_co_u64_u32 v[44:45], null, v28, s36, 0
	s_delay_alu instid0(VALU_DEP_1) | instskip(NEXT) | instid1(VALU_DEP_1)
	v_add3_u32 v45, v45, v46, v30
	v_lshlrev_b64_e32 v[44:45], 1, v[44:45]
	s_delay_alu instid0(VALU_DEP_1) | instskip(SKIP_1) | instid1(VALU_DEP_2)
	v_add_co_u32 v44, s6, s44, v44
	s_wait_alu 0xf1ff
	v_add_co_ci_u32_e64 v45, null, s45, v45, s6
	global_load_u16 v30, v[44:45], off
	s_branch .LBB108_62
.LBB108_65:                             ;   in Loop: Header=BB108_11 Depth=1
	s_or_b32 exec_lo, exec_lo, s11
.LBB108_66:                             ;   in Loop: Header=BB108_11 Depth=1
	s_wait_alu 0xfffe
	s_or_b32 exec_lo, exec_lo, s10
	s_branch .LBB108_45
.LBB108_67:                             ;   in Loop: Header=BB108_11 Depth=1
	global_load_u16 v2, v3, s[58:59]
	v_mov_b32_e32 v6, 0
	v_mov_b32_e32 v8, 0
	v_dual_mov_b32 v10, 0 :: v_dual_mov_b32 v9, 0
	v_mov_b32_e32 v11, 0
	s_mov_b32 s72, exec_lo
	v_mov_b32_e32 v7, 0
	s_wait_loadcnt 0x0
	v_readfirstlane_b32 s6, v2
	v_and_b32_e32 v2, 0xffff, v2
	s_and_b32 s61, 0xffff, s6
	s_delay_alu instid0(SALU_CYCLE_1) | instskip(SKIP_4) | instid1(SALU_CYCLE_1)
	s_lshl_b32 s71, s61, 2
	s_wait_alu 0xfffe
	s_cvt_f32_u32 s6, s71
	s_sub_co_i32 s7, 0, s71
	s_wait_alu 0xfffe
	v_rcp_iflag_f32_e32 v4, s6
	s_delay_alu instid0(TRANS32_DEP_1) | instskip(SKIP_2) | instid1(SALU_CYCLE_2)
	v_readfirstlane_b32 s6, v4
	s_mul_f32 s6, s6, 0x4f7ffffe
	s_wait_alu 0xfffe
	s_cvt_u32_f32 s6, s6
	s_wait_alu 0xfffe
	s_delay_alu instid0(SALU_CYCLE_2)
	s_mul_i32 s7, s7, s6
	s_wait_alu 0xfffe
	s_mul_hi_u32 s7, s6, s7
	s_wait_alu 0xfffe
	s_add_co_i32 s6, s6, s7
	s_wait_alu 0xfffe
	s_mul_hi_u32 s6, s60, s6
	s_wait_alu 0xfffe
	s_mul_i32 s7, s6, s71
	s_add_co_i32 s8, s6, 1
	s_wait_alu 0xfffe
	s_sub_co_i32 s7, s60, s7
	s_wait_alu 0xfffe
	s_sub_co_i32 s9, s7, s71
	s_cmp_ge_u32 s7, s71
	s_cselect_b32 s6, s8, s6
	s_wait_alu 0xfffe
	s_cselect_b32 s7, s9, s7
	s_add_co_i32 s8, s6, 1
	s_wait_alu 0xfffe
	s_cmp_ge_u32 s7, s71
	s_cselect_b32 s70, s8, s6
	s_wait_alu 0xfffe
	v_mul_hi_u32 v5, s70, v2
	v_mul_lo_u32 v4, s70, v2
	s_delay_alu instid0(VALU_DEP_1) | instskip(SKIP_2) | instid1(VALU_DEP_3)
	v_lshlrev_b64_e32 v[28:29], 2, v[4:5]
	v_mov_b32_e32 v4, 0
	v_mov_b32_e32 v5, 0
	v_cmpx_gt_u64_e64 v[28:29], v[14:15]
	s_cbranch_execz .LBB108_71
; %bb.68:                               ;   in Loop: Header=BB108_11 Depth=1
	v_dual_mov_b32 v44, v37 :: v_dual_mov_b32 v31, v15
	v_mov_b32_e32 v30, v14
	s_lshl_b32 s73, s61, 3
	s_mov_b64 s[62:63], 0
	s_mov_b32 s93, 0
	s_mov_b64 s[64:65], 0
	s_mov_b64 s[66:67], 0
	;; [unrolled: 1-line block ×3, first 2 shown]
.LBB108_69:                             ;   Parent Loop BB108_11 Depth=1
                                        ; =>  This Inner Loop Header: Depth=2
	ds_load_b64 v[4:5], v44
	v_add_co_u32 v30, vcc_lo, v30, s71
	s_wait_alu 0xfffd
	v_add_co_ci_u32_e64 v31, null, 0, v31, vcc_lo
	s_delay_alu instid0(VALU_DEP_1)
	v_cmp_ge_u64_e32 vcc_lo, v[30:31], v[28:29]
	s_wait_dscnt 0x0
	v_bfe_i32 v6, v4, 0, 16
	v_ashrrev_i32_e32 v4, 16, v4
	v_bfe_i32 v7, v5, 0, 16
	v_ashrrev_i32_e32 v5, 16, v5
	s_delay_alu instid0(VALU_DEP_4) | instskip(NEXT) | instid1(VALU_DEP_4)
	v_add_nc_u32_e32 v6, 0x8000, v6
	v_add_nc_u32_e32 v4, 0x8000, v4
	s_delay_alu instid0(VALU_DEP_4) | instskip(NEXT) | instid1(VALU_DEP_4)
	v_add_nc_u32_e32 v7, 0x8000, v7
	v_add_nc_u32_e32 v5, 0x8000, v5
	s_delay_alu instid0(VALU_DEP_4)
	v_and_b32_e32 v8, v6, v42
	v_bfe_u32 v6, v6, s83, 2
	v_and_b32_e32 v9, v4, v42
	v_bfe_u32 v4, v4, s83, 2
	;; [unrolled: 2-line block ×3, first 2 shown]
	v_cmp_eq_u32_e64 s6, v8, v20
	v_cmp_eq_u32_e64 s10, 0, v6
	v_and_b32_e32 v11, v5, v42
	v_bfe_u32 v5, v5, s83, 2
	v_cmp_eq_u32_e64 s7, v9, v20
	v_cmp_eq_u32_e64 s11, 0, v4
	;; [unrolled: 1-line block ×4, first 2 shown]
	s_and_b32 s10, s6, s10
	v_cmp_eq_u32_e64 s9, v11, v20
	v_cmp_eq_u32_e64 s13, 0, v5
	v_cmp_eq_u32_e64 s15, 1, v4
	v_cmp_eq_u32_e64 s19, 2, v4
	v_cmp_eq_u32_e64 s23, 3, v4
	s_wait_alu 0xfffe
	v_cndmask_b32_e64 v4, 0, 1, s10
	s_and_b32 s10, s7, s11
	v_cmp_eq_u32_e64 s14, 1, v6
	v_cmp_eq_u32_e64 s17, 1, v5
	;; [unrolled: 1-line block ×4, first 2 shown]
	s_wait_alu 0xfffe
	v_cndmask_b32_e64 v5, 0, 1, s10
	s_and_b32 s10, s8, s12
	v_cmp_eq_u32_e64 s18, 2, v6
	v_cmp_eq_u32_e64 s22, 3, v6
	s_wait_alu 0xfffe
	v_cndmask_b32_e64 v6, 0, 1, s10
	s_and_b32 s10, s9, s13
	v_cmp_eq_u32_e64 s16, 1, v7
	v_cmp_eq_u32_e64 s20, 2, v7
	v_cmp_eq_u32_e64 s24, 3, v7
	s_wait_alu 0xfffe
	v_cndmask_b32_e64 v7, 0, 1, s10
	s_and_b32 s10, s6, s14
	s_wait_alu 0xfffe
	v_cndmask_b32_e64 v8, 0, 1, s10
	s_and_b32 s10, s7, s15
	s_wait_alu 0xfffe
	v_cndmask_b32_e64 v9, 0, 1, s10
	s_and_b32 s10, s8, s16
	s_wait_alu 0xfffe
	v_cndmask_b32_e64 v10, 0, 1, s10
	s_and_b32 s10, s9, s17
	v_cmp_ne_u32_e64 s11, 0, v9
	s_wait_alu 0xfffe
	v_cndmask_b32_e64 v11, 0, 1, s10
	s_and_b32 s10, s6, s18
	s_and_b32 s6, s6, s22
	s_wait_alu 0xfffe
	v_cndmask_b32_e64 v45, 0, 1, s10
	v_cndmask_b32_e64 v49, 0, 1, s6
	s_and_b32 s6, s7, s23
	s_and_b32 s10, s7, s19
	s_wait_alu 0xfffe
	v_cndmask_b32_e64 v50, 0, 1, s6
	s_and_b32 s6, s8, s24
	v_cndmask_b32_e64 v46, 0, 1, s10
	s_and_b32 s10, s8, s20
	s_wait_alu 0xfffe
	v_cndmask_b32_e64 v51, 0, 1, s6
	s_and_b32 s6, s9, s25
	v_cndmask_b32_e64 v47, 0, 1, s10
	s_and_b32 s10, s9, s21
	s_wait_alu 0xfffe
	v_cndmask_b32_e64 v52, 0, 1, s6
	v_cmp_ne_u32_e64 s6, 0, v4
	v_cmp_ne_u32_e64 s7, 0, v5
	v_cndmask_b32_e64 v48, 0, 1, s10
	v_cmp_ne_u32_e64 s8, 0, v6
	v_cmp_ne_u32_e64 s10, 0, v8
	;; [unrolled: 1-line block ×6, first 2 shown]
	s_bcnt1_i32_b32 s6, s6
	s_bcnt1_i32_b32 s7, s7
	v_cmp_ne_u32_e64 s13, 0, v11
	v_cmp_ne_u32_e64 s16, 0, v47
	;; [unrolled: 1-line block ×4, first 2 shown]
	s_bcnt1_i32_b32 s8, s8
	s_bcnt1_i32_b32 s10, s10
	;; [unrolled: 1-line block ×3, first 2 shown]
	s_wait_alu 0xfffe
	s_add_co_i32 s6, s7, s6
	v_cmp_ne_u32_e64 s17, 0, v48
	v_cmp_ne_u32_e64 s20, 0, v51
	s_bcnt1_i32_b32 s9, s9
	s_bcnt1_i32_b32 s12, s12
	;; [unrolled: 1-line block ×4, first 2 shown]
	s_add_co_i32 s7, s11, s10
	s_wait_alu 0xfffe
	s_add_co_i32 s6, s6, s8
	v_cmp_ne_u32_e64 s21, 0, v52
	s_bcnt1_i32_b32 s13, s13
	s_bcnt1_i32_b32 s16, s16
	;; [unrolled: 1-line block ×4, first 2 shown]
	s_add_co_i32 s10, s15, s14
	s_add_co_i32 s7, s7, s12
	s_wait_alu 0xfffe
	s_add_co_i32 s46, s6, s9
	s_bcnt1_i32_b32 s17, s17
	s_bcnt1_i32_b32 s20, s20
	s_add_co_i32 s11, s19, s18
	s_add_co_i32 s8, s10, s16
	s_wait_alu 0xfffe
	s_add_nc_u64 s[68:69], s[68:69], s[46:47]
	s_add_co_i32 s46, s7, s13
	s_bcnt1_i32_b32 s21, s21
	s_add_co_i32 s10, s11, s20
	s_wait_alu 0xfffe
	s_add_nc_u64 s[66:67], s[66:67], s[46:47]
	s_add_co_i32 s46, s8, s17
	v_mov_b32_e32 v4, s68
	s_wait_alu 0xfffe
	s_add_nc_u64 s[64:65], s[64:65], s[46:47]
	s_add_co_i32 s46, s10, s21
	v_mov_b32_e32 v6, s66
	s_wait_alu 0xfffe
	s_add_nc_u64 s[62:63], s[62:63], s[46:47]
	v_mov_b32_e32 v8, s64
	s_wait_alu 0xfffe
	v_mov_b32_e32 v10, s62
	v_dual_mov_b32 v5, s69 :: v_dual_add_nc_u32 v44, s73, v44
	v_mov_b32_e32 v7, s67
	v_mov_b32_e32 v9, s65
	;; [unrolled: 1-line block ×3, first 2 shown]
	s_or_b32 s93, vcc_lo, s93
	s_delay_alu instid0(SALU_CYCLE_1)
	s_and_not1_b32 exec_lo, exec_lo, s93
	s_cbranch_execnz .LBB108_69
; %bb.70:                               ;   in Loop: Header=BB108_11 Depth=1
	s_or_b32 exec_lo, exec_lo, s93
.LBB108_71:                             ;   in Loop: Header=BB108_11 Depth=1
	s_delay_alu instid0(SALU_CYCLE_1)
	s_or_b32 exec_lo, exec_lo, s72
	v_add_co_u32 v28, vcc_lo, v28, v0
	s_wait_alu 0xfffd
	v_add_co_ci_u32_e64 v29, null, 0, v29, vcc_lo
	s_and_b32 s46, s60, 0x7fffffff
	s_mov_b32 s11, exec_lo
	s_wait_alu 0xfffe
	v_cmpx_gt_u64_e64 s[46:47], v[28:29]
	s_cbranch_execz .LBB108_75
; %bb.72:                               ;   in Loop: Header=BB108_11 Depth=1
	s_mul_i32 s70, s70, s61
	s_lshl_b32 s13, s61, 1
	s_wait_alu 0xfffe
	v_lshl_add_u32 v30, s70, 3, v33
	s_mov_b32 s12, 0
.LBB108_73:                             ;   Parent Loop BB108_11 Depth=1
                                        ; =>  This Inner Loop Header: Depth=2
	ds_load_i16 v31, v30
	v_add_co_u32 v28, vcc_lo, v28, v2
	s_wait_alu 0xfffd
	v_add_co_ci_u32_e64 v29, null, 0, v29, vcc_lo
	v_add_nc_u32_e32 v30, s13, v30
	s_delay_alu instid0(VALU_DEP_2) | instskip(SKIP_2) | instid1(VALU_DEP_1)
	v_cmp_le_u64_e32 vcc_lo, s[46:47], v[28:29]
	s_wait_dscnt 0x0
	v_add_nc_u32_e32 v31, 0x8000, v31
	v_and_b32_e32 v44, v31, v42
	v_bfe_u32 v31, v31, s83, 2
	s_delay_alu instid0(VALU_DEP_2) | instskip(NEXT) | instid1(VALU_DEP_2)
	v_cmp_eq_u32_e64 s6, v44, v20
	v_cmp_eq_u32_e64 s7, 0, v31
	;; [unrolled: 1-line block ×5, first 2 shown]
	s_and_b32 s7, s6, s7
	s_wait_alu 0xfffe
	v_cndmask_b32_e64 v31, 0, 1, s7
	s_and_b32 s7, s6, s8
	s_wait_alu 0xfffe
	v_cndmask_b32_e64 v44, 0, 1, s7
	s_and_b32 s7, s6, s9
	s_and_b32 s6, s6, s10
	s_wait_alu 0xfffe
	v_cndmask_b32_e64 v45, 0, 1, s7
	v_cndmask_b32_e64 v46, 0, 1, s6
	v_cmp_ne_u32_e64 s6, 0, v31
	v_cmp_ne_u32_e64 s7, 0, v44
	s_delay_alu instid0(VALU_DEP_4) | instskip(NEXT) | instid1(VALU_DEP_4)
	v_cmp_ne_u32_e64 s8, 0, v45
	v_cmp_ne_u32_e64 s9, 0, v46
	s_bcnt1_i32_b32 s6, s6
	s_bcnt1_i32_b32 s7, s7
	s_wait_alu 0xfffe
	v_add_co_u32 v4, s6, v4, s6
	s_bcnt1_i32_b32 s8, s8
	v_add_co_ci_u32_e64 v5, null, 0, v5, s6
	v_add_co_u32 v6, s6, v6, s7
	s_bcnt1_i32_b32 s9, s9
	v_add_co_ci_u32_e64 v7, null, 0, v7, s6
	s_wait_alu 0xfffe
	v_add_co_u32 v8, s6, v8, s8
	s_wait_alu 0xf1ff
	v_add_co_ci_u32_e64 v9, null, 0, v9, s6
	v_add_co_u32 v10, s6, v10, s9
	s_wait_alu 0xf1ff
	v_add_co_ci_u32_e64 v11, null, 0, v11, s6
	s_or_b32 s12, vcc_lo, s12
	s_wait_alu 0xfffe
	s_and_not1_b32 exec_lo, exec_lo, s12
	s_cbranch_execnz .LBB108_73
; %bb.74:                               ;   in Loop: Header=BB108_11 Depth=1
	s_or_b32 exec_lo, exec_lo, s12
.LBB108_75:                             ;   in Loop: Header=BB108_11 Depth=1
	s_delay_alu instid0(SALU_CYCLE_1)
	s_or_b32 exec_lo, exec_lo, s11
	s_lshl_b32 s6, s86, 7
	s_and_saveexec_b32 s7, s1
	s_cbranch_execnz .LBB108_46
	s_branch .LBB108_47
.LBB108_76:                             ;   in Loop: Header=BB108_11 Depth=1
                                        ; implicit-def: $sgpr6_sgpr7
	s_branch .LBB108_55
.LBB108_77:                             ;   in Loop: Header=BB108_11 Depth=1
	s_mov_b32 s8, 0
	s_and_not1_b32 vcc_lo, exec_lo, s81
	s_wait_alu 0xfffe
	s_cbranch_vccnz .LBB108_80
.LBB108_78:                             ;   in Loop: Header=BB108_11 Depth=1
	s_lshl_b32 s9, s86, 10
	s_lshl_b32 s8, s8, 5
	s_wait_alu 0xfffe
	v_add3_u32 v2, s9, s8, v40
	s_mov_b32 s8, s77
.LBB108_79:                             ;   Parent Loop BB108_11 Depth=1
                                        ; =>  This Inner Loop Header: Depth=2
	ds_load_b64 v[6:7], v2
	v_add_nc_u32_e32 v2, 32, v2
	s_wait_alu 0xfffe
	s_add_co_i32 s8, s8, -1
	s_wait_alu 0xfffe
	s_cmp_lg_u32 s8, 0
	s_wait_dscnt 0x0
	v_add_co_u32 v4, vcc_lo, v6, v4
	s_wait_alu 0xfffd
	v_add_co_ci_u32_e64 v5, null, v7, v5, vcc_lo
	s_cbranch_scc1 .LBB108_79
.LBB108_80:                             ;   in Loop: Header=BB108_11 Depth=1
	v_add_lshl_u32 v2, s6, v32, 3
	ds_store_b64 v2, v[4:5] offset:3072
.LBB108_81:                             ;   in Loop: Header=BB108_11 Depth=1
	s_wait_alu 0xfffe
	s_or_b32 exec_lo, exec_lo, s7
	s_lshl_b32 s6, s6, 3
	s_wait_loadcnt_dscnt 0x0
	s_wait_alu 0xfffe
	v_mov_b32_e32 v2, s6
	s_barrier_signal -1
	s_barrier_wait -1
	global_inv scope:SCOPE_SE
	v_cmp_eq_u64_e32 vcc_lo, 1, v[26:27]
	ds_load_b128 v[4:7], v2 offset:3072
	ds_load_b128 v[8:11], v2 offset:3088
	s_lshl_b32 s16, 3, s83
	s_mov_b32 s18, -1
	s_wait_alu 0xfffe
	s_not_b32 s20, s16
                                        ; implicit-def: $sgpr22
                                        ; implicit-def: $sgpr21
	s_wait_dscnt 0x1
	v_cmp_eq_u64_e64 s6, 1, v[4:5]
	s_wait_dscnt 0x0
	v_readfirstlane_b32 s10, v8
	v_readfirstlane_b32 s11, v9
	;; [unrolled: 1-line block ×4, first 2 shown]
	s_and_b32 s19, s6, vcc_lo
	s_mov_b32 s6, -1
	s_and_saveexec_b32 s17, s19
	s_cbranch_execz .LBB108_113
; %bb.82:                               ;   in Loop: Header=BB108_11 Depth=1
	ds_load_b64 v[8:9], v3 offset:5120
	s_wait_loadcnt_dscnt 0x0
	s_barrier_signal -1
	s_barrier_wait -1
	global_inv scope:SCOPE_SE
	v_readfirstlane_b32 s6, v8
	v_readfirstlane_b32 s7, v9
	s_and_saveexec_b32 s12, s3
; %bb.83:                               ;   in Loop: Header=BB108_11 Depth=1
	ds_store_b16 v34, v3
; %bb.84:                               ;   in Loop: Header=BB108_11 Depth=1
	s_wait_alu 0xfffe
	s_or_b32 exec_lo, exec_lo, s12
	v_and_b32_e32 v20, s20, v20
	v_or_b32_e32 v42, s16, v42
	s_mov_b32 s21, -1
	s_mov_b32 s22, 0
	s_cmp_eq_u64 s[6:7], 0
	s_mov_b32 s14, 0
	s_mov_b32 s15, -1
	s_wait_loadcnt_dscnt 0x0
	s_barrier_signal -1
	s_barrier_wait -1
	global_inv scope:SCOPE_SE
                                        ; implicit-def: $vgpr43
	s_cbranch_scc1 .LBB108_98
; %bb.85:                               ;   in Loop: Header=BB108_11 Depth=1
	s_add_nc_u64 s[12:13], s[6:7], s[50:51]
	s_mov_b32 s14, s47
	s_wait_alu 0xfffe
	s_mov_b32 s15, s13
	s_wait_alu 0xfffe
	s_cmp_lg_u64 s[14:15], 0
	s_cbranch_scc0 .LBB108_139
; %bb.86:                               ;   in Loop: Header=BB108_11 Depth=1
	s_cvt_f32_u32 s14, s38
	s_sub_nc_u64 s[24:25], 0, s[38:39]
	s_wait_alu 0xfffe
	s_delay_alu instid0(SALU_CYCLE_1) | instskip(SKIP_1) | instid1(SALU_CYCLE_2)
	s_fmamk_f32 s14, s85, 0x0, s14
	s_wait_alu 0xfffe
	v_s_rcp_f32 s14, s14
	s_delay_alu instid0(TRANS32_DEP_1) | instskip(SKIP_1) | instid1(SALU_CYCLE_2)
	s_mul_f32 s14, s14, 0x5f7ffffc
	s_wait_alu 0xfffe
	s_mul_f32 s15, s14, 0x2f800000
	s_wait_alu 0xfffe
	s_delay_alu instid0(SALU_CYCLE_2) | instskip(SKIP_1) | instid1(SALU_CYCLE_2)
	s_trunc_f32 s15, s15
	s_wait_alu 0xfffe
	s_fmamk_f32 s14, s15, 0xcf800000, s14
	s_cvt_u32_f32 s15, s15
	s_wait_alu 0xfffe
	s_delay_alu instid0(SALU_CYCLE_1) | instskip(SKIP_1) | instid1(SALU_CYCLE_2)
	s_cvt_u32_f32 s14, s14
	s_wait_alu 0xfffe
	s_mul_u64 s[60:61], s[24:25], s[14:15]
	s_delay_alu instid0(SALU_CYCLE_1)
	s_mul_hi_u32 s63, s14, s61
	s_mul_i32 s62, s14, s61
	s_mul_hi_u32 s46, s14, s60
	s_mul_i32 s64, s15, s60
	s_wait_alu 0xfffe
	s_add_nc_u64 s[62:63], s[46:47], s[62:63]
	s_mul_hi_u32 s23, s15, s60
	s_mul_hi_u32 s65, s15, s61
	s_wait_alu 0xfffe
	s_add_co_u32 s46, s62, s64
	s_add_co_ci_u32 s46, s63, s23
	s_mul_i32 s60, s15, s61
	s_add_co_ci_u32 s61, s65, 0
	s_wait_alu 0xfffe
	s_add_nc_u64 s[60:61], s[46:47], s[60:61]
	s_delay_alu instid0(SALU_CYCLE_1) | instskip(SKIP_1) | instid1(SALU_CYCLE_1)
	s_add_co_u32 s14, s14, s60
	s_cselect_b32 s23, -1, 0
	s_cmp_lg_u32 s23, 0
	s_add_co_ci_u32 s15, s15, s61
	s_wait_alu 0xfffe
	s_mul_u64 s[24:25], s[24:25], s[14:15]
	s_delay_alu instid0(SALU_CYCLE_1)
	s_mul_hi_u32 s61, s14, s25
	s_mul_i32 s60, s14, s25
	s_mul_hi_u32 s46, s14, s24
	s_mul_i32 s62, s15, s24
	s_wait_alu 0xfffe
	s_add_nc_u64 s[60:61], s[46:47], s[60:61]
	s_mul_hi_u32 s23, s15, s24
	s_mul_hi_u32 s63, s15, s25
	s_mul_i32 s24, s15, s25
	s_add_co_u32 s25, s60, s62
	s_add_co_ci_u32 s46, s61, s23
	s_wait_alu 0xfffe
	s_add_co_ci_u32 s25, s63, 0
	s_delay_alu instid0(SALU_CYCLE_1) | instskip(NEXT) | instid1(SALU_CYCLE_1)
	s_add_nc_u64 s[24:25], s[46:47], s[24:25]
	s_add_co_u32 s14, s14, s24
	s_cselect_b32 s23, -1, 0
	s_wait_alu 0xfffe
	s_mul_hi_u32 s46, s12, s14
	s_cmp_lg_u32 s23, 0
	s_mul_hi_u32 s23, s13, s14
	s_add_co_ci_u32 s24, s15, s25
	s_mul_i32 s25, s13, s14
	s_mul_hi_u32 s15, s12, s24
	s_mul_i32 s14, s12, s24
	s_mul_hi_u32 s60, s13, s24
	s_wait_alu 0xfffe
	s_add_nc_u64 s[14:15], s[46:47], s[14:15]
	s_mul_i32 s24, s13, s24
	s_wait_alu 0xfffe
	s_add_co_u32 s14, s14, s25
	s_add_co_ci_u32 s46, s15, s23
	s_add_co_ci_u32 s25, s60, 0
	s_wait_alu 0xfffe
	s_add_nc_u64 s[14:15], s[46:47], s[24:25]
	s_wait_alu 0xfffe
	s_mul_u64 s[14:15], s[38:39], s[14:15]
	s_wait_alu 0xfffe
	s_sub_co_u32 s14, s12, s14
	s_cselect_b32 s23, -1, 0
	s_delay_alu instid0(SALU_CYCLE_1) | instskip(SKIP_4) | instid1(SALU_CYCLE_1)
	s_cmp_lg_u32 s23, 0
	s_sub_co_ci_u32 s15, s13, s15
	s_wait_alu 0xfffe
	s_sub_co_u32 s23, s14, s38
	s_cselect_b32 s24, -1, 0
	s_cmp_lg_u32 s24, 0
	s_sub_co_ci_u32 s24, s15, 0
	s_sub_co_u32 s25, s23, s38
	s_cselect_b32 s46, -1, 0
	s_wait_alu 0xfffe
	s_cmp_lg_u32 s46, 0
	s_sub_co_ci_u32 s46, s24, 0
	s_cmp_ge_u32 s23, s38
	s_cselect_b32 s60, -1, 0
	s_cmp_eq_u32 s24, 0
	s_cselect_b32 s60, s60, -1
	s_delay_alu instid0(SALU_CYCLE_1)
	s_cmp_lg_u32 s60, 0
	s_wait_alu 0xfffe
	s_cselect_b32 s24, s46, s24
	s_cselect_b32 s23, s25, s23
	s_cmp_ge_u32 s14, s38
	s_cselect_b32 s25, -1, 0
	s_cmp_eq_u32 s15, 0
	s_cselect_b32 s25, s25, -1
	s_delay_alu instid0(SALU_CYCLE_1)
	s_cmp_lg_u32 s25, 0
	s_cselect_b32 s15, s24, s15
	s_cselect_b32 s14, s23, s14
	s_cbranch_execnz .LBB108_88
.LBB108_87:                             ;   in Loop: Header=BB108_11 Depth=1
	v_cvt_f32_u32_e32 v2, s38
	s_sub_co_i32 s15, 0, s38
	s_delay_alu instid0(VALU_DEP_1) | instskip(NEXT) | instid1(TRANS32_DEP_1)
	v_rcp_iflag_f32_e32 v2, v2
	v_mul_f32_e32 v2, 0x4f7ffffe, v2
	s_delay_alu instid0(VALU_DEP_1) | instskip(NEXT) | instid1(VALU_DEP_1)
	v_cvt_u32_f32_e32 v2, v2
	v_readfirstlane_b32 s14, v2
	s_wait_alu 0xfffe
	s_mul_i32 s15, s15, s14
	s_wait_alu 0xfffe
	s_mul_hi_u32 s15, s14, s15
	s_wait_alu 0xfffe
	s_add_co_i32 s14, s14, s15
	s_wait_alu 0xfffe
	s_mul_hi_u32 s14, s12, s14
	s_wait_alu 0xfffe
	s_mul_i32 s14, s14, s38
	s_wait_alu 0xfffe
	s_sub_co_i32 s14, s12, s14
	s_wait_alu 0xfffe
	s_sub_co_i32 s15, s14, s38
	s_cmp_ge_u32 s14, s38
	s_wait_alu 0xfffe
	s_cselect_b32 s14, s15, s14
	s_wait_alu 0xfffe
	s_sub_co_i32 s15, s14, s38
	s_cmp_ge_u32 s14, s38
	s_wait_alu 0xfffe
	s_cselect_b32 s46, s15, s14
	s_wait_alu 0xfffe
	s_mov_b64 s[14:15], s[46:47]
.LBB108_88:                             ;   in Loop: Header=BB108_11 Depth=1
	s_wait_alu 0xfffe
	s_sub_nc_u64 s[12:13], s[12:13], s[14:15]
	s_mov_b32 s15, 0
	s_mov_b32 s14, 0
	s_mov_b32 s23, exec_lo
                                        ; implicit-def: $vgpr43
	s_wait_alu 0xfffe
	v_cmpx_gt_u64_e64 s[12:13], v[0:1]
	s_cbranch_execz .LBB108_97
; %bb.89:                               ;   in Loop: Header=BB108_11 Depth=1
	v_dual_mov_b32 v2, v33 :: v_dual_mov_b32 v9, v1
	v_mov_b32_e32 v8, v0
                                        ; implicit-def: $sgpr24
	s_branch .LBB108_92
.LBB108_90:                             ;   in Loop: Header=BB108_92 Depth=2
	s_or_b32 exec_lo, exec_lo, s25
	s_wait_loadcnt_dscnt 0x0
	s_barrier_signal -1
	s_barrier_wait -1
	global_inv scope:SCOPE_SE
	ds_load_b32 v10, v3 offset:3072
	s_mov_b32 s25, -1
	s_mov_b32 s46, -1
	s_wait_loadcnt_dscnt 0x0
	s_barrier_signal -1
	s_barrier_wait -1
	global_inv scope:SCOPE_SE
	v_and_b32_e32 v11, 0xffff, v10
	s_delay_alu instid0(VALU_DEP_1)
	v_cmp_ne_u32_e32 vcc_lo, 0, v11
	s_cbranch_vccz .LBB108_95
.LBB108_91:                             ;   in Loop: Header=BB108_92 Depth=2
	s_and_b32 s25, exec_lo, s25
	s_delay_alu instid0(SALU_CYCLE_1) | instskip(SKIP_3) | instid1(SALU_CYCLE_1)
	s_or_b32 s14, s25, s14
	s_and_not1_b32 s24, s24, exec_lo
	s_wait_alu 0xfffe
	s_and_b32 s25, s46, exec_lo
	s_or_b32 s24, s24, s25
	s_and_not1_b32 exec_lo, exec_lo, s14
	s_cbranch_execz .LBB108_96
.LBB108_92:                             ;   Parent Loop BB108_11 Depth=1
                                        ; =>  This Inner Loop Header: Depth=2
	s_mov_b32 s25, exec_lo
	s_delay_alu instid0(VALU_DEP_1)
	v_cmpx_gt_u64_e64 s[6:7], v[8:9]
	s_cbranch_execz .LBB108_90
; %bb.93:                               ;   in Loop: Header=BB108_92 Depth=2
	ds_load_u16 v10, v2
	s_wait_dscnt 0x0
	v_bfe_i32 v11, v10, 0, 16
	s_delay_alu instid0(VALU_DEP_1) | instskip(NEXT) | instid1(VALU_DEP_1)
	v_add_nc_u32_e32 v11, 0x8000, v11
	v_and_b32_e32 v11, v11, v42
	s_delay_alu instid0(VALU_DEP_1)
	v_cmp_eq_u32_e32 vcc_lo, v11, v20
	s_and_b32 exec_lo, exec_lo, vcc_lo
	s_cbranch_execz .LBB108_90
; %bb.94:                               ;   in Loop: Header=BB108_92 Depth=2
	v_perm_b32 v10, v10, 1, 0x5040100
	ds_store_b32 v3, v10 offset:3072
	s_branch .LBB108_90
.LBB108_95:                             ;   in Loop: Header=BB108_92 Depth=2
	v_add_co_u32 v8, vcc_lo, v8, s38
	s_wait_alu 0xfffd
	v_add_co_ci_u32_e64 v9, null, 0, v9, vcc_lo
	v_add_nc_u32_e32 v2, s82, v2
	s_mov_b32 s46, 0
	s_delay_alu instid0(VALU_DEP_2)
	v_cmp_le_u64_e32 vcc_lo, s[12:13], v[8:9]
	s_or_not1_b32 s25, vcc_lo, exec_lo
	s_branch .LBB108_91
.LBB108_96:                             ;   in Loop: Header=BB108_11 Depth=1
	s_or_b32 exec_lo, exec_lo, s14
	v_lshrrev_b32_e32 v43, 16, v10
	s_and_b32 s14, s24, exec_lo
.LBB108_97:                             ;   in Loop: Header=BB108_11 Depth=1
	s_or_b32 exec_lo, exec_lo, s23
.LBB108_98:                             ;   in Loop: Header=BB108_11 Depth=1
	s_wait_alu 0xfffe
	s_and_b32 vcc_lo, exec_lo, s15
	s_wait_alu 0xfffe
	s_cbranch_vccz .LBB108_112
; %bb.99:                               ;   in Loop: Header=BB108_11 Depth=1
	s_mov_b32 s6, s47
	s_mov_b32 s7, s53
	s_wait_alu 0xfffe
	s_cmp_lg_u64 s[6:7], 0
	s_cbranch_scc0 .LBB108_143
; %bb.100:                              ;   in Loop: Header=BB108_11 Depth=1
	s_cvt_f32_u32 s6, s38
	s_sub_nc_u64 s[12:13], 0, s[38:39]
	s_wait_alu 0xfffe
	s_delay_alu instid0(SALU_CYCLE_1) | instskip(SKIP_1) | instid1(SALU_CYCLE_2)
	s_fmamk_f32 s6, s85, 0x0, s6
	s_wait_alu 0xfffe
	v_s_rcp_f32 s6, s6
	s_delay_alu instid0(TRANS32_DEP_1) | instskip(SKIP_1) | instid1(SALU_CYCLE_2)
	s_mul_f32 s6, s6, 0x5f7ffffc
	s_wait_alu 0xfffe
	s_mul_f32 s7, s6, 0x2f800000
	s_wait_alu 0xfffe
	s_delay_alu instid0(SALU_CYCLE_2) | instskip(SKIP_1) | instid1(SALU_CYCLE_2)
	s_trunc_f32 s7, s7
	s_wait_alu 0xfffe
	s_fmamk_f32 s6, s7, 0xcf800000, s6
	s_cvt_u32_f32 s7, s7
	s_wait_alu 0xfffe
	s_delay_alu instid0(SALU_CYCLE_1) | instskip(SKIP_1) | instid1(SALU_CYCLE_2)
	s_cvt_u32_f32 s6, s6
	s_wait_alu 0xfffe
	s_mul_u64 s[22:23], s[12:13], s[6:7]
	s_delay_alu instid0(SALU_CYCLE_1)
	s_mul_hi_u32 s25, s6, s23
	s_mul_i32 s24, s6, s23
	s_mul_hi_u32 s46, s6, s22
	s_mul_i32 s21, s7, s22
	s_wait_alu 0xfffe
	s_add_nc_u64 s[24:25], s[46:47], s[24:25]
	s_mul_hi_u32 s15, s7, s22
	s_mul_hi_u32 s60, s7, s23
	s_add_co_u32 s21, s24, s21
	s_wait_alu 0xfffe
	s_add_co_ci_u32 s46, s25, s15
	s_mul_i32 s22, s7, s23
	s_add_co_ci_u32 s23, s60, 0
	s_wait_alu 0xfffe
	s_add_nc_u64 s[22:23], s[46:47], s[22:23]
	s_delay_alu instid0(SALU_CYCLE_1)
	s_add_co_u32 s6, s6, s22
	s_cselect_b32 s15, -1, 0
	s_wait_alu 0xfffe
	s_cmp_lg_u32 s15, 0
	s_add_co_ci_u32 s7, s7, s23
	s_wait_alu 0xfffe
	s_mul_u64 s[12:13], s[12:13], s[6:7]
	s_wait_alu 0xfffe
	s_mul_hi_u32 s23, s6, s13
	s_mul_i32 s22, s6, s13
	s_mul_hi_u32 s46, s6, s12
	s_mul_i32 s21, s7, s12
	s_wait_alu 0xfffe
	s_add_nc_u64 s[22:23], s[46:47], s[22:23]
	s_mul_hi_u32 s15, s7, s12
	s_mul_hi_u32 s24, s7, s13
	s_mul_i32 s12, s7, s13
	s_add_co_u32 s13, s22, s21
	s_wait_alu 0xfffe
	s_add_co_ci_u32 s46, s23, s15
	s_add_co_ci_u32 s13, s24, 0
	s_wait_alu 0xfffe
	s_add_nc_u64 s[12:13], s[46:47], s[12:13]
	s_wait_alu 0xfffe
	s_add_co_u32 s6, s6, s12
	s_cselect_b32 s12, -1, 0
	s_wait_alu 0xfffe
	s_mul_hi_u32 s46, s52, s6
	s_cmp_lg_u32 s12, 0
	s_mul_hi_u32 s15, s53, s6
	s_add_co_ci_u32 s12, s7, s13
	s_mul_i32 s13, s53, s6
	s_wait_alu 0xfffe
	s_mul_hi_u32 s7, s52, s12
	s_mul_i32 s6, s52, s12
	s_mul_hi_u32 s21, s53, s12
	s_wait_alu 0xfffe
	s_add_nc_u64 s[6:7], s[46:47], s[6:7]
	s_mul_i32 s12, s53, s12
	s_wait_alu 0xfffe
	s_add_co_u32 s6, s6, s13
	s_add_co_ci_u32 s46, s7, s15
	s_add_co_ci_u32 s13, s21, 0
	s_wait_alu 0xfffe
	s_add_nc_u64 s[6:7], s[46:47], s[12:13]
	s_wait_alu 0xfffe
	s_mul_u64 s[6:7], s[38:39], s[6:7]
	s_wait_alu 0xfffe
	s_sub_co_u32 s6, s52, s6
	s_cselect_b32 s12, -1, 0
	s_wait_alu 0xfffe
	s_cmp_lg_u32 s12, 0
	s_sub_co_ci_u32 s7, s53, s7
	s_sub_co_u32 s12, s6, s38
	s_cselect_b32 s13, -1, 0
	s_wait_alu 0xfffe
	s_cmp_lg_u32 s13, 0
	s_sub_co_ci_u32 s13, s7, 0
	;; [unrolled: 5-line block ×3, first 2 shown]
	s_cmp_ge_u32 s12, s38
	s_cselect_b32 s22, -1, 0
	s_cmp_eq_u32 s13, 0
	s_cselect_b32 s22, s22, -1
	s_delay_alu instid0(SALU_CYCLE_1)
	s_cmp_lg_u32 s22, 0
	s_wait_alu 0xfffe
	s_cselect_b32 s13, s21, s13
	s_cselect_b32 s12, s15, s12
	s_cmp_ge_u32 s6, s38
	s_cselect_b32 s15, -1, 0
	s_cmp_eq_u32 s7, 0
	s_wait_alu 0xfffe
	s_cselect_b32 s15, s15, -1
	s_wait_alu 0xfffe
	s_cmp_lg_u32 s15, 0
	s_cselect_b32 s7, s13, s7
	s_cselect_b32 s6, s12, s6
	s_cbranch_execnz .LBB108_102
.LBB108_101:                            ;   in Loop: Header=BB108_11 Depth=1
	v_cvt_f32_u32_e32 v2, s38
	s_sub_co_i32 s7, 0, s38
	s_delay_alu instid0(VALU_DEP_1) | instskip(NEXT) | instid1(TRANS32_DEP_1)
	v_rcp_iflag_f32_e32 v2, v2
	v_mul_f32_e32 v2, 0x4f7ffffe, v2
	s_delay_alu instid0(VALU_DEP_1) | instskip(NEXT) | instid1(VALU_DEP_1)
	v_cvt_u32_f32_e32 v2, v2
	v_readfirstlane_b32 s6, v2
	s_wait_alu 0xfffe
	s_mul_i32 s7, s7, s6
	s_wait_alu 0xfffe
	s_mul_hi_u32 s7, s6, s7
	s_wait_alu 0xfffe
	s_add_co_i32 s6, s6, s7
	s_wait_alu 0xfffe
	s_mul_hi_u32 s6, s52, s6
	s_wait_alu 0xfffe
	s_mul_i32 s6, s6, s38
	s_wait_alu 0xfffe
	s_sub_co_i32 s6, s52, s6
	s_wait_alu 0xfffe
	s_sub_co_i32 s7, s6, s38
	s_cmp_ge_u32 s6, s38
	s_wait_alu 0xfffe
	s_cselect_b32 s6, s7, s6
	s_wait_alu 0xfffe
	s_sub_co_i32 s7, s6, s38
	s_cmp_ge_u32 s6, s38
	s_wait_alu 0xfffe
	s_cselect_b32 s46, s7, s6
	s_wait_alu 0xfffe
	s_mov_b64 s[6:7], s[46:47]
.LBB108_102:                            ;   in Loop: Header=BB108_11 Depth=1
	s_wait_alu 0xfffe
	s_sub_nc_u64 s[12:13], s[52:53], s[6:7]
	s_mov_b32 s7, exec_lo
                                        ; implicit-def: $vgpr43
	s_wait_alu 0xfffe
	v_cmpx_gt_u64_e64 s[12:13], v[0:1]
	s_cbranch_execz .LBB108_111
; %bb.103:                              ;   in Loop: Header=BB108_11 Depth=1
	v_dual_mov_b32 v8, v12 :: v_dual_mov_b32 v9, v13
	v_dual_mov_b32 v11, v1 :: v_dual_mov_b32 v10, v0
	s_mov_b32 s15, 0
                                        ; implicit-def: $sgpr21
	s_branch .LBB108_106
.LBB108_104:                            ;   in Loop: Header=BB108_106 Depth=2
	s_wait_alu 0xfffe
	s_or_b32 exec_lo, exec_lo, s6
	s_wait_loadcnt_dscnt 0x0
	s_barrier_signal -1
	s_barrier_wait -1
	global_inv scope:SCOPE_SE
	ds_load_b32 v2, v3 offset:3072
	s_mov_b32 s6, -1
	s_mov_b32 s22, -1
	s_wait_loadcnt_dscnt 0x0
	s_barrier_signal -1
	s_barrier_wait -1
	global_inv scope:SCOPE_SE
	v_and_b32_e32 v28, 0xffff, v2
	s_delay_alu instid0(VALU_DEP_1)
	v_cmp_ne_u32_e32 vcc_lo, 0, v28
	s_cbranch_vccz .LBB108_109
.LBB108_105:                            ;   in Loop: Header=BB108_106 Depth=2
	s_wait_alu 0xfffe
	s_and_b32 s6, exec_lo, s6
	s_wait_alu 0xfffe
	s_or_b32 s15, s6, s15
	s_and_not1_b32 s6, s21, exec_lo
	s_and_b32 s21, s22, exec_lo
	s_wait_alu 0xfffe
	s_or_b32 s21, s6, s21
	s_and_not1_b32 exec_lo, exec_lo, s15
	s_cbranch_execz .LBB108_110
.LBB108_106:                            ;   Parent Loop BB108_11 Depth=1
                                        ; =>  This Inner Loop Header: Depth=2
	s_mov_b32 s6, exec_lo
	s_delay_alu instid0(VALU_DEP_1)
	v_cmpx_gt_u64_e64 s[28:29], v[10:11]
	s_cbranch_execz .LBB108_104
; %bb.107:                              ;   in Loop: Header=BB108_106 Depth=2
	global_load_u16 v2, v[8:9], off
	s_wait_loadcnt 0x0
	v_bfe_i32 v28, v2, 0, 16
	s_delay_alu instid0(VALU_DEP_1) | instskip(NEXT) | instid1(VALU_DEP_1)
	v_add_nc_u32_e32 v28, 0x8000, v28
	v_and_b32_e32 v28, v28, v42
	s_delay_alu instid0(VALU_DEP_1)
	v_cmp_eq_u32_e32 vcc_lo, v28, v20
	s_and_b32 exec_lo, exec_lo, vcc_lo
	s_cbranch_execz .LBB108_104
; %bb.108:                              ;   in Loop: Header=BB108_106 Depth=2
	v_perm_b32 v2, v2, 1, 0x5040100
	ds_store_b32 v3, v2 offset:3072
	s_branch .LBB108_104
.LBB108_109:                            ;   in Loop: Header=BB108_106 Depth=2
	v_add_co_u32 v10, vcc_lo, v10, s38
	s_wait_alu 0xfffd
	v_add_co_ci_u32_e64 v11, null, 0, v11, vcc_lo
	v_add_co_u32 v8, s6, v8, s48
	s_wait_alu 0xf1fe
	v_add_co_ci_u32_e64 v9, null, s49, v9, s6
	s_delay_alu instid0(VALU_DEP_3)
	v_cmp_le_u64_e32 vcc_lo, s[12:13], v[10:11]
	s_mov_b32 s22, 0
	s_or_not1_b32 s6, vcc_lo, exec_lo
	s_branch .LBB108_105
.LBB108_110:                            ;   in Loop: Header=BB108_11 Depth=1
	s_or_b32 exec_lo, exec_lo, s15
	v_lshrrev_b32_e32 v43, 16, v2
	s_and_not1_b32 s6, s14, exec_lo
	s_wait_alu 0xfffe
	s_and_b32 s12, s21, exec_lo
	s_wait_alu 0xfffe
	s_or_b32 s14, s6, s12
.LBB108_111:                            ;   in Loop: Header=BB108_11 Depth=1
	s_or_b32 exec_lo, exec_lo, s7
	s_mov_b32 s21, 0
	s_mov_b32 s22, -1
.LBB108_112:                            ;   in Loop: Header=BB108_11 Depth=1
	s_wait_alu 0xfffe
	s_or_not1_b32 s6, s14, exec_lo
.LBB108_113:                            ;   in Loop: Header=BB108_11 Depth=1
	s_wait_alu 0xfffe
	s_or_b32 exec_lo, exec_lo, s17
	s_delay_alu instid0(SALU_CYCLE_1)
	s_and_not1_b32 s7, s91, exec_lo
	s_and_b32 s12, s22, exec_lo
	s_and_not1_b32 s13, s89, exec_lo
	s_and_b32 s14, s21, exec_lo
	s_and_not1_b32 s88, s88, exec_lo
	s_wait_alu 0xfffe
	s_or_b32 s91, s7, s12
	s_or_b32 s89, s13, s14
                                        ; implicit-def: $vgpr8_vgpr9
	s_and_saveexec_b32 s17, s6
	s_cbranch_execz .LBB108_10
; %bb.114:                              ;   in Loop: Header=BB108_11 Depth=1
	v_mov_b32_e32 v8, 1
	v_dual_mov_b32 v9, 0 :: v_dual_mov_b32 v2, 1
	s_xor_b32 s12, s19, -1
	s_mov_b32 s7, 0
	s_wait_alu 0xfffe
	s_and_saveexec_b32 s6, s12
	s_cbranch_execz .LBB108_123
; %bb.115:                              ;   in Loop: Header=BB108_11 Depth=1
	s_mov_b32 s7, exec_lo
	v_cmpx_le_u64_e64 v[26:27], v[4:5]
	s_wait_alu 0xfffe
	s_xor_b32 s7, exec_lo, s7
	s_cbranch_execz .LBB108_120
; %bb.116:                              ;   in Loop: Header=BB108_11 Depth=1
	ds_load_b64 v[8:9], v3 offset:5120
	v_and_b32_e32 v20, s20, v20
	v_or_b32_e32 v42, s16, v42
	s_wait_dscnt 0x0
	v_cmp_ne_u64_e32 vcc_lo, 0, v[8:9]
	s_cbranch_vccnz .LBB108_120
; %bb.117:                              ;   in Loop: Header=BB108_11 Depth=1
	s_and_saveexec_b32 s12, s2
; %bb.118:                              ;   in Loop: Header=BB108_11 Depth=1
	ds_store_b64 v3, v[4:5] offset:5128
; %bb.119:                              ;   in Loop: Header=BB108_11 Depth=1
	s_wait_alu 0xfffe
	s_or_b32 exec_lo, exec_lo, s12
	s_wait_loadcnt_dscnt 0x0
	s_barrier_signal -1
	s_barrier_wait -1
	global_inv scope:SCOPE_SE
.LBB108_120:                            ;   in Loop: Header=BB108_11 Depth=1
	s_wait_alu 0xfffe
	s_or_saveexec_b32 s7, s7
	v_mov_b32_e32 v2, 8
	s_mov_b32 s12, 0
	s_wait_alu 0xfffe
	s_xor_b32 exec_lo, exec_lo, s7
; %bb.121:                              ;   in Loop: Header=BB108_11 Depth=1
	v_sub_co_u32 v26, vcc_lo, v26, v4
	s_wait_alu 0xfffd
	v_sub_co_ci_u32_e64 v27, null, v27, v5, vcc_lo
	v_mov_b32_e32 v2, 0
	s_mov_b32 s12, exec_lo
; %bb.122:                              ;   in Loop: Header=BB108_11 Depth=1
	s_or_b32 exec_lo, exec_lo, s7
	s_delay_alu instid0(VALU_DEP_2)
	v_dual_mov_b32 v8, v26 :: v_dual_mov_b32 v9, v27
	s_wait_alu 0xfffe
	s_and_b32 s7, s12, exec_lo
.LBB108_123:                            ;   in Loop: Header=BB108_11 Depth=1
	s_wait_alu 0xfffe
	s_or_b32 exec_lo, exec_lo, s6
	s_mov_b32 s18, -1
	s_mov_b32 s6, -1
                                        ; implicit-def: $sgpr21
                                        ; implicit-def: $sgpr22
	s_and_saveexec_b32 s12, s7
	s_wait_alu 0xfffe
	s_xor_b32 s19, exec_lo, s12
	s_cbranch_execz .LBB108_268
; %bb.124:                              ;   in Loop: Header=BB108_11 Depth=1
	v_cmp_eq_u64_e32 vcc_lo, 1, v[6:7]
	v_cmp_eq_u64_e64 s6, 1, v[8:9]
                                        ; implicit-def: $sgpr22
                                        ; implicit-def: $sgpr21
	s_and_b32 s24, vcc_lo, s6
	s_mov_b32 s6, -1
	s_and_saveexec_b32 s23, s24
	s_cbranch_execz .LBB108_161
; %bb.125:                              ;   in Loop: Header=BB108_11 Depth=1
	ds_load_b64 v[4:5], v3 offset:5120
	s_wait_loadcnt_dscnt 0x0
	s_barrier_signal -1
	s_barrier_wait -1
	global_inv scope:SCOPE_SE
	v_readfirstlane_b32 s6, v4
	v_readfirstlane_b32 s7, v5
	s_and_saveexec_b32 s12, s3
; %bb.126:                              ;   in Loop: Header=BB108_11 Depth=1
	ds_store_b16 v34, v3
; %bb.127:                              ;   in Loop: Header=BB108_11 Depth=1
	s_wait_alu 0xfffe
	s_or_b32 exec_lo, exec_lo, s12
	s_lshl_b32 s12, 1, s83
	v_or_b32_e32 v42, s16, v42
	s_wait_alu 0xfffe
	v_and_or_b32 v20, v20, s20, s12
	s_mov_b32 s21, -1
	s_mov_b32 s22, 0
	s_cmp_eq_u64 s[6:7], 0
	s_mov_b32 s14, 0
	s_mov_b32 s15, -1
	s_wait_loadcnt_dscnt 0x0
	s_barrier_signal -1
	s_barrier_wait -1
	global_inv scope:SCOPE_SE
                                        ; implicit-def: $vgpr43
	s_cbranch_scc1 .LBB108_146
; %bb.128:                              ;   in Loop: Header=BB108_11 Depth=1
	s_add_nc_u64 s[12:13], s[6:7], s[50:51]
	s_mov_b32 s14, s47
	s_wait_alu 0xfffe
	s_mov_b32 s15, s13
	s_wait_alu 0xfffe
	s_cmp_lg_u64 s[14:15], 0
	s_cbranch_scc0 .LBB108_188
; %bb.129:                              ;   in Loop: Header=BB108_11 Depth=1
	s_cvt_f32_u32 s14, s38
	s_sub_nc_u64 s[60:61], 0, s[38:39]
	s_wait_alu 0xfffe
	s_delay_alu instid0(SALU_CYCLE_1) | instskip(SKIP_1) | instid1(SALU_CYCLE_2)
	s_fmamk_f32 s14, s85, 0x0, s14
	s_wait_alu 0xfffe
	v_s_rcp_f32 s14, s14
	s_delay_alu instid0(TRANS32_DEP_1) | instskip(SKIP_1) | instid1(SALU_CYCLE_2)
	s_mul_f32 s14, s14, 0x5f7ffffc
	s_wait_alu 0xfffe
	s_mul_f32 s15, s14, 0x2f800000
	s_wait_alu 0xfffe
	s_delay_alu instid0(SALU_CYCLE_2) | instskip(SKIP_1) | instid1(SALU_CYCLE_2)
	s_trunc_f32 s15, s15
	s_wait_alu 0xfffe
	s_fmamk_f32 s14, s15, 0xcf800000, s14
	s_cvt_u32_f32 s15, s15
	s_wait_alu 0xfffe
	s_delay_alu instid0(SALU_CYCLE_1) | instskip(SKIP_1) | instid1(SALU_CYCLE_2)
	s_cvt_u32_f32 s14, s14
	s_wait_alu 0xfffe
	s_mul_u64 s[62:63], s[60:61], s[14:15]
	s_wait_alu 0xfffe
	s_mul_hi_u32 s65, s14, s63
	s_mul_i32 s64, s14, s63
	s_mul_hi_u32 s46, s14, s62
	s_mul_i32 s66, s15, s62
	s_wait_alu 0xfffe
	s_add_nc_u64 s[64:65], s[46:47], s[64:65]
	s_mul_hi_u32 s25, s15, s62
	s_mul_hi_u32 s67, s15, s63
	s_wait_alu 0xfffe
	s_add_co_u32 s46, s64, s66
	s_add_co_ci_u32 s46, s65, s25
	s_mul_i32 s62, s15, s63
	s_add_co_ci_u32 s63, s67, 0
	s_wait_alu 0xfffe
	s_add_nc_u64 s[62:63], s[46:47], s[62:63]
	s_wait_alu 0xfffe
	s_add_co_u32 s14, s14, s62
	s_cselect_b32 s25, -1, 0
	s_delay_alu instid0(SALU_CYCLE_1) | instskip(SKIP_3) | instid1(SALU_CYCLE_1)
	s_cmp_lg_u32 s25, 0
	s_add_co_ci_u32 s15, s15, s63
	s_wait_alu 0xfffe
	s_mul_u64 s[60:61], s[60:61], s[14:15]
	s_mul_hi_u32 s63, s14, s61
	s_mul_i32 s62, s14, s61
	s_mul_hi_u32 s46, s14, s60
	s_mul_i32 s64, s15, s60
	s_wait_alu 0xfffe
	s_add_nc_u64 s[62:63], s[46:47], s[62:63]
	s_mul_hi_u32 s25, s15, s60
	s_mul_hi_u32 s65, s15, s61
	s_wait_alu 0xfffe
	s_add_co_u32 s46, s62, s64
	s_add_co_ci_u32 s46, s63, s25
	s_mul_i32 s60, s15, s61
	s_add_co_ci_u32 s61, s65, 0
	s_wait_alu 0xfffe
	s_add_nc_u64 s[60:61], s[46:47], s[60:61]
	s_delay_alu instid0(SALU_CYCLE_1)
	s_add_co_u32 s14, s14, s60
	s_cselect_b32 s25, -1, 0
	s_wait_alu 0xfffe
	s_mul_hi_u32 s46, s12, s14
	s_cmp_lg_u32 s25, 0
	s_mul_hi_u32 s25, s13, s14
	s_add_co_ci_u32 s60, s15, s61
	s_mul_i32 s61, s13, s14
	s_mul_hi_u32 s15, s12, s60
	s_mul_i32 s14, s12, s60
	s_mul_hi_u32 s62, s13, s60
	s_wait_alu 0xfffe
	s_add_nc_u64 s[14:15], s[46:47], s[14:15]
	s_mul_i32 s60, s13, s60
	s_wait_alu 0xfffe
	s_add_co_u32 s14, s14, s61
	s_add_co_ci_u32 s46, s15, s25
	s_add_co_ci_u32 s61, s62, 0
	s_wait_alu 0xfffe
	s_add_nc_u64 s[14:15], s[46:47], s[60:61]
	s_wait_alu 0xfffe
	s_mul_u64 s[14:15], s[38:39], s[14:15]
	s_wait_alu 0xfffe
	s_sub_co_u32 s14, s12, s14
	s_cselect_b32 s25, -1, 0
	s_delay_alu instid0(SALU_CYCLE_1)
	s_cmp_lg_u32 s25, 0
	s_sub_co_ci_u32 s15, s13, s15
	s_wait_alu 0xfffe
	s_sub_co_u32 s25, s14, s38
	s_cselect_b32 s46, -1, 0
	s_wait_alu 0xfffe
	s_cmp_lg_u32 s46, 0
	s_sub_co_ci_u32 s46, s15, 0
	s_sub_co_u32 s60, s25, s38
	s_cselect_b32 s61, -1, 0
	s_delay_alu instid0(SALU_CYCLE_1)
	s_cmp_lg_u32 s61, 0
	s_wait_alu 0xfffe
	s_sub_co_ci_u32 s61, s46, 0
	s_cmp_ge_u32 s25, s38
	s_cselect_b32 s62, -1, 0
	s_cmp_eq_u32 s46, 0
	s_wait_alu 0xfffe
	s_cselect_b32 s62, s62, -1
	s_wait_alu 0xfffe
	s_cmp_lg_u32 s62, 0
	s_cselect_b32 s46, s61, s46
	s_cselect_b32 s25, s60, s25
	s_cmp_ge_u32 s14, s38
	s_cselect_b32 s60, -1, 0
	s_cmp_eq_u32 s15, 0
	s_cselect_b32 s60, s60, -1
	s_delay_alu instid0(SALU_CYCLE_1)
	s_cmp_lg_u32 s60, 0
	s_wait_alu 0xfffe
	s_cselect_b32 s15, s46, s15
	s_cselect_b32 s14, s25, s14
	s_cbranch_execnz .LBB108_131
.LBB108_130:                            ;   in Loop: Header=BB108_11 Depth=1
	v_cvt_f32_u32_e32 v4, s38
	s_sub_co_i32 s15, 0, s38
	s_delay_alu instid0(VALU_DEP_1) | instskip(NEXT) | instid1(TRANS32_DEP_1)
	v_rcp_iflag_f32_e32 v4, v4
	v_mul_f32_e32 v4, 0x4f7ffffe, v4
	s_delay_alu instid0(VALU_DEP_1) | instskip(NEXT) | instid1(VALU_DEP_1)
	v_cvt_u32_f32_e32 v4, v4
	v_readfirstlane_b32 s14, v4
	s_wait_alu 0xfffe
	s_mul_i32 s15, s15, s14
	s_wait_alu 0xfffe
	s_mul_hi_u32 s15, s14, s15
	s_wait_alu 0xfffe
	s_add_co_i32 s14, s14, s15
	s_wait_alu 0xfffe
	s_mul_hi_u32 s14, s12, s14
	s_wait_alu 0xfffe
	s_mul_i32 s14, s14, s38
	s_wait_alu 0xfffe
	s_sub_co_i32 s14, s12, s14
	s_wait_alu 0xfffe
	s_sub_co_i32 s15, s14, s38
	s_cmp_ge_u32 s14, s38
	s_wait_alu 0xfffe
	s_cselect_b32 s14, s15, s14
	s_wait_alu 0xfffe
	s_sub_co_i32 s15, s14, s38
	s_cmp_ge_u32 s14, s38
	s_wait_alu 0xfffe
	s_cselect_b32 s46, s15, s14
	s_wait_alu 0xfffe
	s_mov_b64 s[14:15], s[46:47]
.LBB108_131:                            ;   in Loop: Header=BB108_11 Depth=1
	s_wait_alu 0xfffe
	s_sub_nc_u64 s[12:13], s[12:13], s[14:15]
	s_mov_b32 s15, 0
	s_mov_b32 s14, 0
	s_mov_b32 s25, exec_lo
                                        ; implicit-def: $vgpr43
	s_wait_alu 0xfffe
	v_cmpx_gt_u64_e64 s[12:13], v[0:1]
	s_cbranch_execz .LBB108_145
; %bb.132:                              ;   in Loop: Header=BB108_11 Depth=1
	v_dual_mov_b32 v10, v33 :: v_dual_mov_b32 v5, v1
	v_mov_b32_e32 v4, v0
                                        ; implicit-def: $sgpr46
	s_branch .LBB108_135
.LBB108_133:                            ;   in Loop: Header=BB108_135 Depth=2
	s_or_b32 exec_lo, exec_lo, s60
	s_wait_loadcnt_dscnt 0x0
	s_barrier_signal -1
	s_barrier_wait -1
	global_inv scope:SCOPE_SE
	ds_load_b32 v11, v3 offset:3072
	s_mov_b32 s60, -1
	s_mov_b32 s61, -1
	s_wait_loadcnt_dscnt 0x0
	s_barrier_signal -1
	s_barrier_wait -1
	global_inv scope:SCOPE_SE
	v_and_b32_e32 v26, 0xffff, v11
	s_delay_alu instid0(VALU_DEP_1)
	v_cmp_ne_u32_e32 vcc_lo, 0, v26
	s_cbranch_vccz .LBB108_138
.LBB108_134:                            ;   in Loop: Header=BB108_135 Depth=2
	s_and_b32 s60, exec_lo, s60
	s_delay_alu instid0(SALU_CYCLE_1)
	s_or_b32 s14, s60, s14
	s_wait_alu 0xfffe
	s_and_not1_b32 s46, s46, exec_lo
	s_and_b32 s60, s61, exec_lo
	s_wait_alu 0xfffe
	s_or_b32 s46, s46, s60
	s_and_not1_b32 exec_lo, exec_lo, s14
	s_cbranch_execz .LBB108_144
.LBB108_135:                            ;   Parent Loop BB108_11 Depth=1
                                        ; =>  This Inner Loop Header: Depth=2
	s_mov_b32 s60, exec_lo
	s_delay_alu instid0(VALU_DEP_1)
	v_cmpx_gt_u64_e64 s[6:7], v[4:5]
	s_cbranch_execz .LBB108_133
; %bb.136:                              ;   in Loop: Header=BB108_135 Depth=2
	ds_load_u16 v11, v10
	s_wait_dscnt 0x0
	v_bfe_i32 v26, v11, 0, 16
	s_delay_alu instid0(VALU_DEP_1) | instskip(NEXT) | instid1(VALU_DEP_1)
	v_add_nc_u32_e32 v26, 0x8000, v26
	v_and_b32_e32 v26, v26, v42
	s_delay_alu instid0(VALU_DEP_1)
	v_cmp_eq_u32_e32 vcc_lo, v26, v20
	s_and_b32 exec_lo, exec_lo, vcc_lo
	s_cbranch_execz .LBB108_133
; %bb.137:                              ;   in Loop: Header=BB108_135 Depth=2
	v_perm_b32 v11, v11, 1, 0x5040100
	ds_store_b32 v3, v11 offset:3072
	s_branch .LBB108_133
.LBB108_138:                            ;   in Loop: Header=BB108_135 Depth=2
	v_add_co_u32 v4, vcc_lo, v4, s38
	s_wait_alu 0xfffd
	v_add_co_ci_u32_e64 v5, null, 0, v5, vcc_lo
	v_add_nc_u32_e32 v10, s82, v10
	s_mov_b32 s61, 0
	s_delay_alu instid0(VALU_DEP_2)
	v_cmp_le_u64_e32 vcc_lo, s[12:13], v[4:5]
	s_or_not1_b32 s60, vcc_lo, exec_lo
	s_branch .LBB108_134
.LBB108_139:                            ;   in Loop: Header=BB108_11 Depth=1
                                        ; implicit-def: $sgpr14_sgpr15
	s_branch .LBB108_87
.LBB108_140:                            ;   in Loop: Header=BB108_11 Depth=1
	s_or_b32 exec_lo, exec_lo, s9
	s_wait_dscnt 0x0
	s_barrier_signal -1
	s_barrier_wait -1
	global_inv scope:SCOPE_SE
	s_and_saveexec_b32 s6, s2
	s_cbranch_execz .LBB108_142
; %bb.141:                              ;   in Loop: Header=BB108_11 Depth=1
	ds_load_b32 v4, v3 offset:5144
	s_wait_dscnt 0x0
	v_ashrrev_i32_e32 v5, 31, v4
	ds_store_b64 v3, v[4:5] offset:5120
.LBB108_142:                            ;   in Loop: Header=BB108_11 Depth=1
	s_wait_alu 0xfffe
	s_or_b32 exec_lo, exec_lo, s6
	s_wait_loadcnt_dscnt 0x0
	s_barrier_signal -1
	s_mov_b32 s6, -1
	s_barrier_wait -1
	s_and_b32 vcc_lo, exec_lo, s8
	s_wait_alu 0xfffe
	s_cbranch_vccnz .LBB108_26
	s_branch .LBB108_41
.LBB108_143:                            ;   in Loop: Header=BB108_11 Depth=1
                                        ; implicit-def: $sgpr6_sgpr7
	s_branch .LBB108_101
.LBB108_144:                            ;   in Loop: Header=BB108_11 Depth=1
	s_or_b32 exec_lo, exec_lo, s14
	v_lshrrev_b32_e32 v43, 16, v11
	s_wait_alu 0xfffe
	s_and_b32 s14, s46, exec_lo
.LBB108_145:                            ;   in Loop: Header=BB108_11 Depth=1
	s_or_b32 exec_lo, exec_lo, s25
.LBB108_146:                            ;   in Loop: Header=BB108_11 Depth=1
	s_wait_alu 0xfffe
	s_and_b32 vcc_lo, exec_lo, s15
	s_wait_alu 0xfffe
	s_cbranch_vccz .LBB108_160
; %bb.147:                              ;   in Loop: Header=BB108_11 Depth=1
	s_mov_b32 s6, s47
	s_mov_b32 s7, s53
	s_wait_alu 0xfffe
	s_cmp_lg_u64 s[6:7], 0
	s_cbranch_scc0 .LBB108_189
; %bb.148:                              ;   in Loop: Header=BB108_11 Depth=1
	s_cvt_f32_u32 s6, s38
	s_sub_nc_u64 s[12:13], 0, s[38:39]
	s_wait_alu 0xfffe
	s_delay_alu instid0(SALU_CYCLE_1) | instskip(SKIP_1) | instid1(SALU_CYCLE_2)
	s_fmamk_f32 s6, s85, 0x0, s6
	s_wait_alu 0xfffe
	v_s_rcp_f32 s6, s6
	s_delay_alu instid0(TRANS32_DEP_1) | instskip(SKIP_1) | instid1(SALU_CYCLE_2)
	s_mul_f32 s6, s6, 0x5f7ffffc
	s_wait_alu 0xfffe
	s_mul_f32 s7, s6, 0x2f800000
	s_wait_alu 0xfffe
	s_delay_alu instid0(SALU_CYCLE_2) | instskip(SKIP_1) | instid1(SALU_CYCLE_2)
	s_trunc_f32 s7, s7
	s_wait_alu 0xfffe
	s_fmamk_f32 s6, s7, 0xcf800000, s6
	s_cvt_u32_f32 s7, s7
	s_wait_alu 0xfffe
	s_delay_alu instid0(SALU_CYCLE_1) | instskip(SKIP_1) | instid1(SALU_CYCLE_2)
	s_cvt_u32_f32 s6, s6
	s_wait_alu 0xfffe
	s_mul_u64 s[60:61], s[12:13], s[6:7]
	s_delay_alu instid0(SALU_CYCLE_1)
	s_mul_hi_u32 s63, s6, s61
	s_mul_i32 s62, s6, s61
	s_mul_hi_u32 s46, s6, s60
	s_mul_i32 s21, s7, s60
	s_wait_alu 0xfffe
	s_add_nc_u64 s[62:63], s[46:47], s[62:63]
	s_mul_hi_u32 s15, s7, s60
	s_mul_hi_u32 s22, s7, s61
	s_wait_alu 0xfffe
	s_add_co_u32 s21, s62, s21
	s_add_co_ci_u32 s46, s63, s15
	s_mul_i32 s60, s7, s61
	s_add_co_ci_u32 s61, s22, 0
	s_wait_alu 0xfffe
	s_add_nc_u64 s[60:61], s[46:47], s[60:61]
	s_delay_alu instid0(SALU_CYCLE_1)
	s_add_co_u32 s6, s6, s60
	s_cselect_b32 s15, -1, 0
	s_wait_alu 0xfffe
	s_cmp_lg_u32 s15, 0
	s_add_co_ci_u32 s7, s7, s61
	s_wait_alu 0xfffe
	s_mul_u64 s[12:13], s[12:13], s[6:7]
	s_wait_alu 0xfffe
	s_mul_hi_u32 s61, s6, s13
	s_mul_i32 s60, s6, s13
	s_mul_hi_u32 s46, s6, s12
	s_mul_i32 s21, s7, s12
	s_wait_alu 0xfffe
	s_add_nc_u64 s[60:61], s[46:47], s[60:61]
	s_mul_hi_u32 s15, s7, s12
	s_mul_hi_u32 s22, s7, s13
	s_mul_i32 s12, s7, s13
	s_add_co_u32 s13, s60, s21
	s_wait_alu 0xfffe
	s_add_co_ci_u32 s46, s61, s15
	s_add_co_ci_u32 s13, s22, 0
	s_wait_alu 0xfffe
	s_add_nc_u64 s[12:13], s[46:47], s[12:13]
	s_wait_alu 0xfffe
	s_add_co_u32 s6, s6, s12
	s_cselect_b32 s12, -1, 0
	s_wait_alu 0xfffe
	s_mul_hi_u32 s46, s52, s6
	s_cmp_lg_u32 s12, 0
	s_mul_hi_u32 s15, s53, s6
	s_add_co_ci_u32 s12, s7, s13
	s_mul_i32 s13, s53, s6
	s_wait_alu 0xfffe
	s_mul_hi_u32 s7, s52, s12
	s_mul_i32 s6, s52, s12
	s_mul_hi_u32 s21, s53, s12
	s_wait_alu 0xfffe
	s_add_nc_u64 s[6:7], s[46:47], s[6:7]
	s_mul_i32 s12, s53, s12
	s_wait_alu 0xfffe
	s_add_co_u32 s6, s6, s13
	s_add_co_ci_u32 s46, s7, s15
	s_add_co_ci_u32 s13, s21, 0
	s_wait_alu 0xfffe
	s_add_nc_u64 s[6:7], s[46:47], s[12:13]
	s_wait_alu 0xfffe
	s_mul_u64 s[6:7], s[38:39], s[6:7]
	s_wait_alu 0xfffe
	s_sub_co_u32 s6, s52, s6
	s_cselect_b32 s12, -1, 0
	s_wait_alu 0xfffe
	s_cmp_lg_u32 s12, 0
	s_sub_co_ci_u32 s7, s53, s7
	s_sub_co_u32 s12, s6, s38
	s_cselect_b32 s13, -1, 0
	s_wait_alu 0xfffe
	s_cmp_lg_u32 s13, 0
	s_sub_co_ci_u32 s13, s7, 0
	;; [unrolled: 5-line block ×3, first 2 shown]
	s_cmp_ge_u32 s12, s38
	s_cselect_b32 s22, -1, 0
	s_cmp_eq_u32 s13, 0
	s_cselect_b32 s22, s22, -1
	s_delay_alu instid0(SALU_CYCLE_1)
	s_cmp_lg_u32 s22, 0
	s_wait_alu 0xfffe
	s_cselect_b32 s13, s21, s13
	s_cselect_b32 s12, s15, s12
	s_cmp_ge_u32 s6, s38
	s_cselect_b32 s15, -1, 0
	s_cmp_eq_u32 s7, 0
	s_wait_alu 0xfffe
	s_cselect_b32 s15, s15, -1
	s_wait_alu 0xfffe
	s_cmp_lg_u32 s15, 0
	s_cselect_b32 s7, s13, s7
	s_cselect_b32 s6, s12, s6
	s_cbranch_execnz .LBB108_150
.LBB108_149:                            ;   in Loop: Header=BB108_11 Depth=1
	v_cvt_f32_u32_e32 v4, s38
	s_sub_co_i32 s7, 0, s38
	s_delay_alu instid0(VALU_DEP_1) | instskip(NEXT) | instid1(TRANS32_DEP_1)
	v_rcp_iflag_f32_e32 v4, v4
	v_mul_f32_e32 v4, 0x4f7ffffe, v4
	s_delay_alu instid0(VALU_DEP_1) | instskip(NEXT) | instid1(VALU_DEP_1)
	v_cvt_u32_f32_e32 v4, v4
	v_readfirstlane_b32 s6, v4
	s_wait_alu 0xfffe
	s_mul_i32 s7, s7, s6
	s_wait_alu 0xfffe
	s_mul_hi_u32 s7, s6, s7
	s_wait_alu 0xfffe
	s_add_co_i32 s6, s6, s7
	s_wait_alu 0xfffe
	s_mul_hi_u32 s6, s52, s6
	s_wait_alu 0xfffe
	s_mul_i32 s6, s6, s38
	s_wait_alu 0xfffe
	s_sub_co_i32 s6, s52, s6
	s_wait_alu 0xfffe
	s_sub_co_i32 s7, s6, s38
	s_cmp_ge_u32 s6, s38
	s_wait_alu 0xfffe
	s_cselect_b32 s6, s7, s6
	s_wait_alu 0xfffe
	s_sub_co_i32 s7, s6, s38
	s_cmp_ge_u32 s6, s38
	s_wait_alu 0xfffe
	s_cselect_b32 s46, s7, s6
	s_wait_alu 0xfffe
	s_mov_b64 s[6:7], s[46:47]
.LBB108_150:                            ;   in Loop: Header=BB108_11 Depth=1
	s_wait_alu 0xfffe
	s_sub_nc_u64 s[12:13], s[52:53], s[6:7]
	s_mov_b32 s7, exec_lo
                                        ; implicit-def: $vgpr43
	s_wait_alu 0xfffe
	v_cmpx_gt_u64_e64 s[12:13], v[0:1]
	s_cbranch_execz .LBB108_159
; %bb.151:                              ;   in Loop: Header=BB108_11 Depth=1
	v_dual_mov_b32 v4, v12 :: v_dual_mov_b32 v5, v13
	v_dual_mov_b32 v11, v1 :: v_dual_mov_b32 v10, v0
	s_mov_b32 s15, 0
                                        ; implicit-def: $sgpr21
	s_branch .LBB108_154
.LBB108_152:                            ;   in Loop: Header=BB108_154 Depth=2
	s_wait_alu 0xfffe
	s_or_b32 exec_lo, exec_lo, s6
	s_wait_loadcnt_dscnt 0x0
	s_barrier_signal -1
	s_barrier_wait -1
	global_inv scope:SCOPE_SE
	ds_load_b32 v26, v3 offset:3072
	s_mov_b32 s6, -1
	s_mov_b32 s22, -1
	s_wait_loadcnt_dscnt 0x0
	s_barrier_signal -1
	s_barrier_wait -1
	global_inv scope:SCOPE_SE
	v_and_b32_e32 v27, 0xffff, v26
	s_delay_alu instid0(VALU_DEP_1)
	v_cmp_eq_u32_e32 vcc_lo, 0, v27
	s_cbranch_vccnz .LBB108_157
.LBB108_153:                            ;   in Loop: Header=BB108_154 Depth=2
	s_wait_alu 0xfffe
	s_and_b32 s6, exec_lo, s6
	s_wait_alu 0xfffe
	s_or_b32 s15, s6, s15
	s_and_not1_b32 s6, s21, exec_lo
	s_and_b32 s21, s22, exec_lo
	s_wait_alu 0xfffe
	s_or_b32 s21, s6, s21
	s_and_not1_b32 exec_lo, exec_lo, s15
	s_cbranch_execz .LBB108_158
.LBB108_154:                            ;   Parent Loop BB108_11 Depth=1
                                        ; =>  This Inner Loop Header: Depth=2
	s_mov_b32 s6, exec_lo
	s_delay_alu instid0(VALU_DEP_1)
	v_cmpx_gt_u64_e64 s[28:29], v[10:11]
	s_cbranch_execz .LBB108_152
; %bb.155:                              ;   in Loop: Header=BB108_154 Depth=2
	global_load_u16 v26, v[4:5], off
	s_wait_loadcnt 0x0
	v_bfe_i32 v27, v26, 0, 16
	s_delay_alu instid0(VALU_DEP_1) | instskip(NEXT) | instid1(VALU_DEP_1)
	v_add_nc_u32_e32 v27, 0x8000, v27
	v_and_b32_e32 v27, v27, v42
	s_delay_alu instid0(VALU_DEP_1)
	v_cmp_eq_u32_e32 vcc_lo, v27, v20
	s_and_b32 exec_lo, exec_lo, vcc_lo
	s_cbranch_execz .LBB108_152
; %bb.156:                              ;   in Loop: Header=BB108_154 Depth=2
	v_perm_b32 v26, v26, 1, 0x5040100
	ds_store_b32 v3, v26 offset:3072
	s_branch .LBB108_152
.LBB108_157:                            ;   in Loop: Header=BB108_154 Depth=2
	v_add_co_u32 v10, vcc_lo, v10, s38
	s_wait_alu 0xfffd
	v_add_co_ci_u32_e64 v11, null, 0, v11, vcc_lo
	v_add_co_u32 v4, s6, v4, s48
	s_wait_alu 0xf1fe
	v_add_co_ci_u32_e64 v5, null, s49, v5, s6
	s_delay_alu instid0(VALU_DEP_3)
	v_cmp_le_u64_e32 vcc_lo, s[12:13], v[10:11]
	s_mov_b32 s22, 0
	s_or_not1_b32 s6, vcc_lo, exec_lo
	s_branch .LBB108_153
.LBB108_158:                            ;   in Loop: Header=BB108_11 Depth=1
	s_or_b32 exec_lo, exec_lo, s15
	v_lshrrev_b32_e32 v43, 16, v26
	s_and_not1_b32 s6, s14, exec_lo
	s_wait_alu 0xfffe
	s_and_b32 s12, s21, exec_lo
	s_wait_alu 0xfffe
	s_or_b32 s14, s6, s12
.LBB108_159:                            ;   in Loop: Header=BB108_11 Depth=1
	s_or_b32 exec_lo, exec_lo, s7
	s_mov_b32 s21, 0
	s_mov_b32 s22, -1
.LBB108_160:                            ;   in Loop: Header=BB108_11 Depth=1
	s_wait_alu 0xfffe
	s_or_not1_b32 s6, s14, exec_lo
.LBB108_161:                            ;   in Loop: Header=BB108_11 Depth=1
	s_or_b32 exec_lo, exec_lo, s23
	s_mov_b32 s7, 0
	s_wait_alu 0xfffe
	s_and_saveexec_b32 s23, s6
	s_cbranch_execz .LBB108_267
; %bb.162:                              ;   in Loop: Header=BB108_11 Depth=1
	v_mov_b32_e32 v4, 1
	v_dual_mov_b32 v5, 0 :: v_dual_mov_b32 v2, 1
	s_xor_b32 s12, s24, -1
	s_wait_alu 0xfffe
	s_and_saveexec_b32 s6, s12
	s_cbranch_execz .LBB108_172
; %bb.163:                              ;   in Loop: Header=BB108_11 Depth=1
	s_mov_b32 s7, exec_lo
	v_cmpx_le_u64_e64 v[8:9], v[6:7]
	s_wait_alu 0xfffe
	s_xor_b32 s7, exec_lo, s7
	s_cbranch_execz .LBB108_169
; %bb.164:                              ;   in Loop: Header=BB108_11 Depth=1
	ds_load_b64 v[4:5], v3 offset:5120
	s_lshl_b32 s12, 1, s83
	v_or_b32_e32 v42, s16, v42
	s_wait_alu 0xfffe
	v_and_or_b32 v20, v20, s20, s12
	s_wait_dscnt 0x0
	v_cmp_ne_u64_e32 vcc_lo, 0, v[4:5]
	s_cbranch_vccnz .LBB108_168
; %bb.165:                              ;   in Loop: Header=BB108_11 Depth=1
	s_and_saveexec_b32 s12, s2
; %bb.166:                              ;   in Loop: Header=BB108_11 Depth=1
	ds_store_b64 v3, v[6:7] offset:5128
; %bb.167:                              ;   in Loop: Header=BB108_11 Depth=1
	s_wait_alu 0xfffe
	s_or_b32 exec_lo, exec_lo, s12
	s_wait_loadcnt_dscnt 0x0
	s_barrier_signal -1
	s_barrier_wait -1
	global_inv scope:SCOPE_SE
.LBB108_168:                            ;   in Loop: Header=BB108_11 Depth=1
                                        ; implicit-def: $vgpr4_vgpr5_vgpr6_vgpr7
.LBB108_169:                            ;   in Loop: Header=BB108_11 Depth=1
	s_wait_alu 0xfffe
	s_or_saveexec_b32 s7, s7
	v_mov_b32_e32 v2, 8
	s_mov_b32 s12, 0
	s_wait_alu 0xfffe
	s_xor_b32 exec_lo, exec_lo, s7
; %bb.170:                              ;   in Loop: Header=BB108_11 Depth=1
	v_sub_co_u32 v8, vcc_lo, v8, v6
	s_wait_alu 0xfffd
	v_sub_co_ci_u32_e64 v9, null, v9, v7, vcc_lo
	v_mov_b32_e32 v2, 0
	s_mov_b32 s12, exec_lo
; %bb.171:                              ;   in Loop: Header=BB108_11 Depth=1
	s_or_b32 exec_lo, exec_lo, s7
	s_delay_alu instid0(VALU_DEP_2)
	v_dual_mov_b32 v4, v8 :: v_dual_mov_b32 v5, v9
	s_wait_alu 0xfffe
	s_and_b32 s7, s12, exec_lo
.LBB108_172:                            ;   in Loop: Header=BB108_11 Depth=1
	s_wait_alu 0xfffe
	s_or_b32 exec_lo, exec_lo, s6
	s_mov_b32 s6, -1
                                        ; implicit-def: $sgpr25
                                        ; implicit-def: $sgpr60
	s_and_saveexec_b32 s24, s7
	s_cbranch_execz .LBB108_266
; %bb.173:                              ;   in Loop: Header=BB108_11 Depth=1
	v_cmp_eq_u64_e32 vcc_lo, 1, v[4:5]
	s_cmp_eq_u64 s[10:11], 1
                                        ; implicit-def: $sgpr60
                                        ; implicit-def: $sgpr25
	s_cselect_b32 s6, -1, 0
	s_wait_alu 0xfffe
	s_and_b32 s61, s6, vcc_lo
	s_mov_b32 s6, -1
	s_and_saveexec_b32 s62, s61
	s_cbranch_execz .LBB108_207
; %bb.174:                              ;   in Loop: Header=BB108_11 Depth=1
	ds_load_b64 v[6:7], v3 offset:5120
	s_wait_loadcnt_dscnt 0x0
	s_barrier_signal -1
	s_barrier_wait -1
	global_inv scope:SCOPE_SE
	v_readfirstlane_b32 s6, v6
	v_readfirstlane_b32 s7, v7
	s_and_saveexec_b32 s12, s3
; %bb.175:                              ;   in Loop: Header=BB108_11 Depth=1
	ds_store_b16 v34, v3
; %bb.176:                              ;   in Loop: Header=BB108_11 Depth=1
	s_wait_alu 0xfffe
	s_or_b32 exec_lo, exec_lo, s12
	s_lshl_b32 s12, 2, s83
	v_or_b32_e32 v42, s16, v42
	s_wait_alu 0xfffe
	v_and_or_b32 v20, v20, s20, s12
	s_mov_b32 s25, -1
	s_mov_b32 s60, 0
	s_cmp_eq_u64 s[6:7], 0
	s_mov_b32 s14, 0
	s_mov_b32 s15, -1
	s_wait_loadcnt_dscnt 0x0
	s_barrier_signal -1
	s_barrier_wait -1
	global_inv scope:SCOPE_SE
                                        ; implicit-def: $vgpr43
	s_cbranch_scc1 .LBB108_192
; %bb.177:                              ;   in Loop: Header=BB108_11 Depth=1
	s_add_nc_u64 s[12:13], s[6:7], s[50:51]
	s_mov_b32 s14, s47
	s_wait_alu 0xfffe
	s_mov_b32 s15, s13
	s_wait_alu 0xfffe
	s_cmp_lg_u64 s[14:15], 0
	s_cbranch_scc0 .LBB108_233
; %bb.178:                              ;   in Loop: Header=BB108_11 Depth=1
	s_cvt_f32_u32 s14, s38
	s_sub_nc_u64 s[64:65], 0, s[38:39]
	s_wait_alu 0xfffe
	s_delay_alu instid0(SALU_CYCLE_1) | instskip(SKIP_1) | instid1(SALU_CYCLE_2)
	s_fmamk_f32 s14, s85, 0x0, s14
	s_wait_alu 0xfffe
	v_s_rcp_f32 s14, s14
	s_delay_alu instid0(TRANS32_DEP_1) | instskip(SKIP_1) | instid1(SALU_CYCLE_2)
	s_mul_f32 s14, s14, 0x5f7ffffc
	s_wait_alu 0xfffe
	s_mul_f32 s15, s14, 0x2f800000
	s_wait_alu 0xfffe
	s_delay_alu instid0(SALU_CYCLE_2) | instskip(SKIP_1) | instid1(SALU_CYCLE_2)
	s_trunc_f32 s15, s15
	s_wait_alu 0xfffe
	s_fmamk_f32 s14, s15, 0xcf800000, s14
	s_cvt_u32_f32 s15, s15
	s_wait_alu 0xfffe
	s_delay_alu instid0(SALU_CYCLE_1) | instskip(SKIP_1) | instid1(SALU_CYCLE_2)
	s_cvt_u32_f32 s14, s14
	s_wait_alu 0xfffe
	s_mul_u64 s[66:67], s[64:65], s[14:15]
	s_wait_alu 0xfffe
	s_mul_hi_u32 s69, s14, s67
	s_mul_i32 s68, s14, s67
	s_mul_hi_u32 s46, s14, s66
	s_mul_i32 s70, s15, s66
	s_wait_alu 0xfffe
	s_add_nc_u64 s[68:69], s[46:47], s[68:69]
	s_mul_hi_u32 s63, s15, s66
	s_mul_hi_u32 s71, s15, s67
	s_wait_alu 0xfffe
	s_add_co_u32 s46, s68, s70
	s_add_co_ci_u32 s46, s69, s63
	s_mul_i32 s66, s15, s67
	s_add_co_ci_u32 s67, s71, 0
	s_wait_alu 0xfffe
	s_add_nc_u64 s[66:67], s[46:47], s[66:67]
	s_wait_alu 0xfffe
	s_add_co_u32 s14, s14, s66
	s_cselect_b32 s46, -1, 0
	s_wait_alu 0xfffe
	s_cmp_lg_u32 s46, 0
	s_add_co_ci_u32 s15, s15, s67
	s_wait_alu 0xfffe
	s_mul_u64 s[64:65], s[64:65], s[14:15]
	s_wait_alu 0xfffe
	s_mul_hi_u32 s67, s14, s65
	s_mul_i32 s66, s14, s65
	s_mul_hi_u32 s46, s14, s64
	s_mul_i32 s68, s15, s64
	s_wait_alu 0xfffe
	s_add_nc_u64 s[66:67], s[46:47], s[66:67]
	s_mul_hi_u32 s63, s15, s64
	s_mul_hi_u32 s69, s15, s65
	s_wait_alu 0xfffe
	s_add_co_u32 s46, s66, s68
	s_add_co_ci_u32 s46, s67, s63
	s_mul_i32 s64, s15, s65
	s_add_co_ci_u32 s65, s69, 0
	s_wait_alu 0xfffe
	s_add_nc_u64 s[64:65], s[46:47], s[64:65]
	s_wait_alu 0xfffe
	s_add_co_u32 s14, s14, s64
	s_cselect_b32 s63, -1, 0
	s_wait_alu 0xfffe
	s_mul_hi_u32 s46, s12, s14
	s_cmp_lg_u32 s63, 0
	s_mul_hi_u32 s63, s13, s14
	s_add_co_ci_u32 s64, s15, s65
	s_mul_i32 s65, s13, s14
	s_wait_alu 0xfffe
	s_mul_hi_u32 s15, s12, s64
	s_mul_i32 s14, s12, s64
	s_mul_hi_u32 s66, s13, s64
	s_wait_alu 0xfffe
	s_add_nc_u64 s[14:15], s[46:47], s[14:15]
	s_mul_i32 s64, s13, s64
	s_wait_alu 0xfffe
	s_add_co_u32 s14, s14, s65
	s_add_co_ci_u32 s46, s15, s63
	s_add_co_ci_u32 s65, s66, 0
	s_wait_alu 0xfffe
	s_add_nc_u64 s[14:15], s[46:47], s[64:65]
	s_wait_alu 0xfffe
	s_mul_u64 s[14:15], s[38:39], s[14:15]
	s_wait_alu 0xfffe
	s_sub_co_u32 s14, s12, s14
	s_cselect_b32 s46, -1, 0
	s_wait_alu 0xfffe
	s_cmp_lg_u32 s46, 0
	s_sub_co_ci_u32 s15, s13, s15
	s_sub_co_u32 s46, s14, s38
	s_cselect_b32 s63, -1, 0
	s_wait_alu 0xfffe
	s_cmp_lg_u32 s63, 0
	s_sub_co_ci_u32 s63, s15, 0
	;; [unrolled: 5-line block ×3, first 2 shown]
	s_cmp_ge_u32 s46, s38
	s_cselect_b32 s66, -1, 0
	s_cmp_eq_u32 s63, 0
	s_wait_alu 0xfffe
	s_cselect_b32 s66, s66, -1
	s_wait_alu 0xfffe
	s_cmp_lg_u32 s66, 0
	s_cselect_b32 s63, s65, s63
	s_cselect_b32 s46, s64, s46
	s_cmp_ge_u32 s14, s38
	s_cselect_b32 s64, -1, 0
	s_cmp_eq_u32 s15, 0
	s_wait_alu 0xfffe
	s_cselect_b32 s64, s64, -1
	s_wait_alu 0xfffe
	s_cmp_lg_u32 s64, 0
	s_cselect_b32 s15, s63, s15
	s_cselect_b32 s14, s46, s14
	s_cbranch_execnz .LBB108_180
.LBB108_179:                            ;   in Loop: Header=BB108_11 Depth=1
	v_cvt_f32_u32_e32 v6, s38
	s_sub_co_i32 s15, 0, s38
	s_delay_alu instid0(VALU_DEP_1) | instskip(NEXT) | instid1(TRANS32_DEP_1)
	v_rcp_iflag_f32_e32 v6, v6
	v_mul_f32_e32 v6, 0x4f7ffffe, v6
	s_delay_alu instid0(VALU_DEP_1) | instskip(NEXT) | instid1(VALU_DEP_1)
	v_cvt_u32_f32_e32 v6, v6
	v_readfirstlane_b32 s14, v6
	s_wait_alu 0xfffe
	s_mul_i32 s15, s15, s14
	s_wait_alu 0xfffe
	s_mul_hi_u32 s15, s14, s15
	s_wait_alu 0xfffe
	s_add_co_i32 s14, s14, s15
	s_wait_alu 0xfffe
	s_mul_hi_u32 s14, s12, s14
	s_wait_alu 0xfffe
	s_mul_i32 s14, s14, s38
	s_wait_alu 0xfffe
	s_sub_co_i32 s14, s12, s14
	s_wait_alu 0xfffe
	s_sub_co_i32 s15, s14, s38
	s_cmp_ge_u32 s14, s38
	s_wait_alu 0xfffe
	s_cselect_b32 s14, s15, s14
	s_wait_alu 0xfffe
	s_sub_co_i32 s15, s14, s38
	s_cmp_ge_u32 s14, s38
	s_wait_alu 0xfffe
	s_cselect_b32 s46, s15, s14
	s_wait_alu 0xfffe
	s_mov_b64 s[14:15], s[46:47]
.LBB108_180:                            ;   in Loop: Header=BB108_11 Depth=1
	s_wait_alu 0xfffe
	s_sub_nc_u64 s[12:13], s[12:13], s[14:15]
	s_mov_b32 s15, 0
	s_mov_b32 s14, 0
	s_mov_b32 s46, exec_lo
                                        ; implicit-def: $vgpr43
	s_wait_alu 0xfffe
	v_cmpx_gt_u64_e64 s[12:13], v[0:1]
	s_cbranch_execz .LBB108_191
; %bb.181:                              ;   in Loop: Header=BB108_11 Depth=1
	v_dual_mov_b32 v8, v33 :: v_dual_mov_b32 v7, v1
	v_mov_b32_e32 v6, v0
                                        ; implicit-def: $sgpr63
	s_branch .LBB108_184
.LBB108_182:                            ;   in Loop: Header=BB108_184 Depth=2
	s_wait_alu 0xfffe
	s_or_b32 exec_lo, exec_lo, s64
	s_wait_loadcnt_dscnt 0x0
	s_barrier_signal -1
	s_barrier_wait -1
	global_inv scope:SCOPE_SE
	ds_load_b32 v9, v3 offset:3072
	s_mov_b32 s64, -1
	s_mov_b32 s65, -1
	s_wait_loadcnt_dscnt 0x0
	s_barrier_signal -1
	s_barrier_wait -1
	global_inv scope:SCOPE_SE
	v_and_b32_e32 v10, 0xffff, v9
	s_delay_alu instid0(VALU_DEP_1)
	v_cmp_ne_u32_e32 vcc_lo, 0, v10
	s_cbranch_vccz .LBB108_187
.LBB108_183:                            ;   in Loop: Header=BB108_184 Depth=2
	s_wait_alu 0xfffe
	s_and_b32 s64, exec_lo, s64
	s_wait_alu 0xfffe
	s_or_b32 s14, s64, s14
	s_and_not1_b32 s63, s63, exec_lo
	s_and_b32 s64, s65, exec_lo
	s_wait_alu 0xfffe
	s_or_b32 s63, s63, s64
	s_and_not1_b32 exec_lo, exec_lo, s14
	s_cbranch_execz .LBB108_190
.LBB108_184:                            ;   Parent Loop BB108_11 Depth=1
                                        ; =>  This Inner Loop Header: Depth=2
	s_mov_b32 s64, exec_lo
	s_delay_alu instid0(VALU_DEP_1)
	v_cmpx_gt_u64_e64 s[6:7], v[6:7]
	s_cbranch_execz .LBB108_182
; %bb.185:                              ;   in Loop: Header=BB108_184 Depth=2
	ds_load_u16 v9, v8
	s_wait_dscnt 0x0
	v_bfe_i32 v10, v9, 0, 16
	s_delay_alu instid0(VALU_DEP_1) | instskip(NEXT) | instid1(VALU_DEP_1)
	v_add_nc_u32_e32 v10, 0x8000, v10
	v_and_b32_e32 v10, v10, v42
	s_delay_alu instid0(VALU_DEP_1)
	v_cmp_eq_u32_e32 vcc_lo, v10, v20
	s_and_b32 exec_lo, exec_lo, vcc_lo
	s_cbranch_execz .LBB108_182
; %bb.186:                              ;   in Loop: Header=BB108_184 Depth=2
	v_perm_b32 v9, v9, 1, 0x5040100
	ds_store_b32 v3, v9 offset:3072
	s_branch .LBB108_182
.LBB108_187:                            ;   in Loop: Header=BB108_184 Depth=2
	v_add_co_u32 v6, vcc_lo, v6, s38
	s_wait_alu 0xfffd
	v_add_co_ci_u32_e64 v7, null, 0, v7, vcc_lo
	v_add_nc_u32_e32 v8, s82, v8
	s_mov_b32 s65, 0
	s_delay_alu instid0(VALU_DEP_2)
	v_cmp_le_u64_e32 vcc_lo, s[12:13], v[6:7]
	s_or_not1_b32 s64, vcc_lo, exec_lo
	s_branch .LBB108_183
.LBB108_188:                            ;   in Loop: Header=BB108_11 Depth=1
                                        ; implicit-def: $sgpr14_sgpr15
	s_branch .LBB108_130
.LBB108_189:                            ;   in Loop: Header=BB108_11 Depth=1
                                        ; implicit-def: $sgpr6_sgpr7
	s_branch .LBB108_149
.LBB108_190:                            ;   in Loop: Header=BB108_11 Depth=1
	s_or_b32 exec_lo, exec_lo, s14
	v_lshrrev_b32_e32 v43, 16, v9
	s_wait_alu 0xfffe
	s_and_b32 s14, s63, exec_lo
.LBB108_191:                            ;   in Loop: Header=BB108_11 Depth=1
	s_or_b32 exec_lo, exec_lo, s46
.LBB108_192:                            ;   in Loop: Header=BB108_11 Depth=1
	s_wait_alu 0xfffe
	s_and_b32 vcc_lo, exec_lo, s15
	s_wait_alu 0xfffe
	s_cbranch_vccz .LBB108_206
; %bb.193:                              ;   in Loop: Header=BB108_11 Depth=1
	s_mov_b32 s6, s47
	s_mov_b32 s7, s53
	s_wait_alu 0xfffe
	s_cmp_lg_u64 s[6:7], 0
	s_cbranch_scc0 .LBB108_234
; %bb.194:                              ;   in Loop: Header=BB108_11 Depth=1
	s_cvt_f32_u32 s6, s38
	s_sub_nc_u64 s[12:13], 0, s[38:39]
	s_wait_alu 0xfffe
	s_delay_alu instid0(SALU_CYCLE_1) | instskip(SKIP_1) | instid1(SALU_CYCLE_2)
	s_fmamk_f32 s6, s85, 0x0, s6
	s_wait_alu 0xfffe
	v_s_rcp_f32 s6, s6
	s_delay_alu instid0(TRANS32_DEP_1) | instskip(SKIP_1) | instid1(SALU_CYCLE_2)
	s_mul_f32 s6, s6, 0x5f7ffffc
	s_wait_alu 0xfffe
	s_mul_f32 s7, s6, 0x2f800000
	s_wait_alu 0xfffe
	s_delay_alu instid0(SALU_CYCLE_2) | instskip(SKIP_1) | instid1(SALU_CYCLE_2)
	s_trunc_f32 s7, s7
	s_wait_alu 0xfffe
	s_fmamk_f32 s6, s7, 0xcf800000, s6
	s_cvt_u32_f32 s7, s7
	s_wait_alu 0xfffe
	s_delay_alu instid0(SALU_CYCLE_1) | instskip(SKIP_1) | instid1(SALU_CYCLE_2)
	s_cvt_u32_f32 s6, s6
	s_wait_alu 0xfffe
	s_mul_u64 s[64:65], s[12:13], s[6:7]
	s_wait_alu 0xfffe
	s_mul_hi_u32 s67, s6, s65
	s_mul_i32 s66, s6, s65
	s_mul_hi_u32 s46, s6, s64
	s_mul_i32 s25, s7, s64
	s_wait_alu 0xfffe
	s_add_nc_u64 s[66:67], s[46:47], s[66:67]
	s_mul_hi_u32 s15, s7, s64
	s_mul_hi_u32 s60, s7, s65
	s_wait_alu 0xfffe
	s_add_co_u32 s25, s66, s25
	s_add_co_ci_u32 s46, s67, s15
	s_mul_i32 s64, s7, s65
	s_add_co_ci_u32 s65, s60, 0
	s_wait_alu 0xfffe
	s_add_nc_u64 s[64:65], s[46:47], s[64:65]
	s_wait_alu 0xfffe
	s_add_co_u32 s6, s6, s64
	s_cselect_b32 s15, -1, 0
	s_wait_alu 0xfffe
	s_cmp_lg_u32 s15, 0
	s_add_co_ci_u32 s7, s7, s65
	s_wait_alu 0xfffe
	s_mul_u64 s[12:13], s[12:13], s[6:7]
	s_wait_alu 0xfffe
	s_mul_hi_u32 s65, s6, s13
	s_mul_i32 s64, s6, s13
	s_mul_hi_u32 s46, s6, s12
	s_mul_i32 s25, s7, s12
	s_wait_alu 0xfffe
	s_add_nc_u64 s[64:65], s[46:47], s[64:65]
	s_mul_hi_u32 s15, s7, s12
	s_mul_hi_u32 s60, s7, s13
	s_mul_i32 s12, s7, s13
	s_wait_alu 0xfffe
	s_add_co_u32 s13, s64, s25
	s_add_co_ci_u32 s46, s65, s15
	s_add_co_ci_u32 s13, s60, 0
	s_wait_alu 0xfffe
	s_add_nc_u64 s[12:13], s[46:47], s[12:13]
	s_wait_alu 0xfffe
	s_add_co_u32 s6, s6, s12
	s_cselect_b32 s12, -1, 0
	s_wait_alu 0xfffe
	s_mul_hi_u32 s46, s52, s6
	s_cmp_lg_u32 s12, 0
	s_mul_hi_u32 s15, s53, s6
	s_add_co_ci_u32 s12, s7, s13
	s_mul_i32 s13, s53, s6
	s_wait_alu 0xfffe
	s_mul_hi_u32 s7, s52, s12
	s_mul_i32 s6, s52, s12
	s_mul_hi_u32 s25, s53, s12
	s_wait_alu 0xfffe
	s_add_nc_u64 s[6:7], s[46:47], s[6:7]
	s_mul_i32 s12, s53, s12
	s_wait_alu 0xfffe
	s_add_co_u32 s6, s6, s13
	s_add_co_ci_u32 s46, s7, s15
	s_add_co_ci_u32 s13, s25, 0
	s_wait_alu 0xfffe
	s_add_nc_u64 s[6:7], s[46:47], s[12:13]
	s_wait_alu 0xfffe
	s_mul_u64 s[6:7], s[38:39], s[6:7]
	s_wait_alu 0xfffe
	s_sub_co_u32 s6, s52, s6
	s_cselect_b32 s12, -1, 0
	s_wait_alu 0xfffe
	s_cmp_lg_u32 s12, 0
	s_sub_co_ci_u32 s7, s53, s7
	s_sub_co_u32 s12, s6, s38
	s_cselect_b32 s13, -1, 0
	s_wait_alu 0xfffe
	s_cmp_lg_u32 s13, 0
	s_sub_co_ci_u32 s13, s7, 0
	s_sub_co_u32 s15, s12, s38
	s_cselect_b32 s25, -1, 0
	s_delay_alu instid0(SALU_CYCLE_1)
	s_cmp_lg_u32 s25, 0
	s_wait_alu 0xfffe
	s_sub_co_ci_u32 s25, s13, 0
	s_cmp_ge_u32 s12, s38
	s_cselect_b32 s46, -1, 0
	s_cmp_eq_u32 s13, 0
	s_wait_alu 0xfffe
	s_cselect_b32 s46, s46, -1
	s_wait_alu 0xfffe
	s_cmp_lg_u32 s46, 0
	s_cselect_b32 s13, s25, s13
	s_cselect_b32 s12, s15, s12
	s_cmp_ge_u32 s6, s38
	s_cselect_b32 s15, -1, 0
	s_cmp_eq_u32 s7, 0
	s_wait_alu 0xfffe
	s_cselect_b32 s15, s15, -1
	s_wait_alu 0xfffe
	s_cmp_lg_u32 s15, 0
	s_cselect_b32 s7, s13, s7
	s_cselect_b32 s6, s12, s6
	s_cbranch_execnz .LBB108_196
.LBB108_195:                            ;   in Loop: Header=BB108_11 Depth=1
	v_cvt_f32_u32_e32 v6, s38
	s_sub_co_i32 s7, 0, s38
	s_delay_alu instid0(VALU_DEP_1) | instskip(NEXT) | instid1(TRANS32_DEP_1)
	v_rcp_iflag_f32_e32 v6, v6
	v_mul_f32_e32 v6, 0x4f7ffffe, v6
	s_delay_alu instid0(VALU_DEP_1) | instskip(NEXT) | instid1(VALU_DEP_1)
	v_cvt_u32_f32_e32 v6, v6
	v_readfirstlane_b32 s6, v6
	s_wait_alu 0xfffe
	s_mul_i32 s7, s7, s6
	s_wait_alu 0xfffe
	s_mul_hi_u32 s7, s6, s7
	s_wait_alu 0xfffe
	s_add_co_i32 s6, s6, s7
	s_wait_alu 0xfffe
	s_mul_hi_u32 s6, s52, s6
	s_wait_alu 0xfffe
	s_mul_i32 s6, s6, s38
	s_wait_alu 0xfffe
	s_sub_co_i32 s6, s52, s6
	s_wait_alu 0xfffe
	s_sub_co_i32 s7, s6, s38
	s_cmp_ge_u32 s6, s38
	s_wait_alu 0xfffe
	s_cselect_b32 s6, s7, s6
	s_wait_alu 0xfffe
	s_sub_co_i32 s7, s6, s38
	s_cmp_ge_u32 s6, s38
	s_wait_alu 0xfffe
	s_cselect_b32 s46, s7, s6
	s_wait_alu 0xfffe
	s_mov_b64 s[6:7], s[46:47]
.LBB108_196:                            ;   in Loop: Header=BB108_11 Depth=1
	s_wait_alu 0xfffe
	s_sub_nc_u64 s[12:13], s[52:53], s[6:7]
	s_mov_b32 s7, exec_lo
                                        ; implicit-def: $vgpr43
	s_wait_alu 0xfffe
	v_cmpx_gt_u64_e64 s[12:13], v[0:1]
	s_cbranch_execz .LBB108_205
; %bb.197:                              ;   in Loop: Header=BB108_11 Depth=1
	v_dual_mov_b32 v6, v12 :: v_dual_mov_b32 v7, v13
	v_dual_mov_b32 v9, v1 :: v_dual_mov_b32 v8, v0
	s_mov_b32 s15, 0
                                        ; implicit-def: $sgpr25
	s_branch .LBB108_200
.LBB108_198:                            ;   in Loop: Header=BB108_200 Depth=2
	s_wait_alu 0xfffe
	s_or_b32 exec_lo, exec_lo, s6
	s_wait_loadcnt_dscnt 0x0
	s_barrier_signal -1
	s_barrier_wait -1
	global_inv scope:SCOPE_SE
	ds_load_b32 v10, v3 offset:3072
	s_mov_b32 s6, -1
	s_mov_b32 s46, -1
	s_wait_loadcnt_dscnt 0x0
	s_barrier_signal -1
	s_barrier_wait -1
	global_inv scope:SCOPE_SE
	v_and_b32_e32 v11, 0xffff, v10
	s_delay_alu instid0(VALU_DEP_1)
	v_cmp_eq_u32_e32 vcc_lo, 0, v11
	s_cbranch_vccnz .LBB108_203
.LBB108_199:                            ;   in Loop: Header=BB108_200 Depth=2
	s_wait_alu 0xfffe
	s_and_b32 s6, exec_lo, s6
	s_wait_alu 0xfffe
	s_or_b32 s15, s6, s15
	s_and_not1_b32 s6, s25, exec_lo
	s_and_b32 s25, s46, exec_lo
	s_wait_alu 0xfffe
	s_or_b32 s25, s6, s25
	s_and_not1_b32 exec_lo, exec_lo, s15
	s_cbranch_execz .LBB108_204
.LBB108_200:                            ;   Parent Loop BB108_11 Depth=1
                                        ; =>  This Inner Loop Header: Depth=2
	s_mov_b32 s6, exec_lo
	s_delay_alu instid0(VALU_DEP_1)
	v_cmpx_gt_u64_e64 s[28:29], v[8:9]
	s_cbranch_execz .LBB108_198
; %bb.201:                              ;   in Loop: Header=BB108_200 Depth=2
	global_load_u16 v10, v[6:7], off
	s_wait_loadcnt 0x0
	v_bfe_i32 v11, v10, 0, 16
	s_delay_alu instid0(VALU_DEP_1) | instskip(NEXT) | instid1(VALU_DEP_1)
	v_add_nc_u32_e32 v11, 0x8000, v11
	v_and_b32_e32 v11, v11, v42
	s_delay_alu instid0(VALU_DEP_1)
	v_cmp_eq_u32_e32 vcc_lo, v11, v20
	s_and_b32 exec_lo, exec_lo, vcc_lo
	s_cbranch_execz .LBB108_198
; %bb.202:                              ;   in Loop: Header=BB108_200 Depth=2
	v_perm_b32 v10, v10, 1, 0x5040100
	ds_store_b32 v3, v10 offset:3072
	s_branch .LBB108_198
.LBB108_203:                            ;   in Loop: Header=BB108_200 Depth=2
	v_add_co_u32 v8, vcc_lo, v8, s38
	s_wait_alu 0xfffd
	v_add_co_ci_u32_e64 v9, null, 0, v9, vcc_lo
	v_add_co_u32 v6, s6, v6, s48
	s_wait_alu 0xf1fe
	v_add_co_ci_u32_e64 v7, null, s49, v7, s6
	s_delay_alu instid0(VALU_DEP_3)
	v_cmp_le_u64_e32 vcc_lo, s[12:13], v[8:9]
	s_mov_b32 s46, 0
	s_or_not1_b32 s6, vcc_lo, exec_lo
	s_branch .LBB108_199
.LBB108_204:                            ;   in Loop: Header=BB108_11 Depth=1
	s_or_b32 exec_lo, exec_lo, s15
	v_lshrrev_b32_e32 v43, 16, v10
	s_and_not1_b32 s6, s14, exec_lo
	s_and_b32 s12, s25, exec_lo
	s_wait_alu 0xfffe
	s_or_b32 s14, s6, s12
.LBB108_205:                            ;   in Loop: Header=BB108_11 Depth=1
	s_or_b32 exec_lo, exec_lo, s7
	s_mov_b32 s25, 0
	s_mov_b32 s60, -1
.LBB108_206:                            ;   in Loop: Header=BB108_11 Depth=1
	s_wait_alu 0xfffe
	s_or_not1_b32 s6, s14, exec_lo
.LBB108_207:                            ;   in Loop: Header=BB108_11 Depth=1
	s_wait_alu 0xfffe
	s_or_b32 exec_lo, exec_lo, s62
	s_mov_b32 s7, 0
	s_and_saveexec_b32 s14, s6
	s_cbranch_execz .LBB108_265
; %bb.208:                              ;   in Loop: Header=BB108_11 Depth=1
	v_mov_b32_e32 v6, 1
	v_dual_mov_b32 v7, 0 :: v_dual_mov_b32 v2, 1
	s_xor_b32 s12, s61, -1
	s_wait_alu 0xfffe
	s_and_saveexec_b32 s6, s12
	s_cbranch_execz .LBB108_217
; %bb.209:                              ;   in Loop: Header=BB108_11 Depth=1
	s_mov_b32 s7, exec_lo
	v_cmpx_ge_u64_e64 s[10:11], v[4:5]
	s_wait_alu 0xfffe
	s_xor_b32 s7, exec_lo, s7
	s_cbranch_execz .LBB108_214
; %bb.210:                              ;   in Loop: Header=BB108_11 Depth=1
	ds_load_b64 v[6:7], v3 offset:5120
	s_lshl_b32 s12, 2, s83
	v_or_b32_e32 v42, s16, v42
	s_wait_alu 0xfffe
	v_and_or_b32 v20, v20, s20, s12
	s_wait_dscnt 0x0
	v_cmp_ne_u64_e32 vcc_lo, 0, v[6:7]
	s_cbranch_vccnz .LBB108_214
; %bb.211:                              ;   in Loop: Header=BB108_11 Depth=1
	s_and_saveexec_b32 s12, s2
; %bb.212:                              ;   in Loop: Header=BB108_11 Depth=1
	v_dual_mov_b32 v6, s10 :: v_dual_mov_b32 v7, s11
	ds_store_b64 v3, v[6:7] offset:5128
; %bb.213:                              ;   in Loop: Header=BB108_11 Depth=1
	s_wait_alu 0xfffe
	s_or_b32 exec_lo, exec_lo, s12
	s_wait_loadcnt_dscnt 0x0
	s_barrier_signal -1
	s_barrier_wait -1
	global_inv scope:SCOPE_SE
.LBB108_214:                            ;   in Loop: Header=BB108_11 Depth=1
	s_wait_alu 0xfffe
	s_or_saveexec_b32 s7, s7
	v_mov_b32_e32 v2, 8
	s_mov_b32 s12, 0
	s_wait_alu 0xfffe
	s_xor_b32 exec_lo, exec_lo, s7
; %bb.215:                              ;   in Loop: Header=BB108_11 Depth=1
	v_sub_co_u32 v4, vcc_lo, v4, s10
	s_wait_alu 0xfffd
	v_subrev_co_ci_u32_e64 v5, null, s11, v5, vcc_lo
	v_mov_b32_e32 v2, 0
	s_mov_b32 s12, exec_lo
; %bb.216:                              ;   in Loop: Header=BB108_11 Depth=1
	s_or_b32 exec_lo, exec_lo, s7
	s_delay_alu instid0(VALU_DEP_2)
	v_dual_mov_b32 v7, v5 :: v_dual_mov_b32 v6, v4
	s_wait_alu 0xfffe
	s_and_b32 s7, s12, exec_lo
.LBB108_217:                            ;   in Loop: Header=BB108_11 Depth=1
	s_wait_alu 0xfffe
	s_or_b32 exec_lo, exec_lo, s6
	s_mov_b32 s6, -1
                                        ; implicit-def: $sgpr63
                                        ; implicit-def: $sgpr62
	s_and_saveexec_b32 s15, s7
	s_cbranch_execz .LBB108_264
; %bb.218:                              ;   in Loop: Header=BB108_11 Depth=1
	v_cmp_eq_u64_e32 vcc_lo, 1, v[6:7]
	s_cmp_eq_u64 s[8:9], 1
	s_mov_b32 s7, -1
	s_cselect_b32 s6, -1, 0
                                        ; implicit-def: $sgpr63
                                        ; implicit-def: $sgpr62
	s_wait_alu 0xfffe
	s_and_b32 s20, s6, vcc_lo
	s_wait_alu 0xfffe
	s_and_saveexec_b32 s61, s20
	s_cbranch_execz .LBB108_252
; %bb.219:                              ;   in Loop: Header=BB108_11 Depth=1
	ds_load_b64 v[4:5], v3 offset:5120
	s_wait_loadcnt_dscnt 0x0
	s_barrier_signal -1
	s_barrier_wait -1
	global_inv scope:SCOPE_SE
	v_readfirstlane_b32 s6, v4
	v_readfirstlane_b32 s7, v5
	s_and_saveexec_b32 s10, s3
; %bb.220:                              ;   in Loop: Header=BB108_11 Depth=1
	ds_store_b16 v34, v3
; %bb.221:                              ;   in Loop: Header=BB108_11 Depth=1
	s_wait_alu 0xfffe
	s_or_b32 exec_lo, exec_lo, s10
	v_or_b32_e32 v20, s16, v20
	v_or_b32_e32 v42, s16, v42
	s_mov_b32 s62, -1
	s_mov_b32 s63, 0
	s_cmp_eq_u64 s[6:7], 0
	s_mov_b32 s12, 0
	s_mov_b32 s13, -1
	s_wait_loadcnt_dscnt 0x0
	s_barrier_signal -1
	s_barrier_wait -1
	global_inv scope:SCOPE_SE
                                        ; implicit-def: $vgpr43
	s_cbranch_scc1 .LBB108_237
; %bb.222:                              ;   in Loop: Header=BB108_11 Depth=1
	s_add_nc_u64 s[10:11], s[6:7], s[50:51]
	s_mov_b32 s12, s47
	s_wait_alu 0xfffe
	s_mov_b32 s13, s11
	s_wait_alu 0xfffe
	s_cmp_lg_u64 s[12:13], 0
	s_cbranch_scc0 .LBB108_271
; %bb.223:                              ;   in Loop: Header=BB108_11 Depth=1
	s_cvt_f32_u32 s12, s38
	s_sub_nc_u64 s[64:65], 0, s[38:39]
	s_wait_alu 0xfffe
	s_delay_alu instid0(SALU_CYCLE_1) | instskip(SKIP_1) | instid1(SALU_CYCLE_2)
	s_fmamk_f32 s12, s85, 0x0, s12
	s_wait_alu 0xfffe
	v_s_rcp_f32 s12, s12
	s_delay_alu instid0(TRANS32_DEP_1) | instskip(SKIP_1) | instid1(SALU_CYCLE_2)
	s_mul_f32 s12, s12, 0x5f7ffffc
	s_wait_alu 0xfffe
	s_mul_f32 s13, s12, 0x2f800000
	s_wait_alu 0xfffe
	s_delay_alu instid0(SALU_CYCLE_2) | instskip(SKIP_1) | instid1(SALU_CYCLE_2)
	s_trunc_f32 s13, s13
	s_wait_alu 0xfffe
	s_fmamk_f32 s12, s13, 0xcf800000, s12
	s_cvt_u32_f32 s13, s13
	s_wait_alu 0xfffe
	s_delay_alu instid0(SALU_CYCLE_1) | instskip(SKIP_1) | instid1(SALU_CYCLE_2)
	s_cvt_u32_f32 s12, s12
	s_wait_alu 0xfffe
	s_mul_u64 s[66:67], s[64:65], s[12:13]
	s_wait_alu 0xfffe
	s_mul_hi_u32 s69, s12, s67
	s_mul_i32 s68, s12, s67
	s_mul_hi_u32 s46, s12, s66
	s_mul_i32 s71, s13, s66
	s_wait_alu 0xfffe
	s_add_nc_u64 s[68:69], s[46:47], s[68:69]
	s_mul_hi_u32 s70, s13, s66
	s_mul_hi_u32 s72, s13, s67
	s_wait_alu 0xfffe
	s_add_co_u32 s46, s68, s71
	s_add_co_ci_u32 s46, s69, s70
	s_mul_i32 s66, s13, s67
	s_add_co_ci_u32 s67, s72, 0
	s_wait_alu 0xfffe
	s_add_nc_u64 s[66:67], s[46:47], s[66:67]
	s_wait_alu 0xfffe
	s_add_co_u32 s12, s12, s66
	s_cselect_b32 s46, -1, 0
	s_wait_alu 0xfffe
	s_cmp_lg_u32 s46, 0
	s_add_co_ci_u32 s13, s13, s67
	s_wait_alu 0xfffe
	s_mul_u64 s[64:65], s[64:65], s[12:13]
	s_wait_alu 0xfffe
	s_mul_hi_u32 s67, s12, s65
	s_mul_i32 s66, s12, s65
	s_mul_hi_u32 s46, s12, s64
	s_mul_i32 s69, s13, s64
	s_wait_alu 0xfffe
	s_add_nc_u64 s[66:67], s[46:47], s[66:67]
	s_mul_hi_u32 s68, s13, s64
	s_mul_hi_u32 s70, s13, s65
	s_wait_alu 0xfffe
	s_add_co_u32 s46, s66, s69
	s_add_co_ci_u32 s46, s67, s68
	s_mul_i32 s64, s13, s65
	s_add_co_ci_u32 s65, s70, 0
	s_wait_alu 0xfffe
	s_add_nc_u64 s[64:65], s[46:47], s[64:65]
	s_wait_alu 0xfffe
	s_add_co_u32 s12, s12, s64
	s_cselect_b32 s64, -1, 0
	s_wait_alu 0xfffe
	s_mul_hi_u32 s46, s10, s12
	s_cmp_lg_u32 s64, 0
	s_mul_hi_u32 s66, s11, s12
	s_add_co_ci_u32 s64, s13, s65
	s_mul_i32 s65, s11, s12
	s_wait_alu 0xfffe
	s_mul_hi_u32 s13, s10, s64
	s_mul_i32 s12, s10, s64
	s_mul_hi_u32 s67, s11, s64
	s_wait_alu 0xfffe
	s_add_nc_u64 s[12:13], s[46:47], s[12:13]
	s_mul_i32 s64, s11, s64
	s_wait_alu 0xfffe
	s_add_co_u32 s12, s12, s65
	s_add_co_ci_u32 s46, s13, s66
	s_add_co_ci_u32 s65, s67, 0
	s_wait_alu 0xfffe
	s_add_nc_u64 s[12:13], s[46:47], s[64:65]
	s_wait_alu 0xfffe
	s_mul_u64 s[12:13], s[38:39], s[12:13]
	s_wait_alu 0xfffe
	s_sub_co_u32 s12, s10, s12
	s_cselect_b32 s46, -1, 0
	s_wait_alu 0xfffe
	s_cmp_lg_u32 s46, 0
	s_sub_co_ci_u32 s13, s11, s13
	s_sub_co_u32 s46, s12, s38
	s_cselect_b32 s64, -1, 0
	s_wait_alu 0xfffe
	s_cmp_lg_u32 s64, 0
	s_sub_co_ci_u32 s64, s13, 0
	;; [unrolled: 5-line block ×3, first 2 shown]
	s_cmp_ge_u32 s46, s38
	s_cselect_b32 s67, -1, 0
	s_cmp_eq_u32 s64, 0
	s_wait_alu 0xfffe
	s_cselect_b32 s67, s67, -1
	s_wait_alu 0xfffe
	s_cmp_lg_u32 s67, 0
	s_cselect_b32 s64, s66, s64
	s_cselect_b32 s46, s65, s46
	s_cmp_ge_u32 s12, s38
	s_cselect_b32 s65, -1, 0
	s_cmp_eq_u32 s13, 0
	s_wait_alu 0xfffe
	s_cselect_b32 s65, s65, -1
	s_wait_alu 0xfffe
	s_cmp_lg_u32 s65, 0
	s_cselect_b32 s13, s64, s13
	s_cselect_b32 s12, s46, s12
	s_cbranch_execnz .LBB108_225
.LBB108_224:                            ;   in Loop: Header=BB108_11 Depth=1
	v_cvt_f32_u32_e32 v4, s38
	s_sub_co_i32 s13, 0, s38
	s_delay_alu instid0(VALU_DEP_1) | instskip(NEXT) | instid1(TRANS32_DEP_1)
	v_rcp_iflag_f32_e32 v4, v4
	v_mul_f32_e32 v4, 0x4f7ffffe, v4
	s_delay_alu instid0(VALU_DEP_1) | instskip(NEXT) | instid1(VALU_DEP_1)
	v_cvt_u32_f32_e32 v4, v4
	v_readfirstlane_b32 s12, v4
	s_wait_alu 0xfffe
	s_mul_i32 s13, s13, s12
	s_wait_alu 0xfffe
	s_mul_hi_u32 s13, s12, s13
	s_wait_alu 0xfffe
	s_add_co_i32 s12, s12, s13
	s_wait_alu 0xfffe
	s_mul_hi_u32 s12, s10, s12
	s_wait_alu 0xfffe
	s_mul_i32 s12, s12, s38
	s_wait_alu 0xfffe
	s_sub_co_i32 s12, s10, s12
	s_wait_alu 0xfffe
	s_sub_co_i32 s13, s12, s38
	s_cmp_ge_u32 s12, s38
	s_wait_alu 0xfffe
	s_cselect_b32 s12, s13, s12
	s_wait_alu 0xfffe
	s_sub_co_i32 s13, s12, s38
	s_cmp_ge_u32 s12, s38
	s_wait_alu 0xfffe
	s_cselect_b32 s46, s13, s12
	s_wait_alu 0xfffe
	s_mov_b64 s[12:13], s[46:47]
.LBB108_225:                            ;   in Loop: Header=BB108_11 Depth=1
	s_wait_alu 0xfffe
	s_sub_nc_u64 s[10:11], s[10:11], s[12:13]
	s_mov_b32 s13, 0
	s_mov_b32 s12, 0
	s_mov_b32 s46, exec_lo
                                        ; implicit-def: $vgpr43
	s_wait_alu 0xfffe
	v_cmpx_gt_u64_e64 s[10:11], v[0:1]
	s_cbranch_execz .LBB108_236
; %bb.226:                              ;   in Loop: Header=BB108_11 Depth=1
	v_dual_mov_b32 v8, v33 :: v_dual_mov_b32 v5, v1
	v_mov_b32_e32 v4, v0
                                        ; implicit-def: $sgpr64
	s_branch .LBB108_229
.LBB108_227:                            ;   in Loop: Header=BB108_229 Depth=2
	s_wait_alu 0xfffe
	s_or_b32 exec_lo, exec_lo, s65
	s_wait_loadcnt_dscnt 0x0
	s_barrier_signal -1
	s_barrier_wait -1
	global_inv scope:SCOPE_SE
	ds_load_b32 v9, v3 offset:3072
	s_mov_b32 s65, -1
	s_mov_b32 s66, -1
	s_wait_loadcnt_dscnt 0x0
	s_barrier_signal -1
	s_barrier_wait -1
	global_inv scope:SCOPE_SE
	v_and_b32_e32 v10, 0xffff, v9
	s_delay_alu instid0(VALU_DEP_1)
	v_cmp_ne_u32_e32 vcc_lo, 0, v10
	s_cbranch_vccz .LBB108_232
.LBB108_228:                            ;   in Loop: Header=BB108_229 Depth=2
	s_wait_alu 0xfffe
	s_and_b32 s65, exec_lo, s65
	s_wait_alu 0xfffe
	s_or_b32 s12, s65, s12
	s_and_not1_b32 s64, s64, exec_lo
	s_and_b32 s65, s66, exec_lo
	s_wait_alu 0xfffe
	s_or_b32 s64, s64, s65
	s_and_not1_b32 exec_lo, exec_lo, s12
	s_cbranch_execz .LBB108_235
.LBB108_229:                            ;   Parent Loop BB108_11 Depth=1
                                        ; =>  This Inner Loop Header: Depth=2
	s_mov_b32 s65, exec_lo
	s_delay_alu instid0(VALU_DEP_1)
	v_cmpx_gt_u64_e64 s[6:7], v[4:5]
	s_cbranch_execz .LBB108_227
; %bb.230:                              ;   in Loop: Header=BB108_229 Depth=2
	ds_load_u16 v9, v8
	s_wait_dscnt 0x0
	v_bfe_i32 v10, v9, 0, 16
	s_delay_alu instid0(VALU_DEP_1) | instskip(NEXT) | instid1(VALU_DEP_1)
	v_add_nc_u32_e32 v10, 0x8000, v10
	v_and_b32_e32 v10, v10, v42
	s_delay_alu instid0(VALU_DEP_1)
	v_cmp_eq_u32_e32 vcc_lo, v10, v20
	s_and_b32 exec_lo, exec_lo, vcc_lo
	s_cbranch_execz .LBB108_227
; %bb.231:                              ;   in Loop: Header=BB108_229 Depth=2
	v_perm_b32 v9, v9, 1, 0x5040100
	ds_store_b32 v3, v9 offset:3072
	s_branch .LBB108_227
.LBB108_232:                            ;   in Loop: Header=BB108_229 Depth=2
	v_add_co_u32 v4, vcc_lo, v4, s38
	s_wait_alu 0xfffd
	v_add_co_ci_u32_e64 v5, null, 0, v5, vcc_lo
	v_add_nc_u32_e32 v8, s82, v8
	s_mov_b32 s66, 0
	s_delay_alu instid0(VALU_DEP_2)
	v_cmp_le_u64_e32 vcc_lo, s[10:11], v[4:5]
	s_or_not1_b32 s65, vcc_lo, exec_lo
	s_branch .LBB108_228
.LBB108_233:                            ;   in Loop: Header=BB108_11 Depth=1
                                        ; implicit-def: $sgpr14_sgpr15
	s_branch .LBB108_179
.LBB108_234:                            ;   in Loop: Header=BB108_11 Depth=1
                                        ; implicit-def: $sgpr6_sgpr7
	s_branch .LBB108_195
.LBB108_235:                            ;   in Loop: Header=BB108_11 Depth=1
	s_or_b32 exec_lo, exec_lo, s12
	v_lshrrev_b32_e32 v43, 16, v9
	s_wait_alu 0xfffe
	s_and_b32 s12, s64, exec_lo
.LBB108_236:                            ;   in Loop: Header=BB108_11 Depth=1
	s_or_b32 exec_lo, exec_lo, s46
.LBB108_237:                            ;   in Loop: Header=BB108_11 Depth=1
	s_wait_alu 0xfffe
	s_and_b32 vcc_lo, exec_lo, s13
	s_wait_alu 0xfffe
	s_cbranch_vccz .LBB108_251
; %bb.238:                              ;   in Loop: Header=BB108_11 Depth=1
	s_mov_b32 s6, s47
	s_mov_b32 s7, s53
	s_wait_alu 0xfffe
	s_cmp_lg_u64 s[6:7], 0
	s_cbranch_scc0 .LBB108_272
; %bb.239:                              ;   in Loop: Header=BB108_11 Depth=1
	s_cvt_f32_u32 s6, s38
	s_sub_nc_u64 s[10:11], 0, s[38:39]
	s_wait_alu 0xfffe
	s_delay_alu instid0(SALU_CYCLE_1) | instskip(SKIP_1) | instid1(SALU_CYCLE_2)
	s_fmamk_f32 s6, s85, 0x0, s6
	s_wait_alu 0xfffe
	v_s_rcp_f32 s6, s6
	s_delay_alu instid0(TRANS32_DEP_1) | instskip(SKIP_1) | instid1(SALU_CYCLE_2)
	s_mul_f32 s6, s6, 0x5f7ffffc
	s_wait_alu 0xfffe
	s_mul_f32 s7, s6, 0x2f800000
	s_wait_alu 0xfffe
	s_delay_alu instid0(SALU_CYCLE_2) | instskip(SKIP_1) | instid1(SALU_CYCLE_2)
	s_trunc_f32 s7, s7
	s_wait_alu 0xfffe
	s_fmamk_f32 s6, s7, 0xcf800000, s6
	s_cvt_u32_f32 s7, s7
	s_wait_alu 0xfffe
	s_delay_alu instid0(SALU_CYCLE_1) | instskip(SKIP_1) | instid1(SALU_CYCLE_2)
	s_cvt_u32_f32 s6, s6
	s_wait_alu 0xfffe
	s_mul_u64 s[62:63], s[10:11], s[6:7]
	s_wait_alu 0xfffe
	s_mul_hi_u32 s65, s6, s63
	s_mul_i32 s64, s6, s63
	s_mul_hi_u32 s46, s6, s62
	s_mul_i32 s66, s7, s62
	s_wait_alu 0xfffe
	s_add_nc_u64 s[64:65], s[46:47], s[64:65]
	s_mul_hi_u32 s13, s7, s62
	s_mul_hi_u32 s67, s7, s63
	s_wait_alu 0xfffe
	s_add_co_u32 s46, s64, s66
	s_add_co_ci_u32 s46, s65, s13
	s_mul_i32 s62, s7, s63
	s_add_co_ci_u32 s63, s67, 0
	s_wait_alu 0xfffe
	s_add_nc_u64 s[62:63], s[46:47], s[62:63]
	s_wait_alu 0xfffe
	s_add_co_u32 s6, s6, s62
	s_cselect_b32 s13, -1, 0
	s_wait_alu 0xfffe
	s_cmp_lg_u32 s13, 0
	s_add_co_ci_u32 s7, s7, s63
	s_wait_alu 0xfffe
	s_mul_u64 s[10:11], s[10:11], s[6:7]
	s_wait_alu 0xfffe
	s_mul_hi_u32 s63, s6, s11
	s_mul_i32 s62, s6, s11
	s_mul_hi_u32 s46, s6, s10
	s_mul_i32 s64, s7, s10
	s_wait_alu 0xfffe
	s_add_nc_u64 s[62:63], s[46:47], s[62:63]
	s_mul_hi_u32 s13, s7, s10
	s_mul_hi_u32 s65, s7, s11
	s_mul_i32 s10, s7, s11
	s_wait_alu 0xfffe
	s_add_co_u32 s11, s62, s64
	s_add_co_ci_u32 s46, s63, s13
	s_add_co_ci_u32 s11, s65, 0
	s_wait_alu 0xfffe
	s_add_nc_u64 s[10:11], s[46:47], s[10:11]
	s_wait_alu 0xfffe
	s_add_co_u32 s6, s6, s10
	s_cselect_b32 s10, -1, 0
	s_wait_alu 0xfffe
	s_mul_hi_u32 s46, s52, s6
	s_cmp_lg_u32 s10, 0
	s_mul_hi_u32 s13, s53, s6
	s_add_co_ci_u32 s10, s7, s11
	s_mul_i32 s11, s53, s6
	s_wait_alu 0xfffe
	s_mul_hi_u32 s7, s52, s10
	s_mul_i32 s6, s52, s10
	s_mul_hi_u32 s62, s53, s10
	s_wait_alu 0xfffe
	s_add_nc_u64 s[6:7], s[46:47], s[6:7]
	s_mul_i32 s10, s53, s10
	s_wait_alu 0xfffe
	s_add_co_u32 s6, s6, s11
	s_add_co_ci_u32 s46, s7, s13
	s_add_co_ci_u32 s11, s62, 0
	s_wait_alu 0xfffe
	s_add_nc_u64 s[6:7], s[46:47], s[10:11]
	s_wait_alu 0xfffe
	s_mul_u64 s[6:7], s[38:39], s[6:7]
	s_wait_alu 0xfffe
	s_sub_co_u32 s6, s52, s6
	s_cselect_b32 s10, -1, 0
	s_wait_alu 0xfffe
	s_cmp_lg_u32 s10, 0
	s_sub_co_ci_u32 s7, s53, s7
	s_sub_co_u32 s10, s6, s38
	s_cselect_b32 s11, -1, 0
	s_wait_alu 0xfffe
	s_cmp_lg_u32 s11, 0
	s_sub_co_ci_u32 s11, s7, 0
	;; [unrolled: 5-line block ×3, first 2 shown]
	s_cmp_ge_u32 s10, s38
	s_cselect_b32 s62, -1, 0
	s_cmp_eq_u32 s11, 0
	s_wait_alu 0xfffe
	s_cselect_b32 s62, s62, -1
	s_wait_alu 0xfffe
	s_cmp_lg_u32 s62, 0
	s_cselect_b32 s11, s46, s11
	s_cselect_b32 s10, s13, s10
	s_cmp_ge_u32 s6, s38
	s_cselect_b32 s13, -1, 0
	s_cmp_eq_u32 s7, 0
	s_wait_alu 0xfffe
	s_cselect_b32 s13, s13, -1
	s_wait_alu 0xfffe
	s_cmp_lg_u32 s13, 0
	s_cselect_b32 s7, s11, s7
	s_cselect_b32 s6, s10, s6
	s_cbranch_execnz .LBB108_241
.LBB108_240:                            ;   in Loop: Header=BB108_11 Depth=1
	v_cvt_f32_u32_e32 v4, s38
	s_sub_co_i32 s7, 0, s38
	s_delay_alu instid0(VALU_DEP_1) | instskip(NEXT) | instid1(TRANS32_DEP_1)
	v_rcp_iflag_f32_e32 v4, v4
	v_mul_f32_e32 v4, 0x4f7ffffe, v4
	s_delay_alu instid0(VALU_DEP_1) | instskip(NEXT) | instid1(VALU_DEP_1)
	v_cvt_u32_f32_e32 v4, v4
	v_readfirstlane_b32 s6, v4
	s_wait_alu 0xfffe
	s_mul_i32 s7, s7, s6
	s_wait_alu 0xfffe
	s_mul_hi_u32 s7, s6, s7
	s_wait_alu 0xfffe
	s_add_co_i32 s6, s6, s7
	s_wait_alu 0xfffe
	s_mul_hi_u32 s6, s52, s6
	s_wait_alu 0xfffe
	s_mul_i32 s6, s6, s38
	s_wait_alu 0xfffe
	s_sub_co_i32 s6, s52, s6
	s_wait_alu 0xfffe
	s_sub_co_i32 s7, s6, s38
	s_cmp_ge_u32 s6, s38
	s_wait_alu 0xfffe
	s_cselect_b32 s6, s7, s6
	s_wait_alu 0xfffe
	s_sub_co_i32 s7, s6, s38
	s_cmp_ge_u32 s6, s38
	s_wait_alu 0xfffe
	s_cselect_b32 s46, s7, s6
	s_wait_alu 0xfffe
	s_mov_b64 s[6:7], s[46:47]
.LBB108_241:                            ;   in Loop: Header=BB108_11 Depth=1
	s_wait_alu 0xfffe
	s_sub_nc_u64 s[10:11], s[52:53], s[6:7]
	s_mov_b32 s7, exec_lo
                                        ; implicit-def: $vgpr43
	s_wait_alu 0xfffe
	v_cmpx_gt_u64_e64 s[10:11], v[0:1]
	s_cbranch_execz .LBB108_250
; %bb.242:                              ;   in Loop: Header=BB108_11 Depth=1
	v_dual_mov_b32 v4, v12 :: v_dual_mov_b32 v5, v13
	v_dual_mov_b32 v9, v1 :: v_dual_mov_b32 v8, v0
	s_mov_b32 s13, 0
                                        ; implicit-def: $sgpr46
	s_branch .LBB108_245
.LBB108_243:                            ;   in Loop: Header=BB108_245 Depth=2
	s_wait_alu 0xfffe
	s_or_b32 exec_lo, exec_lo, s6
	s_wait_loadcnt_dscnt 0x0
	s_barrier_signal -1
	s_barrier_wait -1
	global_inv scope:SCOPE_SE
	ds_load_b32 v10, v3 offset:3072
	s_mov_b32 s6, -1
	s_mov_b32 s62, -1
	s_wait_loadcnt_dscnt 0x0
	s_barrier_signal -1
	s_barrier_wait -1
	global_inv scope:SCOPE_SE
	v_and_b32_e32 v11, 0xffff, v10
	s_delay_alu instid0(VALU_DEP_1)
	v_cmp_eq_u32_e32 vcc_lo, 0, v11
	s_cbranch_vccnz .LBB108_248
.LBB108_244:                            ;   in Loop: Header=BB108_245 Depth=2
	s_wait_alu 0xfffe
	s_and_b32 s6, exec_lo, s6
	s_wait_alu 0xfffe
	s_or_b32 s13, s6, s13
	s_and_not1_b32 s6, s46, exec_lo
	s_and_b32 s46, s62, exec_lo
	s_wait_alu 0xfffe
	s_or_b32 s46, s6, s46
	s_and_not1_b32 exec_lo, exec_lo, s13
	s_cbranch_execz .LBB108_249
.LBB108_245:                            ;   Parent Loop BB108_11 Depth=1
                                        ; =>  This Inner Loop Header: Depth=2
	s_mov_b32 s6, exec_lo
	s_delay_alu instid0(VALU_DEP_1)
	v_cmpx_gt_u64_e64 s[28:29], v[8:9]
	s_cbranch_execz .LBB108_243
; %bb.246:                              ;   in Loop: Header=BB108_245 Depth=2
	global_load_u16 v10, v[4:5], off
	s_wait_loadcnt 0x0
	v_bfe_i32 v11, v10, 0, 16
	s_delay_alu instid0(VALU_DEP_1) | instskip(NEXT) | instid1(VALU_DEP_1)
	v_add_nc_u32_e32 v11, 0x8000, v11
	v_and_b32_e32 v11, v11, v42
	s_delay_alu instid0(VALU_DEP_1)
	v_cmp_eq_u32_e32 vcc_lo, v11, v20
	s_and_b32 exec_lo, exec_lo, vcc_lo
	s_cbranch_execz .LBB108_243
; %bb.247:                              ;   in Loop: Header=BB108_245 Depth=2
	v_perm_b32 v10, v10, 1, 0x5040100
	ds_store_b32 v3, v10 offset:3072
	s_branch .LBB108_243
.LBB108_248:                            ;   in Loop: Header=BB108_245 Depth=2
	v_add_co_u32 v8, vcc_lo, v8, s38
	s_wait_alu 0xfffd
	v_add_co_ci_u32_e64 v9, null, 0, v9, vcc_lo
	v_add_co_u32 v4, s6, v4, s48
	s_wait_alu 0xf1fe
	v_add_co_ci_u32_e64 v5, null, s49, v5, s6
	s_delay_alu instid0(VALU_DEP_3)
	v_cmp_le_u64_e32 vcc_lo, s[10:11], v[8:9]
	s_mov_b32 s62, 0
	s_or_not1_b32 s6, vcc_lo, exec_lo
	s_branch .LBB108_244
.LBB108_249:                            ;   in Loop: Header=BB108_11 Depth=1
	s_or_b32 exec_lo, exec_lo, s13
	v_lshrrev_b32_e32 v43, 16, v10
	s_and_not1_b32 s6, s12, exec_lo
	s_wait_alu 0xfffe
	s_and_b32 s10, s46, exec_lo
	s_wait_alu 0xfffe
	s_or_b32 s12, s6, s10
.LBB108_250:                            ;   in Loop: Header=BB108_11 Depth=1
	s_or_b32 exec_lo, exec_lo, s7
	s_mov_b32 s62, 0
	s_mov_b32 s63, -1
.LBB108_251:                            ;   in Loop: Header=BB108_11 Depth=1
	s_wait_alu 0xfffe
	s_or_not1_b32 s7, s12, exec_lo
.LBB108_252:                            ;   in Loop: Header=BB108_11 Depth=1
	s_or_b32 exec_lo, exec_lo, s61
	s_mov_b32 s10, 0
	s_wait_alu 0xfffe
	s_and_saveexec_b32 s6, s7
	s_cbranch_execz .LBB108_263
; %bb.253:                              ;   in Loop: Header=BB108_11 Depth=1
	v_mov_b32_e32 v4, 1
	v_dual_mov_b32 v5, 0 :: v_dual_mov_b32 v2, 1
	s_xor_b32 s10, s20, -1
	s_wait_alu 0xfffe
	s_and_saveexec_b32 s7, s10
	s_cbranch_execz .LBB108_262
; %bb.254:                              ;   in Loop: Header=BB108_11 Depth=1
	s_mov_b32 s10, exec_lo
	v_cmpx_ge_u64_e64 s[8:9], v[6:7]
	s_wait_alu 0xfffe
	s_xor_b32 s10, exec_lo, s10
	s_cbranch_execz .LBB108_259
; %bb.255:                              ;   in Loop: Header=BB108_11 Depth=1
	ds_load_b64 v[4:5], v3 offset:5120
	v_or_b32_e32 v20, s16, v20
	v_or_b32_e32 v42, s16, v42
	s_wait_dscnt 0x0
	v_cmp_ne_u64_e32 vcc_lo, 0, v[4:5]
	s_cbranch_vccnz .LBB108_259
; %bb.256:                              ;   in Loop: Header=BB108_11 Depth=1
	s_and_saveexec_b32 s11, s2
; %bb.257:                              ;   in Loop: Header=BB108_11 Depth=1
	v_dual_mov_b32 v4, s8 :: v_dual_mov_b32 v5, s9
	ds_store_b64 v3, v[4:5] offset:5128
; %bb.258:                              ;   in Loop: Header=BB108_11 Depth=1
	s_wait_alu 0xfffe
	s_or_b32 exec_lo, exec_lo, s11
	s_wait_loadcnt_dscnt 0x0
	s_barrier_signal -1
	s_barrier_wait -1
	global_inv scope:SCOPE_SE
.LBB108_259:                            ;   in Loop: Header=BB108_11 Depth=1
	s_wait_alu 0xfffe
	s_and_not1_saveexec_b32 s10, s10
; %bb.260:                              ;   in Loop: Header=BB108_11 Depth=1
	v_sub_co_u32 v6, vcc_lo, v6, s8
	s_wait_alu 0xfffd
	v_subrev_co_ci_u32_e64 v7, null, s9, v7, vcc_lo
; %bb.261:                              ;   in Loop: Header=BB108_11 Depth=1
	s_wait_alu 0xfffe
	s_or_b32 exec_lo, exec_lo, s10
	v_mov_b32_e32 v4, v6
	s_delay_alu instid0(VALU_DEP_2)
	v_dual_mov_b32 v2, 8 :: v_dual_mov_b32 v5, v7
.LBB108_262:                            ;   in Loop: Header=BB108_11 Depth=1
	s_wait_alu 0xfffe
	s_or_b32 exec_lo, exec_lo, s7
	s_delay_alu instid0(VALU_DEP_1)
	v_dual_mov_b32 v7, v5 :: v_dual_mov_b32 v6, v4
	s_mov_b32 s10, exec_lo
.LBB108_263:                            ;   in Loop: Header=BB108_11 Depth=1
	s_wait_alu 0xfffe
	s_or_b32 exec_lo, exec_lo, s6
	s_delay_alu instid0(SALU_CYCLE_1)
	s_or_not1_b32 s6, s10, exec_lo
.LBB108_264:                            ;   in Loop: Header=BB108_11 Depth=1
	s_wait_alu 0xfffe
	s_or_b32 exec_lo, exec_lo, s15
	v_dual_mov_b32 v4, v6 :: v_dual_mov_b32 v5, v7
	s_and_not1_b32 s7, s60, exec_lo
	s_and_b32 s8, s63, exec_lo
	s_and_not1_b32 s9, s25, exec_lo
	s_and_b32 s10, s62, exec_lo
	s_wait_alu 0xfffe
	s_or_b32 s60, s7, s8
	s_or_b32 s25, s9, s10
	s_and_b32 s7, s6, exec_lo
.LBB108_265:                            ;   in Loop: Header=BB108_11 Depth=1
	s_wait_alu 0xfffe
	s_or_b32 exec_lo, exec_lo, s14
	s_delay_alu instid0(SALU_CYCLE_1)
	s_or_not1_b32 s6, s7, exec_lo
.LBB108_266:                            ;   in Loop: Header=BB108_11 Depth=1
	s_or_b32 exec_lo, exec_lo, s24
	v_dual_mov_b32 v9, v5 :: v_dual_mov_b32 v8, v4
	s_and_not1_b32 s7, s22, exec_lo
	s_and_b32 s8, s60, exec_lo
	s_and_not1_b32 s9, s21, exec_lo
	s_and_b32 s10, s25, exec_lo
	s_wait_alu 0xfffe
	s_or_b32 s22, s7, s8
	s_or_b32 s21, s9, s10
	s_and_b32 s7, s6, exec_lo
.LBB108_267:                            ;   in Loop: Header=BB108_11 Depth=1
	s_or_b32 exec_lo, exec_lo, s23
	s_wait_alu 0xfffe
	s_or_not1_b32 s6, s7, exec_lo
.LBB108_268:                            ;   in Loop: Header=BB108_11 Depth=1
	s_or_b32 exec_lo, exec_lo, s19
	s_mov_b32 s7, 0
	s_wait_alu 0xfffe
	s_and_saveexec_b32 s8, s6
	s_wait_alu 0xfffe
	s_xor_b32 s6, exec_lo, s8
	s_cbranch_execz .LBB108_9
; %bb.269:                              ;   in Loop: Header=BB108_11 Depth=1
	v_and_b32_e32 v2, 7, v2
	s_mov_b32 s8, -1
	s_mov_b32 s7, -1
	s_mov_b32 s9, exec_lo
	s_delay_alu instid0(VALU_DEP_1)
	v_cmpx_eq_u32_e32 0, v2
	s_cbranch_execz .LBB108_8
; %bb.270:                              ;   in Loop: Header=BB108_11 Depth=1
	s_xor_b32 s86, s86, 1
	s_add_co_i32 s10, s83, -2
	s_cmp_eq_u32 s83, 0
	s_wait_alu 0xfffe
	s_mov_b32 s83, s10
	s_cselect_b32 s8, -1, 0
	s_xor_b32 s7, exec_lo, -1
	s_wait_alu 0xfffe
	s_or_not1_b32 s8, s8, exec_lo
	s_branch .LBB108_8
.LBB108_271:                            ;   in Loop: Header=BB108_11 Depth=1
                                        ; implicit-def: $sgpr12_sgpr13
	s_branch .LBB108_224
.LBB108_272:                            ;   in Loop: Header=BB108_11 Depth=1
                                        ; implicit-def: $sgpr6_sgpr7
	s_branch .LBB108_240
.LBB108_273:
	s_or_b32 exec_lo, exec_lo, s84
	s_xor_b32 s4, s92, -1
	s_xor_b32 s1, s90, -1
	;; [unrolled: 1-line block ×3, first 2 shown]
	s_mov_b32 s2, 0
	s_and_saveexec_b32 s5, s1
	s_delay_alu instid0(SALU_CYCLE_1)
	s_xor_b32 s1, exec_lo, s5
	s_cbranch_execnz .LBB108_278
; %bb.274:
	s_and_not1_saveexec_b32 s0, s1
	s_cbranch_execnz .LBB108_291
.LBB108_275:
	s_wait_alu 0xfffe
	s_or_b32 exec_lo, exec_lo, s0
	s_and_saveexec_b32 s0, s2
.LBB108_276:
	; divergent unreachable
.LBB108_277:
	s_endpgm
.LBB108_278:
	s_and_saveexec_b32 s2, s4
	s_delay_alu instid0(SALU_CYCLE_1)
	s_xor_b32 s2, exec_lo, s2
	s_cbranch_execz .LBB108_289
; %bb.279:
	s_and_saveexec_b32 s4, s3
	s_delay_alu instid0(SALU_CYCLE_1)
	s_xor_b32 s3, exec_lo, s4
; %bb.280:
	v_xor_b32_e32 v43, 0xffff8000, v20
; %bb.281:
	s_or_b32 exec_lo, exec_lo, s3
	s_mul_u64 s[4:5], s[42:43], s[26:27]
	v_mov_b32_e32 v2, 0
	s_lshl_b64 s[4:5], s[4:5], 1
	s_delay_alu instid0(SALU_CYCLE_1)
	s_add_nc_u64 s[4:5], s[40:41], s[4:5]
	global_store_b16 v2, v43, s[4:5]
	s_and_saveexec_b32 s3, s0
	s_cbranch_execz .LBB108_288
; %bb.282:
	s_mov_b32 s4, 0
                                        ; implicit-def: $sgpr5
                                        ; implicit-def: $sgpr7
                                        ; implicit-def: $sgpr6
	s_branch .LBB108_284
.LBB108_283:                            ;   in Loop: Header=BB108_284 Depth=1
	s_wait_alu 0xfffe
	s_or_b32 exec_lo, exec_lo, s8
	s_delay_alu instid0(SALU_CYCLE_1)
	s_and_b32 s0, exec_lo, s7
	s_wait_alu 0xfffe
	s_or_b32 s4, s0, s4
	s_and_not1_b32 s0, s5, exec_lo
	s_and_b32 s5, s6, exec_lo
	s_wait_alu 0xfffe
	s_or_b32 s5, s0, s5
	s_and_not1_b32 exec_lo, exec_lo, s4
	s_cbranch_execz .LBB108_286
.LBB108_284:                            ; =>This Inner Loop Header: Depth=1
	global_load_u16 v4, v[12:13], off
	v_dual_mov_b32 v3, v1 :: v_dual_mov_b32 v2, v0
	s_or_b32 s6, s6, exec_lo
	s_or_b32 s7, s7, exec_lo
	s_mov_b32 s8, exec_lo
                                        ; implicit-def: $vgpr0_vgpr1
	s_wait_loadcnt 0x0
	v_cmpx_ne_u16_e64 v4, v43
	s_cbranch_execz .LBB108_283
; %bb.285:                              ;   in Loop: Header=BB108_284 Depth=1
	v_add_co_u32 v0, vcc_lo, v2, s38
	s_wait_alu 0xfffd
	v_add_co_ci_u32_e64 v1, null, 0, v3, vcc_lo
	v_add_co_u32 v12, s0, v12, s48
	s_wait_alu 0xf1ff
	v_add_co_ci_u32_e64 v13, null, s49, v13, s0
	s_delay_alu instid0(VALU_DEP_3)
	v_cmp_le_u64_e32 vcc_lo, s[28:29], v[0:1]
	s_wait_alu 0xfffe
	s_and_not1_b32 s0, s7, exec_lo
	s_and_not1_b32 s6, s6, exec_lo
	s_and_b32 s7, vcc_lo, exec_lo
	s_wait_alu 0xfffe
	s_or_b32 s7, s0, s7
	s_branch .LBB108_283
.LBB108_286:
	s_or_b32 exec_lo, exec_lo, s4
	s_and_saveexec_b32 s0, s5
	s_wait_alu 0xfffe
	s_xor_b32 s0, exec_lo, s0
	s_cbranch_execz .LBB108_288
; %bb.287:
	s_mul_u64 s[4:5], s[34:35], s[26:27]
	v_mov_b32_e32 v0, 0
	s_lshl_b64 s[4:5], s[4:5], 3
	s_delay_alu instid0(SALU_CYCLE_1)
	s_add_nc_u64 s[4:5], s[30:31], s[4:5]
	global_store_b64 v0, v[2:3], s[4:5]
.LBB108_288:
	s_or_b32 exec_lo, exec_lo, s3
.LBB108_289:
	s_or_saveexec_b32 s0, s2
	s_mov_b32 s2, 0
	s_wait_alu 0xfffe
	s_xor_b32 exec_lo, exec_lo, s0
	s_cbranch_execnz .LBB108_292
.LBB108_290:
	s_or_b32 exec_lo, exec_lo, s0
	s_delay_alu instid0(SALU_CYCLE_1)
	s_and_b32 s2, s2, exec_lo
	s_and_not1_saveexec_b32 s0, s1
	s_cbranch_execz .LBB108_275
.LBB108_291:
	s_or_b32 s2, s2, exec_lo
	s_trap 2
	s_wait_alu 0xfffe
	s_or_b32 exec_lo, exec_lo, s0
	s_and_saveexec_b32 s0, s2
	s_cbranch_execnz .LBB108_276
	s_branch .LBB108_277
.LBB108_292:
	s_mov_b32 s2, exec_lo
	s_trap 2
	s_branch .LBB108_290
	.section	.rodata,"a",@progbits
	.p2align	6, 0x0
	.amdhsa_kernel _ZN2at6native12_GLOBAL__N_112gatherMedianIsmLi1EEEvNS_4cuda6detail10TensorInfoIT_T0_EENS5_IlS7_EENS5_IKS6_S7_EES7_S7_S7_b
		.amdhsa_group_segment_fixed_size 5152
		.amdhsa_private_segment_fixed_size 0
		.amdhsa_kernarg_size 1536
		.amdhsa_user_sgpr_count 2
		.amdhsa_user_sgpr_dispatch_ptr 0
		.amdhsa_user_sgpr_queue_ptr 0
		.amdhsa_user_sgpr_kernarg_segment_ptr 1
		.amdhsa_user_sgpr_dispatch_id 0
		.amdhsa_user_sgpr_private_segment_size 0
		.amdhsa_wavefront_size32 1
		.amdhsa_uses_dynamic_stack 0
		.amdhsa_enable_private_segment 0
		.amdhsa_system_sgpr_workgroup_id_x 1
		.amdhsa_system_sgpr_workgroup_id_y 1
		.amdhsa_system_sgpr_workgroup_id_z 1
		.amdhsa_system_sgpr_workgroup_info 0
		.amdhsa_system_vgpr_workitem_id 0
		.amdhsa_next_free_vgpr 54
		.amdhsa_next_free_sgpr 94
		.amdhsa_reserve_vcc 1
		.amdhsa_float_round_mode_32 0
		.amdhsa_float_round_mode_16_64 0
		.amdhsa_float_denorm_mode_32 3
		.amdhsa_float_denorm_mode_16_64 3
		.amdhsa_fp16_overflow 0
		.amdhsa_workgroup_processor_mode 1
		.amdhsa_memory_ordered 1
		.amdhsa_forward_progress 1
		.amdhsa_inst_pref_size 142
		.amdhsa_round_robin_scheduling 0
		.amdhsa_exception_fp_ieee_invalid_op 0
		.amdhsa_exception_fp_denorm_src 0
		.amdhsa_exception_fp_ieee_div_zero 0
		.amdhsa_exception_fp_ieee_overflow 0
		.amdhsa_exception_fp_ieee_underflow 0
		.amdhsa_exception_fp_ieee_inexact 0
		.amdhsa_exception_int_div_zero 0
	.end_amdhsa_kernel
	.section	.text._ZN2at6native12_GLOBAL__N_112gatherMedianIsmLi1EEEvNS_4cuda6detail10TensorInfoIT_T0_EENS5_IlS7_EENS5_IKS6_S7_EES7_S7_S7_b,"axG",@progbits,_ZN2at6native12_GLOBAL__N_112gatherMedianIsmLi1EEEvNS_4cuda6detail10TensorInfoIT_T0_EENS5_IlS7_EENS5_IKS6_S7_EES7_S7_S7_b,comdat
.Lfunc_end108:
	.size	_ZN2at6native12_GLOBAL__N_112gatherMedianIsmLi1EEEvNS_4cuda6detail10TensorInfoIT_T0_EENS5_IlS7_EENS5_IKS6_S7_EES7_S7_S7_b, .Lfunc_end108-_ZN2at6native12_GLOBAL__N_112gatherMedianIsmLi1EEEvNS_4cuda6detail10TensorInfoIT_T0_EENS5_IlS7_EENS5_IKS6_S7_EES7_S7_S7_b
                                        ; -- End function
	.set _ZN2at6native12_GLOBAL__N_112gatherMedianIsmLi1EEEvNS_4cuda6detail10TensorInfoIT_T0_EENS5_IlS7_EENS5_IKS6_S7_EES7_S7_S7_b.num_vgpr, 54
	.set _ZN2at6native12_GLOBAL__N_112gatherMedianIsmLi1EEEvNS_4cuda6detail10TensorInfoIT_T0_EENS5_IlS7_EENS5_IKS6_S7_EES7_S7_S7_b.num_agpr, 0
	.set _ZN2at6native12_GLOBAL__N_112gatherMedianIsmLi1EEEvNS_4cuda6detail10TensorInfoIT_T0_EENS5_IlS7_EENS5_IKS6_S7_EES7_S7_S7_b.numbered_sgpr, 94
	.set _ZN2at6native12_GLOBAL__N_112gatherMedianIsmLi1EEEvNS_4cuda6detail10TensorInfoIT_T0_EENS5_IlS7_EENS5_IKS6_S7_EES7_S7_S7_b.num_named_barrier, 0
	.set _ZN2at6native12_GLOBAL__N_112gatherMedianIsmLi1EEEvNS_4cuda6detail10TensorInfoIT_T0_EENS5_IlS7_EENS5_IKS6_S7_EES7_S7_S7_b.private_seg_size, 0
	.set _ZN2at6native12_GLOBAL__N_112gatherMedianIsmLi1EEEvNS_4cuda6detail10TensorInfoIT_T0_EENS5_IlS7_EENS5_IKS6_S7_EES7_S7_S7_b.uses_vcc, 1
	.set _ZN2at6native12_GLOBAL__N_112gatherMedianIsmLi1EEEvNS_4cuda6detail10TensorInfoIT_T0_EENS5_IlS7_EENS5_IKS6_S7_EES7_S7_S7_b.uses_flat_scratch, 0
	.set _ZN2at6native12_GLOBAL__N_112gatherMedianIsmLi1EEEvNS_4cuda6detail10TensorInfoIT_T0_EENS5_IlS7_EENS5_IKS6_S7_EES7_S7_S7_b.has_dyn_sized_stack, 0
	.set _ZN2at6native12_GLOBAL__N_112gatherMedianIsmLi1EEEvNS_4cuda6detail10TensorInfoIT_T0_EENS5_IlS7_EENS5_IKS6_S7_EES7_S7_S7_b.has_recursion, 0
	.set _ZN2at6native12_GLOBAL__N_112gatherMedianIsmLi1EEEvNS_4cuda6detail10TensorInfoIT_T0_EENS5_IlS7_EENS5_IKS6_S7_EES7_S7_S7_b.has_indirect_call, 0
	.section	.AMDGPU.csdata,"",@progbits
; Kernel info:
; codeLenInByte = 18140
; TotalNumSgprs: 96
; NumVgprs: 54
; ScratchSize: 0
; MemoryBound: 0
; FloatMode: 240
; IeeeMode: 1
; LDSByteSize: 5152 bytes/workgroup (compile time only)
; SGPRBlocks: 0
; VGPRBlocks: 6
; NumSGPRsForWavesPerEU: 96
; NumVGPRsForWavesPerEU: 54
; Occupancy: 16
; WaveLimiterHint : 1
; COMPUTE_PGM_RSRC2:SCRATCH_EN: 0
; COMPUTE_PGM_RSRC2:USER_SGPR: 2
; COMPUTE_PGM_RSRC2:TRAP_HANDLER: 0
; COMPUTE_PGM_RSRC2:TGID_X_EN: 1
; COMPUTE_PGM_RSRC2:TGID_Y_EN: 1
; COMPUTE_PGM_RSRC2:TGID_Z_EN: 1
; COMPUTE_PGM_RSRC2:TIDIG_COMP_CNT: 0
	.section	.text._ZN2at6native12_GLOBAL__N_112gatherMedianIsmLi2EEEvNS_4cuda6detail10TensorInfoIT_T0_EENS5_IlS7_EENS5_IKS6_S7_EES7_S7_S7_b,"axG",@progbits,_ZN2at6native12_GLOBAL__N_112gatherMedianIsmLi2EEEvNS_4cuda6detail10TensorInfoIT_T0_EENS5_IlS7_EENS5_IKS6_S7_EES7_S7_S7_b,comdat
	.globl	_ZN2at6native12_GLOBAL__N_112gatherMedianIsmLi2EEEvNS_4cuda6detail10TensorInfoIT_T0_EENS5_IlS7_EENS5_IKS6_S7_EES7_S7_S7_b ; -- Begin function _ZN2at6native12_GLOBAL__N_112gatherMedianIsmLi2EEEvNS_4cuda6detail10TensorInfoIT_T0_EENS5_IlS7_EENS5_IKS6_S7_EES7_S7_S7_b
	.p2align	8
	.type	_ZN2at6native12_GLOBAL__N_112gatherMedianIsmLi2EEEvNS_4cuda6detail10TensorInfoIT_T0_EENS5_IlS7_EENS5_IKS6_S7_EES7_S7_S7_b,@function
_ZN2at6native12_GLOBAL__N_112gatherMedianIsmLi2EEEvNS_4cuda6detail10TensorInfoIT_T0_EENS5_IlS7_EENS5_IKS6_S7_EES7_S7_S7_b: ; @_ZN2at6native12_GLOBAL__N_112gatherMedianIsmLi2EEEvNS_4cuda6detail10TensorInfoIT_T0_EENS5_IlS7_EENS5_IKS6_S7_EES7_S7_S7_b
; %bb.0:
	s_clause 0x1
	s_load_b64 s[8:9], s[0:1], 0x500
	s_load_b128 s[28:31], s[0:1], 0x4e0
	s_lshr_b32 s2, ttmp7, 16
	s_and_b32 s3, ttmp7, 0xffff
	s_mov_b32 s27, 0
	s_wait_kmcnt 0x0
	s_mul_i32 s2, s9, s2
	s_delay_alu instid0(SALU_CYCLE_1) | instskip(NEXT) | instid1(SALU_CYCLE_1)
	s_add_co_i32 s2, s2, s3
	s_mul_i32 s2, s2, s8
	s_delay_alu instid0(SALU_CYCLE_1) | instskip(NEXT) | instid1(SALU_CYCLE_1)
	s_add_co_i32 s26, s2, ttmp9
	v_cmp_le_u64_e64 s2, s[30:31], s[26:27]
	s_and_b32 vcc_lo, exec_lo, s2
	s_cbranch_vccnz .LBB109_281
; %bb.1:
	s_clause 0x1
	s_load_b64 s[46:47], s[0:1], 0x10
	s_load_b64 s[30:31], s[0:1], 0x1b0
	s_mov_b64 s[34:35], 0
	s_mov_b64 s[48:49], 0
	s_wait_kmcnt 0x0
	v_cmp_lt_u64_e64 s2, s[26:27], s[46:47]
	s_and_b32 vcc_lo, exec_lo, s2
	s_cbranch_vccnz .LBB109_3
; %bb.2:
	v_cvt_f32_u32_e32 v1, s46
	s_sub_co_i32 s3, 0, s46
	s_mov_b32 s49, 0
	s_delay_alu instid0(VALU_DEP_1) | instskip(NEXT) | instid1(TRANS32_DEP_1)
	v_rcp_iflag_f32_e32 v1, v1
	v_mul_f32_e32 v1, 0x4f7ffffe, v1
	s_delay_alu instid0(VALU_DEP_1) | instskip(NEXT) | instid1(VALU_DEP_1)
	v_cvt_u32_f32_e32 v1, v1
	v_readfirstlane_b32 s2, v1
	s_mul_i32 s3, s3, s2
	s_delay_alu instid0(SALU_CYCLE_1) | instskip(NEXT) | instid1(SALU_CYCLE_1)
	s_mul_hi_u32 s3, s2, s3
	s_add_co_i32 s2, s2, s3
	s_delay_alu instid0(SALU_CYCLE_1) | instskip(NEXT) | instid1(SALU_CYCLE_1)
	s_mul_hi_u32 s2, s26, s2
	s_mul_i32 s3, s2, s46
	s_add_co_i32 s4, s2, 1
	s_sub_co_i32 s3, s26, s3
	s_delay_alu instid0(SALU_CYCLE_1)
	s_sub_co_i32 s5, s3, s46
	s_cmp_ge_u32 s3, s46
	s_cselect_b32 s2, s4, s2
	s_cselect_b32 s3, s5, s3
	s_add_co_i32 s4, s2, 1
	s_cmp_ge_u32 s3, s46
	s_cselect_b32 s48, s4, s2
.LBB109_3:
	s_clause 0x1
	s_load_b64 s[44:45], s[0:1], 0x4f0
	s_load_b64 s[12:13], s[0:1], 0x350
	v_cmp_lt_u64_e64 s2, s[26:27], s[30:31]
	s_and_b32 vcc_lo, exec_lo, s2
	s_cbranch_vccz .LBB109_282
; %bb.4:
	s_wait_kmcnt 0x0
	v_cmp_lt_u64_e64 s2, s[26:27], s[12:13]
	s_mov_b64 s[14:15], 0
	s_and_b32 vcc_lo, exec_lo, s2
	s_cbranch_vccz .LBB109_283
.LBB109_5:
	v_cmp_eq_u32_e64 s2, 0, v0
	s_and_saveexec_b32 s3, s2
.LBB109_6:
	v_mov_b32_e32 v1, 0
	s_delay_alu instid0(VALU_DEP_1)
	v_mov_b32_e32 v2, v1
	ds_store_b64 v1, v[1:2] offset:5136
.LBB109_7:
	s_or_b32 exec_lo, exec_lo, s3
	v_mov_b32_e32 v1, 0
	v_mov_b32_e32 v19, s28
	s_wait_dscnt 0x0
	s_barrier_signal -1
	s_barrier_wait -1
	global_inv scope:SCOPE_SE
	s_wait_loadcnt 0x0
	s_barrier_signal -1
	s_barrier_wait -1
	global_inv scope:SCOPE_SE
	v_mov_b32_e32 v20, s29
	ds_load_b64 v[1:2], v1 offset:5136
	s_load_b32 s3, s[0:1], 0x4f8
	s_wait_dscnt 0x0
	v_cmp_gt_i64_e32 vcc_lo, 1, v[1:2]
	s_wait_kmcnt 0x0
	s_bitcmp1_b32 s3, 0
	s_cselect_b32 s3, -1, 0
	s_delay_alu instid0(SALU_CYCLE_1) | instskip(NEXT) | instid1(SALU_CYCLE_1)
	s_or_b32 s3, s3, vcc_lo
	s_and_not1_b32 vcc_lo, exec_lo, s3
	s_cbranch_vccnz .LBB109_9
; %bb.8:
	v_not_b32_e32 v1, v1
	v_not_b32_e32 v2, v2
	s_delay_alu instid0(VALU_DEP_2) | instskip(NEXT) | instid1(VALU_DEP_1)
	v_add_co_u32 v1, vcc_lo, s28, v1
	v_add_co_ci_u32_e64 v2, null, s29, v2, vcc_lo
	s_delay_alu instid0(VALU_DEP_1) | instskip(NEXT) | instid1(VALU_DEP_1)
	v_lshrrev_b64 v[1:2], 1, v[1:2]
	v_add_co_u32 v19, vcc_lo, v1, 1
	s_wait_alu 0xfffd
	s_delay_alu instid0(VALU_DEP_2)
	v_add_co_ci_u32_e64 v20, null, 0, v2, vcc_lo
.LBB109_9:
	s_clause 0x1
	s_load_b128 s[4:7], s[0:1], 0x410
	s_load_b64 s[16:17], s[0:1], 0x340
	s_add_nc_u64 s[10:11], s[0:1], 0x500
	s_and_saveexec_b32 s3, s2
	s_cbranch_execz .LBB109_11
; %bb.10:
	v_dual_mov_b32 v1, 0 :: v_dual_mov_b32 v4, s29
	s_delay_alu instid0(VALU_DEP_1)
	v_dual_mov_b32 v3, s28 :: v_dual_mov_b32 v2, v1
	ds_store_b32 v1, v1 offset:5144
	ds_store_b128 v1, v[1:4] offset:5120
.LBB109_11:
	s_or_b32 exec_lo, exec_lo, s3
	v_mad_co_u64_u32 v[4:5], null, s44, v0, 0
	v_mov_b32_e32 v3, 0
	s_mul_u64 s[12:13], s[14:15], s[12:13]
	s_wait_kmcnt 0x0
	s_mul_u64 s[4:5], s[14:15], s[4:5]
	s_wait_alu 0xfffe
	s_sub_nc_u64 s[12:13], s[26:27], s[12:13]
	s_lshl_b64 s[4:5], s[4:5], 1
	s_wait_alu 0xfffe
	s_mul_u64 s[6:7], s[12:13], s[6:7]
	v_mov_b32_e32 v2, v5
	v_mbcnt_lo_u32_b32 v25, -1, 0
	s_add_nc_u64 s[4:5], s[16:17], s[4:5]
	s_lshl_b64 s[6:7], s[6:7], 1
	s_clause 0x1
	s_load_b128 s[36:39], s[0:1], 0x270
	s_load_b64 s[50:51], s[0:1], 0x1a0
	v_mad_co_u64_u32 v[5:6], null, s45, v0, v[2:3]
	s_clause 0x1
	s_load_b128 s[40:43], s[0:1], 0xd0
	s_load_b64 s[56:57], s[0:1], 0x0
	s_add_nc_u64 s[52:53], s[4:5], s[6:7]
	s_wait_loadcnt_dscnt 0x0
	s_barrier_signal -1
	s_barrier_wait -1
	global_inv scope:SCOPE_SE
	s_load_b32 s4, s[10:11], 0xc
	v_lshlrev_b64_e32 v[4:5], 1, v[4:5]
	v_cmp_gt_u32_e32 vcc_lo, 32, v0
	v_cmp_gt_i32_e64 s3, 4, v25
	v_dual_mov_b32 v15, v3 :: v_dual_add_nc_u32 v2, 2, v0
	v_dual_mov_b32 v1, v3 :: v_dual_lshlrev_b32 v26, 1, v0
	s_and_b32 s33, vcc_lo, s3
	v_add_co_u32 v12, vcc_lo, s52, v4
	s_wait_alu 0xfffd
	v_add_co_ci_u32_e64 v13, null, s53, v5, vcc_lo
	v_cmp_gt_u64_e32 vcc_lo, s[28:29], v[2:3]
	v_not_b32_e32 v4, v0
	v_lshlrev_b64_e64 v[6:7], v25, -1
	s_mov_b32 s59, 0
	v_cmp_gt_u64_e64 s0, s[28:29], v[0:1]
	v_cmp_lt_u64_e64 s76, 0x600, s[28:29]
	s_wait_alu 0xfffd
	v_cndmask_b32_e64 v2, v2, s28, vcc_lo
	v_cndmask_b32_e64 v5, 0, s29, vcc_lo
	s_wait_kmcnt 0x0
	s_and_b32 s54, s4, 0xffff
	s_bfe_u32 s5, s4, 0xb0005
	s_cmp_gt_u32 s54, 31
	v_add_co_u32 v4, vcc_lo, v2, v4
	s_wait_alu 0xfffd
	v_add_co_ci_u32_e64 v5, null, -1, v5, vcc_lo
	s_cselect_b32 s77, -1, 0
	s_cmp_lt_u32 ttmp9, s8
	v_dual_mov_b32 v17, v5 :: v_dual_lshlrev_b32 v14, 2, v0
	s_cselect_b32 s58, 12, 18
	s_add_co_i32 s6, s5, -1
	v_dual_mov_b32 v33, 0 :: v_dual_and_b32 v16, -2, v4
	s_and_b32 s6, s6, 0xffff
	s_bfe_u32 s79, s54, 0x30005
	s_movk_i32 s4, 0x3e0
	s_cmp_gt_u32 s6, 6
	s_mov_b32 s55, s59
	v_and_or_b32 v29, v0, s4, 0xc00
	v_cmp_lt_u64_e64 s4, 1, v[4:5]
	s_cselect_b32 s81, -1, 0
	s_and_b32 s82, s5, 0x7f8
	v_cmp_ne_u64_e64 s5, v[4:5], v[16:17]
	v_cmp_eq_u32_e64 s1, 0, v25
	v_cmp_gt_u32_e64 s3, 2, v0
	v_dual_mov_b32 v34, 0 :: v_dual_add_nc_u32 v27, 0xc00, v26
	v_not_b32_e32 v28, v6
	v_add_co_u32 v18, vcc_lo, v16, v0
	v_dual_mov_b32 v30, 0 :: v_dual_lshlrev_b32 v31, 3, v0
	v_lshl_or_b32 v32, v25, 3, 0xc00
	s_add_nc_u64 s[60:61], s[54:55], -1
	s_cmp_lg_u32 s79, 0
	s_add_nc_u64 s[62:63], s[60:61], s[28:29]
	s_mov_b32 s78, s44
	s_mov_b32 s80, s45
	s_cselect_b32 s83, -1, 0
	s_lshl_b32 s84, s54, 1
	s_mov_b32 s85, 14
	s_add_nc_u64 s[64:65], s[10:11], s[58:59]
	s_mov_b32 s87, 0x4f800000
	s_mov_b32 s86, 0
	;; [unrolled: 1-line block ×3, first 2 shown]
	s_wait_alu 0xfffd
	v_add_co_ci_u32_e64 v2, null, 0, v5, vcc_lo
                                        ; implicit-def: $sgpr92
                                        ; implicit-def: $sgpr94
                                        ; implicit-def: $sgpr89
                                        ; implicit-def: $sgpr91
                                        ; implicit-def: $sgpr93
                                        ; implicit-def: $sgpr90
	s_branch .LBB109_15
.LBB109_12:                             ;   in Loop: Header=BB109_15 Depth=1
	s_wait_alu 0xfffe
	s_or_b32 exec_lo, exec_lo, s9
	s_delay_alu instid0(SALU_CYCLE_1)
	s_and_b32 s7, s7, exec_lo
	s_and_not1_b32 s22, s22, exec_lo
	s_and_not1_b32 s21, s21, exec_lo
	s_or_not1_b32 s18, s8, exec_lo
.LBB109_13:                             ;   in Loop: Header=BB109_15 Depth=1
	s_wait_alu 0xfffe
	s_or_b32 exec_lo, exec_lo, s6
	s_delay_alu instid0(SALU_CYCLE_1)
	s_and_not1_b32 s6, s90, exec_lo
	s_and_b32 s7, s7, exec_lo
	s_and_not1_b32 s8, s91, exec_lo
	s_wait_alu 0xfffe
	s_or_b32 s90, s6, s7
	s_and_not1_b32 s6, s93, exec_lo
	s_and_b32 s7, s22, exec_lo
	s_and_b32 s9, s21, exec_lo
	s_wait_alu 0xfffe
	s_or_b32 s93, s6, s7
	s_or_b32 s91, s8, s9
	s_or_not1_b32 s18, s18, exec_lo
.LBB109_14:                             ;   in Loop: Header=BB109_15 Depth=1
	s_wait_alu 0xfffe
	s_or_b32 exec_lo, exec_lo, s17
	s_delay_alu instid0(SALU_CYCLE_1)
	s_and_b32 s6, exec_lo, s18
	v_dual_mov_b32 v20, v9 :: v_dual_mov_b32 v19, v8
	s_wait_alu 0xfffe
	s_or_b32 s86, s6, s86
	s_and_not1_b32 s6, s89, exec_lo
	s_and_b32 s7, s90, exec_lo
	s_and_not1_b32 s8, s94, exec_lo
	s_wait_alu 0xfffe
	s_or_b32 s89, s6, s7
	s_and_b32 s6, s93, exec_lo
	s_and_not1_b32 s7, s92, exec_lo
	s_and_b32 s9, s91, exec_lo
	s_wait_alu 0xfffe
	s_or_b32 s94, s8, s6
	s_or_b32 s92, s7, s9
	s_and_not1_b32 exec_lo, exec_lo, s86
	s_cbranch_execz .LBB109_277
.LBB109_15:                             ; =>This Loop Header: Depth=1
                                        ;     Child Loop BB109_20 Depth 2
                                        ;     Child Loop BB109_34 Depth 2
	;; [unrolled: 1-line block ×17, first 2 shown]
	ds_load_b128 v[4:7], v3 offset:5120
	s_wait_dscnt 0x0
	v_readfirstlane_b32 s67, v5
	v_readfirstlane_b32 s66, v4
	s_cmp_lg_u64 s[66:67], 0
	s_cbranch_scc1 .LBB109_47
; %bb.16:                               ;   in Loop: Header=BB109_15 Depth=1
	s_and_b32 vcc_lo, exec_lo, s76
	s_wait_alu 0xfffe
	s_cbranch_vccz .LBB109_28
; %bb.17:                               ;   in Loop: Header=BB109_15 Depth=1
	v_cmp_gt_u64_e32 vcc_lo, 0x601, v[6:7]
	s_mov_b32 s8, 0
	s_mov_b32 s6, 0
	s_cbranch_vccz .LBB109_29
; %bb.18:                               ;   in Loop: Header=BB109_15 Depth=1
	global_load_u16 v2, v3, s[64:65]
	global_load_u16 v6, v[12:13], off
	s_mov_b32 s9, 0
	v_dual_mov_b32 v5, v1 :: v_dual_mov_b32 v4, v0
	s_wait_loadcnt 0x1
	v_and_b32_e32 v2, 0xffff, v2
	s_branch .LBB109_20
.LBB109_19:                             ;   in Loop: Header=BB109_20 Depth=2
	s_wait_alu 0xfffe
	s_or_b32 exec_lo, exec_lo, s7
	v_mov_b32_e32 v6, v7
	s_and_not1_b32 exec_lo, exec_lo, s9
	s_cbranch_execz .LBB109_144
.LBB109_20:                             ;   Parent Loop BB109_15 Depth=1
                                        ; =>  This Inner Loop Header: Depth=2
	s_delay_alu instid0(VALU_DEP_1)
	v_add_co_u32 v4, vcc_lo, v4, v2
	s_wait_alu 0xfffd
	v_add_co_ci_u32_e64 v5, null, 0, v5, vcc_lo
	s_wait_dscnt 0x0
	v_dual_mov_b32 v8, 0 :: v_dual_mov_b32 v7, 0
	s_mov_b32 s7, exec_lo
	s_delay_alu instid0(VALU_DEP_2)
	v_cmp_le_u64_e32 vcc_lo, s[28:29], v[4:5]
	v_cmpx_gt_u64_e64 s[28:29], v[4:5]
	s_cbranch_execz .LBB109_22
; %bb.21:                               ;   in Loop: Header=BB109_20 Depth=2
	v_mul_lo_u32 v7, v5, s44
	v_mul_lo_u32 v11, v4, s45
	v_mad_co_u64_u32 v[9:10], null, v4, s44, 0
	s_delay_alu instid0(VALU_DEP_1) | instskip(NEXT) | instid1(VALU_DEP_1)
	v_add3_u32 v10, v10, v11, v7
	v_lshlrev_b64_e32 v[9:10], 1, v[9:10]
	s_delay_alu instid0(VALU_DEP_1) | instskip(SKIP_1) | instid1(VALU_DEP_2)
	v_add_co_u32 v9, s6, s52, v9
	s_wait_alu 0xf1fe
	v_add_co_ci_u32_e64 v10, null, s53, v10, s6
	global_load_u16 v7, v[9:10], off
.LBB109_22:                             ;   in Loop: Header=BB109_20 Depth=2
	s_wait_alu 0xfffe
	s_or_b32 exec_lo, exec_lo, s7
	s_wait_loadcnt 0x0
	v_bfe_i32 v9, v6, 0, 16
	s_delay_alu instid0(VALU_DEP_1) | instskip(NEXT) | instid1(VALU_DEP_1)
	v_add_nc_u32_e32 v9, 0x8000, v9
	v_and_b32_e32 v9, v9, v33
	s_delay_alu instid0(VALU_DEP_1)
	v_cmp_eq_u32_e64 s6, v9, v30
	s_cmp_lg_u32 s6, 0
	s_cselect_b32 s7, -1, 0
	s_wait_alu 0xfffe
	s_and_b32 s7, s1, s7
	s_wait_alu 0xfffe
	s_and_saveexec_b32 s10, s7
	s_cbranch_execz .LBB109_26
; %bb.23:                               ;   in Loop: Header=BB109_20 Depth=2
	s_mov_b32 s13, exec_lo
	s_bcnt1_i32_b32 s11, s6
	s_wait_alu 0xfffe
	v_mbcnt_lo_u32_b32 v8, s13, 0
	s_mov_b32 s12, exec_lo
                                        ; implicit-def: $vgpr9
	s_delay_alu instid0(VALU_DEP_1)
	v_cmpx_eq_u32_e32 0, v8
; %bb.24:                               ;   in Loop: Header=BB109_20 Depth=2
	s_bcnt1_i32_b32 s7, s13
	s_wait_alu 0xfffe
	s_mul_i32 s7, s11, s7
	s_wait_alu 0xfffe
	v_mov_b32_e32 v9, s7
	ds_add_rtn_u32 v9, v3, v9 offset:5144
; %bb.25:                               ;   in Loop: Header=BB109_20 Depth=2
	s_or_b32 exec_lo, exec_lo, s12
	s_wait_dscnt 0x0
	v_readfirstlane_b32 s7, v9
	s_wait_alu 0xf1ff
	s_delay_alu instid0(VALU_DEP_1)
	v_mad_u32_u24 v8, s11, v8, s7
.LBB109_26:                             ;   in Loop: Header=BB109_20 Depth=2
	s_wait_alu 0xfffe
	s_or_b32 exec_lo, exec_lo, s10
	ds_bpermute_b32 v8, v3, v8
	s_and_b32 s7, exec_lo, vcc_lo
	s_wait_alu 0xfffe
	s_or_b32 s9, s7, s9
	s_and_saveexec_b32 s7, s6
	s_cbranch_execz .LBB109_19
; %bb.27:                               ;   in Loop: Header=BB109_20 Depth=2
	v_and_b32_e32 v9, s6, v28
	s_delay_alu instid0(VALU_DEP_1) | instskip(NEXT) | instid1(VALU_DEP_1)
	v_bcnt_u32_b32 v9, v9, 0
	v_lshlrev_b32_e32 v9, 1, v9
	s_wait_dscnt 0x0
	s_delay_alu instid0(VALU_DEP_1)
	v_lshl_add_u32 v8, v8, 1, v9
	ds_store_b16 v8, v6
	s_branch .LBB109_19
.LBB109_28:                             ;   in Loop: Header=BB109_15 Depth=1
	s_mov_b32 s8, -1
	s_mov_b32 s6, 0
.LBB109_29:                             ;   in Loop: Header=BB109_15 Depth=1
	s_wait_alu 0xfffe
	s_and_b32 vcc_lo, exec_lo, s8
	s_wait_alu 0xfffe
	s_cbranch_vccz .LBB109_45
.LBB109_30:                             ;   in Loop: Header=BB109_15 Depth=1
	s_and_saveexec_b32 s7, s0
	s_cbranch_execz .LBB109_42
; %bb.31:                               ;   in Loop: Header=BB109_15 Depth=1
	global_load_u16 v4, v3, s[64:65]
	global_load_u16 v10, v[12:13], off
	v_mov_b32_e32 v8, v0
	s_mov_b32 s10, exec_lo
	s_wait_loadcnt 0x1
	v_and_b32_e32 v2, 0xffff, v4
	v_readfirstlane_b32 s6, v4
	s_delay_alu instid0(VALU_DEP_2) | instskip(NEXT) | instid1(VALU_DEP_1)
	v_add_nc_u32_e32 v2, v2, v0
	v_cmpx_gt_u64_e64 s[28:29], v[2:3]
	s_cbranch_execz .LBB109_41
; %bb.32:                               ;   in Loop: Header=BB109_15 Depth=1
	s_and_b32 s58, s6, 0xffff
	v_dual_mov_b32 v7, v1 :: v_dual_mov_b32 v6, v0
	s_wait_alu 0xfffe
	s_cmp_eq_u32 s58, 1
	v_dual_mov_b32 v5, v3 :: v_dual_mov_b32 v4, v2
	s_cselect_b32 s6, -1, 0
                                        ; implicit-def: $vgpr8_vgpr9
	s_wait_alu 0xfffe
	s_and_b32 s9, s4, s6
	s_mov_b32 s6, -1
	s_wait_alu 0xfffe
	s_and_saveexec_b32 s8, s9
	s_cbranch_execz .LBB109_36
; %bb.33:                               ;   in Loop: Header=BB109_15 Depth=1
	v_add_co_u32 v4, s6, v2, 1
	s_wait_alu 0xf1ff
	v_add_co_ci_u32_e64 v5, null, 0, 0, s6
	s_wait_loadcnt 0x0
	v_dual_mov_b32 v8, v16 :: v_dual_lshlrev_b32 v21, 16, v10
	s_mov_b32 s9, 0
	s_delay_alu instid0(VALU_DEP_2)
	v_mov_b32_e32 v7, v5
	v_dual_mov_b32 v9, v17 :: v_dual_mov_b32 v6, v4
	v_mov_b32_e32 v5, v3
	v_dual_mov_b32 v11, v26 :: v_dual_mov_b32 v4, v2
.LBB109_34:                             ;   Parent Loop BB109_15 Depth=1
                                        ; =>  This Inner Loop Header: Depth=2
	s_delay_alu instid0(VALU_DEP_2) | instskip(NEXT) | instid1(VALU_DEP_2)
	v_mul_lo_u32 v10, v5, s44
	v_mul_lo_u32 v24, v4, s45
	v_mad_co_u64_u32 v[22:23], null, v4, s44, 0
	v_mul_lo_u32 v37, v7, s78
	v_mul_lo_u32 v38, v6, s80
	v_mad_co_u64_u32 v[35:36], null, v6, s78, 0
	s_delay_alu instid0(VALU_DEP_4) | instskip(NEXT) | instid1(VALU_DEP_2)
	v_add3_u32 v23, v23, v24, v10
	v_add3_u32 v36, v36, v38, v37
	s_delay_alu instid0(VALU_DEP_2) | instskip(NEXT) | instid1(VALU_DEP_2)
	v_lshlrev_b64_e32 v[22:23], 1, v[22:23]
	v_lshlrev_b64_e32 v[35:36], 1, v[35:36]
	s_delay_alu instid0(VALU_DEP_2) | instskip(SKIP_1) | instid1(VALU_DEP_3)
	v_add_co_u32 v22, vcc_lo, s52, v22
	s_wait_alu 0xfffd
	v_add_co_ci_u32_e64 v23, null, s53, v23, vcc_lo
	s_delay_alu instid0(VALU_DEP_3)
	v_add_co_u32 v35, vcc_lo, s52, v35
	s_wait_alu 0xfffd
	v_add_co_ci_u32_e64 v36, null, s53, v36, vcc_lo
	s_clause 0x1
	global_load_u16 v22, v[22:23], off
	global_load_u16 v10, v[35:36], off
	v_add_co_u32 v8, vcc_lo, v8, -2
	s_wait_alu 0xfffd
	v_add_co_ci_u32_e64 v9, null, -1, v9, vcc_lo
	v_add_co_u32 v6, vcc_lo, v6, 2
	s_wait_alu 0xfffd
	v_add_co_ci_u32_e64 v7, null, 0, v7, vcc_lo
	s_delay_alu instid0(VALU_DEP_3) | instskip(SKIP_4) | instid1(VALU_DEP_3)
	v_cmp_eq_u64_e64 s6, 0, v[8:9]
	v_add_co_u32 v4, vcc_lo, v4, 2
	s_wait_alu 0xfffd
	v_add_co_ci_u32_e64 v5, null, 0, v5, vcc_lo
	s_wait_alu 0xfffe
	s_or_b32 s9, s6, s9
	s_wait_loadcnt 0x1
	v_alignbit_b32 v21, v22, v21, 16
	s_wait_loadcnt 0x0
	v_perm_b32 v22, v10, v22, 0x5040100
	ds_store_b32 v11, v21
	v_add_nc_u32_e32 v11, 4, v11
	v_mov_b32_e32 v21, v22
	s_wait_alu 0xfffe
	s_and_not1_b32 exec_lo, exec_lo, s9
	s_cbranch_execnz .LBB109_34
; %bb.35:                               ;   in Loop: Header=BB109_15 Depth=1
	s_or_b32 exec_lo, exec_lo, s9
	v_add_co_u32 v4, vcc_lo, v2, v16
	s_wait_alu 0xfffd
	v_add_co_ci_u32_e64 v5, null, 0, v17, vcc_lo
	v_dual_mov_b32 v6, v18 :: v_dual_mov_b32 v7, v19
	s_delay_alu instid0(VALU_DEP_3)
	v_add_co_u32 v8, vcc_lo, v4, -1
	s_or_not1_b32 s6, s5, exec_lo
	s_wait_alu 0xfffd
	v_add_co_ci_u32_e64 v2, null, -1, v5, vcc_lo
.LBB109_36:                             ;   in Loop: Header=BB109_15 Depth=1
	s_wait_alu 0xfffe
	s_or_b32 exec_lo, exec_lo, s8
	s_and_saveexec_b32 s11, s6
	s_cbranch_execz .LBB109_40
; %bb.37:                               ;   in Loop: Header=BB109_15 Depth=1
	s_sub_nc_u64 s[8:9], 0, s[58:59]
	s_mov_b32 s12, 0
.LBB109_38:                             ;   Parent Loop BB109_15 Depth=1
                                        ; =>  This Inner Loop Header: Depth=2
	v_dual_mov_b32 v8, v5 :: v_dual_mov_b32 v7, v4
	v_lshlrev_b32_e32 v6, 1, v6
	s_delay_alu instid0(VALU_DEP_2) | instskip(NEXT) | instid1(VALU_DEP_3)
	v_mul_lo_u32 v2, v8, s44
	v_mul_lo_u32 v9, v7, s45
	v_mad_co_u64_u32 v[4:5], null, v7, s44, 0
	s_wait_loadcnt 0x0
	ds_store_b16 v6, v10
	v_add3_u32 v5, v5, v9, v2
	s_delay_alu instid0(VALU_DEP_1) | instskip(NEXT) | instid1(VALU_DEP_1)
	v_lshlrev_b64_e32 v[4:5], 1, v[4:5]
	v_add_co_u32 v4, vcc_lo, s52, v4
	s_wait_alu 0xfffd
	s_delay_alu instid0(VALU_DEP_2)
	v_add_co_ci_u32_e64 v5, null, s53, v5, vcc_lo
	global_load_u16 v2, v[4:5], off
	v_add_co_u32 v4, vcc_lo, v7, s58
	s_wait_alu 0xfffd
	v_add_co_ci_u32_e64 v5, null, 0, v8, vcc_lo
	v_mov_b32_e32 v6, v7
	v_mov_b32_e32 v7, v8
	s_wait_alu 0xfffe
	v_add_co_u32 v8, s6, s8, v4
	v_cmp_le_u64_e32 vcc_lo, s[28:29], v[4:5]
	s_wait_alu 0xf1ff
	v_add_co_ci_u32_e64 v7, null, s9, v5, s6
	s_or_b32 s12, vcc_lo, s12
	s_wait_loadcnt 0x0
	v_mov_b32_e32 v10, v2
	s_wait_alu 0xfffe
	s_and_not1_b32 exec_lo, exec_lo, s12
	s_cbranch_execnz .LBB109_38
; %bb.39:                               ;   in Loop: Header=BB109_15 Depth=1
	s_or_b32 exec_lo, exec_lo, s12
	v_mov_b32_e32 v10, v2
.LBB109_40:                             ;   in Loop: Header=BB109_15 Depth=1
	s_wait_alu 0xfffe
	s_or_b32 exec_lo, exec_lo, s11
.LBB109_41:                             ;   in Loop: Header=BB109_15 Depth=1
	s_wait_alu 0xfffe
	s_or_b32 exec_lo, exec_lo, s10
	v_lshlrev_b32_e32 v2, 1, v8
	s_wait_loadcnt 0x0
	ds_store_b16 v2, v10
.LBB109_42:                             ;   in Loop: Header=BB109_15 Depth=1
	s_wait_alu 0xfffe
	s_or_b32 exec_lo, exec_lo, s7
	s_wait_loadcnt_dscnt 0x0
	s_barrier_signal -1
	s_barrier_wait -1
	global_inv scope:SCOPE_SE
	s_and_saveexec_b32 s6, s2
; %bb.43:                               ;   in Loop: Header=BB109_15 Depth=1
	v_dual_mov_b32 v4, s28 :: v_dual_mov_b32 v5, s29
	ds_store_b64 v3, v[4:5] offset:5120
; %bb.44:                               ;   in Loop: Header=BB109_15 Depth=1
	s_wait_alu 0xfffe
	s_or_b32 exec_lo, exec_lo, s6
	s_mov_b32 s6, -1
	s_wait_loadcnt_dscnt 0x0
	s_barrier_signal -1
	s_barrier_wait -1
.LBB109_45:                             ;   in Loop: Header=BB109_15 Depth=1
	s_wait_alu 0xfffe
	s_and_b32 vcc_lo, exec_lo, s6
	s_mov_b64 s[66:67], 0
	s_wait_alu 0xfffe
	s_cbranch_vccz .LBB109_47
; %bb.46:                               ;   in Loop: Header=BB109_15 Depth=1
	s_wait_loadcnt 0x0
	global_inv scope:SCOPE_SE
	ds_load_b64 v[4:5], v3 offset:5120
	s_wait_dscnt 0x0
	v_readfirstlane_b32 s66, v4
.LBB109_47:                             ;   in Loop: Header=BB109_15 Depth=1
	s_delay_alu instid0(VALU_DEP_1)
	s_cmp_lt_i32 s66, 1
	s_mov_b32 s6, -1
                                        ; implicit-def: $vgpr4_vgpr5
                                        ; implicit-def: $vgpr8_vgpr9
	s_cbranch_scc1 .LBB109_57
; %bb.48:                               ;   in Loop: Header=BB109_15 Depth=1
	s_wait_alu 0xfffe
	s_and_b32 vcc_lo, exec_lo, s6
	s_wait_alu 0xfffe
	s_cbranch_vccnz .LBB109_71
.LBB109_49:                             ;   in Loop: Header=BB109_15 Depth=1
	s_lshl_b32 s6, s88, 7
	s_and_saveexec_b32 s7, s1
	s_cbranch_execz .LBB109_51
.LBB109_50:                             ;   in Loop: Header=BB109_15 Depth=1
	s_wait_alu 0xfffe
	v_lshl_add_u32 v2, s6, 3, v29
	ds_store_b128 v2, v[4:7]
	ds_store_b128 v2, v[8:11] offset:16
.LBB109_51:                             ;   in Loop: Header=BB109_15 Depth=1
	s_wait_alu 0xfffe
	s_or_b32 exec_lo, exec_lo, s7
	s_wait_loadcnt_dscnt 0x0
	s_barrier_signal -1
	s_barrier_wait -1
	global_inv scope:SCOPE_SE
	s_and_saveexec_b32 s7, s33
	s_cbranch_execz .LBB109_85
; %bb.52:                               ;   in Loop: Header=BB109_15 Depth=1
	v_mov_b32_e32 v4, 0
	v_mov_b32_e32 v5, 0
	s_and_not1_b32 vcc_lo, exec_lo, s77
	s_wait_alu 0xfffe
	s_cbranch_vccnz .LBB109_84
; %bb.53:                               ;   in Loop: Header=BB109_15 Depth=1
	v_mov_b32_e32 v4, 0
	v_mov_b32_e32 v5, 0
	s_and_not1_b32 vcc_lo, exec_lo, s81
	s_wait_alu 0xfffe
	s_cbranch_vccnz .LBB109_81
; %bb.54:                               ;   in Loop: Header=BB109_15 Depth=1
	v_lshl_add_u32 v2, s88, 10, v32
	s_mov_b32 s8, 0
.LBB109_55:                             ;   Parent Loop BB109_15 Depth=1
                                        ; =>  This Inner Loop Header: Depth=2
	ds_load_2addr_b64 v[6:9], v2 offset1:4
	ds_load_2addr_b64 v[21:24], v2 offset0:8 offset1:12
	ds_load_2addr_b64 v[35:38], v2 offset0:16 offset1:20
	s_wait_alu 0xfffe
	s_add_co_i32 s8, s8, 8
	s_wait_alu 0xfffe
	s_cmp_eq_u32 s82, s8
	s_wait_dscnt 0x2
	v_add_co_u32 v4, vcc_lo, v6, v4
	s_wait_alu 0xfffd
	v_add_co_ci_u32_e64 v5, null, v7, v5, vcc_lo
	s_delay_alu instid0(VALU_DEP_2) | instskip(SKIP_1) | instid1(VALU_DEP_2)
	v_add_co_u32 v8, vcc_lo, v8, v4
	s_wait_alu 0xfffd
	v_add_co_ci_u32_e64 v9, null, v9, v5, vcc_lo
	ds_load_2addr_b64 v[4:7], v2 offset0:24 offset1:28
	s_wait_dscnt 0x2
	v_add_co_u32 v8, vcc_lo, v21, v8
	s_wait_alu 0xfffd
	v_add_co_ci_u32_e64 v9, null, v22, v9, vcc_lo
	v_add_nc_u32_e32 v2, 0x100, v2
	s_delay_alu instid0(VALU_DEP_3) | instskip(SKIP_1) | instid1(VALU_DEP_3)
	v_add_co_u32 v8, vcc_lo, v23, v8
	s_wait_alu 0xfffd
	v_add_co_ci_u32_e64 v9, null, v24, v9, vcc_lo
	s_wait_dscnt 0x1
	s_delay_alu instid0(VALU_DEP_2) | instskip(SKIP_1) | instid1(VALU_DEP_2)
	v_add_co_u32 v8, vcc_lo, v35, v8
	s_wait_alu 0xfffd
	v_add_co_ci_u32_e64 v9, null, v36, v9, vcc_lo
	s_delay_alu instid0(VALU_DEP_2) | instskip(SKIP_1) | instid1(VALU_DEP_2)
	v_add_co_u32 v8, vcc_lo, v37, v8
	s_wait_alu 0xfffd
	v_add_co_ci_u32_e64 v9, null, v38, v9, vcc_lo
	s_wait_dscnt 0x0
	s_delay_alu instid0(VALU_DEP_2) | instskip(SKIP_1) | instid1(VALU_DEP_2)
	v_add_co_u32 v4, vcc_lo, v4, v8
	s_wait_alu 0xfffd
	v_add_co_ci_u32_e64 v5, null, v5, v9, vcc_lo
	s_delay_alu instid0(VALU_DEP_2) | instskip(SKIP_1) | instid1(VALU_DEP_2)
	v_add_co_u32 v4, vcc_lo, v6, v4
	s_wait_alu 0xfffd
	v_add_co_ci_u32_e64 v5, null, v7, v5, vcc_lo
	s_cbranch_scc0 .LBB109_55
; %bb.56:                               ;   in Loop: Header=BB109_15 Depth=1
	s_mov_b32 s8, s82
	s_and_not1_b32 vcc_lo, exec_lo, s83
	s_wait_alu 0xfffe
	s_cbranch_vccz .LBB109_82
	s_branch .LBB109_84
.LBB109_57:                             ;   in Loop: Header=BB109_15 Depth=1
	global_load_u16 v2, v3, s[64:65]
	s_mov_b32 s7, s29
	s_wait_loadcnt 0x0
	v_readfirstlane_b32 s6, v2
	s_wait_alu 0xfffe
	s_and_b32 s8, 0xffff, s6
	s_mov_b32 s6, s59
	s_wait_alu 0xfffe
	s_lshl_b32 s18, s8, 2
	s_cmp_lg_u64 s[6:7], 0
	s_cbranch_scc0 .LBB109_80
; %bb.58:                               ;   in Loop: Header=BB109_15 Depth=1
	s_wait_alu 0xfffe
	s_cvt_f32_u32 s6, s18
	s_mov_b32 s19, s59
	s_wait_alu 0xfffe
	s_sub_nc_u64 s[8:9], 0, s[18:19]
	s_fmamk_f32 s6, s87, 0x0, s6
	s_wait_alu 0xfffe
	s_delay_alu instid0(SALU_CYCLE_2) | instskip(NEXT) | instid1(TRANS32_DEP_1)
	v_s_rcp_f32 s6, s6
	s_mul_f32 s6, s6, 0x5f7ffffc
	s_wait_alu 0xfffe
	s_delay_alu instid0(SALU_CYCLE_2) | instskip(SKIP_1) | instid1(SALU_CYCLE_2)
	s_mul_f32 s7, s6, 0x2f800000
	s_wait_alu 0xfffe
	s_trunc_f32 s7, s7
	s_wait_alu 0xfffe
	s_delay_alu instid0(SALU_CYCLE_2) | instskip(SKIP_2) | instid1(SALU_CYCLE_1)
	s_fmamk_f32 s6, s7, 0xcf800000, s6
	s_cvt_u32_f32 s7, s7
	s_wait_alu 0xfffe
	s_cvt_u32_f32 s6, s6
	s_wait_alu 0xfffe
	s_delay_alu instid0(SALU_CYCLE_2)
	s_mul_u64 s[10:11], s[8:9], s[6:7]
	s_wait_alu 0xfffe
	s_mul_hi_u32 s13, s6, s11
	s_mul_i32 s12, s6, s11
	s_mul_hi_u32 s58, s6, s10
	s_mul_i32 s15, s7, s10
	s_wait_alu 0xfffe
	s_add_nc_u64 s[12:13], s[58:59], s[12:13]
	s_mul_hi_u32 s14, s7, s10
	s_mul_hi_u32 s16, s7, s11
	s_mul_i32 s10, s7, s11
	s_wait_alu 0xfffe
	s_add_co_u32 s11, s12, s15
	s_add_co_ci_u32 s58, s13, s14
	s_add_co_ci_u32 s11, s16, 0
	s_wait_alu 0xfffe
	s_add_nc_u64 s[10:11], s[58:59], s[10:11]
	s_wait_alu 0xfffe
	s_add_co_u32 s6, s6, s10
	s_cselect_b32 s10, -1, 0
	s_wait_alu 0xfffe
	s_cmp_lg_u32 s10, 0
	s_add_co_ci_u32 s7, s7, s11
	s_wait_alu 0xfffe
	s_mul_u64 s[8:9], s[8:9], s[6:7]
	s_wait_alu 0xfffe
	s_mul_hi_u32 s11, s6, s9
	s_mul_i32 s10, s6, s9
	s_mul_hi_u32 s58, s6, s8
	s_mul_i32 s13, s7, s8
	s_wait_alu 0xfffe
	s_add_nc_u64 s[10:11], s[58:59], s[10:11]
	s_mul_hi_u32 s12, s7, s8
	s_mul_hi_u32 s14, s7, s9
	s_mul_i32 s8, s7, s9
	s_wait_alu 0xfffe
	s_add_co_u32 s9, s10, s13
	s_add_co_ci_u32 s58, s11, s12
	s_add_co_ci_u32 s9, s14, 0
	s_wait_alu 0xfffe
	s_add_nc_u64 s[8:9], s[58:59], s[8:9]
	s_wait_alu 0xfffe
	s_add_co_u32 s6, s6, s8
	s_cselect_b32 s8, -1, 0
	s_wait_alu 0xfffe
	s_mul_hi_u32 s58, s28, s6
	s_cmp_lg_u32 s8, 0
	s_mul_hi_u32 s10, s29, s6
	s_add_co_ci_u32 s8, s7, s9
	s_mul_i32 s9, s29, s6
	s_wait_alu 0xfffe
	s_mul_hi_u32 s7, s28, s8
	s_mul_i32 s6, s28, s8
	s_mul_hi_u32 s11, s29, s8
	s_wait_alu 0xfffe
	s_add_nc_u64 s[6:7], s[58:59], s[6:7]
	s_mul_i32 s8, s29, s8
	s_wait_alu 0xfffe
	s_add_co_u32 s6, s6, s9
	s_add_co_ci_u32 s58, s7, s10
	s_add_co_ci_u32 s9, s11, 0
	s_wait_alu 0xfffe
	s_add_nc_u64 s[6:7], s[58:59], s[8:9]
	s_wait_alu 0xfffe
	s_mul_u64 s[6:7], s[18:19], s[6:7]
	s_wait_alu 0xfffe
	s_sub_co_u32 s6, s28, s6
	s_cselect_b32 s8, -1, 0
	s_wait_alu 0xfffe
	s_cmp_lg_u32 s8, 0
	s_sub_co_ci_u32 s7, s29, s7
	s_sub_co_u32 s8, s6, s18
	s_cselect_b32 s9, -1, 0
	s_wait_alu 0xfffe
	s_cmp_lg_u32 s9, 0
	s_sub_co_ci_u32 s9, s7, 0
	;; [unrolled: 5-line block ×3, first 2 shown]
	s_cmp_ge_u32 s8, s18
	s_cselect_b32 s12, -1, 0
	s_cmp_eq_u32 s9, 0
	s_wait_alu 0xfffe
	s_cselect_b32 s12, s12, -1
	s_wait_alu 0xfffe
	s_cmp_lg_u32 s12, 0
	s_cselect_b32 s9, s11, s9
	s_cselect_b32 s8, s10, s8
	s_cmp_ge_u32 s6, s18
	s_cselect_b32 s10, -1, 0
	s_cmp_eq_u32 s7, 0
	s_wait_alu 0xfffe
	s_cselect_b32 s10, s10, -1
	s_wait_alu 0xfffe
	s_cmp_lg_u32 s10, 0
	s_cselect_b32 s7, s9, s7
	s_cselect_b32 s6, s8, s6
	s_cbranch_execnz .LBB109_60
.LBB109_59:                             ;   in Loop: Header=BB109_15 Depth=1
	s_wait_alu 0xfffe
	v_cvt_f32_u32_e32 v4, s18
	s_sub_co_i32 s7, 0, s18
	s_delay_alu instid0(VALU_DEP_1) | instskip(NEXT) | instid1(TRANS32_DEP_1)
	v_rcp_iflag_f32_e32 v4, v4
	v_mul_f32_e32 v4, 0x4f7ffffe, v4
	s_delay_alu instid0(VALU_DEP_1) | instskip(NEXT) | instid1(VALU_DEP_1)
	v_cvt_u32_f32_e32 v4, v4
	v_readfirstlane_b32 s6, v4
	s_wait_alu 0xfffe
	s_mul_i32 s7, s7, s6
	s_wait_alu 0xfffe
	s_mul_hi_u32 s7, s6, s7
	s_wait_alu 0xfffe
	s_add_co_i32 s6, s6, s7
	s_wait_alu 0xfffe
	s_mul_hi_u32 s6, s28, s6
	s_wait_alu 0xfffe
	s_mul_i32 s6, s6, s18
	s_wait_alu 0xfffe
	s_sub_co_i32 s6, s28, s6
	s_wait_alu 0xfffe
	s_sub_co_i32 s7, s6, s18
	s_cmp_ge_u32 s6, s18
	s_wait_alu 0xfffe
	s_cselect_b32 s6, s7, s6
	s_wait_alu 0xfffe
	s_sub_co_i32 s7, s6, s18
	s_cmp_ge_u32 s6, s18
	s_wait_alu 0xfffe
	s_cselect_b32 s58, s7, s6
	s_wait_alu 0xfffe
	s_mov_b64 s[6:7], s[58:59]
.LBB109_60:                             ;   in Loop: Header=BB109_15 Depth=1
	v_mov_b32_e32 v4, 0
	v_dual_mov_b32 v8, 0 :: v_dual_mov_b32 v5, 0
	v_dual_mov_b32 v6, 0 :: v_dual_mov_b32 v9, 0
	;; [unrolled: 1-line block ×3, first 2 shown]
	v_mov_b32_e32 v11, 0
	s_wait_alu 0xfffe
	s_sub_nc_u64 s[20:21], s[28:29], s[6:7]
	s_mov_b32 s17, exec_lo
	s_wait_alu 0xfffe
	v_cmpx_gt_u64_e64 s[20:21], v[14:15]
	s_cbranch_execz .LBB109_64
; %bb.61:                               ;   in Loop: Header=BB109_15 Depth=1
	v_dual_mov_b32 v22, v15 :: v_dual_mov_b32 v21, v14
	s_mov_b64 s[22:23], 0
	s_mov_b32 s19, 0
	s_mov_b64 s[24:25], 0
	s_mov_b64 s[68:69], 0
	;; [unrolled: 1-line block ×3, first 2 shown]
.LBB109_62:                             ;   Parent Loop BB109_15 Depth=1
                                        ; =>  This Inner Loop Header: Depth=2
	v_mul_lo_u32 v6, v22, s44
	v_mul_lo_u32 v7, v21, s45
	v_mad_co_u64_u32 v[4:5], null, v21, s44, 0
	s_lshl_b64 s[6:7], s[44:45], 1
	v_add3_u32 v5, v5, v7, v6
	s_delay_alu instid0(VALU_DEP_1) | instskip(NEXT) | instid1(VALU_DEP_1)
	v_lshlrev_b64_e32 v[4:5], 1, v[4:5]
	v_add_co_u32 v4, vcc_lo, s52, v4
	s_wait_alu 0xfffd
	s_delay_alu instid0(VALU_DEP_2) | instskip(SKIP_1) | instid1(VALU_DEP_2)
	v_add_co_ci_u32_e64 v5, null, s53, v5, vcc_lo
	s_wait_alu 0xfffe
	v_add_co_u32 v6, vcc_lo, v4, s6
	s_wait_alu 0xfffd
	s_delay_alu instid0(VALU_DEP_2)
	v_add_co_ci_u32_e64 v7, null, s7, v5, vcc_lo
	global_load_i16 v8, v[4:5], off
	v_add_co_u32 v4, vcc_lo, v6, s6
	s_wait_alu 0xfffd
	v_add_co_ci_u32_e64 v5, null, s7, v7, vcc_lo
	s_clause 0x1
	global_load_i16 v6, v[6:7], off
	global_load_i16 v7, v[4:5], off
	v_add_co_u32 v4, vcc_lo, v4, s6
	s_wait_alu 0xfffd
	v_add_co_ci_u32_e64 v5, null, s7, v5, vcc_lo
	v_add_co_u32 v21, vcc_lo, v21, s18
	s_wait_alu 0xfffd
	v_add_co_ci_u32_e64 v22, null, 0, v22, vcc_lo
	global_load_i16 v4, v[4:5], off
	v_cmp_le_u64_e32 vcc_lo, s[20:21], v[21:22]
	s_wait_loadcnt 0x3
	v_add_nc_u32_e32 v5, 0x8000, v8
	s_delay_alu instid0(VALU_DEP_1)
	v_and_b32_e32 v8, v5, v33
	s_wait_loadcnt 0x2
	v_add_nc_u32_e32 v6, 0x8000, v6
	v_bfe_u32 v5, v5, s85, 2
	s_wait_loadcnt 0x1
	v_add_nc_u32_e32 v7, 0x8000, v7
	v_cmp_eq_u32_e64 s6, v8, v30
	v_and_b32_e32 v8, v6, v33
	v_bfe_u32 v6, v6, s85, 2
	v_cmp_eq_u32_e64 s7, 0, v5
	v_cmp_eq_u32_e64 s8, 1, v5
	;; [unrolled: 1-line block ×4, first 2 shown]
	s_wait_loadcnt 0x0
	v_add_nc_u32_e32 v4, 0x8000, v4
	v_cmp_eq_u32_e64 s11, v8, v30
	v_and_b32_e32 v5, v7, v33
	v_bfe_u32 v7, v7, s85, 2
	v_cmp_eq_u32_e64 s12, 0, v6
	s_and_b32 s7, s6, s7
	s_and_b32 s8, s6, s8
	;; [unrolled: 1-line block ×3, first 2 shown]
	s_wait_alu 0xfffe
	v_cndmask_b32_e64 v8, 0, 1, s7
	v_cmp_eq_u32_e64 s7, 1, v6
	v_cndmask_b32_e64 v9, 0, 1, s8
	v_cmp_eq_u32_e64 s8, 2, v6
	;; [unrolled: 2-line block ×3, first 2 shown]
	s_and_b32 s6, s6, s10
	v_cmp_eq_u32_e64 s10, 0, v7
	s_wait_alu 0xfffe
	v_cndmask_b32_e64 v6, 0, 1, s6
	v_cmp_eq_u32_e64 s6, v5, v30
	v_and_b32_e32 v5, v4, v33
	v_bfe_u32 v4, v4, s85, 2
	s_and_b32 s12, s11, s12
	v_cmp_ne_u32_e64 s13, 0, v8
	s_wait_alu 0xfffe
	v_cndmask_b32_e64 v8, 0, 1, s12
	v_cmp_eq_u32_e64 s12, 1, v7
	s_and_b32 s7, s11, s7
	s_and_b32 s8, s11, s8
	;; [unrolled: 1-line block ×3, first 2 shown]
	v_cmp_ne_u32_e64 s14, 0, v9
	s_wait_alu 0xfffe
	v_cndmask_b32_e64 v9, 0, 1, s7
	v_cmp_eq_u32_e64 s7, 2, v7
	v_cmp_ne_u32_e64 s15, 0, v10
	v_cndmask_b32_e64 v10, 0, 1, s8
	v_cmp_eq_u32_e64 s8, 3, v7
	v_cmp_ne_u32_e64 s16, 0, v6
	v_cndmask_b32_e64 v6, 0, 1, s9
	v_cmp_eq_u32_e64 s9, v5, v30
	v_cmp_eq_u32_e64 s11, 0, v4
	s_and_b32 s10, s6, s10
	s_and_b32 s12, s6, s12
	s_wait_alu 0xfffe
	v_cndmask_b32_e64 v5, 0, 1, s10
	v_cmp_eq_u32_e64 s10, 1, v4
	v_cndmask_b32_e64 v7, 0, 1, s12
	v_cmp_eq_u32_e64 s12, 2, v4
	s_and_b32 s7, s6, s7
	s_and_b32 s6, s6, s8
	;; [unrolled: 1-line block ×3, first 2 shown]
	s_bcnt1_i32_b32 s58, s13
	v_cmp_ne_u32_e64 s13, 0, v8
	s_wait_alu 0xfffe
	v_cndmask_b32_e64 v8, 0, 1, s7
	v_cmp_eq_u32_e64 s7, 3, v4
	s_bcnt1_i32_b32 s73, s16
	v_cmp_ne_u32_e64 s16, 0, v6
	v_cndmask_b32_e64 v4, 0, 1, s6
	v_cmp_ne_u32_e64 s6, 0, v5
	v_cndmask_b32_e64 v5, 0, 1, s8
	s_and_b32 s10, s9, s10
	s_and_b32 s11, s9, s12
	s_wait_alu 0xfffe
	v_cndmask_b32_e64 v6, 0, 1, s10
	s_bcnt1_i32_b32 s67, s14
	v_cmp_ne_u32_e64 s14, 0, v9
	v_cmp_ne_u32_e64 s8, 0, v7
	v_cndmask_b32_e64 v7, 0, 1, s11
	s_and_b32 s7, s9, s7
	s_bcnt1_i32_b32 s72, s15
	v_cmp_ne_u32_e64 s15, 0, v10
	s_bcnt1_i32_b32 s12, s16
	s_bcnt1_i32_b32 s16, s6
	v_cmp_ne_u32_e64 s6, 0, v5
	s_bcnt1_i32_b32 s13, s13
	v_cmp_ne_u32_e64 s11, 0, v4
	s_wait_alu 0xfffe
	v_cndmask_b32_e64 v4, 0, 1, s7
	v_cmp_ne_u32_e64 s10, 0, v8
	v_cmp_ne_u32_e64 s7, 0, v6
	s_bcnt1_i32_b32 s14, s14
	s_add_co_i32 s13, s13, s58
	s_bcnt1_i32_b32 s58, s8
	v_cmp_ne_u32_e64 s8, 0, v7
	s_bcnt1_i32_b32 s15, s15
	s_wait_alu 0xfffe
	s_add_co_i32 s14, s14, s67
	s_add_co_i32 s13, s13, s16
	s_bcnt1_i32_b32 s6, s6
	v_cmp_ne_u32_e64 s9, 0, v4
	s_add_co_i32 s15, s15, s72
	s_bcnt1_i32_b32 s10, s10
	s_wait_alu 0xfffe
	s_add_co_i32 s14, s14, s58
	s_bcnt1_i32_b32 s7, s7
	s_add_co_i32 s58, s13, s6
	s_add_co_i32 s12, s12, s73
	s_bcnt1_i32_b32 s11, s11
	s_add_co_i32 s10, s15, s10
	s_bcnt1_i32_b32 s8, s8
	s_wait_alu 0xfffe
	s_add_nc_u64 s[70:71], s[70:71], s[58:59]
	s_add_co_i32 s58, s14, s7
	s_add_co_i32 s11, s12, s11
	s_bcnt1_i32_b32 s9, s9
	s_wait_alu 0xfffe
	s_add_nc_u64 s[68:69], s[68:69], s[58:59]
	s_add_co_i32 s58, s10, s8
	v_mov_b32_e32 v4, s70
	s_wait_alu 0xfffe
	s_add_nc_u64 s[24:25], s[24:25], s[58:59]
	s_add_co_i32 s58, s11, s9
	v_mov_b32_e32 v6, s68
	s_wait_alu 0xfffe
	s_add_nc_u64 s[22:23], s[22:23], s[58:59]
	v_mov_b32_e32 v8, s24
	s_wait_alu 0xfffe
	v_dual_mov_b32 v10, s22 :: v_dual_mov_b32 v5, s71
	v_mov_b32_e32 v7, s69
	v_mov_b32_e32 v9, s25
	;; [unrolled: 1-line block ×3, first 2 shown]
	s_or_b32 s19, vcc_lo, s19
	s_wait_alu 0xfffe
	s_and_not1_b32 exec_lo, exec_lo, s19
	s_cbranch_execnz .LBB109_62
; %bb.63:                               ;   in Loop: Header=BB109_15 Depth=1
	s_or_b32 exec_lo, exec_lo, s19
.LBB109_64:                             ;   in Loop: Header=BB109_15 Depth=1
	s_delay_alu instid0(SALU_CYCLE_1)
	s_or_b32 exec_lo, exec_lo, s17
	v_add_co_u32 v21, s6, s20, v0
	v_and_b32_e32 v2, 0xffff, v2
	s_wait_alu 0xf1ff
	v_add_co_ci_u32_e64 v22, null, s21, 0, s6
	s_mov_b32 s10, exec_lo
	v_cmpx_gt_u64_e64 s[28:29], v[21:22]
	s_cbranch_execz .LBB109_70
; %bb.65:                               ;   in Loop: Header=BB109_15 Depth=1
	v_mul_lo_u32 v35, v22, s44
	v_mul_lo_u32 v36, v21, s45
	v_mad_co_u64_u32 v[23:24], null, v21, s44, 0
	s_mov_b32 s11, 0
	v_add3_u32 v24, v24, v36, v35
	s_delay_alu instid0(VALU_DEP_1) | instskip(NEXT) | instid1(VALU_DEP_1)
	v_lshlrev_b64_e32 v[23:24], 1, v[23:24]
	v_add_co_u32 v23, vcc_lo, s52, v23
	s_wait_alu 0xfffd
	s_delay_alu instid0(VALU_DEP_2)
	v_add_co_ci_u32_e64 v24, null, s53, v24, vcc_lo
	global_load_u16 v24, v[23:24], off
	s_branch .LBB109_67
.LBB109_66:                             ;   in Loop: Header=BB109_67 Depth=2
	s_wait_alu 0xfffe
	s_or_b32 exec_lo, exec_lo, s7
	s_wait_loadcnt 0x0
	v_bfe_i32 v24, v24, 0, 16
	s_and_b32 s8, exec_lo, vcc_lo
	s_wait_alu 0xfffe
	s_or_b32 s11, s8, s11
	s_delay_alu instid0(VALU_DEP_1) | instskip(NEXT) | instid1(VALU_DEP_1)
	v_add_nc_u32_e32 v24, 0x8000, v24
	v_and_b32_e32 v35, v24, v33
	v_bfe_u32 v24, v24, s85, 2
	s_delay_alu instid0(VALU_DEP_2) | instskip(NEXT) | instid1(VALU_DEP_2)
	v_cmp_eq_u32_e64 s6, v35, v30
	v_cmp_eq_u32_e64 s7, 0, v24
	v_cmp_eq_u32_e32 vcc_lo, 1, v24
	v_cmp_eq_u32_e64 s8, 2, v24
	s_and_b32 s7, s6, s7
	s_wait_alu 0xfffe
	v_cndmask_b32_e64 v35, 0, 1, s7
	s_and_b32 s7, s6, vcc_lo
	v_cmp_eq_u32_e32 vcc_lo, 3, v24
	s_wait_alu 0xfffe
	v_cndmask_b32_e64 v36, 0, 1, s7
	s_and_b32 s7, s6, s8
	s_wait_alu 0xfffe
	v_cndmask_b32_e64 v37, 0, 1, s7
	v_cmp_ne_u32_e64 s7, 0, v35
	v_cmp_ne_u32_e64 s8, 0, v36
	s_and_b32 s6, s6, vcc_lo
	s_wait_alu 0xfffe
	v_cndmask_b32_e64 v24, 0, 1, s6
	s_bcnt1_i32_b32 s6, s7
	v_cmp_ne_u32_e64 s9, 0, v37
	s_bcnt1_i32_b32 s7, s8
	s_wait_alu 0xfffe
	v_add_co_u32 v4, vcc_lo, v4, s6
	s_wait_alu 0xfffd
	v_add_co_ci_u32_e64 v5, null, 0, v5, vcc_lo
	v_add_co_u32 v6, vcc_lo, v6, s7
	s_wait_alu 0xfffd
	v_add_co_ci_u32_e64 v7, null, 0, v7, vcc_lo
	v_cmp_ne_u32_e32 vcc_lo, 0, v24
	s_bcnt1_i32_b32 s8, s9
	v_mov_b32_e32 v24, v23
	s_wait_alu 0xfffe
	v_add_co_u32 v8, s6, v8, s8
	s_wait_alu 0xf1ff
	v_add_co_ci_u32_e64 v9, null, 0, v9, s6
	s_bcnt1_i32_b32 s6, vcc_lo
	s_wait_alu 0xfffe
	v_add_co_u32 v10, vcc_lo, v10, s6
	s_wait_alu 0xfffd
	v_add_co_ci_u32_e64 v11, null, 0, v11, vcc_lo
	s_and_not1_b32 exec_lo, exec_lo, s11
	s_cbranch_execz .LBB109_69
.LBB109_67:                             ;   Parent Loop BB109_15 Depth=1
                                        ; =>  This Inner Loop Header: Depth=2
	v_add_co_u32 v21, vcc_lo, v21, v2
	s_wait_alu 0xfffd
	v_add_co_ci_u32_e64 v22, null, 0, v22, vcc_lo
	v_mov_b32_e32 v23, 0
	s_mov_b32 s7, exec_lo
	s_delay_alu instid0(VALU_DEP_2)
	v_cmp_le_u64_e32 vcc_lo, s[28:29], v[21:22]
	v_cmpx_gt_u64_e64 s[28:29], v[21:22]
	s_cbranch_execz .LBB109_66
; %bb.68:                               ;   in Loop: Header=BB109_67 Depth=2
	v_mul_lo_u32 v23, v22, s44
	v_mul_lo_u32 v37, v21, s45
	v_mad_co_u64_u32 v[35:36], null, v21, s44, 0
	s_delay_alu instid0(VALU_DEP_1) | instskip(NEXT) | instid1(VALU_DEP_1)
	v_add3_u32 v36, v36, v37, v23
	v_lshlrev_b64_e32 v[35:36], 1, v[35:36]
	s_delay_alu instid0(VALU_DEP_1) | instskip(SKIP_1) | instid1(VALU_DEP_2)
	v_add_co_u32 v35, s6, s52, v35
	s_wait_alu 0xf1ff
	v_add_co_ci_u32_e64 v36, null, s53, v36, s6
	global_load_u16 v23, v[35:36], off
	s_branch .LBB109_66
.LBB109_69:                             ;   in Loop: Header=BB109_15 Depth=1
	s_or_b32 exec_lo, exec_lo, s11
.LBB109_70:                             ;   in Loop: Header=BB109_15 Depth=1
	s_wait_alu 0xfffe
	s_or_b32 exec_lo, exec_lo, s10
	s_branch .LBB109_49
.LBB109_71:                             ;   in Loop: Header=BB109_15 Depth=1
	global_load_u16 v2, v3, s[64:65]
	v_mov_b32_e32 v6, 0
	v_mov_b32_e32 v8, 0
	v_dual_mov_b32 v10, 0 :: v_dual_mov_b32 v9, 0
	v_mov_b32_e32 v11, 0
	s_mov_b32 s97, exec_lo
	v_mov_b32_e32 v7, 0
	s_wait_loadcnt 0x0
	v_readfirstlane_b32 s6, v2
	v_and_b32_e32 v2, 0xffff, v2
	s_and_b32 s67, 0xffff, s6
	s_delay_alu instid0(SALU_CYCLE_1) | instskip(SKIP_4) | instid1(SALU_CYCLE_1)
	s_lshl_b32 s96, s67, 2
	s_wait_alu 0xfffe
	s_cvt_f32_u32 s6, s96
	s_sub_co_i32 s7, 0, s96
	s_wait_alu 0xfffe
	v_rcp_iflag_f32_e32 v4, s6
	s_delay_alu instid0(TRANS32_DEP_1) | instskip(SKIP_2) | instid1(SALU_CYCLE_2)
	v_readfirstlane_b32 s6, v4
	s_mul_f32 s6, s6, 0x4f7ffffe
	s_wait_alu 0xfffe
	s_cvt_u32_f32 s6, s6
	s_wait_alu 0xfffe
	s_delay_alu instid0(SALU_CYCLE_2)
	s_mul_i32 s7, s7, s6
	s_wait_alu 0xfffe
	s_mul_hi_u32 s7, s6, s7
	s_wait_alu 0xfffe
	s_add_co_i32 s6, s6, s7
	s_wait_alu 0xfffe
	s_mul_hi_u32 s6, s66, s6
	s_wait_alu 0xfffe
	s_mul_i32 s7, s6, s96
	s_add_co_i32 s8, s6, 1
	s_wait_alu 0xfffe
	s_sub_co_i32 s7, s66, s7
	s_wait_alu 0xfffe
	s_sub_co_i32 s9, s7, s96
	s_cmp_ge_u32 s7, s96
	s_cselect_b32 s6, s8, s6
	s_wait_alu 0xfffe
	s_cselect_b32 s7, s9, s7
	s_add_co_i32 s8, s6, 1
	s_wait_alu 0xfffe
	s_cmp_ge_u32 s7, s96
	s_cselect_b32 s95, s8, s6
	s_wait_alu 0xfffe
	v_mul_hi_u32 v5, s95, v2
	v_mul_lo_u32 v4, s95, v2
	s_delay_alu instid0(VALU_DEP_1) | instskip(SKIP_2) | instid1(VALU_DEP_3)
	v_lshlrev_b64_e32 v[21:22], 2, v[4:5]
	v_mov_b32_e32 v4, 0
	v_mov_b32_e32 v5, 0
	v_cmpx_gt_u64_e64 v[21:22], v[14:15]
	s_cbranch_execz .LBB109_75
; %bb.72:                               ;   in Loop: Header=BB109_15 Depth=1
	v_dual_mov_b32 v35, v31 :: v_dual_mov_b32 v24, v15
	v_mov_b32_e32 v23, v14
	s_lshl_b32 s98, s67, 3
	s_mov_b64 s[68:69], 0
	s_mov_b32 s99, 0
	s_mov_b64 s[70:71], 0
	s_mov_b64 s[72:73], 0
	s_mov_b64 s[74:75], 0
.LBB109_73:                             ;   Parent Loop BB109_15 Depth=1
                                        ; =>  This Inner Loop Header: Depth=2
	ds_load_b64 v[4:5], v35
	v_add_co_u32 v23, vcc_lo, v23, s96
	s_wait_alu 0xfffd
	v_add_co_ci_u32_e64 v24, null, 0, v24, vcc_lo
	s_delay_alu instid0(VALU_DEP_1)
	v_cmp_ge_u64_e32 vcc_lo, v[23:24], v[21:22]
	s_wait_dscnt 0x0
	v_bfe_i32 v6, v4, 0, 16
	v_ashrrev_i32_e32 v4, 16, v4
	v_bfe_i32 v7, v5, 0, 16
	v_ashrrev_i32_e32 v5, 16, v5
	s_delay_alu instid0(VALU_DEP_4) | instskip(NEXT) | instid1(VALU_DEP_4)
	v_add_nc_u32_e32 v6, 0x8000, v6
	v_add_nc_u32_e32 v4, 0x8000, v4
	s_delay_alu instid0(VALU_DEP_4) | instskip(NEXT) | instid1(VALU_DEP_4)
	v_add_nc_u32_e32 v7, 0x8000, v7
	v_add_nc_u32_e32 v5, 0x8000, v5
	s_delay_alu instid0(VALU_DEP_4)
	v_and_b32_e32 v8, v6, v33
	v_bfe_u32 v6, v6, s85, 2
	v_and_b32_e32 v9, v4, v33
	v_bfe_u32 v4, v4, s85, 2
	;; [unrolled: 2-line block ×3, first 2 shown]
	v_cmp_eq_u32_e64 s6, v8, v30
	v_cmp_eq_u32_e64 s10, 0, v6
	v_and_b32_e32 v11, v5, v33
	v_bfe_u32 v5, v5, s85, 2
	v_cmp_eq_u32_e64 s7, v9, v30
	v_cmp_eq_u32_e64 s11, 0, v4
	;; [unrolled: 1-line block ×4, first 2 shown]
	s_and_b32 s10, s6, s10
	v_cmp_eq_u32_e64 s9, v11, v30
	v_cmp_eq_u32_e64 s13, 0, v5
	;; [unrolled: 1-line block ×5, first 2 shown]
	s_wait_alu 0xfffe
	v_cndmask_b32_e64 v4, 0, 1, s10
	s_and_b32 s10, s7, s11
	v_cmp_eq_u32_e64 s14, 1, v6
	v_cmp_eq_u32_e64 s17, 1, v5
	;; [unrolled: 1-line block ×4, first 2 shown]
	s_wait_alu 0xfffe
	v_cndmask_b32_e64 v5, 0, 1, s10
	s_and_b32 s10, s8, s12
	v_cmp_eq_u32_e64 s18, 2, v6
	v_cmp_eq_u32_e64 s22, 3, v6
	s_wait_alu 0xfffe
	v_cndmask_b32_e64 v6, 0, 1, s10
	s_and_b32 s10, s9, s13
	v_cmp_eq_u32_e64 s16, 1, v7
	v_cmp_eq_u32_e64 s20, 2, v7
	;; [unrolled: 1-line block ×3, first 2 shown]
	s_wait_alu 0xfffe
	v_cndmask_b32_e64 v7, 0, 1, s10
	s_and_b32 s10, s6, s14
	s_wait_alu 0xfffe
	v_cndmask_b32_e64 v8, 0, 1, s10
	s_and_b32 s10, s7, s15
	;; [unrolled: 3-line block ×4, first 2 shown]
	v_cmp_ne_u32_e64 s11, 0, v9
	s_wait_alu 0xfffe
	v_cndmask_b32_e64 v11, 0, 1, s10
	s_and_b32 s10, s6, s18
	s_and_b32 s6, s6, s22
	s_wait_alu 0xfffe
	v_cndmask_b32_e64 v36, 0, 1, s10
	v_cndmask_b32_e64 v40, 0, 1, s6
	s_and_b32 s6, s7, s23
	s_and_b32 s10, s7, s19
	s_wait_alu 0xfffe
	v_cndmask_b32_e64 v41, 0, 1, s6
	s_and_b32 s6, s8, s24
	v_cndmask_b32_e64 v37, 0, 1, s10
	s_and_b32 s10, s8, s20
	s_wait_alu 0xfffe
	v_cndmask_b32_e64 v42, 0, 1, s6
	s_and_b32 s6, s9, s25
	v_cndmask_b32_e64 v38, 0, 1, s10
	s_and_b32 s10, s9, s21
	s_wait_alu 0xfffe
	v_cndmask_b32_e64 v43, 0, 1, s6
	v_cmp_ne_u32_e64 s6, 0, v4
	v_cmp_ne_u32_e64 s7, 0, v5
	v_cndmask_b32_e64 v39, 0, 1, s10
	v_cmp_ne_u32_e64 s8, 0, v6
	v_cmp_ne_u32_e64 s10, 0, v8
	;; [unrolled: 1-line block ×6, first 2 shown]
	s_bcnt1_i32_b32 s6, s6
	s_bcnt1_i32_b32 s7, s7
	v_cmp_ne_u32_e64 s13, 0, v11
	v_cmp_ne_u32_e64 s16, 0, v38
	;; [unrolled: 1-line block ×4, first 2 shown]
	s_bcnt1_i32_b32 s8, s8
	s_bcnt1_i32_b32 s10, s10
	;; [unrolled: 1-line block ×3, first 2 shown]
	s_wait_alu 0xfffe
	s_add_co_i32 s6, s7, s6
	v_cmp_ne_u32_e64 s17, 0, v39
	v_cmp_ne_u32_e64 s20, 0, v42
	s_bcnt1_i32_b32 s9, s9
	s_bcnt1_i32_b32 s12, s12
	;; [unrolled: 1-line block ×4, first 2 shown]
	s_add_co_i32 s7, s11, s10
	s_wait_alu 0xfffe
	s_add_co_i32 s6, s6, s8
	v_cmp_ne_u32_e64 s21, 0, v43
	s_bcnt1_i32_b32 s13, s13
	s_bcnt1_i32_b32 s16, s16
	;; [unrolled: 1-line block ×4, first 2 shown]
	s_add_co_i32 s10, s15, s14
	s_add_co_i32 s7, s7, s12
	s_wait_alu 0xfffe
	s_add_co_i32 s58, s6, s9
	s_bcnt1_i32_b32 s17, s17
	s_bcnt1_i32_b32 s20, s20
	s_add_co_i32 s11, s19, s18
	s_add_co_i32 s8, s10, s16
	s_wait_alu 0xfffe
	s_add_nc_u64 s[74:75], s[74:75], s[58:59]
	s_add_co_i32 s58, s7, s13
	s_bcnt1_i32_b32 s21, s21
	s_add_co_i32 s10, s11, s20
	s_wait_alu 0xfffe
	s_add_nc_u64 s[72:73], s[72:73], s[58:59]
	s_add_co_i32 s58, s8, s17
	v_dual_mov_b32 v4, s74 :: v_dual_add_nc_u32 v35, s98, v35
	s_wait_alu 0xfffe
	s_add_nc_u64 s[70:71], s[70:71], s[58:59]
	s_add_co_i32 s58, s10, s21
	v_mov_b32_e32 v6, s72
	s_wait_alu 0xfffe
	s_add_nc_u64 s[68:69], s[68:69], s[58:59]
	v_mov_b32_e32 v8, s70
	s_wait_alu 0xfffe
	v_dual_mov_b32 v10, s68 :: v_dual_mov_b32 v5, s75
	v_mov_b32_e32 v7, s73
	v_mov_b32_e32 v9, s71
	v_mov_b32_e32 v11, s69
	s_or_b32 s99, vcc_lo, s99
	s_wait_alu 0xfffe
	s_and_not1_b32 exec_lo, exec_lo, s99
	s_cbranch_execnz .LBB109_73
; %bb.74:                               ;   in Loop: Header=BB109_15 Depth=1
	s_or_b32 exec_lo, exec_lo, s99
.LBB109_75:                             ;   in Loop: Header=BB109_15 Depth=1
	s_delay_alu instid0(SALU_CYCLE_1)
	s_or_b32 exec_lo, exec_lo, s97
	v_add_co_u32 v21, vcc_lo, v21, v0
	s_wait_alu 0xfffd
	v_add_co_ci_u32_e64 v22, null, 0, v22, vcc_lo
	s_and_b32 s58, s66, 0x7fffffff
	s_mov_b32 s11, exec_lo
	s_wait_alu 0xfffe
	v_cmpx_gt_u64_e64 s[58:59], v[21:22]
	s_cbranch_execz .LBB109_79
; %bb.76:                               ;   in Loop: Header=BB109_15 Depth=1
	s_mul_i32 s95, s95, s67
	s_lshl_b32 s13, s67, 1
	s_wait_alu 0xfffe
	v_lshl_add_u32 v23, s95, 3, v26
	s_mov_b32 s12, 0
.LBB109_77:                             ;   Parent Loop BB109_15 Depth=1
                                        ; =>  This Inner Loop Header: Depth=2
	ds_load_i16 v24, v23
	v_add_co_u32 v21, vcc_lo, v21, v2
	s_wait_alu 0xfffd
	v_add_co_ci_u32_e64 v22, null, 0, v22, vcc_lo
	v_add_nc_u32_e32 v23, s13, v23
	s_delay_alu instid0(VALU_DEP_2) | instskip(SKIP_2) | instid1(VALU_DEP_1)
	v_cmp_le_u64_e32 vcc_lo, s[58:59], v[21:22]
	s_wait_dscnt 0x0
	v_add_nc_u32_e32 v24, 0x8000, v24
	v_and_b32_e32 v35, v24, v33
	v_bfe_u32 v24, v24, s85, 2
	s_delay_alu instid0(VALU_DEP_2) | instskip(NEXT) | instid1(VALU_DEP_2)
	v_cmp_eq_u32_e64 s6, v35, v30
	v_cmp_eq_u32_e64 s7, 0, v24
	;; [unrolled: 1-line block ×5, first 2 shown]
	s_and_b32 s7, s6, s7
	s_wait_alu 0xfffe
	v_cndmask_b32_e64 v24, 0, 1, s7
	s_and_b32 s7, s6, s8
	s_wait_alu 0xfffe
	v_cndmask_b32_e64 v35, 0, 1, s7
	s_and_b32 s7, s6, s9
	s_and_b32 s6, s6, s10
	s_wait_alu 0xfffe
	v_cndmask_b32_e64 v36, 0, 1, s7
	v_cndmask_b32_e64 v37, 0, 1, s6
	v_cmp_ne_u32_e64 s6, 0, v24
	v_cmp_ne_u32_e64 s7, 0, v35
	s_delay_alu instid0(VALU_DEP_4) | instskip(NEXT) | instid1(VALU_DEP_4)
	v_cmp_ne_u32_e64 s8, 0, v36
	v_cmp_ne_u32_e64 s9, 0, v37
	s_bcnt1_i32_b32 s6, s6
	s_bcnt1_i32_b32 s7, s7
	s_wait_alu 0xfffe
	v_add_co_u32 v4, s6, v4, s6
	s_bcnt1_i32_b32 s8, s8
	v_add_co_ci_u32_e64 v5, null, 0, v5, s6
	v_add_co_u32 v6, s6, v6, s7
	s_bcnt1_i32_b32 s9, s9
	v_add_co_ci_u32_e64 v7, null, 0, v7, s6
	s_wait_alu 0xfffe
	v_add_co_u32 v8, s6, v8, s8
	s_wait_alu 0xf1ff
	v_add_co_ci_u32_e64 v9, null, 0, v9, s6
	v_add_co_u32 v10, s6, v10, s9
	s_wait_alu 0xf1ff
	v_add_co_ci_u32_e64 v11, null, 0, v11, s6
	s_or_b32 s12, vcc_lo, s12
	s_wait_alu 0xfffe
	s_and_not1_b32 exec_lo, exec_lo, s12
	s_cbranch_execnz .LBB109_77
; %bb.78:                               ;   in Loop: Header=BB109_15 Depth=1
	s_or_b32 exec_lo, exec_lo, s12
.LBB109_79:                             ;   in Loop: Header=BB109_15 Depth=1
	s_delay_alu instid0(SALU_CYCLE_1)
	s_or_b32 exec_lo, exec_lo, s11
	s_lshl_b32 s6, s88, 7
	s_and_saveexec_b32 s7, s1
	s_cbranch_execnz .LBB109_50
	s_branch .LBB109_51
.LBB109_80:                             ;   in Loop: Header=BB109_15 Depth=1
                                        ; implicit-def: $sgpr6_sgpr7
	s_branch .LBB109_59
.LBB109_81:                             ;   in Loop: Header=BB109_15 Depth=1
	s_mov_b32 s8, 0
	s_and_not1_b32 vcc_lo, exec_lo, s83
	s_wait_alu 0xfffe
	s_cbranch_vccnz .LBB109_84
.LBB109_82:                             ;   in Loop: Header=BB109_15 Depth=1
	s_lshl_b32 s9, s88, 10
	s_lshl_b32 s8, s8, 5
	s_wait_alu 0xfffe
	v_add3_u32 v2, s9, s8, v32
	s_mov_b32 s8, s79
.LBB109_83:                             ;   Parent Loop BB109_15 Depth=1
                                        ; =>  This Inner Loop Header: Depth=2
	ds_load_b64 v[6:7], v2
	v_add_nc_u32_e32 v2, 32, v2
	s_wait_alu 0xfffe
	s_add_co_i32 s8, s8, -1
	s_wait_alu 0xfffe
	s_cmp_lg_u32 s8, 0
	s_wait_dscnt 0x0
	v_add_co_u32 v4, vcc_lo, v6, v4
	s_wait_alu 0xfffd
	v_add_co_ci_u32_e64 v5, null, v7, v5, vcc_lo
	s_cbranch_scc1 .LBB109_83
.LBB109_84:                             ;   in Loop: Header=BB109_15 Depth=1
	v_add_lshl_u32 v2, s6, v25, 3
	ds_store_b64 v2, v[4:5] offset:3072
.LBB109_85:                             ;   in Loop: Header=BB109_15 Depth=1
	s_wait_alu 0xfffe
	s_or_b32 exec_lo, exec_lo, s7
	s_lshl_b32 s6, s6, 3
	s_wait_loadcnt_dscnt 0x0
	s_wait_alu 0xfffe
	v_mov_b32_e32 v2, s6
	s_barrier_signal -1
	s_barrier_wait -1
	global_inv scope:SCOPE_SE
	v_cmp_eq_u64_e32 vcc_lo, 1, v[19:20]
	ds_load_b128 v[4:7], v2 offset:3072
	ds_load_b128 v[8:11], v2 offset:3088
	s_lshl_b32 s16, 3, s85
	s_mov_b32 s18, -1
	s_wait_alu 0xfffe
	s_not_b32 s20, s16
                                        ; implicit-def: $sgpr22
                                        ; implicit-def: $sgpr21
	s_wait_dscnt 0x1
	v_cmp_eq_u64_e64 s6, 1, v[4:5]
	s_wait_dscnt 0x0
	v_readfirstlane_b32 s10, v8
	v_readfirstlane_b32 s11, v9
	;; [unrolled: 1-line block ×4, first 2 shown]
	s_and_b32 s19, s6, vcc_lo
	s_mov_b32 s6, -1
	s_wait_alu 0xfffe
	s_and_saveexec_b32 s17, s19
	s_cbranch_execz .LBB109_117
; %bb.86:                               ;   in Loop: Header=BB109_15 Depth=1
	ds_load_b64 v[8:9], v3 offset:5120
	s_wait_loadcnt_dscnt 0x0
	s_barrier_signal -1
	s_barrier_wait -1
	global_inv scope:SCOPE_SE
	v_readfirstlane_b32 s6, v8
	v_readfirstlane_b32 s7, v9
	s_and_saveexec_b32 s12, s3
; %bb.87:                               ;   in Loop: Header=BB109_15 Depth=1
	ds_store_b16 v27, v3
; %bb.88:                               ;   in Loop: Header=BB109_15 Depth=1
	s_wait_alu 0xfffe
	s_or_b32 exec_lo, exec_lo, s12
	v_and_b32_e32 v30, s20, v30
	v_or_b32_e32 v33, s16, v33
	s_mov_b32 s21, -1
	s_mov_b32 s22, 0
	s_cmp_eq_u64 s[6:7], 0
	s_mov_b32 s14, 0
	s_mov_b32 s15, -1
	s_wait_loadcnt_dscnt 0x0
	s_barrier_signal -1
	s_barrier_wait -1
	global_inv scope:SCOPE_SE
                                        ; implicit-def: $vgpr34
	s_cbranch_scc1 .LBB109_102
; %bb.89:                               ;   in Loop: Header=BB109_15 Depth=1
	s_add_nc_u64 s[12:13], s[6:7], s[60:61]
	s_mov_b32 s14, s59
	s_wait_alu 0xfffe
	s_mov_b32 s15, s13
	s_wait_alu 0xfffe
	s_cmp_lg_u64 s[14:15], 0
	s_cbranch_scc0 .LBB109_143
; %bb.90:                               ;   in Loop: Header=BB109_15 Depth=1
	s_cvt_f32_u32 s14, s54
	s_sub_nc_u64 s[24:25], 0, s[54:55]
	s_wait_alu 0xfffe
	s_delay_alu instid0(SALU_CYCLE_1) | instskip(SKIP_1) | instid1(SALU_CYCLE_2)
	s_fmamk_f32 s14, s87, 0x0, s14
	s_wait_alu 0xfffe
	v_s_rcp_f32 s14, s14
	s_delay_alu instid0(TRANS32_DEP_1) | instskip(SKIP_1) | instid1(SALU_CYCLE_2)
	s_mul_f32 s14, s14, 0x5f7ffffc
	s_wait_alu 0xfffe
	s_mul_f32 s15, s14, 0x2f800000
	s_wait_alu 0xfffe
	s_delay_alu instid0(SALU_CYCLE_2) | instskip(SKIP_1) | instid1(SALU_CYCLE_2)
	s_trunc_f32 s15, s15
	s_wait_alu 0xfffe
	s_fmamk_f32 s14, s15, 0xcf800000, s14
	s_cvt_u32_f32 s15, s15
	s_wait_alu 0xfffe
	s_delay_alu instid0(SALU_CYCLE_1) | instskip(SKIP_1) | instid1(SALU_CYCLE_2)
	s_cvt_u32_f32 s14, s14
	s_wait_alu 0xfffe
	s_mul_u64 s[66:67], s[24:25], s[14:15]
	s_delay_alu instid0(SALU_CYCLE_1)
	s_mul_hi_u32 s69, s14, s67
	s_mul_i32 s68, s14, s67
	s_mul_hi_u32 s58, s14, s66
	s_mul_i32 s70, s15, s66
	s_wait_alu 0xfffe
	s_add_nc_u64 s[68:69], s[58:59], s[68:69]
	s_mul_hi_u32 s23, s15, s66
	s_mul_hi_u32 s71, s15, s67
	s_wait_alu 0xfffe
	s_add_co_u32 s58, s68, s70
	s_add_co_ci_u32 s58, s69, s23
	s_mul_i32 s66, s15, s67
	s_add_co_ci_u32 s67, s71, 0
	s_wait_alu 0xfffe
	s_add_nc_u64 s[66:67], s[58:59], s[66:67]
	s_delay_alu instid0(SALU_CYCLE_1)
	s_add_co_u32 s14, s14, s66
	s_cselect_b32 s23, -1, 0
	s_wait_alu 0xfffe
	s_cmp_lg_u32 s23, 0
	s_add_co_ci_u32 s15, s15, s67
	s_wait_alu 0xfffe
	s_mul_u64 s[24:25], s[24:25], s[14:15]
	s_wait_alu 0xfffe
	s_mul_hi_u32 s67, s14, s25
	s_mul_i32 s66, s14, s25
	s_mul_hi_u32 s58, s14, s24
	s_mul_i32 s68, s15, s24
	s_wait_alu 0xfffe
	s_add_nc_u64 s[66:67], s[58:59], s[66:67]
	s_mul_hi_u32 s23, s15, s24
	s_mul_hi_u32 s69, s15, s25
	s_mul_i32 s24, s15, s25
	s_add_co_u32 s25, s66, s68
	s_wait_alu 0xfffe
	s_add_co_ci_u32 s58, s67, s23
	s_add_co_ci_u32 s25, s69, 0
	s_wait_alu 0xfffe
	s_add_nc_u64 s[24:25], s[58:59], s[24:25]
	s_wait_alu 0xfffe
	s_add_co_u32 s14, s14, s24
	s_cselect_b32 s23, -1, 0
	s_wait_alu 0xfffe
	s_mul_hi_u32 s58, s12, s14
	s_cmp_lg_u32 s23, 0
	s_mul_hi_u32 s23, s13, s14
	s_add_co_ci_u32 s24, s15, s25
	s_mul_i32 s25, s13, s14
	s_wait_alu 0xfffe
	s_mul_hi_u32 s15, s12, s24
	s_mul_i32 s14, s12, s24
	s_mul_hi_u32 s66, s13, s24
	s_wait_alu 0xfffe
	s_add_nc_u64 s[14:15], s[58:59], s[14:15]
	s_mul_i32 s24, s13, s24
	s_wait_alu 0xfffe
	s_add_co_u32 s14, s14, s25
	s_add_co_ci_u32 s58, s15, s23
	s_add_co_ci_u32 s25, s66, 0
	s_wait_alu 0xfffe
	s_add_nc_u64 s[14:15], s[58:59], s[24:25]
	s_wait_alu 0xfffe
	s_mul_u64 s[14:15], s[54:55], s[14:15]
	s_wait_alu 0xfffe
	s_sub_co_u32 s14, s12, s14
	s_cselect_b32 s23, -1, 0
	s_wait_alu 0xfffe
	s_cmp_lg_u32 s23, 0
	s_sub_co_ci_u32 s15, s13, s15
	s_sub_co_u32 s23, s14, s54
	s_cselect_b32 s24, -1, 0
	s_wait_alu 0xfffe
	s_cmp_lg_u32 s24, 0
	s_sub_co_ci_u32 s24, s15, 0
	;; [unrolled: 5-line block ×3, first 2 shown]
	s_cmp_ge_u32 s23, s54
	s_cselect_b32 s66, -1, 0
	s_cmp_eq_u32 s24, 0
	s_cselect_b32 s66, s66, -1
	s_delay_alu instid0(SALU_CYCLE_1)
	s_cmp_lg_u32 s66, 0
	s_wait_alu 0xfffe
	s_cselect_b32 s24, s58, s24
	s_cselect_b32 s23, s25, s23
	s_cmp_ge_u32 s14, s54
	s_cselect_b32 s25, -1, 0
	s_cmp_eq_u32 s15, 0
	s_wait_alu 0xfffe
	s_cselect_b32 s25, s25, -1
	s_wait_alu 0xfffe
	s_cmp_lg_u32 s25, 0
	s_cselect_b32 s15, s24, s15
	s_cselect_b32 s14, s23, s14
	s_cbranch_execnz .LBB109_92
.LBB109_91:                             ;   in Loop: Header=BB109_15 Depth=1
	v_cvt_f32_u32_e32 v2, s54
	s_sub_co_i32 s15, 0, s54
	s_delay_alu instid0(VALU_DEP_1) | instskip(NEXT) | instid1(TRANS32_DEP_1)
	v_rcp_iflag_f32_e32 v2, v2
	v_mul_f32_e32 v2, 0x4f7ffffe, v2
	s_delay_alu instid0(VALU_DEP_1) | instskip(NEXT) | instid1(VALU_DEP_1)
	v_cvt_u32_f32_e32 v2, v2
	v_readfirstlane_b32 s14, v2
	s_wait_alu 0xfffe
	s_mul_i32 s15, s15, s14
	s_wait_alu 0xfffe
	s_mul_hi_u32 s15, s14, s15
	s_wait_alu 0xfffe
	s_add_co_i32 s14, s14, s15
	s_wait_alu 0xfffe
	s_mul_hi_u32 s14, s12, s14
	s_wait_alu 0xfffe
	s_mul_i32 s14, s14, s54
	s_wait_alu 0xfffe
	s_sub_co_i32 s14, s12, s14
	s_wait_alu 0xfffe
	s_sub_co_i32 s15, s14, s54
	s_cmp_ge_u32 s14, s54
	s_wait_alu 0xfffe
	s_cselect_b32 s14, s15, s14
	s_wait_alu 0xfffe
	s_sub_co_i32 s15, s14, s54
	s_cmp_ge_u32 s14, s54
	s_wait_alu 0xfffe
	s_cselect_b32 s58, s15, s14
	s_wait_alu 0xfffe
	s_mov_b64 s[14:15], s[58:59]
.LBB109_92:                             ;   in Loop: Header=BB109_15 Depth=1
	s_wait_alu 0xfffe
	s_sub_nc_u64 s[12:13], s[12:13], s[14:15]
	s_mov_b32 s15, 0
	s_mov_b32 s14, 0
	s_mov_b32 s23, exec_lo
                                        ; implicit-def: $vgpr34
	s_wait_alu 0xfffe
	v_cmpx_gt_u64_e64 s[12:13], v[0:1]
	s_cbranch_execz .LBB109_101
; %bb.93:                               ;   in Loop: Header=BB109_15 Depth=1
	v_dual_mov_b32 v2, v26 :: v_dual_mov_b32 v9, v1
	v_mov_b32_e32 v8, v0
                                        ; implicit-def: $sgpr24
	s_branch .LBB109_96
.LBB109_94:                             ;   in Loop: Header=BB109_96 Depth=2
	s_wait_alu 0xfffe
	s_or_b32 exec_lo, exec_lo, s25
	s_wait_loadcnt_dscnt 0x0
	s_barrier_signal -1
	s_barrier_wait -1
	global_inv scope:SCOPE_SE
	ds_load_b32 v10, v3 offset:3072
	s_mov_b32 s25, -1
	s_mov_b32 s58, -1
	s_wait_loadcnt_dscnt 0x0
	s_barrier_signal -1
	s_barrier_wait -1
	global_inv scope:SCOPE_SE
	v_and_b32_e32 v11, 0xffff, v10
	s_delay_alu instid0(VALU_DEP_1)
	v_cmp_ne_u32_e32 vcc_lo, 0, v11
	s_cbranch_vccz .LBB109_99
.LBB109_95:                             ;   in Loop: Header=BB109_96 Depth=2
	s_wait_alu 0xfffe
	s_and_b32 s25, exec_lo, s25
	s_wait_alu 0xfffe
	s_or_b32 s14, s25, s14
	s_and_not1_b32 s24, s24, exec_lo
	s_and_b32 s25, s58, exec_lo
	s_wait_alu 0xfffe
	s_or_b32 s24, s24, s25
	s_and_not1_b32 exec_lo, exec_lo, s14
	s_cbranch_execz .LBB109_100
.LBB109_96:                             ;   Parent Loop BB109_15 Depth=1
                                        ; =>  This Inner Loop Header: Depth=2
	s_mov_b32 s25, exec_lo
	s_delay_alu instid0(VALU_DEP_1)
	v_cmpx_gt_u64_e64 s[6:7], v[8:9]
	s_cbranch_execz .LBB109_94
; %bb.97:                               ;   in Loop: Header=BB109_96 Depth=2
	ds_load_u16 v10, v2
	s_wait_dscnt 0x0
	v_bfe_i32 v11, v10, 0, 16
	s_delay_alu instid0(VALU_DEP_1) | instskip(NEXT) | instid1(VALU_DEP_1)
	v_add_nc_u32_e32 v11, 0x8000, v11
	v_and_b32_e32 v11, v11, v33
	s_delay_alu instid0(VALU_DEP_1)
	v_cmp_eq_u32_e32 vcc_lo, v11, v30
	s_and_b32 exec_lo, exec_lo, vcc_lo
	s_cbranch_execz .LBB109_94
; %bb.98:                               ;   in Loop: Header=BB109_96 Depth=2
	v_perm_b32 v10, v10, 1, 0x5040100
	ds_store_b32 v3, v10 offset:3072
	s_branch .LBB109_94
.LBB109_99:                             ;   in Loop: Header=BB109_96 Depth=2
	v_add_co_u32 v8, vcc_lo, v8, s54
	s_wait_alu 0xfffd
	v_add_co_ci_u32_e64 v9, null, 0, v9, vcc_lo
	v_add_nc_u32_e32 v2, s84, v2
	s_mov_b32 s58, 0
	s_delay_alu instid0(VALU_DEP_2)
	v_cmp_le_u64_e32 vcc_lo, s[12:13], v[8:9]
	s_or_not1_b32 s25, vcc_lo, exec_lo
	s_branch .LBB109_95
.LBB109_100:                            ;   in Loop: Header=BB109_15 Depth=1
	s_or_b32 exec_lo, exec_lo, s14
	v_lshrrev_b32_e32 v34, 16, v10
	s_wait_alu 0xfffe
	s_and_b32 s14, s24, exec_lo
.LBB109_101:                            ;   in Loop: Header=BB109_15 Depth=1
	s_or_b32 exec_lo, exec_lo, s23
.LBB109_102:                            ;   in Loop: Header=BB109_15 Depth=1
	s_wait_alu 0xfffe
	s_and_b32 vcc_lo, exec_lo, s15
	s_wait_alu 0xfffe
	s_cbranch_vccz .LBB109_116
; %bb.103:                              ;   in Loop: Header=BB109_15 Depth=1
	s_mov_b32 s6, s59
	s_mov_b32 s7, s63
	s_wait_alu 0xfffe
	s_cmp_lg_u64 s[6:7], 0
	s_cbranch_scc0 .LBB109_147
; %bb.104:                              ;   in Loop: Header=BB109_15 Depth=1
	s_cvt_f32_u32 s6, s54
	s_sub_nc_u64 s[12:13], 0, s[54:55]
	s_wait_alu 0xfffe
	s_delay_alu instid0(SALU_CYCLE_1) | instskip(SKIP_1) | instid1(SALU_CYCLE_2)
	s_fmamk_f32 s6, s87, 0x0, s6
	s_wait_alu 0xfffe
	v_s_rcp_f32 s6, s6
	s_delay_alu instid0(TRANS32_DEP_1) | instskip(SKIP_1) | instid1(SALU_CYCLE_2)
	s_mul_f32 s6, s6, 0x5f7ffffc
	s_wait_alu 0xfffe
	s_mul_f32 s7, s6, 0x2f800000
	s_wait_alu 0xfffe
	s_delay_alu instid0(SALU_CYCLE_2) | instskip(SKIP_1) | instid1(SALU_CYCLE_2)
	s_trunc_f32 s7, s7
	s_wait_alu 0xfffe
	s_fmamk_f32 s6, s7, 0xcf800000, s6
	s_cvt_u32_f32 s7, s7
	s_wait_alu 0xfffe
	s_delay_alu instid0(SALU_CYCLE_1) | instskip(SKIP_1) | instid1(SALU_CYCLE_2)
	s_cvt_u32_f32 s6, s6
	s_wait_alu 0xfffe
	s_mul_u64 s[22:23], s[12:13], s[6:7]
	s_wait_alu 0xfffe
	s_mul_hi_u32 s25, s6, s23
	s_mul_i32 s24, s6, s23
	s_mul_hi_u32 s58, s6, s22
	s_mul_i32 s21, s7, s22
	s_wait_alu 0xfffe
	s_add_nc_u64 s[24:25], s[58:59], s[24:25]
	s_mul_hi_u32 s15, s7, s22
	s_mul_hi_u32 s66, s7, s23
	s_wait_alu 0xfffe
	s_add_co_u32 s21, s24, s21
	s_add_co_ci_u32 s58, s25, s15
	s_mul_i32 s22, s7, s23
	s_add_co_ci_u32 s23, s66, 0
	s_wait_alu 0xfffe
	s_add_nc_u64 s[22:23], s[58:59], s[22:23]
	s_wait_alu 0xfffe
	s_add_co_u32 s6, s6, s22
	s_cselect_b32 s15, -1, 0
	s_wait_alu 0xfffe
	s_cmp_lg_u32 s15, 0
	s_add_co_ci_u32 s7, s7, s23
	s_wait_alu 0xfffe
	s_mul_u64 s[12:13], s[12:13], s[6:7]
	s_wait_alu 0xfffe
	s_mul_hi_u32 s23, s6, s13
	s_mul_i32 s22, s6, s13
	s_mul_hi_u32 s58, s6, s12
	s_mul_i32 s21, s7, s12
	s_wait_alu 0xfffe
	s_add_nc_u64 s[22:23], s[58:59], s[22:23]
	s_mul_hi_u32 s15, s7, s12
	s_mul_hi_u32 s24, s7, s13
	s_mul_i32 s12, s7, s13
	s_wait_alu 0xfffe
	s_add_co_u32 s13, s22, s21
	s_add_co_ci_u32 s58, s23, s15
	s_add_co_ci_u32 s13, s24, 0
	s_wait_alu 0xfffe
	s_add_nc_u64 s[12:13], s[58:59], s[12:13]
	s_wait_alu 0xfffe
	s_add_co_u32 s6, s6, s12
	s_cselect_b32 s12, -1, 0
	s_wait_alu 0xfffe
	s_mul_hi_u32 s58, s62, s6
	s_cmp_lg_u32 s12, 0
	s_mul_hi_u32 s15, s63, s6
	s_add_co_ci_u32 s12, s7, s13
	s_mul_i32 s13, s63, s6
	s_wait_alu 0xfffe
	s_mul_hi_u32 s7, s62, s12
	s_mul_i32 s6, s62, s12
	s_mul_hi_u32 s21, s63, s12
	s_wait_alu 0xfffe
	s_add_nc_u64 s[6:7], s[58:59], s[6:7]
	s_mul_i32 s12, s63, s12
	s_wait_alu 0xfffe
	s_add_co_u32 s6, s6, s13
	s_add_co_ci_u32 s58, s7, s15
	s_add_co_ci_u32 s13, s21, 0
	s_wait_alu 0xfffe
	s_add_nc_u64 s[6:7], s[58:59], s[12:13]
	s_wait_alu 0xfffe
	s_mul_u64 s[6:7], s[54:55], s[6:7]
	s_wait_alu 0xfffe
	s_sub_co_u32 s6, s62, s6
	s_cselect_b32 s12, -1, 0
	s_wait_alu 0xfffe
	s_cmp_lg_u32 s12, 0
	s_sub_co_ci_u32 s7, s63, s7
	s_sub_co_u32 s12, s6, s54
	s_cselect_b32 s13, -1, 0
	s_wait_alu 0xfffe
	s_cmp_lg_u32 s13, 0
	s_sub_co_ci_u32 s13, s7, 0
	;; [unrolled: 5-line block ×3, first 2 shown]
	s_cmp_ge_u32 s12, s54
	s_cselect_b32 s22, -1, 0
	s_cmp_eq_u32 s13, 0
	s_wait_alu 0xfffe
	s_cselect_b32 s22, s22, -1
	s_wait_alu 0xfffe
	s_cmp_lg_u32 s22, 0
	s_cselect_b32 s13, s21, s13
	s_cselect_b32 s12, s15, s12
	s_cmp_ge_u32 s6, s54
	s_cselect_b32 s15, -1, 0
	s_cmp_eq_u32 s7, 0
	s_wait_alu 0xfffe
	s_cselect_b32 s15, s15, -1
	s_wait_alu 0xfffe
	s_cmp_lg_u32 s15, 0
	s_cselect_b32 s7, s13, s7
	s_cselect_b32 s6, s12, s6
	s_cbranch_execnz .LBB109_106
.LBB109_105:                            ;   in Loop: Header=BB109_15 Depth=1
	v_cvt_f32_u32_e32 v2, s54
	s_sub_co_i32 s7, 0, s54
	s_delay_alu instid0(VALU_DEP_1) | instskip(NEXT) | instid1(TRANS32_DEP_1)
	v_rcp_iflag_f32_e32 v2, v2
	v_mul_f32_e32 v2, 0x4f7ffffe, v2
	s_delay_alu instid0(VALU_DEP_1) | instskip(NEXT) | instid1(VALU_DEP_1)
	v_cvt_u32_f32_e32 v2, v2
	v_readfirstlane_b32 s6, v2
	s_wait_alu 0xfffe
	s_mul_i32 s7, s7, s6
	s_wait_alu 0xfffe
	s_mul_hi_u32 s7, s6, s7
	s_wait_alu 0xfffe
	s_add_co_i32 s6, s6, s7
	s_wait_alu 0xfffe
	s_mul_hi_u32 s6, s62, s6
	s_wait_alu 0xfffe
	s_mul_i32 s6, s6, s54
	s_wait_alu 0xfffe
	s_sub_co_i32 s6, s62, s6
	s_wait_alu 0xfffe
	s_sub_co_i32 s7, s6, s54
	s_cmp_ge_u32 s6, s54
	s_wait_alu 0xfffe
	s_cselect_b32 s6, s7, s6
	s_wait_alu 0xfffe
	s_sub_co_i32 s7, s6, s54
	s_cmp_ge_u32 s6, s54
	s_wait_alu 0xfffe
	s_cselect_b32 s58, s7, s6
	s_wait_alu 0xfffe
	s_mov_b64 s[6:7], s[58:59]
.LBB109_106:                            ;   in Loop: Header=BB109_15 Depth=1
	s_wait_alu 0xfffe
	s_sub_nc_u64 s[6:7], s[62:63], s[6:7]
	s_mov_b32 s12, exec_lo
                                        ; implicit-def: $vgpr34
	s_wait_alu 0xfffe
	v_cmpx_gt_u64_e64 s[6:7], v[0:1]
	s_cbranch_execz .LBB109_115
; %bb.107:                              ;   in Loop: Header=BB109_15 Depth=1
	v_dual_mov_b32 v9, v1 :: v_dual_mov_b32 v8, v0
	s_mov_b32 s13, 0
                                        ; implicit-def: $sgpr15
	s_branch .LBB109_110
.LBB109_108:                            ;   in Loop: Header=BB109_110 Depth=2
	s_wait_alu 0xfffe
	s_or_b32 exec_lo, exec_lo, s21
	s_wait_loadcnt_dscnt 0x0
	s_barrier_signal -1
	s_barrier_wait -1
	global_inv scope:SCOPE_SE
	ds_load_b32 v2, v3 offset:3072
	s_mov_b32 s22, -1
	s_mov_b32 s21, -1
	s_wait_loadcnt_dscnt 0x0
	s_barrier_signal -1
	s_barrier_wait -1
	global_inv scope:SCOPE_SE
	v_and_b32_e32 v10, 0xffff, v2
	s_delay_alu instid0(VALU_DEP_1)
	v_cmp_ne_u32_e32 vcc_lo, 0, v10
	s_cbranch_vccz .LBB109_113
.LBB109_109:                            ;   in Loop: Header=BB109_110 Depth=2
	s_wait_alu 0xfffe
	s_and_b32 s22, exec_lo, s22
	s_wait_alu 0xfffe
	s_or_b32 s13, s22, s13
	s_and_not1_b32 s15, s15, exec_lo
	s_and_b32 s21, s21, exec_lo
	s_wait_alu 0xfffe
	s_or_b32 s15, s15, s21
	s_and_not1_b32 exec_lo, exec_lo, s13
	s_cbranch_execz .LBB109_114
.LBB109_110:                            ;   Parent Loop BB109_15 Depth=1
                                        ; =>  This Inner Loop Header: Depth=2
	s_mov_b32 s21, exec_lo
	s_delay_alu instid0(VALU_DEP_1)
	v_cmpx_gt_u64_e64 s[28:29], v[8:9]
	s_cbranch_execz .LBB109_108
; %bb.111:                              ;   in Loop: Header=BB109_110 Depth=2
	v_mul_lo_u32 v2, v9, s44
	v_mul_lo_u32 v21, v8, s45
	v_mad_co_u64_u32 v[10:11], null, v8, s44, 0
	s_delay_alu instid0(VALU_DEP_1) | instskip(NEXT) | instid1(VALU_DEP_1)
	v_add3_u32 v11, v11, v21, v2
	v_lshlrev_b64_e32 v[10:11], 1, v[10:11]
	s_delay_alu instid0(VALU_DEP_1) | instskip(SKIP_1) | instid1(VALU_DEP_2)
	v_add_co_u32 v10, vcc_lo, s52, v10
	s_wait_alu 0xfffd
	v_add_co_ci_u32_e64 v11, null, s53, v11, vcc_lo
	global_load_u16 v2, v[10:11], off
	s_wait_loadcnt 0x0
	v_bfe_i32 v10, v2, 0, 16
	s_delay_alu instid0(VALU_DEP_1) | instskip(NEXT) | instid1(VALU_DEP_1)
	v_add_nc_u32_e32 v10, 0x8000, v10
	v_and_b32_e32 v10, v10, v33
	s_delay_alu instid0(VALU_DEP_1)
	v_cmp_eq_u32_e32 vcc_lo, v10, v30
	s_and_b32 exec_lo, exec_lo, vcc_lo
	s_cbranch_execz .LBB109_108
; %bb.112:                              ;   in Loop: Header=BB109_110 Depth=2
	v_perm_b32 v2, v2, 1, 0x5040100
	ds_store_b32 v3, v2 offset:3072
	s_branch .LBB109_108
.LBB109_113:                            ;   in Loop: Header=BB109_110 Depth=2
	v_add_co_u32 v8, vcc_lo, v8, s54
	s_wait_alu 0xfffd
	v_add_co_ci_u32_e64 v9, null, 0, v9, vcc_lo
	s_mov_b32 s21, 0
	v_cmp_le_u64_e32 vcc_lo, s[6:7], v[8:9]
	s_or_not1_b32 s22, vcc_lo, exec_lo
	s_branch .LBB109_109
.LBB109_114:                            ;   in Loop: Header=BB109_15 Depth=1
	s_or_b32 exec_lo, exec_lo, s13
	v_lshrrev_b32_e32 v34, 16, v2
	s_and_not1_b32 s6, s14, exec_lo
	s_wait_alu 0xfffe
	s_and_b32 s7, s15, exec_lo
	s_wait_alu 0xfffe
	s_or_b32 s14, s6, s7
.LBB109_115:                            ;   in Loop: Header=BB109_15 Depth=1
	s_or_b32 exec_lo, exec_lo, s12
	s_mov_b32 s21, 0
	s_mov_b32 s22, -1
.LBB109_116:                            ;   in Loop: Header=BB109_15 Depth=1
	s_wait_alu 0xfffe
	s_or_not1_b32 s6, s14, exec_lo
.LBB109_117:                            ;   in Loop: Header=BB109_15 Depth=1
	s_wait_alu 0xfffe
	s_or_b32 exec_lo, exec_lo, s17
	s_delay_alu instid0(SALU_CYCLE_1)
	s_and_not1_b32 s7, s93, exec_lo
	s_and_b32 s12, s22, exec_lo
	s_and_not1_b32 s13, s91, exec_lo
	s_and_b32 s14, s21, exec_lo
	s_and_not1_b32 s90, s90, exec_lo
	s_wait_alu 0xfffe
	s_or_b32 s93, s7, s12
	s_or_b32 s91, s13, s14
                                        ; implicit-def: $vgpr8_vgpr9
	s_and_saveexec_b32 s17, s6
	s_cbranch_execz .LBB109_14
; %bb.118:                              ;   in Loop: Header=BB109_15 Depth=1
	v_mov_b32_e32 v8, 1
	v_dual_mov_b32 v9, 0 :: v_dual_mov_b32 v2, 1
	s_xor_b32 s12, s19, -1
	s_mov_b32 s7, 0
	s_wait_alu 0xfffe
	s_and_saveexec_b32 s6, s12
	s_cbranch_execz .LBB109_127
; %bb.119:                              ;   in Loop: Header=BB109_15 Depth=1
	s_mov_b32 s7, exec_lo
	v_cmpx_le_u64_e64 v[19:20], v[4:5]
	s_wait_alu 0xfffe
	s_xor_b32 s7, exec_lo, s7
	s_cbranch_execz .LBB109_124
; %bb.120:                              ;   in Loop: Header=BB109_15 Depth=1
	ds_load_b64 v[8:9], v3 offset:5120
	v_and_b32_e32 v30, s20, v30
	v_or_b32_e32 v33, s16, v33
	s_wait_dscnt 0x0
	v_cmp_ne_u64_e32 vcc_lo, 0, v[8:9]
	s_cbranch_vccnz .LBB109_124
; %bb.121:                              ;   in Loop: Header=BB109_15 Depth=1
	s_and_saveexec_b32 s12, s2
; %bb.122:                              ;   in Loop: Header=BB109_15 Depth=1
	ds_store_b64 v3, v[4:5] offset:5128
; %bb.123:                              ;   in Loop: Header=BB109_15 Depth=1
	s_wait_alu 0xfffe
	s_or_b32 exec_lo, exec_lo, s12
	s_wait_loadcnt_dscnt 0x0
	s_barrier_signal -1
	s_barrier_wait -1
	global_inv scope:SCOPE_SE
.LBB109_124:                            ;   in Loop: Header=BB109_15 Depth=1
	s_wait_alu 0xfffe
	s_or_saveexec_b32 s7, s7
	v_mov_b32_e32 v2, 8
	s_mov_b32 s12, 0
	s_wait_alu 0xfffe
	s_xor_b32 exec_lo, exec_lo, s7
; %bb.125:                              ;   in Loop: Header=BB109_15 Depth=1
	v_sub_co_u32 v19, vcc_lo, v19, v4
	s_wait_alu 0xfffd
	v_sub_co_ci_u32_e64 v20, null, v20, v5, vcc_lo
	v_mov_b32_e32 v2, 0
	s_mov_b32 s12, exec_lo
; %bb.126:                              ;   in Loop: Header=BB109_15 Depth=1
	s_or_b32 exec_lo, exec_lo, s7
	s_delay_alu instid0(VALU_DEP_2)
	v_dual_mov_b32 v8, v19 :: v_dual_mov_b32 v9, v20
	s_wait_alu 0xfffe
	s_and_b32 s7, s12, exec_lo
.LBB109_127:                            ;   in Loop: Header=BB109_15 Depth=1
	s_wait_alu 0xfffe
	s_or_b32 exec_lo, exec_lo, s6
	s_mov_b32 s18, -1
	s_mov_b32 s6, -1
                                        ; implicit-def: $sgpr21
                                        ; implicit-def: $sgpr22
	s_and_saveexec_b32 s12, s7
	s_wait_alu 0xfffe
	s_xor_b32 s19, exec_lo, s12
	s_cbranch_execz .LBB109_272
; %bb.128:                              ;   in Loop: Header=BB109_15 Depth=1
	v_cmp_eq_u64_e32 vcc_lo, 1, v[6:7]
	v_cmp_eq_u64_e64 s6, 1, v[8:9]
                                        ; implicit-def: $sgpr22
                                        ; implicit-def: $sgpr21
	s_and_b32 s24, vcc_lo, s6
	s_mov_b32 s6, -1
	s_wait_alu 0xfffe
	s_and_saveexec_b32 s23, s24
	s_cbranch_execz .LBB109_165
; %bb.129:                              ;   in Loop: Header=BB109_15 Depth=1
	ds_load_b64 v[4:5], v3 offset:5120
	s_wait_loadcnt_dscnt 0x0
	s_barrier_signal -1
	s_barrier_wait -1
	global_inv scope:SCOPE_SE
	v_readfirstlane_b32 s6, v4
	v_readfirstlane_b32 s7, v5
	s_and_saveexec_b32 s12, s3
; %bb.130:                              ;   in Loop: Header=BB109_15 Depth=1
	ds_store_b16 v27, v3
; %bb.131:                              ;   in Loop: Header=BB109_15 Depth=1
	s_wait_alu 0xfffe
	s_or_b32 exec_lo, exec_lo, s12
	s_lshl_b32 s12, 1, s85
	v_or_b32_e32 v33, s16, v33
	s_wait_alu 0xfffe
	v_and_or_b32 v30, v30, s20, s12
	s_mov_b32 s21, -1
	s_mov_b32 s22, 0
	s_cmp_eq_u64 s[6:7], 0
	s_mov_b32 s14, 0
	s_mov_b32 s15, -1
	s_wait_loadcnt_dscnt 0x0
	s_barrier_signal -1
	s_barrier_wait -1
	global_inv scope:SCOPE_SE
                                        ; implicit-def: $vgpr34
	s_cbranch_scc1 .LBB109_150
; %bb.132:                              ;   in Loop: Header=BB109_15 Depth=1
	s_add_nc_u64 s[12:13], s[6:7], s[60:61]
	s_mov_b32 s14, s59
	s_wait_alu 0xfffe
	s_mov_b32 s15, s13
	s_wait_alu 0xfffe
	s_cmp_lg_u64 s[14:15], 0
	s_cbranch_scc0 .LBB109_192
; %bb.133:                              ;   in Loop: Header=BB109_15 Depth=1
	s_cvt_f32_u32 s14, s54
	s_sub_nc_u64 s[66:67], 0, s[54:55]
	s_wait_alu 0xfffe
	s_delay_alu instid0(SALU_CYCLE_1) | instskip(SKIP_1) | instid1(SALU_CYCLE_2)
	s_fmamk_f32 s14, s87, 0x0, s14
	s_wait_alu 0xfffe
	v_s_rcp_f32 s14, s14
	s_delay_alu instid0(TRANS32_DEP_1) | instskip(SKIP_1) | instid1(SALU_CYCLE_2)
	s_mul_f32 s14, s14, 0x5f7ffffc
	s_wait_alu 0xfffe
	s_mul_f32 s15, s14, 0x2f800000
	s_wait_alu 0xfffe
	s_delay_alu instid0(SALU_CYCLE_2) | instskip(SKIP_1) | instid1(SALU_CYCLE_2)
	s_trunc_f32 s15, s15
	s_wait_alu 0xfffe
	s_fmamk_f32 s14, s15, 0xcf800000, s14
	s_cvt_u32_f32 s15, s15
	s_wait_alu 0xfffe
	s_delay_alu instid0(SALU_CYCLE_1) | instskip(SKIP_1) | instid1(SALU_CYCLE_2)
	s_cvt_u32_f32 s14, s14
	s_wait_alu 0xfffe
	s_mul_u64 s[68:69], s[66:67], s[14:15]
	s_wait_alu 0xfffe
	s_mul_hi_u32 s71, s14, s69
	s_mul_i32 s70, s14, s69
	s_mul_hi_u32 s58, s14, s68
	s_mul_i32 s72, s15, s68
	s_wait_alu 0xfffe
	s_add_nc_u64 s[70:71], s[58:59], s[70:71]
	s_mul_hi_u32 s25, s15, s68
	s_mul_hi_u32 s73, s15, s69
	s_wait_alu 0xfffe
	s_add_co_u32 s58, s70, s72
	s_add_co_ci_u32 s58, s71, s25
	s_mul_i32 s68, s15, s69
	s_add_co_ci_u32 s69, s73, 0
	s_wait_alu 0xfffe
	s_add_nc_u64 s[68:69], s[58:59], s[68:69]
	s_wait_alu 0xfffe
	s_add_co_u32 s14, s14, s68
	s_cselect_b32 s25, -1, 0
	s_wait_alu 0xfffe
	s_cmp_lg_u32 s25, 0
	s_add_co_ci_u32 s15, s15, s69
	s_wait_alu 0xfffe
	s_mul_u64 s[66:67], s[66:67], s[14:15]
	s_delay_alu instid0(SALU_CYCLE_1)
	s_mul_hi_u32 s69, s14, s67
	s_mul_i32 s68, s14, s67
	s_mul_hi_u32 s58, s14, s66
	s_mul_i32 s70, s15, s66
	s_wait_alu 0xfffe
	s_add_nc_u64 s[68:69], s[58:59], s[68:69]
	s_mul_hi_u32 s25, s15, s66
	s_mul_hi_u32 s71, s15, s67
	s_wait_alu 0xfffe
	s_add_co_u32 s58, s68, s70
	s_add_co_ci_u32 s58, s69, s25
	s_mul_i32 s66, s15, s67
	s_add_co_ci_u32 s67, s71, 0
	s_wait_alu 0xfffe
	s_add_nc_u64 s[66:67], s[58:59], s[66:67]
	s_delay_alu instid0(SALU_CYCLE_1)
	s_add_co_u32 s14, s14, s66
	s_cselect_b32 s25, -1, 0
	s_wait_alu 0xfffe
	s_mul_hi_u32 s58, s12, s14
	s_cmp_lg_u32 s25, 0
	s_mul_hi_u32 s25, s13, s14
	s_add_co_ci_u32 s66, s15, s67
	s_mul_i32 s67, s13, s14
	s_mul_hi_u32 s15, s12, s66
	s_mul_i32 s14, s12, s66
	s_mul_hi_u32 s68, s13, s66
	s_wait_alu 0xfffe
	s_add_nc_u64 s[14:15], s[58:59], s[14:15]
	s_mul_i32 s66, s13, s66
	s_wait_alu 0xfffe
	s_add_co_u32 s14, s14, s67
	s_add_co_ci_u32 s58, s15, s25
	s_add_co_ci_u32 s67, s68, 0
	s_wait_alu 0xfffe
	s_add_nc_u64 s[14:15], s[58:59], s[66:67]
	s_wait_alu 0xfffe
	s_mul_u64 s[14:15], s[54:55], s[14:15]
	s_wait_alu 0xfffe
	s_sub_co_u32 s14, s12, s14
	s_cselect_b32 s25, -1, 0
	s_wait_alu 0xfffe
	s_cmp_lg_u32 s25, 0
	s_sub_co_ci_u32 s15, s13, s15
	s_sub_co_u32 s25, s14, s54
	s_cselect_b32 s58, -1, 0
	s_wait_alu 0xfffe
	s_cmp_lg_u32 s58, 0
	s_sub_co_ci_u32 s58, s15, 0
	s_sub_co_u32 s66, s25, s54
	s_cselect_b32 s67, -1, 0
	s_delay_alu instid0(SALU_CYCLE_1)
	s_cmp_lg_u32 s67, 0
	s_wait_alu 0xfffe
	s_sub_co_ci_u32 s67, s58, 0
	s_cmp_ge_u32 s25, s54
	s_cselect_b32 s68, -1, 0
	s_cmp_eq_u32 s58, 0
	s_wait_alu 0xfffe
	s_cselect_b32 s68, s68, -1
	s_wait_alu 0xfffe
	s_cmp_lg_u32 s68, 0
	s_cselect_b32 s58, s67, s58
	s_cselect_b32 s25, s66, s25
	s_cmp_ge_u32 s14, s54
	s_cselect_b32 s66, -1, 0
	s_cmp_eq_u32 s15, 0
	s_cselect_b32 s66, s66, -1
	s_delay_alu instid0(SALU_CYCLE_1)
	s_cmp_lg_u32 s66, 0
	s_wait_alu 0xfffe
	s_cselect_b32 s15, s58, s15
	s_cselect_b32 s14, s25, s14
	s_cbranch_execnz .LBB109_135
.LBB109_134:                            ;   in Loop: Header=BB109_15 Depth=1
	v_cvt_f32_u32_e32 v4, s54
	s_sub_co_i32 s15, 0, s54
	s_delay_alu instid0(VALU_DEP_1) | instskip(NEXT) | instid1(TRANS32_DEP_1)
	v_rcp_iflag_f32_e32 v4, v4
	v_mul_f32_e32 v4, 0x4f7ffffe, v4
	s_delay_alu instid0(VALU_DEP_1) | instskip(NEXT) | instid1(VALU_DEP_1)
	v_cvt_u32_f32_e32 v4, v4
	v_readfirstlane_b32 s14, v4
	s_wait_alu 0xfffe
	s_mul_i32 s15, s15, s14
	s_wait_alu 0xfffe
	s_mul_hi_u32 s15, s14, s15
	s_wait_alu 0xfffe
	s_add_co_i32 s14, s14, s15
	s_wait_alu 0xfffe
	s_mul_hi_u32 s14, s12, s14
	s_wait_alu 0xfffe
	s_mul_i32 s14, s14, s54
	s_wait_alu 0xfffe
	s_sub_co_i32 s14, s12, s14
	s_wait_alu 0xfffe
	s_sub_co_i32 s15, s14, s54
	s_cmp_ge_u32 s14, s54
	s_wait_alu 0xfffe
	s_cselect_b32 s14, s15, s14
	s_wait_alu 0xfffe
	s_sub_co_i32 s15, s14, s54
	s_cmp_ge_u32 s14, s54
	s_wait_alu 0xfffe
	s_cselect_b32 s58, s15, s14
	s_wait_alu 0xfffe
	s_mov_b64 s[14:15], s[58:59]
.LBB109_135:                            ;   in Loop: Header=BB109_15 Depth=1
	s_wait_alu 0xfffe
	s_sub_nc_u64 s[12:13], s[12:13], s[14:15]
	s_mov_b32 s15, 0
	s_mov_b32 s14, 0
	s_mov_b32 s25, exec_lo
                                        ; implicit-def: $vgpr34
	s_wait_alu 0xfffe
	v_cmpx_gt_u64_e64 s[12:13], v[0:1]
	s_cbranch_execz .LBB109_149
; %bb.136:                              ;   in Loop: Header=BB109_15 Depth=1
	v_dual_mov_b32 v10, v26 :: v_dual_mov_b32 v5, v1
	v_mov_b32_e32 v4, v0
                                        ; implicit-def: $sgpr58
	s_branch .LBB109_139
.LBB109_137:                            ;   in Loop: Header=BB109_139 Depth=2
	s_or_b32 exec_lo, exec_lo, s66
	s_wait_loadcnt_dscnt 0x0
	s_barrier_signal -1
	s_barrier_wait -1
	global_inv scope:SCOPE_SE
	ds_load_b32 v11, v3 offset:3072
	s_mov_b32 s66, -1
	s_mov_b32 s67, -1
	s_wait_loadcnt_dscnt 0x0
	s_barrier_signal -1
	s_barrier_wait -1
	global_inv scope:SCOPE_SE
	v_and_b32_e32 v19, 0xffff, v11
	s_delay_alu instid0(VALU_DEP_1)
	v_cmp_ne_u32_e32 vcc_lo, 0, v19
	s_cbranch_vccz .LBB109_142
.LBB109_138:                            ;   in Loop: Header=BB109_139 Depth=2
	s_and_b32 s66, exec_lo, s66
	s_delay_alu instid0(SALU_CYCLE_1)
	s_or_b32 s14, s66, s14
	s_wait_alu 0xfffe
	s_and_not1_b32 s58, s58, exec_lo
	s_and_b32 s66, s67, exec_lo
	s_wait_alu 0xfffe
	s_or_b32 s58, s58, s66
	s_and_not1_b32 exec_lo, exec_lo, s14
	s_cbranch_execz .LBB109_148
.LBB109_139:                            ;   Parent Loop BB109_15 Depth=1
                                        ; =>  This Inner Loop Header: Depth=2
	s_mov_b32 s66, exec_lo
	s_delay_alu instid0(VALU_DEP_1)
	v_cmpx_gt_u64_e64 s[6:7], v[4:5]
	s_cbranch_execz .LBB109_137
; %bb.140:                              ;   in Loop: Header=BB109_139 Depth=2
	ds_load_u16 v11, v10
	s_wait_dscnt 0x0
	v_bfe_i32 v19, v11, 0, 16
	s_delay_alu instid0(VALU_DEP_1) | instskip(NEXT) | instid1(VALU_DEP_1)
	v_add_nc_u32_e32 v19, 0x8000, v19
	v_and_b32_e32 v19, v19, v33
	s_delay_alu instid0(VALU_DEP_1)
	v_cmp_eq_u32_e32 vcc_lo, v19, v30
	s_and_b32 exec_lo, exec_lo, vcc_lo
	s_cbranch_execz .LBB109_137
; %bb.141:                              ;   in Loop: Header=BB109_139 Depth=2
	v_perm_b32 v11, v11, 1, 0x5040100
	ds_store_b32 v3, v11 offset:3072
	s_branch .LBB109_137
.LBB109_142:                            ;   in Loop: Header=BB109_139 Depth=2
	v_add_co_u32 v4, vcc_lo, v4, s54
	s_wait_alu 0xfffd
	v_add_co_ci_u32_e64 v5, null, 0, v5, vcc_lo
	v_add_nc_u32_e32 v10, s84, v10
	s_mov_b32 s67, 0
	s_delay_alu instid0(VALU_DEP_2)
	v_cmp_le_u64_e32 vcc_lo, s[12:13], v[4:5]
	s_or_not1_b32 s66, vcc_lo, exec_lo
	s_branch .LBB109_138
.LBB109_143:                            ;   in Loop: Header=BB109_15 Depth=1
                                        ; implicit-def: $sgpr14_sgpr15
	s_branch .LBB109_91
.LBB109_144:                            ;   in Loop: Header=BB109_15 Depth=1
	s_or_b32 exec_lo, exec_lo, s9
	s_wait_dscnt 0x0
	s_barrier_signal -1
	s_barrier_wait -1
	global_inv scope:SCOPE_SE
	s_and_saveexec_b32 s6, s2
	s_cbranch_execz .LBB109_146
; %bb.145:                              ;   in Loop: Header=BB109_15 Depth=1
	ds_load_b32 v4, v3 offset:5144
	s_wait_dscnt 0x0
	v_ashrrev_i32_e32 v5, 31, v4
	ds_store_b64 v3, v[4:5] offset:5120
.LBB109_146:                            ;   in Loop: Header=BB109_15 Depth=1
	s_wait_alu 0xfffe
	s_or_b32 exec_lo, exec_lo, s6
	s_wait_loadcnt_dscnt 0x0
	s_barrier_signal -1
	s_mov_b32 s6, -1
	s_barrier_wait -1
	s_and_b32 vcc_lo, exec_lo, s8
	s_wait_alu 0xfffe
	s_cbranch_vccnz .LBB109_30
	s_branch .LBB109_45
.LBB109_147:                            ;   in Loop: Header=BB109_15 Depth=1
                                        ; implicit-def: $sgpr6_sgpr7
	s_branch .LBB109_105
.LBB109_148:                            ;   in Loop: Header=BB109_15 Depth=1
	s_or_b32 exec_lo, exec_lo, s14
	v_lshrrev_b32_e32 v34, 16, v11
	s_wait_alu 0xfffe
	s_and_b32 s14, s58, exec_lo
.LBB109_149:                            ;   in Loop: Header=BB109_15 Depth=1
	s_or_b32 exec_lo, exec_lo, s25
.LBB109_150:                            ;   in Loop: Header=BB109_15 Depth=1
	s_wait_alu 0xfffe
	s_and_b32 vcc_lo, exec_lo, s15
	s_wait_alu 0xfffe
	s_cbranch_vccz .LBB109_164
; %bb.151:                              ;   in Loop: Header=BB109_15 Depth=1
	s_mov_b32 s6, s59
	s_mov_b32 s7, s63
	s_wait_alu 0xfffe
	s_cmp_lg_u64 s[6:7], 0
	s_cbranch_scc0 .LBB109_193
; %bb.152:                              ;   in Loop: Header=BB109_15 Depth=1
	s_cvt_f32_u32 s6, s54
	s_sub_nc_u64 s[12:13], 0, s[54:55]
	s_wait_alu 0xfffe
	s_delay_alu instid0(SALU_CYCLE_1) | instskip(SKIP_1) | instid1(SALU_CYCLE_2)
	s_fmamk_f32 s6, s87, 0x0, s6
	s_wait_alu 0xfffe
	v_s_rcp_f32 s6, s6
	s_delay_alu instid0(TRANS32_DEP_1) | instskip(SKIP_1) | instid1(SALU_CYCLE_2)
	s_mul_f32 s6, s6, 0x5f7ffffc
	s_wait_alu 0xfffe
	s_mul_f32 s7, s6, 0x2f800000
	s_wait_alu 0xfffe
	s_delay_alu instid0(SALU_CYCLE_2) | instskip(SKIP_1) | instid1(SALU_CYCLE_2)
	s_trunc_f32 s7, s7
	s_wait_alu 0xfffe
	s_fmamk_f32 s6, s7, 0xcf800000, s6
	s_cvt_u32_f32 s7, s7
	s_wait_alu 0xfffe
	s_delay_alu instid0(SALU_CYCLE_1) | instskip(SKIP_1) | instid1(SALU_CYCLE_2)
	s_cvt_u32_f32 s6, s6
	s_wait_alu 0xfffe
	s_mul_u64 s[66:67], s[12:13], s[6:7]
	s_delay_alu instid0(SALU_CYCLE_1)
	s_mul_hi_u32 s69, s6, s67
	s_mul_i32 s68, s6, s67
	s_mul_hi_u32 s58, s6, s66
	s_mul_i32 s21, s7, s66
	s_wait_alu 0xfffe
	s_add_nc_u64 s[68:69], s[58:59], s[68:69]
	s_mul_hi_u32 s15, s7, s66
	s_mul_hi_u32 s22, s7, s67
	s_wait_alu 0xfffe
	s_add_co_u32 s21, s68, s21
	s_add_co_ci_u32 s58, s69, s15
	s_mul_i32 s66, s7, s67
	s_add_co_ci_u32 s67, s22, 0
	s_wait_alu 0xfffe
	s_add_nc_u64 s[66:67], s[58:59], s[66:67]
	s_delay_alu instid0(SALU_CYCLE_1)
	s_add_co_u32 s6, s6, s66
	s_cselect_b32 s15, -1, 0
	s_wait_alu 0xfffe
	s_cmp_lg_u32 s15, 0
	s_add_co_ci_u32 s7, s7, s67
	s_wait_alu 0xfffe
	s_mul_u64 s[12:13], s[12:13], s[6:7]
	s_wait_alu 0xfffe
	s_mul_hi_u32 s67, s6, s13
	s_mul_i32 s66, s6, s13
	s_mul_hi_u32 s58, s6, s12
	s_mul_i32 s21, s7, s12
	s_wait_alu 0xfffe
	s_add_nc_u64 s[66:67], s[58:59], s[66:67]
	s_mul_hi_u32 s15, s7, s12
	s_mul_hi_u32 s22, s7, s13
	s_mul_i32 s12, s7, s13
	s_add_co_u32 s13, s66, s21
	s_wait_alu 0xfffe
	s_add_co_ci_u32 s58, s67, s15
	s_add_co_ci_u32 s13, s22, 0
	s_wait_alu 0xfffe
	s_add_nc_u64 s[12:13], s[58:59], s[12:13]
	s_wait_alu 0xfffe
	s_add_co_u32 s6, s6, s12
	s_cselect_b32 s12, -1, 0
	s_wait_alu 0xfffe
	s_mul_hi_u32 s58, s62, s6
	s_cmp_lg_u32 s12, 0
	s_mul_hi_u32 s15, s63, s6
	s_add_co_ci_u32 s12, s7, s13
	s_mul_i32 s13, s63, s6
	s_wait_alu 0xfffe
	s_mul_hi_u32 s7, s62, s12
	s_mul_i32 s6, s62, s12
	s_mul_hi_u32 s21, s63, s12
	s_wait_alu 0xfffe
	s_add_nc_u64 s[6:7], s[58:59], s[6:7]
	s_mul_i32 s12, s63, s12
	s_wait_alu 0xfffe
	s_add_co_u32 s6, s6, s13
	s_add_co_ci_u32 s58, s7, s15
	s_add_co_ci_u32 s13, s21, 0
	s_wait_alu 0xfffe
	s_add_nc_u64 s[6:7], s[58:59], s[12:13]
	s_wait_alu 0xfffe
	s_mul_u64 s[6:7], s[54:55], s[6:7]
	s_wait_alu 0xfffe
	s_sub_co_u32 s6, s62, s6
	s_cselect_b32 s12, -1, 0
	s_wait_alu 0xfffe
	s_cmp_lg_u32 s12, 0
	s_sub_co_ci_u32 s7, s63, s7
	s_sub_co_u32 s12, s6, s54
	s_cselect_b32 s13, -1, 0
	s_wait_alu 0xfffe
	s_cmp_lg_u32 s13, 0
	s_sub_co_ci_u32 s13, s7, 0
	;; [unrolled: 5-line block ×3, first 2 shown]
	s_cmp_ge_u32 s12, s54
	s_cselect_b32 s22, -1, 0
	s_cmp_eq_u32 s13, 0
	s_wait_alu 0xfffe
	s_cselect_b32 s22, s22, -1
	s_wait_alu 0xfffe
	s_cmp_lg_u32 s22, 0
	s_cselect_b32 s13, s21, s13
	s_cselect_b32 s12, s15, s12
	s_cmp_ge_u32 s6, s54
	s_cselect_b32 s15, -1, 0
	s_cmp_eq_u32 s7, 0
	s_wait_alu 0xfffe
	s_cselect_b32 s15, s15, -1
	s_wait_alu 0xfffe
	s_cmp_lg_u32 s15, 0
	s_cselect_b32 s7, s13, s7
	s_cselect_b32 s6, s12, s6
	s_cbranch_execnz .LBB109_154
.LBB109_153:                            ;   in Loop: Header=BB109_15 Depth=1
	v_cvt_f32_u32_e32 v4, s54
	s_sub_co_i32 s7, 0, s54
	s_delay_alu instid0(VALU_DEP_1) | instskip(NEXT) | instid1(TRANS32_DEP_1)
	v_rcp_iflag_f32_e32 v4, v4
	v_mul_f32_e32 v4, 0x4f7ffffe, v4
	s_delay_alu instid0(VALU_DEP_1) | instskip(NEXT) | instid1(VALU_DEP_1)
	v_cvt_u32_f32_e32 v4, v4
	v_readfirstlane_b32 s6, v4
	s_wait_alu 0xfffe
	s_mul_i32 s7, s7, s6
	s_wait_alu 0xfffe
	s_mul_hi_u32 s7, s6, s7
	s_wait_alu 0xfffe
	s_add_co_i32 s6, s6, s7
	s_wait_alu 0xfffe
	s_mul_hi_u32 s6, s62, s6
	s_wait_alu 0xfffe
	s_mul_i32 s6, s6, s54
	s_wait_alu 0xfffe
	s_sub_co_i32 s6, s62, s6
	s_wait_alu 0xfffe
	s_sub_co_i32 s7, s6, s54
	s_cmp_ge_u32 s6, s54
	s_wait_alu 0xfffe
	s_cselect_b32 s6, s7, s6
	s_wait_alu 0xfffe
	s_sub_co_i32 s7, s6, s54
	s_cmp_ge_u32 s6, s54
	s_wait_alu 0xfffe
	s_cselect_b32 s58, s7, s6
	s_wait_alu 0xfffe
	s_mov_b64 s[6:7], s[58:59]
.LBB109_154:                            ;   in Loop: Header=BB109_15 Depth=1
	s_wait_alu 0xfffe
	s_sub_nc_u64 s[6:7], s[62:63], s[6:7]
	s_mov_b32 s12, exec_lo
                                        ; implicit-def: $vgpr34
	s_wait_alu 0xfffe
	v_cmpx_gt_u64_e64 s[6:7], v[0:1]
	s_cbranch_execz .LBB109_163
; %bb.155:                              ;   in Loop: Header=BB109_15 Depth=1
	v_dual_mov_b32 v5, v1 :: v_dual_mov_b32 v4, v0
	s_mov_b32 s13, 0
                                        ; implicit-def: $sgpr15
	s_branch .LBB109_158
.LBB109_156:                            ;   in Loop: Header=BB109_158 Depth=2
	s_wait_alu 0xfffe
	s_or_b32 exec_lo, exec_lo, s21
	s_wait_loadcnt_dscnt 0x0
	s_barrier_signal -1
	s_barrier_wait -1
	global_inv scope:SCOPE_SE
	ds_load_b32 v10, v3 offset:3072
	s_mov_b32 s22, -1
	s_mov_b32 s21, -1
	s_wait_loadcnt_dscnt 0x0
	s_barrier_signal -1
	s_barrier_wait -1
	global_inv scope:SCOPE_SE
	v_and_b32_e32 v11, 0xffff, v10
	s_delay_alu instid0(VALU_DEP_1)
	v_cmp_eq_u32_e32 vcc_lo, 0, v11
	s_cbranch_vccnz .LBB109_161
.LBB109_157:                            ;   in Loop: Header=BB109_158 Depth=2
	s_wait_alu 0xfffe
	s_and_b32 s22, exec_lo, s22
	s_wait_alu 0xfffe
	s_or_b32 s13, s22, s13
	s_and_not1_b32 s15, s15, exec_lo
	s_and_b32 s21, s21, exec_lo
	s_wait_alu 0xfffe
	s_or_b32 s15, s15, s21
	s_and_not1_b32 exec_lo, exec_lo, s13
	s_cbranch_execz .LBB109_162
.LBB109_158:                            ;   Parent Loop BB109_15 Depth=1
                                        ; =>  This Inner Loop Header: Depth=2
	s_mov_b32 s21, exec_lo
	s_delay_alu instid0(VALU_DEP_1)
	v_cmpx_gt_u64_e64 s[28:29], v[4:5]
	s_cbranch_execz .LBB109_156
; %bb.159:                              ;   in Loop: Header=BB109_158 Depth=2
	v_mul_lo_u32 v19, v5, s44
	v_mul_lo_u32 v20, v4, s45
	v_mad_co_u64_u32 v[10:11], null, v4, s44, 0
	s_delay_alu instid0(VALU_DEP_1) | instskip(NEXT) | instid1(VALU_DEP_1)
	v_add3_u32 v11, v11, v20, v19
	v_lshlrev_b64_e32 v[10:11], 1, v[10:11]
	s_delay_alu instid0(VALU_DEP_1) | instskip(SKIP_1) | instid1(VALU_DEP_2)
	v_add_co_u32 v10, vcc_lo, s52, v10
	s_wait_alu 0xfffd
	v_add_co_ci_u32_e64 v11, null, s53, v11, vcc_lo
	global_load_u16 v10, v[10:11], off
	s_wait_loadcnt 0x0
	v_bfe_i32 v11, v10, 0, 16
	s_delay_alu instid0(VALU_DEP_1) | instskip(NEXT) | instid1(VALU_DEP_1)
	v_add_nc_u32_e32 v11, 0x8000, v11
	v_and_b32_e32 v11, v11, v33
	s_delay_alu instid0(VALU_DEP_1)
	v_cmp_eq_u32_e32 vcc_lo, v11, v30
	s_and_b32 exec_lo, exec_lo, vcc_lo
	s_cbranch_execz .LBB109_156
; %bb.160:                              ;   in Loop: Header=BB109_158 Depth=2
	v_perm_b32 v10, v10, 1, 0x5040100
	ds_store_b32 v3, v10 offset:3072
	s_branch .LBB109_156
.LBB109_161:                            ;   in Loop: Header=BB109_158 Depth=2
	v_add_co_u32 v4, vcc_lo, v4, s54
	s_wait_alu 0xfffd
	v_add_co_ci_u32_e64 v5, null, 0, v5, vcc_lo
	s_mov_b32 s21, 0
	v_cmp_le_u64_e32 vcc_lo, s[6:7], v[4:5]
	s_or_not1_b32 s22, vcc_lo, exec_lo
	s_branch .LBB109_157
.LBB109_162:                            ;   in Loop: Header=BB109_15 Depth=1
	s_or_b32 exec_lo, exec_lo, s13
	v_lshrrev_b32_e32 v34, 16, v10
	s_and_not1_b32 s6, s14, exec_lo
	s_wait_alu 0xfffe
	s_and_b32 s7, s15, exec_lo
	s_wait_alu 0xfffe
	s_or_b32 s14, s6, s7
.LBB109_163:                            ;   in Loop: Header=BB109_15 Depth=1
	s_or_b32 exec_lo, exec_lo, s12
	s_mov_b32 s21, 0
	s_mov_b32 s22, -1
.LBB109_164:                            ;   in Loop: Header=BB109_15 Depth=1
	s_wait_alu 0xfffe
	s_or_not1_b32 s6, s14, exec_lo
.LBB109_165:                            ;   in Loop: Header=BB109_15 Depth=1
	s_wait_alu 0xfffe
	s_or_b32 exec_lo, exec_lo, s23
	s_mov_b32 s7, 0
	s_and_saveexec_b32 s23, s6
	s_cbranch_execz .LBB109_271
; %bb.166:                              ;   in Loop: Header=BB109_15 Depth=1
	v_mov_b32_e32 v4, 1
	v_dual_mov_b32 v5, 0 :: v_dual_mov_b32 v2, 1
	s_xor_b32 s12, s24, -1
	s_wait_alu 0xfffe
	s_and_saveexec_b32 s6, s12
	s_cbranch_execz .LBB109_176
; %bb.167:                              ;   in Loop: Header=BB109_15 Depth=1
	s_mov_b32 s7, exec_lo
	v_cmpx_le_u64_e64 v[8:9], v[6:7]
	s_wait_alu 0xfffe
	s_xor_b32 s7, exec_lo, s7
	s_cbranch_execz .LBB109_173
; %bb.168:                              ;   in Loop: Header=BB109_15 Depth=1
	ds_load_b64 v[4:5], v3 offset:5120
	s_lshl_b32 s12, 1, s85
	v_or_b32_e32 v33, s16, v33
	s_wait_alu 0xfffe
	v_and_or_b32 v30, v30, s20, s12
	s_wait_dscnt 0x0
	v_cmp_ne_u64_e32 vcc_lo, 0, v[4:5]
	s_cbranch_vccnz .LBB109_172
; %bb.169:                              ;   in Loop: Header=BB109_15 Depth=1
	s_and_saveexec_b32 s12, s2
; %bb.170:                              ;   in Loop: Header=BB109_15 Depth=1
	ds_store_b64 v3, v[6:7] offset:5128
; %bb.171:                              ;   in Loop: Header=BB109_15 Depth=1
	s_wait_alu 0xfffe
	s_or_b32 exec_lo, exec_lo, s12
	s_wait_loadcnt_dscnt 0x0
	s_barrier_signal -1
	s_barrier_wait -1
	global_inv scope:SCOPE_SE
.LBB109_172:                            ;   in Loop: Header=BB109_15 Depth=1
                                        ; implicit-def: $vgpr4_vgpr5_vgpr6_vgpr7
.LBB109_173:                            ;   in Loop: Header=BB109_15 Depth=1
	s_wait_alu 0xfffe
	s_or_saveexec_b32 s7, s7
	v_mov_b32_e32 v2, 8
	s_mov_b32 s12, 0
	s_wait_alu 0xfffe
	s_xor_b32 exec_lo, exec_lo, s7
; %bb.174:                              ;   in Loop: Header=BB109_15 Depth=1
	v_sub_co_u32 v8, vcc_lo, v8, v6
	s_wait_alu 0xfffd
	v_sub_co_ci_u32_e64 v9, null, v9, v7, vcc_lo
	v_mov_b32_e32 v2, 0
	s_mov_b32 s12, exec_lo
; %bb.175:                              ;   in Loop: Header=BB109_15 Depth=1
	s_or_b32 exec_lo, exec_lo, s7
	s_delay_alu instid0(VALU_DEP_2)
	v_dual_mov_b32 v4, v8 :: v_dual_mov_b32 v5, v9
	s_wait_alu 0xfffe
	s_and_b32 s7, s12, exec_lo
.LBB109_176:                            ;   in Loop: Header=BB109_15 Depth=1
	s_wait_alu 0xfffe
	s_or_b32 exec_lo, exec_lo, s6
	s_mov_b32 s6, -1
                                        ; implicit-def: $sgpr25
                                        ; implicit-def: $sgpr66
	s_and_saveexec_b32 s24, s7
	s_cbranch_execz .LBB109_270
; %bb.177:                              ;   in Loop: Header=BB109_15 Depth=1
	v_cmp_eq_u64_e32 vcc_lo, 1, v[4:5]
	s_cmp_eq_u64 s[10:11], 1
                                        ; implicit-def: $sgpr66
                                        ; implicit-def: $sgpr25
	s_cselect_b32 s6, -1, 0
	s_wait_alu 0xfffe
	s_and_b32 s67, s6, vcc_lo
	s_mov_b32 s6, -1
	s_and_saveexec_b32 s68, s67
	s_cbranch_execz .LBB109_211
; %bb.178:                              ;   in Loop: Header=BB109_15 Depth=1
	ds_load_b64 v[6:7], v3 offset:5120
	s_wait_loadcnt_dscnt 0x0
	s_barrier_signal -1
	s_barrier_wait -1
	global_inv scope:SCOPE_SE
	v_readfirstlane_b32 s6, v6
	v_readfirstlane_b32 s7, v7
	s_and_saveexec_b32 s12, s3
; %bb.179:                              ;   in Loop: Header=BB109_15 Depth=1
	ds_store_b16 v27, v3
; %bb.180:                              ;   in Loop: Header=BB109_15 Depth=1
	s_wait_alu 0xfffe
	s_or_b32 exec_lo, exec_lo, s12
	s_lshl_b32 s12, 2, s85
	v_or_b32_e32 v33, s16, v33
	s_wait_alu 0xfffe
	v_and_or_b32 v30, v30, s20, s12
	s_mov_b32 s25, -1
	s_mov_b32 s66, 0
	s_cmp_eq_u64 s[6:7], 0
	s_mov_b32 s14, 0
	s_mov_b32 s15, -1
	s_wait_loadcnt_dscnt 0x0
	s_barrier_signal -1
	s_barrier_wait -1
	global_inv scope:SCOPE_SE
                                        ; implicit-def: $vgpr34
	s_cbranch_scc1 .LBB109_196
; %bb.181:                              ;   in Loop: Header=BB109_15 Depth=1
	s_add_nc_u64 s[12:13], s[6:7], s[60:61]
	s_mov_b32 s14, s59
	s_wait_alu 0xfffe
	s_mov_b32 s15, s13
	s_wait_alu 0xfffe
	s_cmp_lg_u64 s[14:15], 0
	s_cbranch_scc0 .LBB109_237
; %bb.182:                              ;   in Loop: Header=BB109_15 Depth=1
	s_cvt_f32_u32 s14, s54
	s_sub_nc_u64 s[70:71], 0, s[54:55]
	s_wait_alu 0xfffe
	s_delay_alu instid0(SALU_CYCLE_1) | instskip(SKIP_1) | instid1(SALU_CYCLE_2)
	s_fmamk_f32 s14, s87, 0x0, s14
	s_wait_alu 0xfffe
	v_s_rcp_f32 s14, s14
	s_delay_alu instid0(TRANS32_DEP_1) | instskip(SKIP_1) | instid1(SALU_CYCLE_2)
	s_mul_f32 s14, s14, 0x5f7ffffc
	s_wait_alu 0xfffe
	s_mul_f32 s15, s14, 0x2f800000
	s_wait_alu 0xfffe
	s_delay_alu instid0(SALU_CYCLE_2) | instskip(SKIP_1) | instid1(SALU_CYCLE_2)
	s_trunc_f32 s15, s15
	s_wait_alu 0xfffe
	s_fmamk_f32 s14, s15, 0xcf800000, s14
	s_cvt_u32_f32 s15, s15
	s_wait_alu 0xfffe
	s_delay_alu instid0(SALU_CYCLE_1) | instskip(SKIP_1) | instid1(SALU_CYCLE_2)
	s_cvt_u32_f32 s14, s14
	s_wait_alu 0xfffe
	s_mul_u64 s[72:73], s[70:71], s[14:15]
	s_wait_alu 0xfffe
	s_mul_hi_u32 s75, s14, s73
	s_mul_i32 s74, s14, s73
	s_mul_hi_u32 s58, s14, s72
	s_mul_i32 s95, s15, s72
	s_wait_alu 0xfffe
	s_add_nc_u64 s[74:75], s[58:59], s[74:75]
	s_mul_hi_u32 s69, s15, s72
	s_mul_hi_u32 s96, s15, s73
	s_wait_alu 0xfffe
	s_add_co_u32 s58, s74, s95
	s_add_co_ci_u32 s58, s75, s69
	s_mul_i32 s72, s15, s73
	s_add_co_ci_u32 s73, s96, 0
	s_wait_alu 0xfffe
	s_add_nc_u64 s[72:73], s[58:59], s[72:73]
	s_wait_alu 0xfffe
	s_add_co_u32 s14, s14, s72
	s_cselect_b32 s58, -1, 0
	s_wait_alu 0xfffe
	s_cmp_lg_u32 s58, 0
	s_add_co_ci_u32 s15, s15, s73
	s_wait_alu 0xfffe
	s_mul_u64 s[70:71], s[70:71], s[14:15]
	s_wait_alu 0xfffe
	s_mul_hi_u32 s73, s14, s71
	s_mul_i32 s72, s14, s71
	s_mul_hi_u32 s58, s14, s70
	s_mul_i32 s74, s15, s70
	s_wait_alu 0xfffe
	s_add_nc_u64 s[72:73], s[58:59], s[72:73]
	s_mul_hi_u32 s69, s15, s70
	s_mul_hi_u32 s75, s15, s71
	s_wait_alu 0xfffe
	s_add_co_u32 s58, s72, s74
	s_add_co_ci_u32 s58, s73, s69
	s_mul_i32 s70, s15, s71
	s_add_co_ci_u32 s71, s75, 0
	s_wait_alu 0xfffe
	s_add_nc_u64 s[70:71], s[58:59], s[70:71]
	s_wait_alu 0xfffe
	s_add_co_u32 s14, s14, s70
	s_cselect_b32 s69, -1, 0
	s_wait_alu 0xfffe
	s_mul_hi_u32 s58, s12, s14
	s_cmp_lg_u32 s69, 0
	s_mul_hi_u32 s69, s13, s14
	s_add_co_ci_u32 s70, s15, s71
	s_mul_i32 s71, s13, s14
	s_wait_alu 0xfffe
	s_mul_hi_u32 s15, s12, s70
	s_mul_i32 s14, s12, s70
	s_mul_hi_u32 s72, s13, s70
	s_wait_alu 0xfffe
	s_add_nc_u64 s[14:15], s[58:59], s[14:15]
	s_mul_i32 s70, s13, s70
	s_wait_alu 0xfffe
	s_add_co_u32 s14, s14, s71
	s_add_co_ci_u32 s58, s15, s69
	s_add_co_ci_u32 s71, s72, 0
	s_wait_alu 0xfffe
	s_add_nc_u64 s[14:15], s[58:59], s[70:71]
	s_wait_alu 0xfffe
	s_mul_u64 s[14:15], s[54:55], s[14:15]
	s_wait_alu 0xfffe
	s_sub_co_u32 s14, s12, s14
	s_cselect_b32 s58, -1, 0
	s_wait_alu 0xfffe
	s_cmp_lg_u32 s58, 0
	s_sub_co_ci_u32 s15, s13, s15
	s_sub_co_u32 s58, s14, s54
	s_cselect_b32 s69, -1, 0
	s_wait_alu 0xfffe
	s_cmp_lg_u32 s69, 0
	s_sub_co_ci_u32 s69, s15, 0
	;; [unrolled: 5-line block ×3, first 2 shown]
	s_cmp_ge_u32 s58, s54
	s_cselect_b32 s72, -1, 0
	s_cmp_eq_u32 s69, 0
	s_wait_alu 0xfffe
	s_cselect_b32 s72, s72, -1
	s_wait_alu 0xfffe
	s_cmp_lg_u32 s72, 0
	s_cselect_b32 s69, s71, s69
	s_cselect_b32 s58, s70, s58
	s_cmp_ge_u32 s14, s54
	s_cselect_b32 s70, -1, 0
	s_cmp_eq_u32 s15, 0
	s_wait_alu 0xfffe
	s_cselect_b32 s70, s70, -1
	s_wait_alu 0xfffe
	s_cmp_lg_u32 s70, 0
	s_cselect_b32 s15, s69, s15
	s_cselect_b32 s14, s58, s14
	s_cbranch_execnz .LBB109_184
.LBB109_183:                            ;   in Loop: Header=BB109_15 Depth=1
	v_cvt_f32_u32_e32 v6, s54
	s_sub_co_i32 s15, 0, s54
	s_delay_alu instid0(VALU_DEP_1) | instskip(NEXT) | instid1(TRANS32_DEP_1)
	v_rcp_iflag_f32_e32 v6, v6
	v_mul_f32_e32 v6, 0x4f7ffffe, v6
	s_delay_alu instid0(VALU_DEP_1) | instskip(NEXT) | instid1(VALU_DEP_1)
	v_cvt_u32_f32_e32 v6, v6
	v_readfirstlane_b32 s14, v6
	s_wait_alu 0xfffe
	s_mul_i32 s15, s15, s14
	s_wait_alu 0xfffe
	s_mul_hi_u32 s15, s14, s15
	s_wait_alu 0xfffe
	s_add_co_i32 s14, s14, s15
	s_wait_alu 0xfffe
	s_mul_hi_u32 s14, s12, s14
	s_wait_alu 0xfffe
	s_mul_i32 s14, s14, s54
	s_wait_alu 0xfffe
	s_sub_co_i32 s14, s12, s14
	s_wait_alu 0xfffe
	s_sub_co_i32 s15, s14, s54
	s_cmp_ge_u32 s14, s54
	s_wait_alu 0xfffe
	s_cselect_b32 s14, s15, s14
	s_wait_alu 0xfffe
	s_sub_co_i32 s15, s14, s54
	s_cmp_ge_u32 s14, s54
	s_wait_alu 0xfffe
	s_cselect_b32 s58, s15, s14
	s_wait_alu 0xfffe
	s_mov_b64 s[14:15], s[58:59]
.LBB109_184:                            ;   in Loop: Header=BB109_15 Depth=1
	s_wait_alu 0xfffe
	s_sub_nc_u64 s[12:13], s[12:13], s[14:15]
	s_mov_b32 s15, 0
	s_mov_b32 s14, 0
	s_mov_b32 s58, exec_lo
                                        ; implicit-def: $vgpr34
	s_wait_alu 0xfffe
	v_cmpx_gt_u64_e64 s[12:13], v[0:1]
	s_cbranch_execz .LBB109_195
; %bb.185:                              ;   in Loop: Header=BB109_15 Depth=1
	v_dual_mov_b32 v8, v26 :: v_dual_mov_b32 v7, v1
	v_mov_b32_e32 v6, v0
                                        ; implicit-def: $sgpr69
	s_branch .LBB109_188
.LBB109_186:                            ;   in Loop: Header=BB109_188 Depth=2
	s_wait_alu 0xfffe
	s_or_b32 exec_lo, exec_lo, s70
	s_wait_loadcnt_dscnt 0x0
	s_barrier_signal -1
	s_barrier_wait -1
	global_inv scope:SCOPE_SE
	ds_load_b32 v9, v3 offset:3072
	s_mov_b32 s70, -1
	s_mov_b32 s71, -1
	s_wait_loadcnt_dscnt 0x0
	s_barrier_signal -1
	s_barrier_wait -1
	global_inv scope:SCOPE_SE
	v_and_b32_e32 v10, 0xffff, v9
	s_delay_alu instid0(VALU_DEP_1)
	v_cmp_ne_u32_e32 vcc_lo, 0, v10
	s_cbranch_vccz .LBB109_191
.LBB109_187:                            ;   in Loop: Header=BB109_188 Depth=2
	s_wait_alu 0xfffe
	s_and_b32 s70, exec_lo, s70
	s_wait_alu 0xfffe
	s_or_b32 s14, s70, s14
	s_and_not1_b32 s69, s69, exec_lo
	s_and_b32 s70, s71, exec_lo
	s_wait_alu 0xfffe
	s_or_b32 s69, s69, s70
	s_and_not1_b32 exec_lo, exec_lo, s14
	s_cbranch_execz .LBB109_194
.LBB109_188:                            ;   Parent Loop BB109_15 Depth=1
                                        ; =>  This Inner Loop Header: Depth=2
	s_mov_b32 s70, exec_lo
	s_delay_alu instid0(VALU_DEP_1)
	v_cmpx_gt_u64_e64 s[6:7], v[6:7]
	s_cbranch_execz .LBB109_186
; %bb.189:                              ;   in Loop: Header=BB109_188 Depth=2
	ds_load_u16 v9, v8
	s_wait_dscnt 0x0
	v_bfe_i32 v10, v9, 0, 16
	s_delay_alu instid0(VALU_DEP_1) | instskip(NEXT) | instid1(VALU_DEP_1)
	v_add_nc_u32_e32 v10, 0x8000, v10
	v_and_b32_e32 v10, v10, v33
	s_delay_alu instid0(VALU_DEP_1)
	v_cmp_eq_u32_e32 vcc_lo, v10, v30
	s_and_b32 exec_lo, exec_lo, vcc_lo
	s_cbranch_execz .LBB109_186
; %bb.190:                              ;   in Loop: Header=BB109_188 Depth=2
	v_perm_b32 v9, v9, 1, 0x5040100
	ds_store_b32 v3, v9 offset:3072
	s_branch .LBB109_186
.LBB109_191:                            ;   in Loop: Header=BB109_188 Depth=2
	v_add_co_u32 v6, vcc_lo, v6, s54
	s_wait_alu 0xfffd
	v_add_co_ci_u32_e64 v7, null, 0, v7, vcc_lo
	v_add_nc_u32_e32 v8, s84, v8
	s_mov_b32 s71, 0
	s_delay_alu instid0(VALU_DEP_2)
	v_cmp_le_u64_e32 vcc_lo, s[12:13], v[6:7]
	s_or_not1_b32 s70, vcc_lo, exec_lo
	s_branch .LBB109_187
.LBB109_192:                            ;   in Loop: Header=BB109_15 Depth=1
                                        ; implicit-def: $sgpr14_sgpr15
	s_branch .LBB109_134
.LBB109_193:                            ;   in Loop: Header=BB109_15 Depth=1
                                        ; implicit-def: $sgpr6_sgpr7
	s_branch .LBB109_153
.LBB109_194:                            ;   in Loop: Header=BB109_15 Depth=1
	s_or_b32 exec_lo, exec_lo, s14
	v_lshrrev_b32_e32 v34, 16, v9
	s_wait_alu 0xfffe
	s_and_b32 s14, s69, exec_lo
.LBB109_195:                            ;   in Loop: Header=BB109_15 Depth=1
	s_or_b32 exec_lo, exec_lo, s58
.LBB109_196:                            ;   in Loop: Header=BB109_15 Depth=1
	s_wait_alu 0xfffe
	s_and_b32 vcc_lo, exec_lo, s15
	s_wait_alu 0xfffe
	s_cbranch_vccz .LBB109_210
; %bb.197:                              ;   in Loop: Header=BB109_15 Depth=1
	s_mov_b32 s6, s59
	s_mov_b32 s7, s63
	s_wait_alu 0xfffe
	s_cmp_lg_u64 s[6:7], 0
	s_cbranch_scc0 .LBB109_238
; %bb.198:                              ;   in Loop: Header=BB109_15 Depth=1
	s_cvt_f32_u32 s6, s54
	s_sub_nc_u64 s[12:13], 0, s[54:55]
	s_wait_alu 0xfffe
	s_delay_alu instid0(SALU_CYCLE_1) | instskip(SKIP_1) | instid1(SALU_CYCLE_2)
	s_fmamk_f32 s6, s87, 0x0, s6
	s_wait_alu 0xfffe
	v_s_rcp_f32 s6, s6
	s_delay_alu instid0(TRANS32_DEP_1) | instskip(SKIP_1) | instid1(SALU_CYCLE_2)
	s_mul_f32 s6, s6, 0x5f7ffffc
	s_wait_alu 0xfffe
	s_mul_f32 s7, s6, 0x2f800000
	s_wait_alu 0xfffe
	s_delay_alu instid0(SALU_CYCLE_2) | instskip(SKIP_1) | instid1(SALU_CYCLE_2)
	s_trunc_f32 s7, s7
	s_wait_alu 0xfffe
	s_fmamk_f32 s6, s7, 0xcf800000, s6
	s_cvt_u32_f32 s7, s7
	s_wait_alu 0xfffe
	s_delay_alu instid0(SALU_CYCLE_1) | instskip(SKIP_1) | instid1(SALU_CYCLE_2)
	s_cvt_u32_f32 s6, s6
	s_wait_alu 0xfffe
	s_mul_u64 s[70:71], s[12:13], s[6:7]
	s_wait_alu 0xfffe
	s_mul_hi_u32 s73, s6, s71
	s_mul_i32 s72, s6, s71
	s_mul_hi_u32 s58, s6, s70
	s_mul_i32 s25, s7, s70
	s_wait_alu 0xfffe
	s_add_nc_u64 s[72:73], s[58:59], s[72:73]
	s_mul_hi_u32 s15, s7, s70
	s_mul_hi_u32 s66, s7, s71
	s_wait_alu 0xfffe
	s_add_co_u32 s25, s72, s25
	s_add_co_ci_u32 s58, s73, s15
	s_mul_i32 s70, s7, s71
	s_add_co_ci_u32 s71, s66, 0
	s_wait_alu 0xfffe
	s_add_nc_u64 s[70:71], s[58:59], s[70:71]
	s_wait_alu 0xfffe
	s_add_co_u32 s6, s6, s70
	s_cselect_b32 s15, -1, 0
	s_wait_alu 0xfffe
	s_cmp_lg_u32 s15, 0
	s_add_co_ci_u32 s7, s7, s71
	s_wait_alu 0xfffe
	s_mul_u64 s[12:13], s[12:13], s[6:7]
	s_wait_alu 0xfffe
	s_mul_hi_u32 s71, s6, s13
	s_mul_i32 s70, s6, s13
	s_mul_hi_u32 s58, s6, s12
	s_mul_i32 s25, s7, s12
	s_wait_alu 0xfffe
	s_add_nc_u64 s[70:71], s[58:59], s[70:71]
	s_mul_hi_u32 s15, s7, s12
	s_mul_hi_u32 s66, s7, s13
	s_mul_i32 s12, s7, s13
	s_wait_alu 0xfffe
	s_add_co_u32 s13, s70, s25
	s_add_co_ci_u32 s58, s71, s15
	s_add_co_ci_u32 s13, s66, 0
	s_wait_alu 0xfffe
	s_add_nc_u64 s[12:13], s[58:59], s[12:13]
	s_wait_alu 0xfffe
	s_add_co_u32 s6, s6, s12
	s_cselect_b32 s12, -1, 0
	s_wait_alu 0xfffe
	s_mul_hi_u32 s58, s62, s6
	s_cmp_lg_u32 s12, 0
	s_mul_hi_u32 s15, s63, s6
	s_add_co_ci_u32 s12, s7, s13
	s_mul_i32 s13, s63, s6
	s_wait_alu 0xfffe
	s_mul_hi_u32 s7, s62, s12
	s_mul_i32 s6, s62, s12
	s_mul_hi_u32 s25, s63, s12
	s_wait_alu 0xfffe
	s_add_nc_u64 s[6:7], s[58:59], s[6:7]
	s_mul_i32 s12, s63, s12
	s_wait_alu 0xfffe
	s_add_co_u32 s6, s6, s13
	s_add_co_ci_u32 s58, s7, s15
	s_add_co_ci_u32 s13, s25, 0
	s_wait_alu 0xfffe
	s_add_nc_u64 s[6:7], s[58:59], s[12:13]
	s_wait_alu 0xfffe
	s_mul_u64 s[6:7], s[54:55], s[6:7]
	s_wait_alu 0xfffe
	s_sub_co_u32 s6, s62, s6
	s_cselect_b32 s12, -1, 0
	s_wait_alu 0xfffe
	s_cmp_lg_u32 s12, 0
	s_sub_co_ci_u32 s7, s63, s7
	s_sub_co_u32 s12, s6, s54
	s_cselect_b32 s13, -1, 0
	s_wait_alu 0xfffe
	s_cmp_lg_u32 s13, 0
	s_sub_co_ci_u32 s13, s7, 0
	;; [unrolled: 5-line block ×3, first 2 shown]
	s_cmp_ge_u32 s12, s54
	s_cselect_b32 s58, -1, 0
	s_cmp_eq_u32 s13, 0
	s_wait_alu 0xfffe
	s_cselect_b32 s58, s58, -1
	s_wait_alu 0xfffe
	s_cmp_lg_u32 s58, 0
	s_cselect_b32 s13, s25, s13
	s_cselect_b32 s12, s15, s12
	s_cmp_ge_u32 s6, s54
	s_cselect_b32 s15, -1, 0
	s_cmp_eq_u32 s7, 0
	s_wait_alu 0xfffe
	s_cselect_b32 s15, s15, -1
	s_wait_alu 0xfffe
	s_cmp_lg_u32 s15, 0
	s_cselect_b32 s7, s13, s7
	s_cselect_b32 s6, s12, s6
	s_cbranch_execnz .LBB109_200
.LBB109_199:                            ;   in Loop: Header=BB109_15 Depth=1
	v_cvt_f32_u32_e32 v6, s54
	s_sub_co_i32 s7, 0, s54
	s_delay_alu instid0(VALU_DEP_1) | instskip(NEXT) | instid1(TRANS32_DEP_1)
	v_rcp_iflag_f32_e32 v6, v6
	v_mul_f32_e32 v6, 0x4f7ffffe, v6
	s_delay_alu instid0(VALU_DEP_1) | instskip(NEXT) | instid1(VALU_DEP_1)
	v_cvt_u32_f32_e32 v6, v6
	v_readfirstlane_b32 s6, v6
	s_wait_alu 0xfffe
	s_mul_i32 s7, s7, s6
	s_wait_alu 0xfffe
	s_mul_hi_u32 s7, s6, s7
	s_wait_alu 0xfffe
	s_add_co_i32 s6, s6, s7
	s_wait_alu 0xfffe
	s_mul_hi_u32 s6, s62, s6
	s_wait_alu 0xfffe
	s_mul_i32 s6, s6, s54
	s_wait_alu 0xfffe
	s_sub_co_i32 s6, s62, s6
	s_wait_alu 0xfffe
	s_sub_co_i32 s7, s6, s54
	s_cmp_ge_u32 s6, s54
	s_wait_alu 0xfffe
	s_cselect_b32 s6, s7, s6
	s_wait_alu 0xfffe
	s_sub_co_i32 s7, s6, s54
	s_cmp_ge_u32 s6, s54
	s_wait_alu 0xfffe
	s_cselect_b32 s58, s7, s6
	s_wait_alu 0xfffe
	s_mov_b64 s[6:7], s[58:59]
.LBB109_200:                            ;   in Loop: Header=BB109_15 Depth=1
	s_wait_alu 0xfffe
	s_sub_nc_u64 s[6:7], s[62:63], s[6:7]
	s_mov_b32 s12, exec_lo
                                        ; implicit-def: $vgpr34
	s_wait_alu 0xfffe
	v_cmpx_gt_u64_e64 s[6:7], v[0:1]
	s_cbranch_execz .LBB109_209
; %bb.201:                              ;   in Loop: Header=BB109_15 Depth=1
	v_dual_mov_b32 v7, v1 :: v_dual_mov_b32 v6, v0
	s_mov_b32 s13, 0
                                        ; implicit-def: $sgpr15
	s_branch .LBB109_204
.LBB109_202:                            ;   in Loop: Header=BB109_204 Depth=2
	s_wait_alu 0xfffe
	s_or_b32 exec_lo, exec_lo, s25
	s_wait_loadcnt_dscnt 0x0
	s_barrier_signal -1
	s_barrier_wait -1
	global_inv scope:SCOPE_SE
	ds_load_b32 v8, v3 offset:3072
	s_mov_b32 s58, -1
	s_mov_b32 s25, -1
	s_wait_loadcnt_dscnt 0x0
	s_barrier_signal -1
	s_barrier_wait -1
	global_inv scope:SCOPE_SE
	v_and_b32_e32 v9, 0xffff, v8
	s_delay_alu instid0(VALU_DEP_1)
	v_cmp_eq_u32_e32 vcc_lo, 0, v9
	s_cbranch_vccnz .LBB109_207
.LBB109_203:                            ;   in Loop: Header=BB109_204 Depth=2
	s_wait_alu 0xfffe
	s_and_b32 s58, exec_lo, s58
	s_wait_alu 0xfffe
	s_or_b32 s13, s58, s13
	s_and_not1_b32 s15, s15, exec_lo
	s_and_b32 s25, s25, exec_lo
	s_wait_alu 0xfffe
	s_or_b32 s15, s15, s25
	s_and_not1_b32 exec_lo, exec_lo, s13
	s_cbranch_execz .LBB109_208
.LBB109_204:                            ;   Parent Loop BB109_15 Depth=1
                                        ; =>  This Inner Loop Header: Depth=2
	s_mov_b32 s25, exec_lo
	s_delay_alu instid0(VALU_DEP_1)
	v_cmpx_gt_u64_e64 s[28:29], v[6:7]
	s_cbranch_execz .LBB109_202
; %bb.205:                              ;   in Loop: Header=BB109_204 Depth=2
	v_mul_lo_u32 v10, v7, s44
	v_mul_lo_u32 v11, v6, s45
	v_mad_co_u64_u32 v[8:9], null, v6, s44, 0
	s_delay_alu instid0(VALU_DEP_1) | instskip(NEXT) | instid1(VALU_DEP_1)
	v_add3_u32 v9, v9, v11, v10
	v_lshlrev_b64_e32 v[8:9], 1, v[8:9]
	s_delay_alu instid0(VALU_DEP_1) | instskip(SKIP_1) | instid1(VALU_DEP_2)
	v_add_co_u32 v8, vcc_lo, s52, v8
	s_wait_alu 0xfffd
	v_add_co_ci_u32_e64 v9, null, s53, v9, vcc_lo
	global_load_u16 v8, v[8:9], off
	s_wait_loadcnt 0x0
	v_bfe_i32 v9, v8, 0, 16
	s_delay_alu instid0(VALU_DEP_1) | instskip(NEXT) | instid1(VALU_DEP_1)
	v_add_nc_u32_e32 v9, 0x8000, v9
	v_and_b32_e32 v9, v9, v33
	s_delay_alu instid0(VALU_DEP_1)
	v_cmp_eq_u32_e32 vcc_lo, v9, v30
	s_and_b32 exec_lo, exec_lo, vcc_lo
	s_cbranch_execz .LBB109_202
; %bb.206:                              ;   in Loop: Header=BB109_204 Depth=2
	v_perm_b32 v8, v8, 1, 0x5040100
	ds_store_b32 v3, v8 offset:3072
	s_branch .LBB109_202
.LBB109_207:                            ;   in Loop: Header=BB109_204 Depth=2
	v_add_co_u32 v6, vcc_lo, v6, s54
	s_wait_alu 0xfffd
	v_add_co_ci_u32_e64 v7, null, 0, v7, vcc_lo
	s_mov_b32 s25, 0
	v_cmp_le_u64_e32 vcc_lo, s[6:7], v[6:7]
	s_or_not1_b32 s58, vcc_lo, exec_lo
	s_branch .LBB109_203
.LBB109_208:                            ;   in Loop: Header=BB109_15 Depth=1
	s_or_b32 exec_lo, exec_lo, s13
	v_lshrrev_b32_e32 v34, 16, v8
	s_and_not1_b32 s6, s14, exec_lo
	s_wait_alu 0xfffe
	s_and_b32 s7, s15, exec_lo
	s_wait_alu 0xfffe
	s_or_b32 s14, s6, s7
.LBB109_209:                            ;   in Loop: Header=BB109_15 Depth=1
	s_or_b32 exec_lo, exec_lo, s12
	s_mov_b32 s25, 0
	s_mov_b32 s66, -1
.LBB109_210:                            ;   in Loop: Header=BB109_15 Depth=1
	s_wait_alu 0xfffe
	s_or_not1_b32 s6, s14, exec_lo
.LBB109_211:                            ;   in Loop: Header=BB109_15 Depth=1
	s_wait_alu 0xfffe
	s_or_b32 exec_lo, exec_lo, s68
	s_mov_b32 s7, 0
	s_and_saveexec_b32 s14, s6
	s_cbranch_execz .LBB109_269
; %bb.212:                              ;   in Loop: Header=BB109_15 Depth=1
	v_mov_b32_e32 v6, 1
	v_dual_mov_b32 v7, 0 :: v_dual_mov_b32 v2, 1
	s_xor_b32 s12, s67, -1
	s_wait_alu 0xfffe
	s_and_saveexec_b32 s6, s12
	s_cbranch_execz .LBB109_221
; %bb.213:                              ;   in Loop: Header=BB109_15 Depth=1
	s_mov_b32 s7, exec_lo
	v_cmpx_ge_u64_e64 s[10:11], v[4:5]
	s_wait_alu 0xfffe
	s_xor_b32 s7, exec_lo, s7
	s_cbranch_execz .LBB109_218
; %bb.214:                              ;   in Loop: Header=BB109_15 Depth=1
	ds_load_b64 v[6:7], v3 offset:5120
	s_lshl_b32 s12, 2, s85
	v_or_b32_e32 v33, s16, v33
	s_wait_alu 0xfffe
	v_and_or_b32 v30, v30, s20, s12
	s_wait_dscnt 0x0
	v_cmp_ne_u64_e32 vcc_lo, 0, v[6:7]
	s_cbranch_vccnz .LBB109_218
; %bb.215:                              ;   in Loop: Header=BB109_15 Depth=1
	s_and_saveexec_b32 s12, s2
; %bb.216:                              ;   in Loop: Header=BB109_15 Depth=1
	v_dual_mov_b32 v6, s10 :: v_dual_mov_b32 v7, s11
	ds_store_b64 v3, v[6:7] offset:5128
; %bb.217:                              ;   in Loop: Header=BB109_15 Depth=1
	s_wait_alu 0xfffe
	s_or_b32 exec_lo, exec_lo, s12
	s_wait_loadcnt_dscnt 0x0
	s_barrier_signal -1
	s_barrier_wait -1
	global_inv scope:SCOPE_SE
.LBB109_218:                            ;   in Loop: Header=BB109_15 Depth=1
	s_wait_alu 0xfffe
	s_or_saveexec_b32 s7, s7
	v_mov_b32_e32 v2, 8
	s_mov_b32 s12, 0
	s_wait_alu 0xfffe
	s_xor_b32 exec_lo, exec_lo, s7
; %bb.219:                              ;   in Loop: Header=BB109_15 Depth=1
	v_sub_co_u32 v4, vcc_lo, v4, s10
	s_wait_alu 0xfffd
	v_subrev_co_ci_u32_e64 v5, null, s11, v5, vcc_lo
	v_mov_b32_e32 v2, 0
	s_mov_b32 s12, exec_lo
; %bb.220:                              ;   in Loop: Header=BB109_15 Depth=1
	s_or_b32 exec_lo, exec_lo, s7
	s_delay_alu instid0(VALU_DEP_2)
	v_dual_mov_b32 v7, v5 :: v_dual_mov_b32 v6, v4
	s_wait_alu 0xfffe
	s_and_b32 s7, s12, exec_lo
.LBB109_221:                            ;   in Loop: Header=BB109_15 Depth=1
	s_wait_alu 0xfffe
	s_or_b32 exec_lo, exec_lo, s6
	s_mov_b32 s6, -1
                                        ; implicit-def: $sgpr69
                                        ; implicit-def: $sgpr68
	s_and_saveexec_b32 s15, s7
	s_cbranch_execz .LBB109_268
; %bb.222:                              ;   in Loop: Header=BB109_15 Depth=1
	v_cmp_eq_u64_e32 vcc_lo, 1, v[6:7]
	s_cmp_eq_u64 s[8:9], 1
	s_mov_b32 s7, -1
	s_cselect_b32 s6, -1, 0
                                        ; implicit-def: $sgpr69
                                        ; implicit-def: $sgpr68
	s_wait_alu 0xfffe
	s_and_b32 s20, s6, vcc_lo
	s_wait_alu 0xfffe
	s_and_saveexec_b32 s67, s20
	s_cbranch_execz .LBB109_256
; %bb.223:                              ;   in Loop: Header=BB109_15 Depth=1
	ds_load_b64 v[4:5], v3 offset:5120
	s_wait_loadcnt_dscnt 0x0
	s_barrier_signal -1
	s_barrier_wait -1
	global_inv scope:SCOPE_SE
	v_readfirstlane_b32 s6, v4
	v_readfirstlane_b32 s7, v5
	s_and_saveexec_b32 s10, s3
; %bb.224:                              ;   in Loop: Header=BB109_15 Depth=1
	ds_store_b16 v27, v3
; %bb.225:                              ;   in Loop: Header=BB109_15 Depth=1
	s_wait_alu 0xfffe
	s_or_b32 exec_lo, exec_lo, s10
	v_or_b32_e32 v30, s16, v30
	v_or_b32_e32 v33, s16, v33
	s_mov_b32 s68, -1
	s_mov_b32 s69, 0
	s_cmp_eq_u64 s[6:7], 0
	s_mov_b32 s12, 0
	s_mov_b32 s13, -1
	s_wait_loadcnt_dscnt 0x0
	s_barrier_signal -1
	s_barrier_wait -1
	global_inv scope:SCOPE_SE
                                        ; implicit-def: $vgpr34
	s_cbranch_scc1 .LBB109_241
; %bb.226:                              ;   in Loop: Header=BB109_15 Depth=1
	s_add_nc_u64 s[10:11], s[6:7], s[60:61]
	s_mov_b32 s12, s59
	s_wait_alu 0xfffe
	s_mov_b32 s13, s11
	s_wait_alu 0xfffe
	s_cmp_lg_u64 s[12:13], 0
	s_cbranch_scc0 .LBB109_275
; %bb.227:                              ;   in Loop: Header=BB109_15 Depth=1
	s_cvt_f32_u32 s12, s54
	s_sub_nc_u64 s[70:71], 0, s[54:55]
	s_wait_alu 0xfffe
	s_delay_alu instid0(SALU_CYCLE_1) | instskip(SKIP_1) | instid1(SALU_CYCLE_2)
	s_fmamk_f32 s12, s87, 0x0, s12
	s_wait_alu 0xfffe
	v_s_rcp_f32 s12, s12
	s_delay_alu instid0(TRANS32_DEP_1) | instskip(SKIP_1) | instid1(SALU_CYCLE_2)
	s_mul_f32 s12, s12, 0x5f7ffffc
	s_wait_alu 0xfffe
	s_mul_f32 s13, s12, 0x2f800000
	s_wait_alu 0xfffe
	s_delay_alu instid0(SALU_CYCLE_2) | instskip(SKIP_1) | instid1(SALU_CYCLE_2)
	s_trunc_f32 s13, s13
	s_wait_alu 0xfffe
	s_fmamk_f32 s12, s13, 0xcf800000, s12
	s_cvt_u32_f32 s13, s13
	s_wait_alu 0xfffe
	s_delay_alu instid0(SALU_CYCLE_1) | instskip(SKIP_1) | instid1(SALU_CYCLE_2)
	s_cvt_u32_f32 s12, s12
	s_wait_alu 0xfffe
	s_mul_u64 s[72:73], s[70:71], s[12:13]
	s_wait_alu 0xfffe
	s_mul_hi_u32 s75, s12, s73
	s_mul_i32 s74, s12, s73
	s_mul_hi_u32 s58, s12, s72
	s_mul_i32 s96, s13, s72
	s_wait_alu 0xfffe
	s_add_nc_u64 s[74:75], s[58:59], s[74:75]
	s_mul_hi_u32 s95, s13, s72
	s_mul_hi_u32 s97, s13, s73
	s_wait_alu 0xfffe
	s_add_co_u32 s58, s74, s96
	s_add_co_ci_u32 s58, s75, s95
	s_mul_i32 s72, s13, s73
	s_add_co_ci_u32 s73, s97, 0
	s_wait_alu 0xfffe
	s_add_nc_u64 s[72:73], s[58:59], s[72:73]
	s_wait_alu 0xfffe
	s_add_co_u32 s12, s12, s72
	s_cselect_b32 s58, -1, 0
	s_wait_alu 0xfffe
	s_cmp_lg_u32 s58, 0
	s_add_co_ci_u32 s13, s13, s73
	s_wait_alu 0xfffe
	s_mul_u64 s[70:71], s[70:71], s[12:13]
	s_wait_alu 0xfffe
	s_mul_hi_u32 s73, s12, s71
	s_mul_i32 s72, s12, s71
	s_mul_hi_u32 s58, s12, s70
	s_mul_i32 s75, s13, s70
	s_wait_alu 0xfffe
	s_add_nc_u64 s[72:73], s[58:59], s[72:73]
	s_mul_hi_u32 s74, s13, s70
	s_mul_hi_u32 s95, s13, s71
	s_wait_alu 0xfffe
	s_add_co_u32 s58, s72, s75
	s_add_co_ci_u32 s58, s73, s74
	s_mul_i32 s70, s13, s71
	s_add_co_ci_u32 s71, s95, 0
	s_wait_alu 0xfffe
	s_add_nc_u64 s[70:71], s[58:59], s[70:71]
	s_wait_alu 0xfffe
	s_add_co_u32 s12, s12, s70
	s_cselect_b32 s70, -1, 0
	s_wait_alu 0xfffe
	s_mul_hi_u32 s58, s10, s12
	s_cmp_lg_u32 s70, 0
	s_mul_hi_u32 s72, s11, s12
	s_add_co_ci_u32 s70, s13, s71
	s_mul_i32 s71, s11, s12
	s_wait_alu 0xfffe
	s_mul_hi_u32 s13, s10, s70
	s_mul_i32 s12, s10, s70
	s_mul_hi_u32 s73, s11, s70
	s_wait_alu 0xfffe
	s_add_nc_u64 s[12:13], s[58:59], s[12:13]
	s_mul_i32 s70, s11, s70
	s_wait_alu 0xfffe
	s_add_co_u32 s12, s12, s71
	s_add_co_ci_u32 s58, s13, s72
	s_add_co_ci_u32 s71, s73, 0
	s_wait_alu 0xfffe
	s_add_nc_u64 s[12:13], s[58:59], s[70:71]
	s_wait_alu 0xfffe
	s_mul_u64 s[12:13], s[54:55], s[12:13]
	s_wait_alu 0xfffe
	s_sub_co_u32 s12, s10, s12
	s_cselect_b32 s58, -1, 0
	s_wait_alu 0xfffe
	s_cmp_lg_u32 s58, 0
	s_sub_co_ci_u32 s13, s11, s13
	s_sub_co_u32 s58, s12, s54
	s_cselect_b32 s70, -1, 0
	s_wait_alu 0xfffe
	s_cmp_lg_u32 s70, 0
	s_sub_co_ci_u32 s70, s13, 0
	;; [unrolled: 5-line block ×3, first 2 shown]
	s_cmp_ge_u32 s58, s54
	s_cselect_b32 s73, -1, 0
	s_cmp_eq_u32 s70, 0
	s_wait_alu 0xfffe
	s_cselect_b32 s73, s73, -1
	s_wait_alu 0xfffe
	s_cmp_lg_u32 s73, 0
	s_cselect_b32 s70, s72, s70
	s_cselect_b32 s58, s71, s58
	s_cmp_ge_u32 s12, s54
	s_cselect_b32 s71, -1, 0
	s_cmp_eq_u32 s13, 0
	s_wait_alu 0xfffe
	s_cselect_b32 s71, s71, -1
	s_wait_alu 0xfffe
	s_cmp_lg_u32 s71, 0
	s_cselect_b32 s13, s70, s13
	s_cselect_b32 s12, s58, s12
	s_cbranch_execnz .LBB109_229
.LBB109_228:                            ;   in Loop: Header=BB109_15 Depth=1
	v_cvt_f32_u32_e32 v4, s54
	s_sub_co_i32 s13, 0, s54
	s_delay_alu instid0(VALU_DEP_1) | instskip(NEXT) | instid1(TRANS32_DEP_1)
	v_rcp_iflag_f32_e32 v4, v4
	v_mul_f32_e32 v4, 0x4f7ffffe, v4
	s_delay_alu instid0(VALU_DEP_1) | instskip(NEXT) | instid1(VALU_DEP_1)
	v_cvt_u32_f32_e32 v4, v4
	v_readfirstlane_b32 s12, v4
	s_wait_alu 0xfffe
	s_mul_i32 s13, s13, s12
	s_wait_alu 0xfffe
	s_mul_hi_u32 s13, s12, s13
	s_wait_alu 0xfffe
	s_add_co_i32 s12, s12, s13
	s_wait_alu 0xfffe
	s_mul_hi_u32 s12, s10, s12
	s_wait_alu 0xfffe
	s_mul_i32 s12, s12, s54
	s_wait_alu 0xfffe
	s_sub_co_i32 s12, s10, s12
	s_wait_alu 0xfffe
	s_sub_co_i32 s13, s12, s54
	s_cmp_ge_u32 s12, s54
	s_wait_alu 0xfffe
	s_cselect_b32 s12, s13, s12
	s_wait_alu 0xfffe
	s_sub_co_i32 s13, s12, s54
	s_cmp_ge_u32 s12, s54
	s_wait_alu 0xfffe
	s_cselect_b32 s58, s13, s12
	s_wait_alu 0xfffe
	s_mov_b64 s[12:13], s[58:59]
.LBB109_229:                            ;   in Loop: Header=BB109_15 Depth=1
	s_wait_alu 0xfffe
	s_sub_nc_u64 s[10:11], s[10:11], s[12:13]
	s_mov_b32 s13, 0
	s_mov_b32 s12, 0
	s_mov_b32 s58, exec_lo
                                        ; implicit-def: $vgpr34
	s_wait_alu 0xfffe
	v_cmpx_gt_u64_e64 s[10:11], v[0:1]
	s_cbranch_execz .LBB109_240
; %bb.230:                              ;   in Loop: Header=BB109_15 Depth=1
	v_dual_mov_b32 v8, v26 :: v_dual_mov_b32 v5, v1
	v_mov_b32_e32 v4, v0
                                        ; implicit-def: $sgpr70
	s_branch .LBB109_233
.LBB109_231:                            ;   in Loop: Header=BB109_233 Depth=2
	s_wait_alu 0xfffe
	s_or_b32 exec_lo, exec_lo, s71
	s_wait_loadcnt_dscnt 0x0
	s_barrier_signal -1
	s_barrier_wait -1
	global_inv scope:SCOPE_SE
	ds_load_b32 v9, v3 offset:3072
	s_mov_b32 s71, -1
	s_mov_b32 s72, -1
	s_wait_loadcnt_dscnt 0x0
	s_barrier_signal -1
	s_barrier_wait -1
	global_inv scope:SCOPE_SE
	v_and_b32_e32 v10, 0xffff, v9
	s_delay_alu instid0(VALU_DEP_1)
	v_cmp_ne_u32_e32 vcc_lo, 0, v10
	s_cbranch_vccz .LBB109_236
.LBB109_232:                            ;   in Loop: Header=BB109_233 Depth=2
	s_wait_alu 0xfffe
	s_and_b32 s71, exec_lo, s71
	s_wait_alu 0xfffe
	s_or_b32 s12, s71, s12
	s_and_not1_b32 s70, s70, exec_lo
	s_and_b32 s71, s72, exec_lo
	s_wait_alu 0xfffe
	s_or_b32 s70, s70, s71
	s_and_not1_b32 exec_lo, exec_lo, s12
	s_cbranch_execz .LBB109_239
.LBB109_233:                            ;   Parent Loop BB109_15 Depth=1
                                        ; =>  This Inner Loop Header: Depth=2
	s_mov_b32 s71, exec_lo
	s_delay_alu instid0(VALU_DEP_1)
	v_cmpx_gt_u64_e64 s[6:7], v[4:5]
	s_cbranch_execz .LBB109_231
; %bb.234:                              ;   in Loop: Header=BB109_233 Depth=2
	ds_load_u16 v9, v8
	s_wait_dscnt 0x0
	v_bfe_i32 v10, v9, 0, 16
	s_delay_alu instid0(VALU_DEP_1) | instskip(NEXT) | instid1(VALU_DEP_1)
	v_add_nc_u32_e32 v10, 0x8000, v10
	v_and_b32_e32 v10, v10, v33
	s_delay_alu instid0(VALU_DEP_1)
	v_cmp_eq_u32_e32 vcc_lo, v10, v30
	s_and_b32 exec_lo, exec_lo, vcc_lo
	s_cbranch_execz .LBB109_231
; %bb.235:                              ;   in Loop: Header=BB109_233 Depth=2
	v_perm_b32 v9, v9, 1, 0x5040100
	ds_store_b32 v3, v9 offset:3072
	s_branch .LBB109_231
.LBB109_236:                            ;   in Loop: Header=BB109_233 Depth=2
	v_add_co_u32 v4, vcc_lo, v4, s54
	s_wait_alu 0xfffd
	v_add_co_ci_u32_e64 v5, null, 0, v5, vcc_lo
	v_add_nc_u32_e32 v8, s84, v8
	s_mov_b32 s72, 0
	s_delay_alu instid0(VALU_DEP_2)
	v_cmp_le_u64_e32 vcc_lo, s[10:11], v[4:5]
	s_or_not1_b32 s71, vcc_lo, exec_lo
	s_branch .LBB109_232
.LBB109_237:                            ;   in Loop: Header=BB109_15 Depth=1
                                        ; implicit-def: $sgpr14_sgpr15
	s_branch .LBB109_183
.LBB109_238:                            ;   in Loop: Header=BB109_15 Depth=1
                                        ; implicit-def: $sgpr6_sgpr7
	s_branch .LBB109_199
.LBB109_239:                            ;   in Loop: Header=BB109_15 Depth=1
	s_or_b32 exec_lo, exec_lo, s12
	v_lshrrev_b32_e32 v34, 16, v9
	s_wait_alu 0xfffe
	s_and_b32 s12, s70, exec_lo
.LBB109_240:                            ;   in Loop: Header=BB109_15 Depth=1
	s_or_b32 exec_lo, exec_lo, s58
.LBB109_241:                            ;   in Loop: Header=BB109_15 Depth=1
	s_wait_alu 0xfffe
	s_and_b32 vcc_lo, exec_lo, s13
	s_wait_alu 0xfffe
	s_cbranch_vccz .LBB109_255
; %bb.242:                              ;   in Loop: Header=BB109_15 Depth=1
	s_mov_b32 s6, s59
	s_mov_b32 s7, s63
	s_wait_alu 0xfffe
	s_cmp_lg_u64 s[6:7], 0
	s_cbranch_scc0 .LBB109_276
; %bb.243:                              ;   in Loop: Header=BB109_15 Depth=1
	s_cvt_f32_u32 s6, s54
	s_sub_nc_u64 s[10:11], 0, s[54:55]
	s_wait_alu 0xfffe
	s_delay_alu instid0(SALU_CYCLE_1) | instskip(SKIP_1) | instid1(SALU_CYCLE_2)
	s_fmamk_f32 s6, s87, 0x0, s6
	s_wait_alu 0xfffe
	v_s_rcp_f32 s6, s6
	s_delay_alu instid0(TRANS32_DEP_1) | instskip(SKIP_1) | instid1(SALU_CYCLE_2)
	s_mul_f32 s6, s6, 0x5f7ffffc
	s_wait_alu 0xfffe
	s_mul_f32 s7, s6, 0x2f800000
	s_wait_alu 0xfffe
	s_delay_alu instid0(SALU_CYCLE_2) | instskip(SKIP_1) | instid1(SALU_CYCLE_2)
	s_trunc_f32 s7, s7
	s_wait_alu 0xfffe
	s_fmamk_f32 s6, s7, 0xcf800000, s6
	s_cvt_u32_f32 s7, s7
	s_wait_alu 0xfffe
	s_delay_alu instid0(SALU_CYCLE_1) | instskip(SKIP_1) | instid1(SALU_CYCLE_2)
	s_cvt_u32_f32 s6, s6
	s_wait_alu 0xfffe
	s_mul_u64 s[68:69], s[10:11], s[6:7]
	s_wait_alu 0xfffe
	s_mul_hi_u32 s71, s6, s69
	s_mul_i32 s70, s6, s69
	s_mul_hi_u32 s58, s6, s68
	s_mul_i32 s72, s7, s68
	s_wait_alu 0xfffe
	s_add_nc_u64 s[70:71], s[58:59], s[70:71]
	s_mul_hi_u32 s13, s7, s68
	s_mul_hi_u32 s73, s7, s69
	s_wait_alu 0xfffe
	s_add_co_u32 s58, s70, s72
	s_add_co_ci_u32 s58, s71, s13
	s_mul_i32 s68, s7, s69
	s_add_co_ci_u32 s69, s73, 0
	s_wait_alu 0xfffe
	s_add_nc_u64 s[68:69], s[58:59], s[68:69]
	s_wait_alu 0xfffe
	s_add_co_u32 s6, s6, s68
	s_cselect_b32 s13, -1, 0
	s_wait_alu 0xfffe
	s_cmp_lg_u32 s13, 0
	s_add_co_ci_u32 s7, s7, s69
	s_wait_alu 0xfffe
	s_mul_u64 s[10:11], s[10:11], s[6:7]
	s_wait_alu 0xfffe
	s_mul_hi_u32 s69, s6, s11
	s_mul_i32 s68, s6, s11
	s_mul_hi_u32 s58, s6, s10
	s_mul_i32 s70, s7, s10
	s_wait_alu 0xfffe
	s_add_nc_u64 s[68:69], s[58:59], s[68:69]
	s_mul_hi_u32 s13, s7, s10
	s_mul_hi_u32 s71, s7, s11
	s_mul_i32 s10, s7, s11
	s_wait_alu 0xfffe
	s_add_co_u32 s11, s68, s70
	s_add_co_ci_u32 s58, s69, s13
	s_add_co_ci_u32 s11, s71, 0
	s_wait_alu 0xfffe
	s_add_nc_u64 s[10:11], s[58:59], s[10:11]
	s_wait_alu 0xfffe
	s_add_co_u32 s6, s6, s10
	s_cselect_b32 s10, -1, 0
	s_wait_alu 0xfffe
	s_mul_hi_u32 s58, s62, s6
	s_cmp_lg_u32 s10, 0
	s_mul_hi_u32 s13, s63, s6
	s_add_co_ci_u32 s10, s7, s11
	s_mul_i32 s11, s63, s6
	s_wait_alu 0xfffe
	s_mul_hi_u32 s7, s62, s10
	s_mul_i32 s6, s62, s10
	s_mul_hi_u32 s68, s63, s10
	s_wait_alu 0xfffe
	s_add_nc_u64 s[6:7], s[58:59], s[6:7]
	s_mul_i32 s10, s63, s10
	s_wait_alu 0xfffe
	s_add_co_u32 s6, s6, s11
	s_add_co_ci_u32 s58, s7, s13
	s_add_co_ci_u32 s11, s68, 0
	s_wait_alu 0xfffe
	s_add_nc_u64 s[6:7], s[58:59], s[10:11]
	s_wait_alu 0xfffe
	s_mul_u64 s[6:7], s[54:55], s[6:7]
	s_wait_alu 0xfffe
	s_sub_co_u32 s6, s62, s6
	s_cselect_b32 s10, -1, 0
	s_wait_alu 0xfffe
	s_cmp_lg_u32 s10, 0
	s_sub_co_ci_u32 s7, s63, s7
	s_sub_co_u32 s10, s6, s54
	s_cselect_b32 s11, -1, 0
	s_wait_alu 0xfffe
	s_cmp_lg_u32 s11, 0
	s_sub_co_ci_u32 s11, s7, 0
	;; [unrolled: 5-line block ×3, first 2 shown]
	s_cmp_ge_u32 s10, s54
	s_cselect_b32 s68, -1, 0
	s_cmp_eq_u32 s11, 0
	s_wait_alu 0xfffe
	s_cselect_b32 s68, s68, -1
	s_wait_alu 0xfffe
	s_cmp_lg_u32 s68, 0
	s_cselect_b32 s11, s58, s11
	s_cselect_b32 s10, s13, s10
	s_cmp_ge_u32 s6, s54
	s_cselect_b32 s13, -1, 0
	s_cmp_eq_u32 s7, 0
	s_wait_alu 0xfffe
	s_cselect_b32 s13, s13, -1
	s_wait_alu 0xfffe
	s_cmp_lg_u32 s13, 0
	s_cselect_b32 s7, s11, s7
	s_cselect_b32 s6, s10, s6
	s_cbranch_execnz .LBB109_245
.LBB109_244:                            ;   in Loop: Header=BB109_15 Depth=1
	v_cvt_f32_u32_e32 v4, s54
	s_sub_co_i32 s7, 0, s54
	s_delay_alu instid0(VALU_DEP_1) | instskip(NEXT) | instid1(TRANS32_DEP_1)
	v_rcp_iflag_f32_e32 v4, v4
	v_mul_f32_e32 v4, 0x4f7ffffe, v4
	s_delay_alu instid0(VALU_DEP_1) | instskip(NEXT) | instid1(VALU_DEP_1)
	v_cvt_u32_f32_e32 v4, v4
	v_readfirstlane_b32 s6, v4
	s_wait_alu 0xfffe
	s_mul_i32 s7, s7, s6
	s_wait_alu 0xfffe
	s_mul_hi_u32 s7, s6, s7
	s_wait_alu 0xfffe
	s_add_co_i32 s6, s6, s7
	s_wait_alu 0xfffe
	s_mul_hi_u32 s6, s62, s6
	s_wait_alu 0xfffe
	s_mul_i32 s6, s6, s54
	s_wait_alu 0xfffe
	s_sub_co_i32 s6, s62, s6
	s_wait_alu 0xfffe
	s_sub_co_i32 s7, s6, s54
	s_cmp_ge_u32 s6, s54
	s_wait_alu 0xfffe
	s_cselect_b32 s6, s7, s6
	s_wait_alu 0xfffe
	s_sub_co_i32 s7, s6, s54
	s_cmp_ge_u32 s6, s54
	s_wait_alu 0xfffe
	s_cselect_b32 s58, s7, s6
	s_wait_alu 0xfffe
	s_mov_b64 s[6:7], s[58:59]
.LBB109_245:                            ;   in Loop: Header=BB109_15 Depth=1
	s_wait_alu 0xfffe
	s_sub_nc_u64 s[6:7], s[62:63], s[6:7]
	s_mov_b32 s10, exec_lo
                                        ; implicit-def: $vgpr34
	s_wait_alu 0xfffe
	v_cmpx_gt_u64_e64 s[6:7], v[0:1]
	s_cbranch_execz .LBB109_254
; %bb.246:                              ;   in Loop: Header=BB109_15 Depth=1
	v_dual_mov_b32 v5, v1 :: v_dual_mov_b32 v4, v0
	s_mov_b32 s11, 0
                                        ; implicit-def: $sgpr13
	s_branch .LBB109_249
.LBB109_247:                            ;   in Loop: Header=BB109_249 Depth=2
	s_wait_alu 0xfffe
	s_or_b32 exec_lo, exec_lo, s58
	s_wait_loadcnt_dscnt 0x0
	s_barrier_signal -1
	s_barrier_wait -1
	global_inv scope:SCOPE_SE
	ds_load_b32 v8, v3 offset:3072
	s_mov_b32 s68, -1
	s_mov_b32 s58, -1
	s_wait_loadcnt_dscnt 0x0
	s_barrier_signal -1
	s_barrier_wait -1
	global_inv scope:SCOPE_SE
	v_and_b32_e32 v9, 0xffff, v8
	s_delay_alu instid0(VALU_DEP_1)
	v_cmp_eq_u32_e32 vcc_lo, 0, v9
	s_cbranch_vccnz .LBB109_252
.LBB109_248:                            ;   in Loop: Header=BB109_249 Depth=2
	s_wait_alu 0xfffe
	s_and_b32 s68, exec_lo, s68
	s_wait_alu 0xfffe
	s_or_b32 s11, s68, s11
	s_and_not1_b32 s13, s13, exec_lo
	s_and_b32 s58, s58, exec_lo
	s_wait_alu 0xfffe
	s_or_b32 s13, s13, s58
	s_and_not1_b32 exec_lo, exec_lo, s11
	s_cbranch_execz .LBB109_253
.LBB109_249:                            ;   Parent Loop BB109_15 Depth=1
                                        ; =>  This Inner Loop Header: Depth=2
	s_mov_b32 s58, exec_lo
	s_delay_alu instid0(VALU_DEP_1)
	v_cmpx_gt_u64_e64 s[28:29], v[4:5]
	s_cbranch_execz .LBB109_247
; %bb.250:                              ;   in Loop: Header=BB109_249 Depth=2
	v_mul_lo_u32 v10, v5, s44
	v_mul_lo_u32 v11, v4, s45
	v_mad_co_u64_u32 v[8:9], null, v4, s44, 0
	s_delay_alu instid0(VALU_DEP_1) | instskip(NEXT) | instid1(VALU_DEP_1)
	v_add3_u32 v9, v9, v11, v10
	v_lshlrev_b64_e32 v[8:9], 1, v[8:9]
	s_delay_alu instid0(VALU_DEP_1) | instskip(SKIP_1) | instid1(VALU_DEP_2)
	v_add_co_u32 v8, vcc_lo, s52, v8
	s_wait_alu 0xfffd
	v_add_co_ci_u32_e64 v9, null, s53, v9, vcc_lo
	global_load_u16 v8, v[8:9], off
	s_wait_loadcnt 0x0
	v_bfe_i32 v9, v8, 0, 16
	s_delay_alu instid0(VALU_DEP_1) | instskip(NEXT) | instid1(VALU_DEP_1)
	v_add_nc_u32_e32 v9, 0x8000, v9
	v_and_b32_e32 v9, v9, v33
	s_delay_alu instid0(VALU_DEP_1)
	v_cmp_eq_u32_e32 vcc_lo, v9, v30
	s_and_b32 exec_lo, exec_lo, vcc_lo
	s_cbranch_execz .LBB109_247
; %bb.251:                              ;   in Loop: Header=BB109_249 Depth=2
	v_perm_b32 v8, v8, 1, 0x5040100
	ds_store_b32 v3, v8 offset:3072
	s_branch .LBB109_247
.LBB109_252:                            ;   in Loop: Header=BB109_249 Depth=2
	v_add_co_u32 v4, vcc_lo, v4, s54
	s_wait_alu 0xfffd
	v_add_co_ci_u32_e64 v5, null, 0, v5, vcc_lo
	s_mov_b32 s58, 0
	v_cmp_le_u64_e32 vcc_lo, s[6:7], v[4:5]
	s_or_not1_b32 s68, vcc_lo, exec_lo
	s_branch .LBB109_248
.LBB109_253:                            ;   in Loop: Header=BB109_15 Depth=1
	s_or_b32 exec_lo, exec_lo, s11
	v_lshrrev_b32_e32 v34, 16, v8
	s_and_not1_b32 s6, s12, exec_lo
	s_wait_alu 0xfffe
	s_and_b32 s7, s13, exec_lo
	s_wait_alu 0xfffe
	s_or_b32 s12, s6, s7
.LBB109_254:                            ;   in Loop: Header=BB109_15 Depth=1
	s_or_b32 exec_lo, exec_lo, s10
	s_mov_b32 s68, 0
	s_mov_b32 s69, -1
.LBB109_255:                            ;   in Loop: Header=BB109_15 Depth=1
	s_wait_alu 0xfffe
	s_or_not1_b32 s7, s12, exec_lo
.LBB109_256:                            ;   in Loop: Header=BB109_15 Depth=1
	s_or_b32 exec_lo, exec_lo, s67
	s_mov_b32 s10, 0
	s_wait_alu 0xfffe
	s_and_saveexec_b32 s6, s7
	s_cbranch_execz .LBB109_267
; %bb.257:                              ;   in Loop: Header=BB109_15 Depth=1
	v_mov_b32_e32 v4, 1
	v_dual_mov_b32 v5, 0 :: v_dual_mov_b32 v2, 1
	s_xor_b32 s10, s20, -1
	s_wait_alu 0xfffe
	s_and_saveexec_b32 s7, s10
	s_cbranch_execz .LBB109_266
; %bb.258:                              ;   in Loop: Header=BB109_15 Depth=1
	s_mov_b32 s10, exec_lo
	v_cmpx_ge_u64_e64 s[8:9], v[6:7]
	s_wait_alu 0xfffe
	s_xor_b32 s10, exec_lo, s10
	s_cbranch_execz .LBB109_263
; %bb.259:                              ;   in Loop: Header=BB109_15 Depth=1
	ds_load_b64 v[4:5], v3 offset:5120
	v_or_b32_e32 v30, s16, v30
	v_or_b32_e32 v33, s16, v33
	s_wait_dscnt 0x0
	v_cmp_ne_u64_e32 vcc_lo, 0, v[4:5]
	s_cbranch_vccnz .LBB109_263
; %bb.260:                              ;   in Loop: Header=BB109_15 Depth=1
	s_and_saveexec_b32 s11, s2
; %bb.261:                              ;   in Loop: Header=BB109_15 Depth=1
	v_dual_mov_b32 v4, s8 :: v_dual_mov_b32 v5, s9
	ds_store_b64 v3, v[4:5] offset:5128
; %bb.262:                              ;   in Loop: Header=BB109_15 Depth=1
	s_wait_alu 0xfffe
	s_or_b32 exec_lo, exec_lo, s11
	s_wait_loadcnt_dscnt 0x0
	s_barrier_signal -1
	s_barrier_wait -1
	global_inv scope:SCOPE_SE
.LBB109_263:                            ;   in Loop: Header=BB109_15 Depth=1
	s_wait_alu 0xfffe
	s_and_not1_saveexec_b32 s10, s10
; %bb.264:                              ;   in Loop: Header=BB109_15 Depth=1
	v_sub_co_u32 v6, vcc_lo, v6, s8
	s_wait_alu 0xfffd
	v_subrev_co_ci_u32_e64 v7, null, s9, v7, vcc_lo
; %bb.265:                              ;   in Loop: Header=BB109_15 Depth=1
	s_wait_alu 0xfffe
	s_or_b32 exec_lo, exec_lo, s10
	v_mov_b32_e32 v4, v6
	s_delay_alu instid0(VALU_DEP_2)
	v_dual_mov_b32 v2, 8 :: v_dual_mov_b32 v5, v7
.LBB109_266:                            ;   in Loop: Header=BB109_15 Depth=1
	s_wait_alu 0xfffe
	s_or_b32 exec_lo, exec_lo, s7
	s_delay_alu instid0(VALU_DEP_1)
	v_dual_mov_b32 v7, v5 :: v_dual_mov_b32 v6, v4
	s_mov_b32 s10, exec_lo
.LBB109_267:                            ;   in Loop: Header=BB109_15 Depth=1
	s_wait_alu 0xfffe
	s_or_b32 exec_lo, exec_lo, s6
	s_delay_alu instid0(SALU_CYCLE_1)
	s_or_not1_b32 s6, s10, exec_lo
.LBB109_268:                            ;   in Loop: Header=BB109_15 Depth=1
	s_wait_alu 0xfffe
	s_or_b32 exec_lo, exec_lo, s15
	v_dual_mov_b32 v4, v6 :: v_dual_mov_b32 v5, v7
	s_and_not1_b32 s7, s66, exec_lo
	s_and_b32 s8, s69, exec_lo
	s_and_not1_b32 s9, s25, exec_lo
	s_and_b32 s10, s68, exec_lo
	s_wait_alu 0xfffe
	s_or_b32 s66, s7, s8
	s_or_b32 s25, s9, s10
	s_and_b32 s7, s6, exec_lo
.LBB109_269:                            ;   in Loop: Header=BB109_15 Depth=1
	s_wait_alu 0xfffe
	s_or_b32 exec_lo, exec_lo, s14
	s_delay_alu instid0(SALU_CYCLE_1)
	s_or_not1_b32 s6, s7, exec_lo
.LBB109_270:                            ;   in Loop: Header=BB109_15 Depth=1
	s_wait_alu 0xfffe
	s_or_b32 exec_lo, exec_lo, s24
	v_dual_mov_b32 v9, v5 :: v_dual_mov_b32 v8, v4
	s_and_not1_b32 s7, s22, exec_lo
	s_and_b32 s8, s66, exec_lo
	s_and_not1_b32 s9, s21, exec_lo
	s_and_b32 s10, s25, exec_lo
	s_wait_alu 0xfffe
	s_or_b32 s22, s7, s8
	s_or_b32 s21, s9, s10
	s_and_b32 s7, s6, exec_lo
.LBB109_271:                            ;   in Loop: Header=BB109_15 Depth=1
	s_wait_alu 0xfffe
	s_or_b32 exec_lo, exec_lo, s23
	s_delay_alu instid0(SALU_CYCLE_1)
	s_or_not1_b32 s6, s7, exec_lo
.LBB109_272:                            ;   in Loop: Header=BB109_15 Depth=1
	s_wait_alu 0xfffe
	s_or_b32 exec_lo, exec_lo, s19
	s_mov_b32 s7, 0
	s_and_saveexec_b32 s8, s6
	s_wait_alu 0xfffe
	s_xor_b32 s6, exec_lo, s8
	s_cbranch_execz .LBB109_13
; %bb.273:                              ;   in Loop: Header=BB109_15 Depth=1
	v_and_b32_e32 v2, 7, v2
	s_mov_b32 s8, -1
	s_mov_b32 s7, -1
	s_mov_b32 s9, exec_lo
	s_delay_alu instid0(VALU_DEP_1)
	v_cmpx_eq_u32_e32 0, v2
	s_cbranch_execz .LBB109_12
; %bb.274:                              ;   in Loop: Header=BB109_15 Depth=1
	s_xor_b32 s88, s88, 1
	s_add_co_i32 s10, s85, -2
	s_cmp_eq_u32 s85, 0
	s_wait_alu 0xfffe
	s_mov_b32 s85, s10
	s_cselect_b32 s8, -1, 0
	s_xor_b32 s7, exec_lo, -1
	s_wait_alu 0xfffe
	s_or_not1_b32 s8, s8, exec_lo
	s_branch .LBB109_12
.LBB109_275:                            ;   in Loop: Header=BB109_15 Depth=1
                                        ; implicit-def: $sgpr12_sgpr13
	s_branch .LBB109_228
.LBB109_276:                            ;   in Loop: Header=BB109_15 Depth=1
                                        ; implicit-def: $sgpr6_sgpr7
	s_branch .LBB109_244
.LBB109_277:
	s_or_b32 exec_lo, exec_lo, s86
	s_wait_alu 0xfffe
	s_xor_b32 s4, s94, -1
	s_xor_b32 s1, s92, -1
	;; [unrolled: 1-line block ×3, first 2 shown]
	s_mov_b32 s2, 0
	s_and_saveexec_b32 s5, s1
	s_wait_alu 0xfffe
	s_xor_b32 s1, exec_lo, s5
	s_cbranch_execnz .LBB109_284
; %bb.278:
	s_and_not1_saveexec_b32 s0, s1
	s_cbranch_execnz .LBB109_297
.LBB109_279:
	s_or_b32 exec_lo, exec_lo, s0
	s_and_saveexec_b32 s0, s2
.LBB109_280:
	; divergent unreachable
.LBB109_281:
	s_endpgm
.LBB109_282:
	v_cvt_f32_u32_e32 v1, s30
	s_sub_co_i32 s3, 0, s30
	s_mov_b32 s35, 0
	s_delay_alu instid0(VALU_DEP_1) | instskip(NEXT) | instid1(TRANS32_DEP_1)
	v_rcp_iflag_f32_e32 v1, v1
	v_mul_f32_e32 v1, 0x4f7ffffe, v1
	s_delay_alu instid0(VALU_DEP_1) | instskip(NEXT) | instid1(VALU_DEP_1)
	v_cvt_u32_f32_e32 v1, v1
	v_readfirstlane_b32 s2, v1
	s_mul_i32 s3, s3, s2
	s_delay_alu instid0(SALU_CYCLE_1) | instskip(NEXT) | instid1(SALU_CYCLE_1)
	s_mul_hi_u32 s3, s2, s3
	s_add_co_i32 s2, s2, s3
	s_delay_alu instid0(SALU_CYCLE_1) | instskip(NEXT) | instid1(SALU_CYCLE_1)
	s_mul_hi_u32 s2, s26, s2
	s_mul_i32 s3, s2, s30
	s_add_co_i32 s4, s2, 1
	s_sub_co_i32 s3, s26, s3
	s_delay_alu instid0(SALU_CYCLE_1)
	s_sub_co_i32 s5, s3, s30
	s_cmp_ge_u32 s3, s30
	s_cselect_b32 s2, s4, s2
	s_cselect_b32 s3, s5, s3
	s_add_co_i32 s4, s2, 1
	s_cmp_ge_u32 s3, s30
	s_cselect_b32 s34, s4, s2
	s_wait_kmcnt 0x0
	v_cmp_lt_u64_e64 s2, s[26:27], s[12:13]
	s_mov_b64 s[14:15], 0
	s_and_b32 vcc_lo, exec_lo, s2
	s_cbranch_vccnz .LBB109_5
.LBB109_283:
	v_cvt_f32_u32_e32 v1, s12
	s_sub_co_i32 s3, 0, s12
	s_mov_b32 s15, 0
	s_delay_alu instid0(VALU_DEP_1) | instskip(NEXT) | instid1(TRANS32_DEP_1)
	v_rcp_iflag_f32_e32 v1, v1
	v_mul_f32_e32 v1, 0x4f7ffffe, v1
	s_delay_alu instid0(VALU_DEP_1) | instskip(NEXT) | instid1(VALU_DEP_1)
	v_cvt_u32_f32_e32 v1, v1
	v_readfirstlane_b32 s2, v1
	s_mul_i32 s3, s3, s2
	s_delay_alu instid0(SALU_CYCLE_1) | instskip(NEXT) | instid1(SALU_CYCLE_1)
	s_mul_hi_u32 s3, s2, s3
	s_add_co_i32 s2, s2, s3
	s_delay_alu instid0(SALU_CYCLE_1) | instskip(NEXT) | instid1(SALU_CYCLE_1)
	s_mul_hi_u32 s2, s26, s2
	s_mul_i32 s3, s2, s12
	s_add_co_i32 s4, s2, 1
	s_sub_co_i32 s3, s26, s3
	s_delay_alu instid0(SALU_CYCLE_1)
	s_sub_co_i32 s5, s3, s12
	s_cmp_ge_u32 s3, s12
	s_cselect_b32 s2, s4, s2
	s_cselect_b32 s3, s5, s3
	s_add_co_i32 s4, s2, 1
	s_cmp_ge_u32 s3, s12
	s_cselect_b32 s14, s4, s2
	v_cmp_eq_u32_e64 s2, 0, v0
	s_and_saveexec_b32 s3, s2
	s_cbranch_execnz .LBB109_6
	s_branch .LBB109_7
.LBB109_284:
	s_and_saveexec_b32 s2, s4
	s_delay_alu instid0(SALU_CYCLE_1)
	s_xor_b32 s2, exec_lo, s2
	s_cbranch_execz .LBB109_295
; %bb.285:
	s_and_saveexec_b32 s4, s3
	s_wait_alu 0xfffe
	s_xor_b32 s3, exec_lo, s4
; %bb.286:
	v_xor_b32_e32 v34, 0xffff8000, v30
; %bb.287:
	s_or_b32 exec_lo, exec_lo, s3
	s_mul_u64 s[4:5], s[48:49], s[46:47]
	s_mul_u64 s[6:7], s[48:49], s[40:41]
	s_wait_alu 0xfffe
	s_sub_nc_u64 s[4:5], s[26:27], s[4:5]
	s_lshl_b64 s[6:7], s[6:7], 1
	s_wait_alu 0xfffe
	s_mul_u64 s[4:5], s[4:5], s[42:43]
	v_mov_b32_e32 v2, 0
	s_add_nc_u64 s[6:7], s[56:57], s[6:7]
	s_wait_alu 0xfffe
	s_lshl_b64 s[4:5], s[4:5], 1
	s_wait_alu 0xfffe
	s_add_nc_u64 s[4:5], s[6:7], s[4:5]
	global_store_b16 v2, v34, s[4:5]
	s_and_saveexec_b32 s3, s0
	s_cbranch_execz .LBB109_294
; %bb.288:
	s_mov_b32 s0, 0
                                        ; implicit-def: $sgpr4
                                        ; implicit-def: $sgpr6
                                        ; implicit-def: $sgpr5
	s_branch .LBB109_290
.LBB109_289:                            ;   in Loop: Header=BB109_290 Depth=1
	s_wait_alu 0xfffe
	s_or_b32 exec_lo, exec_lo, s7
	s_delay_alu instid0(SALU_CYCLE_1)
	s_and_b32 s7, exec_lo, s6
	s_wait_alu 0xfffe
	s_or_b32 s0, s7, s0
	s_and_not1_b32 s4, s4, exec_lo
	s_and_b32 s7, s5, exec_lo
	s_wait_alu 0xfffe
	s_or_b32 s4, s4, s7
	s_and_not1_b32 exec_lo, exec_lo, s0
	s_cbranch_execz .LBB109_292
.LBB109_290:                            ; =>This Inner Loop Header: Depth=1
	v_dual_mov_b32 v3, v1 :: v_dual_mov_b32 v2, v0
	s_wait_alu 0xfffe
	s_or_b32 s5, s5, exec_lo
	s_or_b32 s6, s6, exec_lo
	s_delay_alu instid0(VALU_DEP_1) | instskip(SKIP_2) | instid1(VALU_DEP_1)
	v_mul_lo_u32 v4, v3, s44
	v_mul_lo_u32 v5, v2, s45
	v_mad_co_u64_u32 v[0:1], null, v2, s44, 0
	v_add3_u32 v1, v1, v5, v4
	s_delay_alu instid0(VALU_DEP_1) | instskip(NEXT) | instid1(VALU_DEP_1)
	v_lshlrev_b64_e32 v[0:1], 1, v[0:1]
	v_add_co_u32 v0, vcc_lo, s52, v0
	s_wait_alu 0xfffd
	s_delay_alu instid0(VALU_DEP_2)
	v_add_co_ci_u32_e64 v1, null, s53, v1, vcc_lo
	global_load_u16 v0, v[0:1], off
	s_wait_loadcnt 0x0
	v_cmp_ne_u16_e32 vcc_lo, v0, v34
                                        ; implicit-def: $vgpr0_vgpr1
	s_and_saveexec_b32 s7, vcc_lo
	s_cbranch_execz .LBB109_289
; %bb.291:                              ;   in Loop: Header=BB109_290 Depth=1
	v_add_co_u32 v0, vcc_lo, v2, s54
	s_wait_alu 0xfffd
	v_add_co_ci_u32_e64 v1, null, 0, v3, vcc_lo
	s_wait_alu 0xfffe
	s_and_not1_b32 s6, s6, exec_lo
	s_and_not1_b32 s5, s5, exec_lo
	s_delay_alu instid0(VALU_DEP_1)
	v_cmp_le_u64_e32 vcc_lo, s[28:29], v[0:1]
	s_and_b32 s8, vcc_lo, exec_lo
	s_wait_alu 0xfffe
	s_or_b32 s6, s6, s8
	s_branch .LBB109_289
.LBB109_292:
	s_or_b32 exec_lo, exec_lo, s0
	s_wait_alu 0xfffe
	s_and_saveexec_b32 s0, s4
	s_delay_alu instid0(SALU_CYCLE_1)
	s_xor_b32 s0, exec_lo, s0
	s_cbranch_execz .LBB109_294
; %bb.293:
	s_mul_u64 s[4:5], s[34:35], s[30:31]
	s_mul_u64 s[6:7], s[34:35], s[36:37]
	s_wait_alu 0xfffe
	s_sub_nc_u64 s[4:5], s[26:27], s[4:5]
	s_lshl_b64 s[6:7], s[6:7], 3
	s_wait_alu 0xfffe
	s_mul_u64 s[4:5], s[4:5], s[38:39]
	v_mov_b32_e32 v0, 0
	s_add_nc_u64 s[6:7], s[50:51], s[6:7]
	s_wait_alu 0xfffe
	s_lshl_b64 s[4:5], s[4:5], 3
	s_wait_alu 0xfffe
	s_add_nc_u64 s[4:5], s[6:7], s[4:5]
	global_store_b64 v0, v[2:3], s[4:5]
.LBB109_294:
	s_or_b32 exec_lo, exec_lo, s3
.LBB109_295:
	s_or_saveexec_b32 s0, s2
	s_mov_b32 s2, 0
	s_xor_b32 exec_lo, exec_lo, s0
	s_cbranch_execnz .LBB109_298
.LBB109_296:
	s_or_b32 exec_lo, exec_lo, s0
	s_delay_alu instid0(SALU_CYCLE_1)
	s_and_b32 s2, s2, exec_lo
	s_and_not1_saveexec_b32 s0, s1
	s_cbranch_execz .LBB109_279
.LBB109_297:
	s_or_b32 s2, s2, exec_lo
	s_trap 2
	s_or_b32 exec_lo, exec_lo, s0
	s_and_saveexec_b32 s0, s2
	s_cbranch_execnz .LBB109_280
	s_branch .LBB109_281
.LBB109_298:
	s_mov_b32 s2, exec_lo
	s_trap 2
	s_branch .LBB109_296
	.section	.rodata,"a",@progbits
	.p2align	6, 0x0
	.amdhsa_kernel _ZN2at6native12_GLOBAL__N_112gatherMedianIsmLi2EEEvNS_4cuda6detail10TensorInfoIT_T0_EENS5_IlS7_EENS5_IKS6_S7_EES7_S7_S7_b
		.amdhsa_group_segment_fixed_size 5152
		.amdhsa_private_segment_fixed_size 0
		.amdhsa_kernarg_size 1536
		.amdhsa_user_sgpr_count 2
		.amdhsa_user_sgpr_dispatch_ptr 0
		.amdhsa_user_sgpr_queue_ptr 0
		.amdhsa_user_sgpr_kernarg_segment_ptr 1
		.amdhsa_user_sgpr_dispatch_id 0
		.amdhsa_user_sgpr_private_segment_size 0
		.amdhsa_wavefront_size32 1
		.amdhsa_uses_dynamic_stack 0
		.amdhsa_enable_private_segment 0
		.amdhsa_system_sgpr_workgroup_id_x 1
		.amdhsa_system_sgpr_workgroup_id_y 1
		.amdhsa_system_sgpr_workgroup_id_z 1
		.amdhsa_system_sgpr_workgroup_info 0
		.amdhsa_system_vgpr_workitem_id 0
		.amdhsa_next_free_vgpr 44
		.amdhsa_next_free_sgpr 100
		.amdhsa_reserve_vcc 1
		.amdhsa_float_round_mode_32 0
		.amdhsa_float_round_mode_16_64 0
		.amdhsa_float_denorm_mode_32 3
		.amdhsa_float_denorm_mode_16_64 3
		.amdhsa_fp16_overflow 0
		.amdhsa_workgroup_processor_mode 1
		.amdhsa_memory_ordered 1
		.amdhsa_forward_progress 1
		.amdhsa_inst_pref_size 147
		.amdhsa_round_robin_scheduling 0
		.amdhsa_exception_fp_ieee_invalid_op 0
		.amdhsa_exception_fp_denorm_src 0
		.amdhsa_exception_fp_ieee_div_zero 0
		.amdhsa_exception_fp_ieee_overflow 0
		.amdhsa_exception_fp_ieee_underflow 0
		.amdhsa_exception_fp_ieee_inexact 0
		.amdhsa_exception_int_div_zero 0
	.end_amdhsa_kernel
	.section	.text._ZN2at6native12_GLOBAL__N_112gatherMedianIsmLi2EEEvNS_4cuda6detail10TensorInfoIT_T0_EENS5_IlS7_EENS5_IKS6_S7_EES7_S7_S7_b,"axG",@progbits,_ZN2at6native12_GLOBAL__N_112gatherMedianIsmLi2EEEvNS_4cuda6detail10TensorInfoIT_T0_EENS5_IlS7_EENS5_IKS6_S7_EES7_S7_S7_b,comdat
.Lfunc_end109:
	.size	_ZN2at6native12_GLOBAL__N_112gatherMedianIsmLi2EEEvNS_4cuda6detail10TensorInfoIT_T0_EENS5_IlS7_EENS5_IKS6_S7_EES7_S7_S7_b, .Lfunc_end109-_ZN2at6native12_GLOBAL__N_112gatherMedianIsmLi2EEEvNS_4cuda6detail10TensorInfoIT_T0_EENS5_IlS7_EENS5_IKS6_S7_EES7_S7_S7_b
                                        ; -- End function
	.set _ZN2at6native12_GLOBAL__N_112gatherMedianIsmLi2EEEvNS_4cuda6detail10TensorInfoIT_T0_EENS5_IlS7_EENS5_IKS6_S7_EES7_S7_S7_b.num_vgpr, 44
	.set _ZN2at6native12_GLOBAL__N_112gatherMedianIsmLi2EEEvNS_4cuda6detail10TensorInfoIT_T0_EENS5_IlS7_EENS5_IKS6_S7_EES7_S7_S7_b.num_agpr, 0
	.set _ZN2at6native12_GLOBAL__N_112gatherMedianIsmLi2EEEvNS_4cuda6detail10TensorInfoIT_T0_EENS5_IlS7_EENS5_IKS6_S7_EES7_S7_S7_b.numbered_sgpr, 100
	.set _ZN2at6native12_GLOBAL__N_112gatherMedianIsmLi2EEEvNS_4cuda6detail10TensorInfoIT_T0_EENS5_IlS7_EENS5_IKS6_S7_EES7_S7_S7_b.num_named_barrier, 0
	.set _ZN2at6native12_GLOBAL__N_112gatherMedianIsmLi2EEEvNS_4cuda6detail10TensorInfoIT_T0_EENS5_IlS7_EENS5_IKS6_S7_EES7_S7_S7_b.private_seg_size, 0
	.set _ZN2at6native12_GLOBAL__N_112gatherMedianIsmLi2EEEvNS_4cuda6detail10TensorInfoIT_T0_EENS5_IlS7_EENS5_IKS6_S7_EES7_S7_S7_b.uses_vcc, 1
	.set _ZN2at6native12_GLOBAL__N_112gatherMedianIsmLi2EEEvNS_4cuda6detail10TensorInfoIT_T0_EENS5_IlS7_EENS5_IKS6_S7_EES7_S7_S7_b.uses_flat_scratch, 0
	.set _ZN2at6native12_GLOBAL__N_112gatherMedianIsmLi2EEEvNS_4cuda6detail10TensorInfoIT_T0_EENS5_IlS7_EENS5_IKS6_S7_EES7_S7_S7_b.has_dyn_sized_stack, 0
	.set _ZN2at6native12_GLOBAL__N_112gatherMedianIsmLi2EEEvNS_4cuda6detail10TensorInfoIT_T0_EENS5_IlS7_EENS5_IKS6_S7_EES7_S7_S7_b.has_recursion, 0
	.set _ZN2at6native12_GLOBAL__N_112gatherMedianIsmLi2EEEvNS_4cuda6detail10TensorInfoIT_T0_EENS5_IlS7_EENS5_IKS6_S7_EES7_S7_S7_b.has_indirect_call, 0
	.section	.AMDGPU.csdata,"",@progbits
; Kernel info:
; codeLenInByte = 18708
; TotalNumSgprs: 102
; NumVgprs: 44
; ScratchSize: 0
; MemoryBound: 0
; FloatMode: 240
; IeeeMode: 1
; LDSByteSize: 5152 bytes/workgroup (compile time only)
; SGPRBlocks: 0
; VGPRBlocks: 5
; NumSGPRsForWavesPerEU: 102
; NumVGPRsForWavesPerEU: 44
; Occupancy: 16
; WaveLimiterHint : 1
; COMPUTE_PGM_RSRC2:SCRATCH_EN: 0
; COMPUTE_PGM_RSRC2:USER_SGPR: 2
; COMPUTE_PGM_RSRC2:TRAP_HANDLER: 0
; COMPUTE_PGM_RSRC2:TGID_X_EN: 1
; COMPUTE_PGM_RSRC2:TGID_Y_EN: 1
; COMPUTE_PGM_RSRC2:TGID_Z_EN: 1
; COMPUTE_PGM_RSRC2:TIDIG_COMP_CNT: 0
	.section	.text._ZN2at6native12_GLOBAL__N_112gatherMedianIsmLi3EEEvNS_4cuda6detail10TensorInfoIT_T0_EENS5_IlS7_EENS5_IKS6_S7_EES7_S7_S7_b,"axG",@progbits,_ZN2at6native12_GLOBAL__N_112gatherMedianIsmLi3EEEvNS_4cuda6detail10TensorInfoIT_T0_EENS5_IlS7_EENS5_IKS6_S7_EES7_S7_S7_b,comdat
	.globl	_ZN2at6native12_GLOBAL__N_112gatherMedianIsmLi3EEEvNS_4cuda6detail10TensorInfoIT_T0_EENS5_IlS7_EENS5_IKS6_S7_EES7_S7_S7_b ; -- Begin function _ZN2at6native12_GLOBAL__N_112gatherMedianIsmLi3EEEvNS_4cuda6detail10TensorInfoIT_T0_EENS5_IlS7_EENS5_IKS6_S7_EES7_S7_S7_b
	.p2align	8
	.type	_ZN2at6native12_GLOBAL__N_112gatherMedianIsmLi3EEEvNS_4cuda6detail10TensorInfoIT_T0_EENS5_IlS7_EENS5_IKS6_S7_EES7_S7_S7_b,@function
_ZN2at6native12_GLOBAL__N_112gatherMedianIsmLi3EEEvNS_4cuda6detail10TensorInfoIT_T0_EENS5_IlS7_EENS5_IKS6_S7_EES7_S7_S7_b: ; @_ZN2at6native12_GLOBAL__N_112gatherMedianIsmLi3EEEvNS_4cuda6detail10TensorInfoIT_T0_EENS5_IlS7_EENS5_IKS6_S7_EES7_S7_S7_b
; %bb.0:
	s_clause 0x1
	s_load_b64 s[12:13], s[0:1], 0x500
	s_load_b128 s[28:31], s[0:1], 0x4e0
	s_lshr_b32 s2, ttmp7, 16
	s_and_b32 s3, ttmp7, 0xffff
	s_mov_b32 s27, 0
	s_wait_kmcnt 0x0
	s_mul_i32 s2, s13, s2
	s_delay_alu instid0(SALU_CYCLE_1) | instskip(NEXT) | instid1(SALU_CYCLE_1)
	s_add_co_i32 s2, s2, s3
	s_mul_i32 s2, s2, s12
	s_delay_alu instid0(SALU_CYCLE_1) | instskip(NEXT) | instid1(SALU_CYCLE_1)
	s_add_co_i32 s26, s2, ttmp9
	v_cmp_le_u64_e64 s2, s[30:31], s[26:27]
	s_and_b32 vcc_lo, exec_lo, s2
	s_cbranch_vccnz .LBB110_289
; %bb.1:
	s_load_b128 s[40:43], s[0:1], 0x10
	s_mov_b64 s[54:55], 0
	s_mov_b64 s[52:53], 0
	s_wait_kmcnt 0x0
	v_cmp_lt_u64_e64 s2, s[26:27], s[42:43]
	s_and_b32 vcc_lo, exec_lo, s2
	s_cbranch_vccnz .LBB110_3
; %bb.2:
	v_cvt_f32_u32_e32 v1, s42
	s_sub_co_i32 s3, 0, s42
	s_mov_b32 s53, 0
	s_delay_alu instid0(VALU_DEP_1) | instskip(NEXT) | instid1(TRANS32_DEP_1)
	v_rcp_iflag_f32_e32 v1, v1
	v_mul_f32_e32 v1, 0x4f7ffffe, v1
	s_delay_alu instid0(VALU_DEP_1) | instskip(NEXT) | instid1(VALU_DEP_1)
	v_cvt_u32_f32_e32 v1, v1
	v_readfirstlane_b32 s2, v1
	s_mul_i32 s3, s3, s2
	s_delay_alu instid0(SALU_CYCLE_1) | instskip(NEXT) | instid1(SALU_CYCLE_1)
	s_mul_hi_u32 s3, s2, s3
	s_add_co_i32 s2, s2, s3
	s_delay_alu instid0(SALU_CYCLE_1) | instskip(NEXT) | instid1(SALU_CYCLE_1)
	s_mul_hi_u32 s2, s26, s2
	s_mul_i32 s3, s2, s42
	s_add_co_i32 s4, s2, 1
	s_sub_co_i32 s3, s26, s3
	s_delay_alu instid0(SALU_CYCLE_1)
	s_sub_co_i32 s5, s3, s42
	s_cmp_ge_u32 s3, s42
	s_cselect_b32 s2, s4, s2
	s_cselect_b32 s3, s5, s3
	s_add_co_i32 s4, s2, 1
	s_cmp_ge_u32 s3, s42
	s_cselect_b32 s52, s4, s2
.LBB110_3:
	s_load_b128 s[36:39], s[0:1], 0x1b0
	v_cmp_lt_u64_e64 s2, s[52:53], s[40:41]
	s_and_b32 vcc_lo, exec_lo, s2
	s_cbranch_vccnz .LBB110_5
; %bb.4:
	v_cvt_f32_u32_e32 v1, s40
	s_sub_co_i32 s3, 0, s40
	s_mov_b32 s55, 0
	s_delay_alu instid0(VALU_DEP_1) | instskip(NEXT) | instid1(TRANS32_DEP_1)
	v_rcp_iflag_f32_e32 v1, v1
	v_mul_f32_e32 v1, 0x4f7ffffe, v1
	s_delay_alu instid0(VALU_DEP_1) | instskip(NEXT) | instid1(VALU_DEP_1)
	v_cvt_u32_f32_e32 v1, v1
	v_readfirstlane_b32 s2, v1
	s_mul_i32 s3, s3, s2
	s_delay_alu instid0(SALU_CYCLE_1) | instskip(NEXT) | instid1(SALU_CYCLE_1)
	s_mul_hi_u32 s3, s2, s3
	s_add_co_i32 s2, s2, s3
	s_delay_alu instid0(SALU_CYCLE_1) | instskip(NEXT) | instid1(SALU_CYCLE_1)
	s_mul_hi_u32 s2, s52, s2
	s_mul_i32 s3, s2, s40
	s_add_co_i32 s4, s2, 1
	s_sub_co_i32 s3, s52, s3
	s_delay_alu instid0(SALU_CYCLE_1)
	s_sub_co_i32 s5, s3, s40
	s_cmp_ge_u32 s3, s40
	s_cselect_b32 s2, s4, s2
	s_cselect_b32 s3, s5, s3
	s_add_co_i32 s4, s2, 1
	s_cmp_ge_u32 s3, s40
	s_cselect_b32 s54, s4, s2
.LBB110_5:
	s_wait_kmcnt 0x0
	v_cmp_lt_u64_e64 s2, s[26:27], s[38:39]
	s_mov_b64 s[34:35], 0
	s_mov_b64 s[30:31], 0
	s_and_b32 vcc_lo, exec_lo, s2
	s_cbranch_vccnz .LBB110_7
; %bb.6:
	v_cvt_f32_u32_e32 v1, s38
	s_sub_co_i32 s3, 0, s38
	s_mov_b32 s31, 0
	s_delay_alu instid0(VALU_DEP_1) | instskip(NEXT) | instid1(TRANS32_DEP_1)
	v_rcp_iflag_f32_e32 v1, v1
	v_mul_f32_e32 v1, 0x4f7ffffe, v1
	s_delay_alu instid0(VALU_DEP_1) | instskip(NEXT) | instid1(VALU_DEP_1)
	v_cvt_u32_f32_e32 v1, v1
	v_readfirstlane_b32 s2, v1
	s_mul_i32 s3, s3, s2
	s_delay_alu instid0(SALU_CYCLE_1) | instskip(NEXT) | instid1(SALU_CYCLE_1)
	s_mul_hi_u32 s3, s2, s3
	s_add_co_i32 s2, s2, s3
	s_delay_alu instid0(SALU_CYCLE_1) | instskip(NEXT) | instid1(SALU_CYCLE_1)
	s_mul_hi_u32 s2, s26, s2
	s_mul_i32 s3, s2, s38
	s_add_co_i32 s4, s2, 1
	s_sub_co_i32 s3, s26, s3
	s_delay_alu instid0(SALU_CYCLE_1)
	s_sub_co_i32 s5, s3, s38
	s_cmp_ge_u32 s3, s38
	s_cselect_b32 s2, s4, s2
	s_cselect_b32 s3, s5, s3
	s_add_co_i32 s4, s2, 1
	s_cmp_ge_u32 s3, s38
	s_cselect_b32 s30, s4, s2
.LBB110_7:
	s_load_b128 s[4:7], s[0:1], 0x350
	v_cmp_lt_u64_e64 s2, s[30:31], s[36:37]
	s_and_b32 vcc_lo, exec_lo, s2
	s_cbranch_vccnz .LBB110_9
; %bb.8:
	v_cvt_f32_u32_e32 v1, s36
	s_sub_co_i32 s3, 0, s36
	s_mov_b32 s35, 0
	s_delay_alu instid0(VALU_DEP_1) | instskip(NEXT) | instid1(TRANS32_DEP_1)
	v_rcp_iflag_f32_e32 v1, v1
	v_mul_f32_e32 v1, 0x4f7ffffe, v1
	s_delay_alu instid0(VALU_DEP_1) | instskip(NEXT) | instid1(VALU_DEP_1)
	v_cvt_u32_f32_e32 v1, v1
	v_readfirstlane_b32 s2, v1
	s_mul_i32 s3, s3, s2
	s_delay_alu instid0(SALU_CYCLE_1) | instskip(NEXT) | instid1(SALU_CYCLE_1)
	s_mul_hi_u32 s3, s2, s3
	s_add_co_i32 s2, s2, s3
	s_delay_alu instid0(SALU_CYCLE_1) | instskip(NEXT) | instid1(SALU_CYCLE_1)
	s_mul_hi_u32 s2, s30, s2
	s_mul_i32 s3, s2, s36
	s_add_co_i32 s8, s2, 1
	s_sub_co_i32 s3, s30, s3
	s_delay_alu instid0(SALU_CYCLE_1)
	s_sub_co_i32 s9, s3, s36
	s_cmp_ge_u32 s3, s36
	s_cselect_b32 s2, s8, s2
	s_cselect_b32 s3, s9, s3
	s_add_co_i32 s8, s2, 1
	s_cmp_ge_u32 s3, s36
	s_cselect_b32 s34, s8, s2
.LBB110_9:
	s_load_b64 s[56:57], s[0:1], 0x4f0
	s_wait_kmcnt 0x0
	v_cmp_lt_u64_e64 s2, s[26:27], s[6:7]
	s_mov_b64 s[16:17], 0
	s_mov_b64 s[18:19], 0
	s_and_b32 vcc_lo, exec_lo, s2
	s_cbranch_vccnz .LBB110_11
; %bb.10:
	v_cvt_f32_u32_e32 v1, s6
	s_sub_co_i32 s3, 0, s6
	s_mov_b32 s19, 0
	s_delay_alu instid0(VALU_DEP_1) | instskip(NEXT) | instid1(TRANS32_DEP_1)
	v_rcp_iflag_f32_e32 v1, v1
	v_mul_f32_e32 v1, 0x4f7ffffe, v1
	s_delay_alu instid0(VALU_DEP_1) | instskip(NEXT) | instid1(VALU_DEP_1)
	v_cvt_u32_f32_e32 v1, v1
	v_readfirstlane_b32 s2, v1
	s_mul_i32 s3, s3, s2
	s_delay_alu instid0(SALU_CYCLE_1) | instskip(NEXT) | instid1(SALU_CYCLE_1)
	s_mul_hi_u32 s3, s2, s3
	s_add_co_i32 s2, s2, s3
	s_delay_alu instid0(SALU_CYCLE_1) | instskip(NEXT) | instid1(SALU_CYCLE_1)
	s_mul_hi_u32 s2, s26, s2
	s_mul_i32 s3, s2, s6
	s_add_co_i32 s8, s2, 1
	s_sub_co_i32 s3, s26, s3
	s_delay_alu instid0(SALU_CYCLE_1)
	s_sub_co_i32 s9, s3, s6
	s_cmp_ge_u32 s3, s6
	s_cselect_b32 s2, s8, s2
	s_cselect_b32 s3, s9, s3
	s_add_co_i32 s8, s2, 1
	s_cmp_ge_u32 s3, s6
	s_cselect_b32 s18, s8, s2
.LBB110_11:
	s_delay_alu instid0(SALU_CYCLE_1)
	v_cmp_lt_u64_e64 s2, s[18:19], s[4:5]
	s_and_b32 vcc_lo, exec_lo, s2
	s_cbranch_vccnz .LBB110_13
; %bb.12:
	v_cvt_f32_u32_e32 v1, s4
	s_sub_co_i32 s3, 0, s4
	s_mov_b32 s17, 0
	s_delay_alu instid0(VALU_DEP_1) | instskip(NEXT) | instid1(TRANS32_DEP_1)
	v_rcp_iflag_f32_e32 v1, v1
	v_mul_f32_e32 v1, 0x4f7ffffe, v1
	s_delay_alu instid0(VALU_DEP_1) | instskip(NEXT) | instid1(VALU_DEP_1)
	v_cvt_u32_f32_e32 v1, v1
	v_readfirstlane_b32 s2, v1
	s_mul_i32 s3, s3, s2
	s_delay_alu instid0(SALU_CYCLE_1) | instskip(NEXT) | instid1(SALU_CYCLE_1)
	s_mul_hi_u32 s3, s2, s3
	s_add_co_i32 s2, s2, s3
	s_delay_alu instid0(SALU_CYCLE_1) | instskip(NEXT) | instid1(SALU_CYCLE_1)
	s_mul_hi_u32 s2, s18, s2
	s_mul_i32 s3, s2, s4
	s_add_co_i32 s8, s2, 1
	s_sub_co_i32 s3, s18, s3
	s_delay_alu instid0(SALU_CYCLE_1)
	s_sub_co_i32 s9, s3, s4
	s_cmp_ge_u32 s3, s4
	s_cselect_b32 s2, s8, s2
	s_cselect_b32 s3, s9, s3
	s_add_co_i32 s8, s2, 1
	s_cmp_ge_u32 s3, s4
	s_cselect_b32 s16, s8, s2
.LBB110_13:
	s_clause 0x1
	s_load_b64 s[20:21], s[0:1], 0x420
	s_load_b128 s[8:11], s[0:1], 0x410
	v_cmp_eq_u32_e64 s2, 0, v0
	s_and_saveexec_b32 s3, s2
; %bb.14:
	v_mov_b32_e32 v1, 0
	s_delay_alu instid0(VALU_DEP_1)
	v_mov_b32_e32 v2, v1
	ds_store_b64 v1, v[1:2] offset:5136
; %bb.15:
	s_or_b32 exec_lo, exec_lo, s3
	v_mov_b32_e32 v1, 0
	v_mov_b32_e32 v19, s28
	s_wait_dscnt 0x0
	s_barrier_signal -1
	s_barrier_wait -1
	global_inv scope:SCOPE_SE
	s_wait_loadcnt 0x0
	s_barrier_signal -1
	s_barrier_wait -1
	global_inv scope:SCOPE_SE
	v_mov_b32_e32 v20, s29
	ds_load_b64 v[1:2], v1 offset:5136
	s_clause 0x4
	s_load_b32 s3, s[0:1], 0x4f8
	s_load_b64 s[14:15], s[0:1], 0x280
	s_load_b128 s[44:47], s[0:1], 0x270
	; meta instruction
	s_load_b64 s[62:63], s[0:1], 0xe0
	s_load_b128 s[48:51], s[0:1], 0xd0
	s_wait_kmcnt 0x0
	s_bitcmp1_b32 s3, 0
	v_writelane_b32 v39, s14, 0
	s_wait_dscnt 0x0
	v_cmp_gt_i64_e32 vcc_lo, 1, v[1:2]
	s_cselect_b32 s3, -1, 0
	v_writelane_b32 v39, s15, 1
	s_or_b32 s3, s3, vcc_lo
	s_delay_alu instid0(SALU_CYCLE_1)
	s_and_not1_b32 vcc_lo, exec_lo, s3
	v_writelane_b32 v39, s44, 2
	v_writelane_b32 v39, s45, 3
	;; [unrolled: 1-line block ×4, first 2 shown]
	s_cbranch_vccnz .LBB110_17
; %bb.16:
	v_not_b32_e32 v1, v1
	v_not_b32_e32 v2, v2
	s_delay_alu instid0(VALU_DEP_2) | instskip(NEXT) | instid1(VALU_DEP_1)
	v_add_co_u32 v1, vcc_lo, s28, v1
	v_add_co_ci_u32_e64 v2, null, s29, v2, vcc_lo
	s_delay_alu instid0(VALU_DEP_1) | instskip(NEXT) | instid1(VALU_DEP_1)
	v_lshrrev_b64 v[1:2], 1, v[1:2]
	v_add_co_u32 v19, vcc_lo, v1, 1
	s_wait_alu 0xfffd
	s_delay_alu instid0(VALU_DEP_2)
	v_add_co_ci_u32_e64 v20, null, 0, v2, vcc_lo
.LBB110_17:
	s_load_b64 s[22:23], s[0:1], 0x340
	s_add_nc_u64 s[14:15], s[0:1], 0x500
	s_and_saveexec_b32 s3, s2
	s_cbranch_execz .LBB110_19
; %bb.18:
	v_dual_mov_b32 v1, 0 :: v_dual_mov_b32 v4, s29
	s_delay_alu instid0(VALU_DEP_1)
	v_dual_mov_b32 v3, s28 :: v_dual_mov_b32 v2, v1
	ds_store_b32 v1, v1 offset:5144
	ds_store_b128 v1, v[1:4] offset:5120
.LBB110_19:
	s_or_b32 exec_lo, exec_lo, s3
	v_mad_co_u64_u32 v[4:5], null, s56, v0, 0
	v_mov_b32_e32 v3, 0
	s_mul_u64 s[4:5], s[16:17], s[4:5]
	s_mul_u64 s[6:7], s[18:19], s[6:7]
	;; [unrolled: 1-line block ×3, first 2 shown]
	s_wait_alu 0xfffe
	s_sub_nc_u64 s[4:5], s[18:19], s[4:5]
	s_sub_nc_u64 s[6:7], s[26:27], s[6:7]
	v_mov_b32_e32 v2, v5
	s_lshl_b64 s[8:9], s[8:9], 1
	s_wait_alu 0xfffe
	s_mul_u64 s[4:5], s[4:5], s[10:11]
	s_wait_kmcnt 0x0
	s_add_nc_u64 s[8:9], s[22:23], s[8:9]
	s_wait_alu 0xfffe
	s_lshl_b64 s[4:5], s[4:5], 1
	v_mad_co_u64_u32 v[5:6], null, s57, v0, v[2:3]
	s_mul_u64 s[6:7], s[6:7], s[20:21]
	v_mbcnt_lo_u32_b32 v25, -1, 0
	s_wait_alu 0xfffe
	s_add_nc_u64 s[4:5], s[8:9], s[4:5]
	s_lshl_b64 s[6:7], s[6:7], 1
	s_wait_loadcnt_dscnt 0x0
	s_wait_alu 0xfffe
	s_add_nc_u64 s[64:65], s[4:5], s[6:7]
	s_barrier_signal -1
	s_barrier_wait -1
	global_inv scope:SCOPE_SE
	s_load_b32 s4, s[14:15], 0xc
	v_lshlrev_b64_e32 v[4:5], 1, v[4:5]
	v_cmp_gt_u32_e32 vcc_lo, 32, v0
	v_cmp_gt_i32_e64 s3, 4, v25
	v_dual_mov_b32 v15, v3 :: v_dual_add_nc_u32 v2, 2, v0
	s_clause 0x1
	s_load_b64 s[8:9], s[0:1], 0x1a0
	s_load_b64 s[68:69], s[0:1], 0x0
	s_and_b32 s33, vcc_lo, s3
	v_add_co_u32 v12, vcc_lo, s64, v4
	s_wait_alu 0xfffd
	v_add_co_ci_u32_e64 v13, null, s65, v5, vcc_lo
	v_cmp_gt_u64_e32 vcc_lo, s[28:29], v[2:3]
	v_not_b32_e32 v4, v0
	v_dual_mov_b32 v1, v3 :: v_dual_lshlrev_b32 v26, 1, v0
	v_lshlrev_b64_e64 v[6:7], v25, -1
	s_mov_b32 s71, 0
	s_wait_alu 0xfffd
	v_cndmask_b32_e64 v2, v2, s28, vcc_lo
	v_cndmask_b32_e64 v5, 0, s29, vcc_lo
	s_wait_kmcnt 0x0
	s_and_b32 s66, s4, 0xffff
	s_bfe_u32 s5, s4, 0xb0005
	s_cmp_gt_u32 s66, 31
	v_add_co_u32 v4, vcc_lo, v2, v4
	s_wait_alu 0xfffd
	v_add_co_ci_u32_e64 v5, null, -1, v5, vcc_lo
	s_cselect_b32 s89, -1, 0
	s_cmp_lt_u32 ttmp9, s12
	v_dual_mov_b32 v17, v5 :: v_dual_lshlrev_b32 v14, 2, v0
	s_cselect_b32 s70, 12, 18
	s_wait_alu 0xfffe
	s_add_co_i32 s6, s5, -1
	v_dual_mov_b32 v33, 0 :: v_dual_and_b32 v16, -2, v4
	s_wait_alu 0xfffe
	s_and_b32 s6, s6, 0xffff
	s_bfe_u32 s91, s66, 0x30005
	s_movk_i32 s4, 0x3e0
	s_wait_alu 0xfffe
	s_cmp_gt_u32 s6, 6
	v_cmp_gt_u64_e64 s0, s[28:29], v[0:1]
	v_cmp_lt_u64_e64 s88, 0x600, s[28:29]
	s_mov_b32 s67, s71
	v_and_or_b32 v29, v0, s4, 0xc00
	v_cmp_lt_u64_e64 s4, 1, v[4:5]
	s_cselect_b32 s93, -1, 0
	s_and_b32 s94, s5, 0x7f8
	v_cmp_ne_u64_e64 s5, v[4:5], v[16:17]
	v_writelane_b32 v39, s8, 6
	v_cmp_eq_u32_e64 s1, 0, v25
	v_cmp_gt_u32_e64 s3, 2, v0
	v_dual_mov_b32 v34, 0 :: v_dual_add_nc_u32 v27, 0xc00, v26
	v_not_b32_e32 v28, v6
	v_add_co_u32 v18, vcc_lo, v16, v0
	v_dual_mov_b32 v30, 0 :: v_dual_lshlrev_b32 v31, 3, v0
	v_lshl_or_b32 v32, v25, 3, 0xc00
	s_add_nc_u64 s[72:73], s[66:67], -1
	s_cmp_lg_u32 s91, 0
	s_add_nc_u64 s[74:75], s[72:73], s[28:29]
	s_mov_b32 s90, s56
	s_mov_b32 s92, s57
	s_cselect_b32 s95, -1, 0
	s_lshl_b32 s96, s66, 1
	s_mov_b32 s97, 14
	s_add_nc_u64 s[76:77], s[14:15], s[70:71]
	s_mov_b32 s99, 0x4f800000
	s_mov_b32 s98, 0
	;; [unrolled: 1-line block ×3, first 2 shown]
	v_writelane_b32 v39, s9, 7
	s_wait_alu 0xfffd
	v_add_co_ci_u32_e64 v2, null, 0, v5, vcc_lo
                                        ; implicit-def: $sgpr104
                                        ; implicit-def: $sgpr58
                                        ; implicit-def: $sgpr101
                                        ; implicit-def: $sgpr103
                                        ; implicit-def: $vcc_hi
                                        ; implicit-def: $sgpr102
	s_branch .LBB110_23
.LBB110_20:                             ;   in Loop: Header=BB110_23 Depth=1
	s_wait_alu 0xfffe
	s_or_b32 exec_lo, exec_lo, s9
	s_delay_alu instid0(SALU_CYCLE_1)
	s_and_b32 s7, s7, exec_lo
	s_and_not1_b32 s22, s22, exec_lo
	s_and_not1_b32 s21, s21, exec_lo
	s_or_not1_b32 s18, s8, exec_lo
.LBB110_21:                             ;   in Loop: Header=BB110_23 Depth=1
	s_wait_alu 0xfffe
	s_or_b32 exec_lo, exec_lo, s6
	s_delay_alu instid0(SALU_CYCLE_1)
	s_and_not1_b32 s6, s102, exec_lo
	s_and_b32 s7, s7, exec_lo
	s_and_not1_b32 s8, s103, exec_lo
	s_wait_alu 0xfffe
	s_or_b32 s102, s6, s7
	s_and_not1_b32 s6, vcc_hi, exec_lo
	s_and_b32 s7, s22, exec_lo
	s_and_b32 s9, s21, exec_lo
	s_wait_alu 0xfffe
	s_or_b32 vcc_hi, s6, s7
	s_or_b32 s103, s8, s9
	s_or_not1_b32 s18, s18, exec_lo
.LBB110_22:                             ;   in Loop: Header=BB110_23 Depth=1
	s_wait_alu 0xfffe
	s_or_b32 exec_lo, exec_lo, s17
	s_delay_alu instid0(SALU_CYCLE_1)
	s_and_b32 s6, exec_lo, s18
	v_dual_mov_b32 v20, v9 :: v_dual_mov_b32 v19, v8
	s_wait_alu 0xfffe
	s_or_b32 s98, s6, s98
	s_and_not1_b32 s6, s101, exec_lo
	s_and_b32 s7, s102, exec_lo
	s_and_not1_b32 s8, s58, exec_lo
	s_wait_alu 0xfffe
	s_or_b32 s101, s6, s7
	s_and_b32 s6, vcc_hi, exec_lo
	s_and_not1_b32 s7, s104, exec_lo
	s_and_b32 s9, s103, exec_lo
	s_wait_alu 0xfffe
	s_or_b32 s58, s8, s6
	s_or_b32 s104, s7, s9
	s_and_not1_b32 exec_lo, exec_lo, s98
	s_cbranch_execz .LBB110_285
.LBB110_23:                             ; =>This Loop Header: Depth=1
                                        ;     Child Loop BB110_28 Depth 2
                                        ;     Child Loop BB110_42 Depth 2
	;; [unrolled: 1-line block ×17, first 2 shown]
	ds_load_b128 v[4:7], v3 offset:5120
	s_wait_dscnt 0x0
	v_readfirstlane_b32 s79, v5
	v_readfirstlane_b32 s78, v4
	s_cmp_lg_u64 s[78:79], 0
	s_cbranch_scc1 .LBB110_55
; %bb.24:                               ;   in Loop: Header=BB110_23 Depth=1
	s_and_b32 vcc_lo, exec_lo, s88
	s_wait_alu 0xfffe
	s_cbranch_vccz .LBB110_36
; %bb.25:                               ;   in Loop: Header=BB110_23 Depth=1
	v_cmp_gt_u64_e32 vcc_lo, 0x601, v[6:7]
	s_mov_b32 s8, 0
	s_mov_b32 s6, 0
	s_cbranch_vccz .LBB110_37
; %bb.26:                               ;   in Loop: Header=BB110_23 Depth=1
	global_load_u16 v2, v3, s[76:77]
	global_load_u16 v6, v[12:13], off
	s_mov_b32 s9, 0
	v_dual_mov_b32 v5, v1 :: v_dual_mov_b32 v4, v0
	s_wait_loadcnt 0x1
	v_and_b32_e32 v2, 0xffff, v2
	s_branch .LBB110_28
.LBB110_27:                             ;   in Loop: Header=BB110_28 Depth=2
	s_wait_alu 0xfffe
	s_or_b32 exec_lo, exec_lo, s7
	v_mov_b32_e32 v6, v7
	s_and_not1_b32 exec_lo, exec_lo, s9
	s_cbranch_execz .LBB110_152
.LBB110_28:                             ;   Parent Loop BB110_23 Depth=1
                                        ; =>  This Inner Loop Header: Depth=2
	s_delay_alu instid0(VALU_DEP_1)
	v_add_co_u32 v4, vcc_lo, v4, v2
	s_wait_alu 0xfffd
	v_add_co_ci_u32_e64 v5, null, 0, v5, vcc_lo
	s_wait_dscnt 0x0
	v_dual_mov_b32 v8, 0 :: v_dual_mov_b32 v7, 0
	s_mov_b32 s7, exec_lo
	s_delay_alu instid0(VALU_DEP_2)
	v_cmp_le_u64_e32 vcc_lo, s[28:29], v[4:5]
	v_cmpx_gt_u64_e64 s[28:29], v[4:5]
	s_cbranch_execz .LBB110_30
; %bb.29:                               ;   in Loop: Header=BB110_28 Depth=2
	v_mul_lo_u32 v7, v5, s56
	v_mul_lo_u32 v11, v4, s57
	v_mad_co_u64_u32 v[9:10], null, v4, s56, 0
	s_delay_alu instid0(VALU_DEP_1) | instskip(NEXT) | instid1(VALU_DEP_1)
	v_add3_u32 v10, v10, v11, v7
	v_lshlrev_b64_e32 v[9:10], 1, v[9:10]
	s_delay_alu instid0(VALU_DEP_1) | instskip(SKIP_1) | instid1(VALU_DEP_2)
	v_add_co_u32 v9, s6, s64, v9
	s_wait_alu 0xf1fe
	v_add_co_ci_u32_e64 v10, null, s65, v10, s6
	global_load_u16 v7, v[9:10], off
.LBB110_30:                             ;   in Loop: Header=BB110_28 Depth=2
	s_wait_alu 0xfffe
	s_or_b32 exec_lo, exec_lo, s7
	s_wait_loadcnt 0x0
	v_bfe_i32 v9, v6, 0, 16
	s_delay_alu instid0(VALU_DEP_1) | instskip(NEXT) | instid1(VALU_DEP_1)
	v_add_nc_u32_e32 v9, 0x8000, v9
	v_and_b32_e32 v9, v9, v33
	s_delay_alu instid0(VALU_DEP_1)
	v_cmp_eq_u32_e64 s6, v9, v30
	s_cmp_lg_u32 s6, 0
	s_cselect_b32 s7, -1, 0
	s_wait_alu 0xfffe
	s_and_b32 s7, s1, s7
	s_wait_alu 0xfffe
	s_and_saveexec_b32 s10, s7
	s_cbranch_execz .LBB110_34
; %bb.31:                               ;   in Loop: Header=BB110_28 Depth=2
	s_mov_b32 s13, exec_lo
	s_bcnt1_i32_b32 s11, s6
	s_wait_alu 0xfffe
	v_mbcnt_lo_u32_b32 v8, s13, 0
	s_mov_b32 s12, exec_lo
                                        ; implicit-def: $vgpr9
	s_delay_alu instid0(VALU_DEP_1)
	v_cmpx_eq_u32_e32 0, v8
; %bb.32:                               ;   in Loop: Header=BB110_28 Depth=2
	s_bcnt1_i32_b32 s7, s13
	s_wait_alu 0xfffe
	s_mul_i32 s7, s11, s7
	s_wait_alu 0xfffe
	v_mov_b32_e32 v9, s7
	ds_add_rtn_u32 v9, v3, v9 offset:5144
; %bb.33:                               ;   in Loop: Header=BB110_28 Depth=2
	s_or_b32 exec_lo, exec_lo, s12
	s_wait_dscnt 0x0
	v_readfirstlane_b32 s7, v9
	s_wait_alu 0xf1ff
	s_delay_alu instid0(VALU_DEP_1)
	v_mad_u32_u24 v8, s11, v8, s7
.LBB110_34:                             ;   in Loop: Header=BB110_28 Depth=2
	s_wait_alu 0xfffe
	s_or_b32 exec_lo, exec_lo, s10
	ds_bpermute_b32 v8, v3, v8
	s_and_b32 s7, exec_lo, vcc_lo
	s_wait_alu 0xfffe
	s_or_b32 s9, s7, s9
	s_and_saveexec_b32 s7, s6
	s_cbranch_execz .LBB110_27
; %bb.35:                               ;   in Loop: Header=BB110_28 Depth=2
	v_and_b32_e32 v9, s6, v28
	s_delay_alu instid0(VALU_DEP_1) | instskip(NEXT) | instid1(VALU_DEP_1)
	v_bcnt_u32_b32 v9, v9, 0
	v_lshlrev_b32_e32 v9, 1, v9
	s_wait_dscnt 0x0
	s_delay_alu instid0(VALU_DEP_1)
	v_lshl_add_u32 v8, v8, 1, v9
	ds_store_b16 v8, v6
	s_branch .LBB110_27
.LBB110_36:                             ;   in Loop: Header=BB110_23 Depth=1
	s_mov_b32 s8, -1
	s_mov_b32 s6, 0
.LBB110_37:                             ;   in Loop: Header=BB110_23 Depth=1
	s_wait_alu 0xfffe
	s_and_b32 vcc_lo, exec_lo, s8
	s_wait_alu 0xfffe
	s_cbranch_vccz .LBB110_53
.LBB110_38:                             ;   in Loop: Header=BB110_23 Depth=1
	s_and_saveexec_b32 s7, s0
	s_cbranch_execz .LBB110_50
; %bb.39:                               ;   in Loop: Header=BB110_23 Depth=1
	global_load_u16 v4, v3, s[76:77]
	global_load_u16 v10, v[12:13], off
	v_mov_b32_e32 v8, v0
	s_mov_b32 s10, exec_lo
	s_wait_loadcnt 0x1
	v_and_b32_e32 v2, 0xffff, v4
	v_readfirstlane_b32 s6, v4
	s_delay_alu instid0(VALU_DEP_2) | instskip(NEXT) | instid1(VALU_DEP_1)
	v_add_nc_u32_e32 v2, v2, v0
	v_cmpx_gt_u64_e64 s[28:29], v[2:3]
	s_cbranch_execz .LBB110_49
; %bb.40:                               ;   in Loop: Header=BB110_23 Depth=1
	s_and_b32 s70, s6, 0xffff
	v_dual_mov_b32 v7, v1 :: v_dual_mov_b32 v6, v0
	s_wait_alu 0xfffe
	s_cmp_eq_u32 s70, 1
	v_dual_mov_b32 v5, v3 :: v_dual_mov_b32 v4, v2
	s_cselect_b32 s6, -1, 0
                                        ; implicit-def: $vgpr8_vgpr9
	s_wait_alu 0xfffe
	s_and_b32 s9, s4, s6
	s_mov_b32 s6, -1
	s_wait_alu 0xfffe
	s_and_saveexec_b32 s8, s9
	s_cbranch_execz .LBB110_44
; %bb.41:                               ;   in Loop: Header=BB110_23 Depth=1
	v_add_co_u32 v4, s6, v2, 1
	s_wait_alu 0xf1ff
	v_add_co_ci_u32_e64 v5, null, 0, 0, s6
	s_wait_loadcnt 0x0
	v_dual_mov_b32 v8, v16 :: v_dual_lshlrev_b32 v21, 16, v10
	s_mov_b32 s9, 0
	s_delay_alu instid0(VALU_DEP_2)
	v_mov_b32_e32 v7, v5
	v_dual_mov_b32 v9, v17 :: v_dual_mov_b32 v6, v4
	v_mov_b32_e32 v5, v3
	v_dual_mov_b32 v11, v26 :: v_dual_mov_b32 v4, v2
.LBB110_42:                             ;   Parent Loop BB110_23 Depth=1
                                        ; =>  This Inner Loop Header: Depth=2
	s_delay_alu instid0(VALU_DEP_2) | instskip(NEXT) | instid1(VALU_DEP_2)
	v_mul_lo_u32 v10, v5, s56
	v_mul_lo_u32 v24, v4, s57
	v_mad_co_u64_u32 v[22:23], null, v4, s56, 0
	v_mul_lo_u32 v37, v7, s90
	v_mul_lo_u32 v38, v6, s92
	v_mad_co_u64_u32 v[35:36], null, v6, s90, 0
	s_delay_alu instid0(VALU_DEP_4) | instskip(NEXT) | instid1(VALU_DEP_2)
	v_add3_u32 v23, v23, v24, v10
	v_add3_u32 v36, v36, v38, v37
	s_delay_alu instid0(VALU_DEP_2) | instskip(NEXT) | instid1(VALU_DEP_2)
	v_lshlrev_b64_e32 v[22:23], 1, v[22:23]
	v_lshlrev_b64_e32 v[35:36], 1, v[35:36]
	s_delay_alu instid0(VALU_DEP_2) | instskip(SKIP_1) | instid1(VALU_DEP_3)
	v_add_co_u32 v22, vcc_lo, s64, v22
	s_wait_alu 0xfffd
	v_add_co_ci_u32_e64 v23, null, s65, v23, vcc_lo
	s_delay_alu instid0(VALU_DEP_3)
	v_add_co_u32 v35, vcc_lo, s64, v35
	s_wait_alu 0xfffd
	v_add_co_ci_u32_e64 v36, null, s65, v36, vcc_lo
	s_clause 0x1
	global_load_u16 v22, v[22:23], off
	global_load_u16 v10, v[35:36], off
	v_add_co_u32 v8, vcc_lo, v8, -2
	s_wait_alu 0xfffd
	v_add_co_ci_u32_e64 v9, null, -1, v9, vcc_lo
	v_add_co_u32 v6, vcc_lo, v6, 2
	s_wait_alu 0xfffd
	v_add_co_ci_u32_e64 v7, null, 0, v7, vcc_lo
	s_delay_alu instid0(VALU_DEP_3) | instskip(SKIP_4) | instid1(VALU_DEP_3)
	v_cmp_eq_u64_e64 s6, 0, v[8:9]
	v_add_co_u32 v4, vcc_lo, v4, 2
	s_wait_alu 0xfffd
	v_add_co_ci_u32_e64 v5, null, 0, v5, vcc_lo
	s_wait_alu 0xfffe
	s_or_b32 s9, s6, s9
	s_wait_loadcnt 0x1
	v_alignbit_b32 v21, v22, v21, 16
	s_wait_loadcnt 0x0
	v_perm_b32 v22, v10, v22, 0x5040100
	ds_store_b32 v11, v21
	v_add_nc_u32_e32 v11, 4, v11
	v_mov_b32_e32 v21, v22
	s_wait_alu 0xfffe
	s_and_not1_b32 exec_lo, exec_lo, s9
	s_cbranch_execnz .LBB110_42
; %bb.43:                               ;   in Loop: Header=BB110_23 Depth=1
	s_or_b32 exec_lo, exec_lo, s9
	v_add_co_u32 v4, vcc_lo, v2, v16
	s_wait_alu 0xfffd
	v_add_co_ci_u32_e64 v5, null, 0, v17, vcc_lo
	v_dual_mov_b32 v6, v18 :: v_dual_mov_b32 v7, v19
	s_delay_alu instid0(VALU_DEP_3)
	v_add_co_u32 v8, vcc_lo, v4, -1
	s_or_not1_b32 s6, s5, exec_lo
	s_wait_alu 0xfffd
	v_add_co_ci_u32_e64 v2, null, -1, v5, vcc_lo
.LBB110_44:                             ;   in Loop: Header=BB110_23 Depth=1
	s_wait_alu 0xfffe
	s_or_b32 exec_lo, exec_lo, s8
	s_and_saveexec_b32 s11, s6
	s_cbranch_execz .LBB110_48
; %bb.45:                               ;   in Loop: Header=BB110_23 Depth=1
	s_sub_nc_u64 s[8:9], 0, s[70:71]
	s_mov_b32 s12, 0
.LBB110_46:                             ;   Parent Loop BB110_23 Depth=1
                                        ; =>  This Inner Loop Header: Depth=2
	v_dual_mov_b32 v8, v5 :: v_dual_mov_b32 v7, v4
	v_lshlrev_b32_e32 v6, 1, v6
	s_delay_alu instid0(VALU_DEP_2) | instskip(NEXT) | instid1(VALU_DEP_3)
	v_mul_lo_u32 v2, v8, s56
	v_mul_lo_u32 v9, v7, s57
	v_mad_co_u64_u32 v[4:5], null, v7, s56, 0
	s_wait_loadcnt 0x0
	ds_store_b16 v6, v10
	v_add3_u32 v5, v5, v9, v2
	s_delay_alu instid0(VALU_DEP_1) | instskip(NEXT) | instid1(VALU_DEP_1)
	v_lshlrev_b64_e32 v[4:5], 1, v[4:5]
	v_add_co_u32 v4, vcc_lo, s64, v4
	s_wait_alu 0xfffd
	s_delay_alu instid0(VALU_DEP_2)
	v_add_co_ci_u32_e64 v5, null, s65, v5, vcc_lo
	global_load_u16 v2, v[4:5], off
	v_add_co_u32 v4, vcc_lo, v7, s70
	s_wait_alu 0xfffd
	v_add_co_ci_u32_e64 v5, null, 0, v8, vcc_lo
	v_mov_b32_e32 v6, v7
	v_mov_b32_e32 v7, v8
	s_wait_alu 0xfffe
	v_add_co_u32 v8, s6, s8, v4
	v_cmp_le_u64_e32 vcc_lo, s[28:29], v[4:5]
	s_wait_alu 0xf1ff
	v_add_co_ci_u32_e64 v7, null, s9, v5, s6
	s_or_b32 s12, vcc_lo, s12
	s_wait_loadcnt 0x0
	v_mov_b32_e32 v10, v2
	s_wait_alu 0xfffe
	s_and_not1_b32 exec_lo, exec_lo, s12
	s_cbranch_execnz .LBB110_46
; %bb.47:                               ;   in Loop: Header=BB110_23 Depth=1
	s_or_b32 exec_lo, exec_lo, s12
	v_mov_b32_e32 v10, v2
.LBB110_48:                             ;   in Loop: Header=BB110_23 Depth=1
	s_wait_alu 0xfffe
	s_or_b32 exec_lo, exec_lo, s11
.LBB110_49:                             ;   in Loop: Header=BB110_23 Depth=1
	s_wait_alu 0xfffe
	s_or_b32 exec_lo, exec_lo, s10
	v_lshlrev_b32_e32 v2, 1, v8
	s_wait_loadcnt 0x0
	ds_store_b16 v2, v10
.LBB110_50:                             ;   in Loop: Header=BB110_23 Depth=1
	s_wait_alu 0xfffe
	s_or_b32 exec_lo, exec_lo, s7
	s_wait_loadcnt_dscnt 0x0
	s_barrier_signal -1
	s_barrier_wait -1
	global_inv scope:SCOPE_SE
	s_and_saveexec_b32 s6, s2
; %bb.51:                               ;   in Loop: Header=BB110_23 Depth=1
	v_dual_mov_b32 v4, s28 :: v_dual_mov_b32 v5, s29
	ds_store_b64 v3, v[4:5] offset:5120
; %bb.52:                               ;   in Loop: Header=BB110_23 Depth=1
	s_wait_alu 0xfffe
	s_or_b32 exec_lo, exec_lo, s6
	s_mov_b32 s6, -1
	s_wait_loadcnt_dscnt 0x0
	s_barrier_signal -1
	s_barrier_wait -1
.LBB110_53:                             ;   in Loop: Header=BB110_23 Depth=1
	s_wait_alu 0xfffe
	s_and_b32 vcc_lo, exec_lo, s6
	s_mov_b64 s[78:79], 0
	s_wait_alu 0xfffe
	s_cbranch_vccz .LBB110_55
; %bb.54:                               ;   in Loop: Header=BB110_23 Depth=1
	s_wait_loadcnt 0x0
	global_inv scope:SCOPE_SE
	ds_load_b64 v[4:5], v3 offset:5120
	s_wait_dscnt 0x0
	v_readfirstlane_b32 s78, v4
.LBB110_55:                             ;   in Loop: Header=BB110_23 Depth=1
	s_delay_alu instid0(VALU_DEP_1)
	s_cmp_lt_i32 s78, 1
	s_mov_b32 s6, -1
                                        ; implicit-def: $vgpr4_vgpr5
                                        ; implicit-def: $vgpr8_vgpr9
	s_cbranch_scc1 .LBB110_65
; %bb.56:                               ;   in Loop: Header=BB110_23 Depth=1
	s_wait_alu 0xfffe
	s_and_b32 vcc_lo, exec_lo, s6
	s_wait_alu 0xfffe
	s_cbranch_vccnz .LBB110_79
.LBB110_57:                             ;   in Loop: Header=BB110_23 Depth=1
	s_lshl_b32 s6, s100, 7
	s_and_saveexec_b32 s7, s1
	s_cbranch_execz .LBB110_59
.LBB110_58:                             ;   in Loop: Header=BB110_23 Depth=1
	s_wait_alu 0xfffe
	v_lshl_add_u32 v2, s6, 3, v29
	ds_store_b128 v2, v[4:7]
	ds_store_b128 v2, v[8:11] offset:16
.LBB110_59:                             ;   in Loop: Header=BB110_23 Depth=1
	s_wait_alu 0xfffe
	s_or_b32 exec_lo, exec_lo, s7
	s_wait_loadcnt_dscnt 0x0
	s_barrier_signal -1
	s_barrier_wait -1
	global_inv scope:SCOPE_SE
	s_and_saveexec_b32 s7, s33
	s_cbranch_execz .LBB110_93
; %bb.60:                               ;   in Loop: Header=BB110_23 Depth=1
	v_mov_b32_e32 v4, 0
	v_mov_b32_e32 v5, 0
	s_and_not1_b32 vcc_lo, exec_lo, s89
	s_wait_alu 0xfffe
	s_cbranch_vccnz .LBB110_92
; %bb.61:                               ;   in Loop: Header=BB110_23 Depth=1
	v_mov_b32_e32 v4, 0
	v_mov_b32_e32 v5, 0
	s_and_not1_b32 vcc_lo, exec_lo, s93
	s_wait_alu 0xfffe
	s_cbranch_vccnz .LBB110_89
; %bb.62:                               ;   in Loop: Header=BB110_23 Depth=1
	v_lshl_add_u32 v2, s100, 10, v32
	s_mov_b32 s8, 0
.LBB110_63:                             ;   Parent Loop BB110_23 Depth=1
                                        ; =>  This Inner Loop Header: Depth=2
	ds_load_2addr_b64 v[6:9], v2 offset1:4
	ds_load_2addr_b64 v[21:24], v2 offset0:8 offset1:12
	ds_load_2addr_b64 v[35:38], v2 offset0:16 offset1:20
	s_wait_alu 0xfffe
	s_add_co_i32 s8, s8, 8
	s_wait_alu 0xfffe
	s_cmp_eq_u32 s94, s8
	s_wait_dscnt 0x2
	v_add_co_u32 v4, vcc_lo, v6, v4
	s_wait_alu 0xfffd
	v_add_co_ci_u32_e64 v5, null, v7, v5, vcc_lo
	s_delay_alu instid0(VALU_DEP_2) | instskip(SKIP_1) | instid1(VALU_DEP_2)
	v_add_co_u32 v8, vcc_lo, v8, v4
	s_wait_alu 0xfffd
	v_add_co_ci_u32_e64 v9, null, v9, v5, vcc_lo
	ds_load_2addr_b64 v[4:7], v2 offset0:24 offset1:28
	s_wait_dscnt 0x2
	v_add_co_u32 v8, vcc_lo, v21, v8
	s_wait_alu 0xfffd
	v_add_co_ci_u32_e64 v9, null, v22, v9, vcc_lo
	v_add_nc_u32_e32 v2, 0x100, v2
	s_delay_alu instid0(VALU_DEP_3) | instskip(SKIP_1) | instid1(VALU_DEP_3)
	v_add_co_u32 v8, vcc_lo, v23, v8
	s_wait_alu 0xfffd
	v_add_co_ci_u32_e64 v9, null, v24, v9, vcc_lo
	s_wait_dscnt 0x1
	s_delay_alu instid0(VALU_DEP_2) | instskip(SKIP_1) | instid1(VALU_DEP_2)
	v_add_co_u32 v8, vcc_lo, v35, v8
	s_wait_alu 0xfffd
	v_add_co_ci_u32_e64 v9, null, v36, v9, vcc_lo
	s_delay_alu instid0(VALU_DEP_2) | instskip(SKIP_1) | instid1(VALU_DEP_2)
	v_add_co_u32 v8, vcc_lo, v37, v8
	s_wait_alu 0xfffd
	v_add_co_ci_u32_e64 v9, null, v38, v9, vcc_lo
	s_wait_dscnt 0x0
	s_delay_alu instid0(VALU_DEP_2) | instskip(SKIP_1) | instid1(VALU_DEP_2)
	v_add_co_u32 v4, vcc_lo, v4, v8
	s_wait_alu 0xfffd
	v_add_co_ci_u32_e64 v5, null, v5, v9, vcc_lo
	s_delay_alu instid0(VALU_DEP_2) | instskip(SKIP_1) | instid1(VALU_DEP_2)
	v_add_co_u32 v4, vcc_lo, v6, v4
	s_wait_alu 0xfffd
	v_add_co_ci_u32_e64 v5, null, v7, v5, vcc_lo
	s_cbranch_scc0 .LBB110_63
; %bb.64:                               ;   in Loop: Header=BB110_23 Depth=1
	s_mov_b32 s8, s94
	s_and_not1_b32 vcc_lo, exec_lo, s95
	s_wait_alu 0xfffe
	s_cbranch_vccz .LBB110_90
	s_branch .LBB110_92
.LBB110_65:                             ;   in Loop: Header=BB110_23 Depth=1
	global_load_u16 v2, v3, s[76:77]
	s_mov_b32 s7, s29
	s_wait_loadcnt 0x0
	v_readfirstlane_b32 s6, v2
	s_wait_alu 0xfffe
	s_and_b32 s8, 0xffff, s6
	s_mov_b32 s6, s71
	s_wait_alu 0xfffe
	s_lshl_b32 s18, s8, 2
	s_cmp_lg_u64 s[6:7], 0
	s_cbranch_scc0 .LBB110_88
; %bb.66:                               ;   in Loop: Header=BB110_23 Depth=1
	s_wait_alu 0xfffe
	s_cvt_f32_u32 s6, s18
	s_mov_b32 s19, s71
	s_wait_alu 0xfffe
	s_sub_nc_u64 s[8:9], 0, s[18:19]
	s_fmamk_f32 s6, s99, 0x0, s6
	s_wait_alu 0xfffe
	s_delay_alu instid0(SALU_CYCLE_2) | instskip(NEXT) | instid1(TRANS32_DEP_1)
	v_s_rcp_f32 s6, s6
	s_mul_f32 s6, s6, 0x5f7ffffc
	s_wait_alu 0xfffe
	s_delay_alu instid0(SALU_CYCLE_2) | instskip(SKIP_1) | instid1(SALU_CYCLE_2)
	s_mul_f32 s7, s6, 0x2f800000
	s_wait_alu 0xfffe
	s_trunc_f32 s7, s7
	s_wait_alu 0xfffe
	s_delay_alu instid0(SALU_CYCLE_2) | instskip(SKIP_2) | instid1(SALU_CYCLE_1)
	s_fmamk_f32 s6, s7, 0xcf800000, s6
	s_cvt_u32_f32 s7, s7
	s_wait_alu 0xfffe
	s_cvt_u32_f32 s6, s6
	s_wait_alu 0xfffe
	s_delay_alu instid0(SALU_CYCLE_2)
	s_mul_u64 s[10:11], s[8:9], s[6:7]
	s_wait_alu 0xfffe
	s_mul_hi_u32 s13, s6, s11
	s_mul_i32 s12, s6, s11
	s_mul_hi_u32 s70, s6, s10
	s_mul_i32 s15, s7, s10
	s_wait_alu 0xfffe
	s_add_nc_u64 s[12:13], s[70:71], s[12:13]
	s_mul_hi_u32 s14, s7, s10
	s_mul_hi_u32 s16, s7, s11
	s_mul_i32 s10, s7, s11
	s_wait_alu 0xfffe
	s_add_co_u32 s11, s12, s15
	s_add_co_ci_u32 s70, s13, s14
	s_add_co_ci_u32 s11, s16, 0
	s_wait_alu 0xfffe
	s_add_nc_u64 s[10:11], s[70:71], s[10:11]
	s_wait_alu 0xfffe
	s_add_co_u32 s6, s6, s10
	s_cselect_b32 s10, -1, 0
	s_wait_alu 0xfffe
	s_cmp_lg_u32 s10, 0
	s_add_co_ci_u32 s7, s7, s11
	s_wait_alu 0xfffe
	s_mul_u64 s[8:9], s[8:9], s[6:7]
	s_wait_alu 0xfffe
	s_mul_hi_u32 s11, s6, s9
	s_mul_i32 s10, s6, s9
	s_mul_hi_u32 s70, s6, s8
	s_mul_i32 s13, s7, s8
	s_wait_alu 0xfffe
	s_add_nc_u64 s[10:11], s[70:71], s[10:11]
	s_mul_hi_u32 s12, s7, s8
	s_mul_hi_u32 s14, s7, s9
	s_mul_i32 s8, s7, s9
	s_wait_alu 0xfffe
	s_add_co_u32 s9, s10, s13
	s_add_co_ci_u32 s70, s11, s12
	s_add_co_ci_u32 s9, s14, 0
	s_wait_alu 0xfffe
	s_add_nc_u64 s[8:9], s[70:71], s[8:9]
	s_wait_alu 0xfffe
	s_add_co_u32 s6, s6, s8
	s_cselect_b32 s8, -1, 0
	s_wait_alu 0xfffe
	s_mul_hi_u32 s70, s28, s6
	s_cmp_lg_u32 s8, 0
	s_mul_hi_u32 s10, s29, s6
	s_add_co_ci_u32 s8, s7, s9
	s_mul_i32 s9, s29, s6
	s_wait_alu 0xfffe
	s_mul_hi_u32 s7, s28, s8
	s_mul_i32 s6, s28, s8
	s_mul_hi_u32 s11, s29, s8
	s_wait_alu 0xfffe
	s_add_nc_u64 s[6:7], s[70:71], s[6:7]
	s_mul_i32 s8, s29, s8
	s_wait_alu 0xfffe
	s_add_co_u32 s6, s6, s9
	s_add_co_ci_u32 s70, s7, s10
	s_add_co_ci_u32 s9, s11, 0
	s_wait_alu 0xfffe
	s_add_nc_u64 s[6:7], s[70:71], s[8:9]
	s_wait_alu 0xfffe
	s_mul_u64 s[6:7], s[18:19], s[6:7]
	s_wait_alu 0xfffe
	s_sub_co_u32 s6, s28, s6
	s_cselect_b32 s8, -1, 0
	s_wait_alu 0xfffe
	s_cmp_lg_u32 s8, 0
	s_sub_co_ci_u32 s7, s29, s7
	s_sub_co_u32 s8, s6, s18
	s_cselect_b32 s9, -1, 0
	s_wait_alu 0xfffe
	s_cmp_lg_u32 s9, 0
	s_sub_co_ci_u32 s9, s7, 0
	;; [unrolled: 5-line block ×3, first 2 shown]
	s_cmp_ge_u32 s8, s18
	s_cselect_b32 s12, -1, 0
	s_cmp_eq_u32 s9, 0
	s_wait_alu 0xfffe
	s_cselect_b32 s12, s12, -1
	s_wait_alu 0xfffe
	s_cmp_lg_u32 s12, 0
	s_cselect_b32 s9, s11, s9
	s_cselect_b32 s8, s10, s8
	s_cmp_ge_u32 s6, s18
	s_cselect_b32 s10, -1, 0
	s_cmp_eq_u32 s7, 0
	s_wait_alu 0xfffe
	s_cselect_b32 s10, s10, -1
	s_wait_alu 0xfffe
	s_cmp_lg_u32 s10, 0
	s_cselect_b32 s7, s9, s7
	s_cselect_b32 s6, s8, s6
	s_cbranch_execnz .LBB110_68
.LBB110_67:                             ;   in Loop: Header=BB110_23 Depth=1
	s_wait_alu 0xfffe
	v_cvt_f32_u32_e32 v4, s18
	s_sub_co_i32 s7, 0, s18
	s_delay_alu instid0(VALU_DEP_1) | instskip(NEXT) | instid1(TRANS32_DEP_1)
	v_rcp_iflag_f32_e32 v4, v4
	v_mul_f32_e32 v4, 0x4f7ffffe, v4
	s_delay_alu instid0(VALU_DEP_1) | instskip(NEXT) | instid1(VALU_DEP_1)
	v_cvt_u32_f32_e32 v4, v4
	v_readfirstlane_b32 s6, v4
	s_wait_alu 0xfffe
	s_mul_i32 s7, s7, s6
	s_wait_alu 0xfffe
	s_mul_hi_u32 s7, s6, s7
	s_wait_alu 0xfffe
	s_add_co_i32 s6, s6, s7
	s_wait_alu 0xfffe
	s_mul_hi_u32 s6, s28, s6
	s_wait_alu 0xfffe
	s_mul_i32 s6, s6, s18
	s_wait_alu 0xfffe
	s_sub_co_i32 s6, s28, s6
	s_wait_alu 0xfffe
	s_sub_co_i32 s7, s6, s18
	s_cmp_ge_u32 s6, s18
	s_wait_alu 0xfffe
	s_cselect_b32 s6, s7, s6
	s_wait_alu 0xfffe
	s_sub_co_i32 s7, s6, s18
	s_cmp_ge_u32 s6, s18
	s_wait_alu 0xfffe
	s_cselect_b32 s70, s7, s6
	s_wait_alu 0xfffe
	s_mov_b64 s[6:7], s[70:71]
.LBB110_68:                             ;   in Loop: Header=BB110_23 Depth=1
	v_mov_b32_e32 v4, 0
	v_dual_mov_b32 v8, 0 :: v_dual_mov_b32 v5, 0
	v_dual_mov_b32 v6, 0 :: v_dual_mov_b32 v9, 0
	;; [unrolled: 1-line block ×3, first 2 shown]
	v_mov_b32_e32 v11, 0
	s_wait_alu 0xfffe
	s_sub_nc_u64 s[20:21], s[28:29], s[6:7]
	s_mov_b32 s17, exec_lo
	s_wait_alu 0xfffe
	v_cmpx_gt_u64_e64 s[20:21], v[14:15]
	s_cbranch_execz .LBB110_72
; %bb.69:                               ;   in Loop: Header=BB110_23 Depth=1
	v_dual_mov_b32 v22, v15 :: v_dual_mov_b32 v21, v14
	s_mov_b64 s[22:23], 0
	s_mov_b32 s19, 0
	s_mov_b64 s[24:25], 0
	s_mov_b64 s[80:81], 0
	s_mov_b64 s[82:83], 0
.LBB110_70:                             ;   Parent Loop BB110_23 Depth=1
                                        ; =>  This Inner Loop Header: Depth=2
	v_mul_lo_u32 v6, v22, s56
	v_mul_lo_u32 v7, v21, s57
	v_mad_co_u64_u32 v[4:5], null, v21, s56, 0
	s_lshl_b64 s[6:7], s[56:57], 1
	v_add3_u32 v5, v5, v7, v6
	s_delay_alu instid0(VALU_DEP_1) | instskip(NEXT) | instid1(VALU_DEP_1)
	v_lshlrev_b64_e32 v[4:5], 1, v[4:5]
	v_add_co_u32 v4, vcc_lo, s64, v4
	s_wait_alu 0xfffd
	s_delay_alu instid0(VALU_DEP_2) | instskip(SKIP_1) | instid1(VALU_DEP_2)
	v_add_co_ci_u32_e64 v5, null, s65, v5, vcc_lo
	s_wait_alu 0xfffe
	v_add_co_u32 v6, vcc_lo, v4, s6
	s_wait_alu 0xfffd
	s_delay_alu instid0(VALU_DEP_2)
	v_add_co_ci_u32_e64 v7, null, s7, v5, vcc_lo
	global_load_i16 v8, v[4:5], off
	v_add_co_u32 v4, vcc_lo, v6, s6
	s_wait_alu 0xfffd
	v_add_co_ci_u32_e64 v5, null, s7, v7, vcc_lo
	s_clause 0x1
	global_load_i16 v6, v[6:7], off
	global_load_i16 v7, v[4:5], off
	v_add_co_u32 v4, vcc_lo, v4, s6
	s_wait_alu 0xfffd
	v_add_co_ci_u32_e64 v5, null, s7, v5, vcc_lo
	v_add_co_u32 v21, vcc_lo, v21, s18
	s_wait_alu 0xfffd
	v_add_co_ci_u32_e64 v22, null, 0, v22, vcc_lo
	global_load_i16 v4, v[4:5], off
	v_cmp_le_u64_e32 vcc_lo, s[20:21], v[21:22]
	s_wait_loadcnt 0x3
	v_add_nc_u32_e32 v5, 0x8000, v8
	s_delay_alu instid0(VALU_DEP_1)
	v_and_b32_e32 v8, v5, v33
	s_wait_loadcnt 0x2
	v_add_nc_u32_e32 v6, 0x8000, v6
	v_bfe_u32 v5, v5, s97, 2
	s_wait_loadcnt 0x1
	v_add_nc_u32_e32 v7, 0x8000, v7
	v_cmp_eq_u32_e64 s6, v8, v30
	v_and_b32_e32 v8, v6, v33
	v_bfe_u32 v6, v6, s97, 2
	v_cmp_eq_u32_e64 s7, 0, v5
	v_cmp_eq_u32_e64 s8, 1, v5
	;; [unrolled: 1-line block ×4, first 2 shown]
	s_wait_loadcnt 0x0
	v_add_nc_u32_e32 v4, 0x8000, v4
	v_cmp_eq_u32_e64 s11, v8, v30
	v_and_b32_e32 v5, v7, v33
	v_bfe_u32 v7, v7, s97, 2
	v_cmp_eq_u32_e64 s12, 0, v6
	s_and_b32 s7, s6, s7
	s_and_b32 s8, s6, s8
	;; [unrolled: 1-line block ×3, first 2 shown]
	s_wait_alu 0xfffe
	v_cndmask_b32_e64 v8, 0, 1, s7
	v_cmp_eq_u32_e64 s7, 1, v6
	v_cndmask_b32_e64 v9, 0, 1, s8
	v_cmp_eq_u32_e64 s8, 2, v6
	;; [unrolled: 2-line block ×3, first 2 shown]
	s_and_b32 s6, s6, s10
	v_cmp_eq_u32_e64 s10, 0, v7
	s_wait_alu 0xfffe
	v_cndmask_b32_e64 v6, 0, 1, s6
	v_cmp_eq_u32_e64 s6, v5, v30
	v_and_b32_e32 v5, v4, v33
	v_bfe_u32 v4, v4, s97, 2
	s_and_b32 s12, s11, s12
	v_cmp_ne_u32_e64 s13, 0, v8
	s_wait_alu 0xfffe
	v_cndmask_b32_e64 v8, 0, 1, s12
	v_cmp_eq_u32_e64 s12, 1, v7
	s_and_b32 s7, s11, s7
	s_and_b32 s8, s11, s8
	;; [unrolled: 1-line block ×3, first 2 shown]
	v_cmp_ne_u32_e64 s14, 0, v9
	s_wait_alu 0xfffe
	v_cndmask_b32_e64 v9, 0, 1, s7
	v_cmp_eq_u32_e64 s7, 2, v7
	v_cmp_ne_u32_e64 s15, 0, v10
	v_cndmask_b32_e64 v10, 0, 1, s8
	v_cmp_eq_u32_e64 s8, 3, v7
	v_cmp_ne_u32_e64 s16, 0, v6
	v_cndmask_b32_e64 v6, 0, 1, s9
	v_cmp_eq_u32_e64 s9, v5, v30
	v_cmp_eq_u32_e64 s11, 0, v4
	s_and_b32 s10, s6, s10
	s_and_b32 s12, s6, s12
	s_wait_alu 0xfffe
	v_cndmask_b32_e64 v5, 0, 1, s10
	v_cmp_eq_u32_e64 s10, 1, v4
	v_cndmask_b32_e64 v7, 0, 1, s12
	v_cmp_eq_u32_e64 s12, 2, v4
	s_and_b32 s7, s6, s7
	s_and_b32 s6, s6, s8
	;; [unrolled: 1-line block ×3, first 2 shown]
	s_bcnt1_i32_b32 s44, s13
	v_cmp_ne_u32_e64 s13, 0, v8
	s_wait_alu 0xfffe
	v_cndmask_b32_e64 v8, 0, 1, s7
	v_cmp_eq_u32_e64 s7, 3, v4
	s_bcnt1_i32_b32 s47, s16
	v_cmp_ne_u32_e64 s16, 0, v6
	v_cndmask_b32_e64 v4, 0, 1, s6
	v_cmp_ne_u32_e64 s6, 0, v5
	v_cndmask_b32_e64 v5, 0, 1, s8
	s_and_b32 s10, s9, s10
	s_and_b32 s11, s9, s12
	s_wait_alu 0xfffe
	v_cndmask_b32_e64 v6, 0, 1, s10
	s_bcnt1_i32_b32 s45, s14
	v_cmp_ne_u32_e64 s14, 0, v9
	v_cmp_ne_u32_e64 s8, 0, v7
	v_cndmask_b32_e64 v7, 0, 1, s11
	s_and_b32 s7, s9, s7
	s_bcnt1_i32_b32 s46, s15
	v_cmp_ne_u32_e64 s15, 0, v10
	s_bcnt1_i32_b32 s12, s16
	s_bcnt1_i32_b32 s16, s6
	v_cmp_ne_u32_e64 s6, 0, v5
	s_bcnt1_i32_b32 s13, s13
	v_cmp_ne_u32_e64 s11, 0, v4
	s_wait_alu 0xfffe
	v_cndmask_b32_e64 v4, 0, 1, s7
	v_cmp_ne_u32_e64 s10, 0, v8
	v_cmp_ne_u32_e64 s7, 0, v6
	s_bcnt1_i32_b32 s14, s14
	s_add_co_i32 s13, s13, s44
	s_bcnt1_i32_b32 s44, s8
	v_cmp_ne_u32_e64 s8, 0, v7
	s_bcnt1_i32_b32 s15, s15
	s_wait_alu 0xfffe
	s_add_co_i32 s14, s14, s45
	s_add_co_i32 s13, s13, s16
	s_bcnt1_i32_b32 s6, s6
	v_cmp_ne_u32_e64 s9, 0, v4
	s_add_co_i32 s15, s15, s46
	s_bcnt1_i32_b32 s10, s10
	s_wait_alu 0xfffe
	s_add_co_i32 s14, s14, s44
	s_bcnt1_i32_b32 s7, s7
	s_add_co_i32 s70, s13, s6
	s_add_co_i32 s12, s12, s47
	s_bcnt1_i32_b32 s11, s11
	s_add_co_i32 s10, s15, s10
	s_bcnt1_i32_b32 s8, s8
	s_wait_alu 0xfffe
	s_add_nc_u64 s[82:83], s[82:83], s[70:71]
	s_add_co_i32 s70, s14, s7
	s_add_co_i32 s11, s12, s11
	s_bcnt1_i32_b32 s9, s9
	s_wait_alu 0xfffe
	s_add_nc_u64 s[80:81], s[80:81], s[70:71]
	s_add_co_i32 s70, s10, s8
	v_mov_b32_e32 v4, s82
	s_wait_alu 0xfffe
	s_add_nc_u64 s[24:25], s[24:25], s[70:71]
	s_add_co_i32 s70, s11, s9
	v_mov_b32_e32 v6, s80
	s_wait_alu 0xfffe
	s_add_nc_u64 s[22:23], s[22:23], s[70:71]
	v_mov_b32_e32 v8, s24
	s_wait_alu 0xfffe
	v_dual_mov_b32 v10, s22 :: v_dual_mov_b32 v5, s83
	v_mov_b32_e32 v7, s81
	v_mov_b32_e32 v9, s25
	;; [unrolled: 1-line block ×3, first 2 shown]
	s_or_b32 s19, vcc_lo, s19
	s_wait_alu 0xfffe
	s_and_not1_b32 exec_lo, exec_lo, s19
	s_cbranch_execnz .LBB110_70
; %bb.71:                               ;   in Loop: Header=BB110_23 Depth=1
	s_or_b32 exec_lo, exec_lo, s19
.LBB110_72:                             ;   in Loop: Header=BB110_23 Depth=1
	s_delay_alu instid0(SALU_CYCLE_1)
	s_or_b32 exec_lo, exec_lo, s17
	v_add_co_u32 v21, s6, s20, v0
	v_and_b32_e32 v2, 0xffff, v2
	s_wait_alu 0xf1ff
	v_add_co_ci_u32_e64 v22, null, s21, 0, s6
	s_mov_b32 s10, exec_lo
	v_cmpx_gt_u64_e64 s[28:29], v[21:22]
	s_cbranch_execz .LBB110_78
; %bb.73:                               ;   in Loop: Header=BB110_23 Depth=1
	v_mul_lo_u32 v35, v22, s56
	v_mul_lo_u32 v36, v21, s57
	v_mad_co_u64_u32 v[23:24], null, v21, s56, 0
	s_mov_b32 s11, 0
	v_add3_u32 v24, v24, v36, v35
	s_delay_alu instid0(VALU_DEP_1) | instskip(NEXT) | instid1(VALU_DEP_1)
	v_lshlrev_b64_e32 v[23:24], 1, v[23:24]
	v_add_co_u32 v23, vcc_lo, s64, v23
	s_wait_alu 0xfffd
	s_delay_alu instid0(VALU_DEP_2)
	v_add_co_ci_u32_e64 v24, null, s65, v24, vcc_lo
	global_load_u16 v24, v[23:24], off
	s_branch .LBB110_75
.LBB110_74:                             ;   in Loop: Header=BB110_75 Depth=2
	s_wait_alu 0xfffe
	s_or_b32 exec_lo, exec_lo, s7
	s_wait_loadcnt 0x0
	v_bfe_i32 v24, v24, 0, 16
	s_and_b32 s8, exec_lo, vcc_lo
	s_wait_alu 0xfffe
	s_or_b32 s11, s8, s11
	s_delay_alu instid0(VALU_DEP_1) | instskip(NEXT) | instid1(VALU_DEP_1)
	v_add_nc_u32_e32 v24, 0x8000, v24
	v_and_b32_e32 v35, v24, v33
	v_bfe_u32 v24, v24, s97, 2
	s_delay_alu instid0(VALU_DEP_2) | instskip(NEXT) | instid1(VALU_DEP_2)
	v_cmp_eq_u32_e64 s6, v35, v30
	v_cmp_eq_u32_e64 s7, 0, v24
	v_cmp_eq_u32_e32 vcc_lo, 1, v24
	v_cmp_eq_u32_e64 s8, 2, v24
	s_and_b32 s7, s6, s7
	s_wait_alu 0xfffe
	v_cndmask_b32_e64 v35, 0, 1, s7
	s_and_b32 s7, s6, vcc_lo
	v_cmp_eq_u32_e32 vcc_lo, 3, v24
	s_wait_alu 0xfffe
	v_cndmask_b32_e64 v36, 0, 1, s7
	s_and_b32 s7, s6, s8
	s_wait_alu 0xfffe
	v_cndmask_b32_e64 v37, 0, 1, s7
	v_cmp_ne_u32_e64 s7, 0, v35
	v_cmp_ne_u32_e64 s8, 0, v36
	s_and_b32 s6, s6, vcc_lo
	s_wait_alu 0xfffe
	v_cndmask_b32_e64 v24, 0, 1, s6
	s_bcnt1_i32_b32 s6, s7
	v_cmp_ne_u32_e64 s9, 0, v37
	s_bcnt1_i32_b32 s7, s8
	s_wait_alu 0xfffe
	v_add_co_u32 v4, vcc_lo, v4, s6
	s_wait_alu 0xfffd
	v_add_co_ci_u32_e64 v5, null, 0, v5, vcc_lo
	v_add_co_u32 v6, vcc_lo, v6, s7
	s_wait_alu 0xfffd
	v_add_co_ci_u32_e64 v7, null, 0, v7, vcc_lo
	v_cmp_ne_u32_e32 vcc_lo, 0, v24
	s_bcnt1_i32_b32 s8, s9
	v_mov_b32_e32 v24, v23
	s_wait_alu 0xfffe
	v_add_co_u32 v8, s6, v8, s8
	s_wait_alu 0xf1ff
	v_add_co_ci_u32_e64 v9, null, 0, v9, s6
	s_bcnt1_i32_b32 s6, vcc_lo
	s_wait_alu 0xfffe
	v_add_co_u32 v10, vcc_lo, v10, s6
	s_wait_alu 0xfffd
	v_add_co_ci_u32_e64 v11, null, 0, v11, vcc_lo
	s_and_not1_b32 exec_lo, exec_lo, s11
	s_cbranch_execz .LBB110_77
.LBB110_75:                             ;   Parent Loop BB110_23 Depth=1
                                        ; =>  This Inner Loop Header: Depth=2
	v_add_co_u32 v21, vcc_lo, v21, v2
	s_wait_alu 0xfffd
	v_add_co_ci_u32_e64 v22, null, 0, v22, vcc_lo
	v_mov_b32_e32 v23, 0
	s_mov_b32 s7, exec_lo
	s_delay_alu instid0(VALU_DEP_2)
	v_cmp_le_u64_e32 vcc_lo, s[28:29], v[21:22]
	v_cmpx_gt_u64_e64 s[28:29], v[21:22]
	s_cbranch_execz .LBB110_74
; %bb.76:                               ;   in Loop: Header=BB110_75 Depth=2
	v_mul_lo_u32 v23, v22, s56
	v_mul_lo_u32 v37, v21, s57
	v_mad_co_u64_u32 v[35:36], null, v21, s56, 0
	s_delay_alu instid0(VALU_DEP_1) | instskip(NEXT) | instid1(VALU_DEP_1)
	v_add3_u32 v36, v36, v37, v23
	v_lshlrev_b64_e32 v[35:36], 1, v[35:36]
	s_delay_alu instid0(VALU_DEP_1) | instskip(SKIP_1) | instid1(VALU_DEP_2)
	v_add_co_u32 v35, s6, s64, v35
	s_wait_alu 0xf1ff
	v_add_co_ci_u32_e64 v36, null, s65, v36, s6
	global_load_u16 v23, v[35:36], off
	s_branch .LBB110_74
.LBB110_77:                             ;   in Loop: Header=BB110_23 Depth=1
	s_or_b32 exec_lo, exec_lo, s11
.LBB110_78:                             ;   in Loop: Header=BB110_23 Depth=1
	s_wait_alu 0xfffe
	s_or_b32 exec_lo, exec_lo, s10
	s_branch .LBB110_57
.LBB110_79:                             ;   in Loop: Header=BB110_23 Depth=1
	global_load_u16 v2, v3, s[76:77]
	v_mov_b32_e32 v6, 0
	v_mov_b32_e32 v8, 0
	v_dual_mov_b32 v10, 0 :: v_dual_mov_b32 v9, 0
	v_mov_b32_e32 v11, 0
	s_mov_b32 s61, exec_lo
	v_mov_b32_e32 v7, 0
	s_wait_loadcnt 0x0
	v_readfirstlane_b32 s6, v2
	v_and_b32_e32 v2, 0xffff, v2
	s_and_b32 s59, 0xffff, s6
	s_delay_alu instid0(SALU_CYCLE_1) | instskip(SKIP_4) | instid1(SALU_CYCLE_1)
	s_lshl_b32 s60, s59, 2
	s_wait_alu 0xfffe
	s_cvt_f32_u32 s6, s60
	s_sub_co_i32 s7, 0, s60
	s_wait_alu 0xfffe
	v_rcp_iflag_f32_e32 v4, s6
	s_delay_alu instid0(TRANS32_DEP_1) | instskip(SKIP_2) | instid1(SALU_CYCLE_2)
	v_readfirstlane_b32 s6, v4
	s_mul_f32 s6, s6, 0x4f7ffffe
	s_wait_alu 0xfffe
	s_cvt_u32_f32 s6, s6
	s_wait_alu 0xfffe
	s_delay_alu instid0(SALU_CYCLE_2)
	s_mul_i32 s7, s7, s6
	s_wait_alu 0xfffe
	s_mul_hi_u32 s7, s6, s7
	s_wait_alu 0xfffe
	s_add_co_i32 s6, s6, s7
	s_wait_alu 0xfffe
	s_mul_hi_u32 s6, s78, s6
	s_wait_alu 0xfffe
	s_mul_i32 s7, s6, s60
	s_add_co_i32 s8, s6, 1
	s_wait_alu 0xfffe
	s_sub_co_i32 s7, s78, s7
	s_wait_alu 0xfffe
	s_sub_co_i32 s9, s7, s60
	s_cmp_ge_u32 s7, s60
	s_cselect_b32 s6, s8, s6
	s_wait_alu 0xfffe
	s_cselect_b32 s7, s9, s7
	s_add_co_i32 s8, s6, 1
	s_wait_alu 0xfffe
	s_cmp_ge_u32 s7, s60
	s_cselect_b32 s79, s8, s6
	s_wait_alu 0xfffe
	v_mul_hi_u32 v5, s79, v2
	v_mul_lo_u32 v4, s79, v2
	s_delay_alu instid0(VALU_DEP_1) | instskip(SKIP_2) | instid1(VALU_DEP_3)
	v_lshlrev_b64_e32 v[21:22], 2, v[4:5]
	v_mov_b32_e32 v4, 0
	v_mov_b32_e32 v5, 0
	v_cmpx_gt_u64_e64 v[21:22], v[14:15]
	s_cbranch_execz .LBB110_83
; %bb.80:                               ;   in Loop: Header=BB110_23 Depth=1
	v_dual_mov_b32 v35, v31 :: v_dual_mov_b32 v24, v15
	v_mov_b32_e32 v23, v14
	s_lshl_b32 s44, s59, 3
	s_mov_b64 s[80:81], 0
	s_mov_b32 s45, 0
	s_mov_b64 s[82:83], 0
	s_mov_b64 s[84:85], 0
	;; [unrolled: 1-line block ×3, first 2 shown]
.LBB110_81:                             ;   Parent Loop BB110_23 Depth=1
                                        ; =>  This Inner Loop Header: Depth=2
	ds_load_b64 v[4:5], v35
	v_add_co_u32 v23, vcc_lo, v23, s60
	s_wait_alu 0xfffd
	v_add_co_ci_u32_e64 v24, null, 0, v24, vcc_lo
	s_delay_alu instid0(VALU_DEP_1)
	v_cmp_ge_u64_e32 vcc_lo, v[23:24], v[21:22]
	s_wait_dscnt 0x0
	v_bfe_i32 v6, v4, 0, 16
	v_ashrrev_i32_e32 v4, 16, v4
	v_bfe_i32 v7, v5, 0, 16
	v_ashrrev_i32_e32 v5, 16, v5
	s_delay_alu instid0(VALU_DEP_4) | instskip(NEXT) | instid1(VALU_DEP_4)
	v_add_nc_u32_e32 v6, 0x8000, v6
	v_add_nc_u32_e32 v4, 0x8000, v4
	s_delay_alu instid0(VALU_DEP_4) | instskip(NEXT) | instid1(VALU_DEP_4)
	v_add_nc_u32_e32 v7, 0x8000, v7
	v_add_nc_u32_e32 v5, 0x8000, v5
	s_delay_alu instid0(VALU_DEP_4) | instskip(NEXT) | instid1(VALU_DEP_4)
	v_and_b32_e32 v8, v6, v33
	v_and_b32_e32 v9, v4, v33
	v_bfe_u32 v6, v6, s97, 2
	v_bfe_u32 v4, v4, s97, 2
	s_delay_alu instid0(VALU_DEP_4)
	v_cmp_eq_u32_e64 s6, v8, v30
	v_and_b32_e32 v8, v7, v33
	v_bfe_u32 v7, v7, s97, 2
	v_cmp_eq_u32_e64 s7, v9, v30
	v_and_b32_e32 v9, v5, v33
	v_bfe_u32 v5, v5, s97, 2
	v_cmp_eq_u32_e64 s10, 0, v6
	v_cmp_eq_u32_e64 s11, 0, v4
	;; [unrolled: 1-line block ×9, first 2 shown]
	s_and_b32 s10, s6, s10
	s_and_b32 s11, s7, s11
	v_cmp_eq_u32_e64 s15, 1, v4
	v_cmp_eq_u32_e64 s18, 2, v6
	;; [unrolled: 1-line block ×7, first 2 shown]
	s_and_b32 s12, s8, s12
	s_wait_alu 0xfffe
	v_cndmask_b32_e64 v4, 0, 1, s10
	v_cndmask_b32_e64 v5, 0, 1, s11
	s_and_b32 s13, s9, s13
	v_cmp_eq_u32_e64 s20, 2, v7
	v_cmp_eq_u32_e64 s24, 3, v7
	v_cndmask_b32_e64 v6, 0, 1, s12
	s_and_b32 s14, s6, s14
	s_and_b32 s16, s8, s16
	;; [unrolled: 1-line block ×3, first 2 shown]
	s_wait_alu 0xfffe
	v_cndmask_b32_e64 v7, 0, 1, s13
	s_and_b32 s15, s7, s15
	s_and_b32 s18, s6, s18
	;; [unrolled: 1-line block ×5, first 2 shown]
	v_cndmask_b32_e64 v8, 0, 1, s14
	v_cmp_ne_u32_e64 s6, 0, v4
	v_cndmask_b32_e64 v4, 0, 1, s16
	v_cmp_ne_u32_e64 s7, 0, v5
	v_cndmask_b32_e64 v5, 0, 1, s17
	s_wait_alu 0xfffe
	v_cndmask_b32_e64 v9, 0, 1, s15
	s_and_b32 s20, s8, s20
	s_and_b32 s24, s8, s24
	v_cmp_ne_u32_e64 s8, 0, v6
	v_cndmask_b32_e64 v6, 0, 1, s18
	s_and_b32 s21, s9, s21
	s_and_b32 s25, s9, s25
	v_cmp_ne_u32_e64 s9, 0, v7
	v_cndmask_b32_e64 v7, 0, 1, s19
	v_cmp_ne_u32_e64 s10, 0, v8
	s_wait_alu 0xfffe
	v_cndmask_b32_e64 v8, 0, 1, s20
	v_cmp_ne_u32_e64 s12, 0, v4
	v_cndmask_b32_e64 v4, 0, 1, s22
	v_cmp_ne_u32_e64 s13, 0, v5
	;; [unrolled: 2-line block ×5, first 2 shown]
	v_cndmask_b32_e64 v7, 0, 1, s25
	s_bcnt1_i32_b32 s6, s6
	s_bcnt1_i32_b32 s7, s7
	v_cmp_ne_u32_e64 s16, 0, v8
	v_cmp_ne_u32_e64 s18, 0, v4
	v_cmp_ne_u32_e64 s19, 0, v5
	s_bcnt1_i32_b32 s8, s8
	s_bcnt1_i32_b32 s10, s10
	;; [unrolled: 1-line block ×3, first 2 shown]
	s_wait_alu 0xfffe
	s_add_co_i32 s6, s7, s6
	v_cmp_ne_u32_e64 s17, 0, v9
	v_cmp_ne_u32_e64 s20, 0, v6
	s_bcnt1_i32_b32 s9, s9
	s_bcnt1_i32_b32 s12, s12
	;; [unrolled: 1-line block ×4, first 2 shown]
	s_add_co_i32 s7, s11, s10
	s_wait_alu 0xfffe
	s_add_co_i32 s6, s6, s8
	v_cmp_ne_u32_e64 s21, 0, v7
	s_bcnt1_i32_b32 s13, s13
	s_bcnt1_i32_b32 s16, s16
	;; [unrolled: 1-line block ×4, first 2 shown]
	s_add_co_i32 s10, s15, s14
	s_add_co_i32 s7, s7, s12
	s_wait_alu 0xfffe
	s_add_co_i32 s70, s6, s9
	s_bcnt1_i32_b32 s17, s17
	s_bcnt1_i32_b32 s20, s20
	s_add_co_i32 s11, s19, s18
	s_add_co_i32 s8, s10, s16
	s_wait_alu 0xfffe
	s_add_nc_u64 s[86:87], s[86:87], s[70:71]
	s_add_co_i32 s70, s7, s13
	s_bcnt1_i32_b32 s21, s21
	s_add_co_i32 s10, s11, s20
	s_wait_alu 0xfffe
	s_add_nc_u64 s[84:85], s[84:85], s[70:71]
	s_add_co_i32 s70, s8, s17
	v_dual_mov_b32 v4, s86 :: v_dual_add_nc_u32 v35, s44, v35
	s_wait_alu 0xfffe
	s_add_nc_u64 s[82:83], s[82:83], s[70:71]
	s_add_co_i32 s70, s10, s21
	v_mov_b32_e32 v6, s84
	s_wait_alu 0xfffe
	s_add_nc_u64 s[80:81], s[80:81], s[70:71]
	v_mov_b32_e32 v8, s82
	s_wait_alu 0xfffe
	v_dual_mov_b32 v10, s80 :: v_dual_mov_b32 v5, s87
	v_mov_b32_e32 v7, s85
	v_mov_b32_e32 v9, s83
	;; [unrolled: 1-line block ×3, first 2 shown]
	s_or_b32 s45, vcc_lo, s45
	s_wait_alu 0xfffe
	s_and_not1_b32 exec_lo, exec_lo, s45
	s_cbranch_execnz .LBB110_81
; %bb.82:                               ;   in Loop: Header=BB110_23 Depth=1
	s_or_b32 exec_lo, exec_lo, s45
.LBB110_83:                             ;   in Loop: Header=BB110_23 Depth=1
	s_delay_alu instid0(SALU_CYCLE_1)
	s_or_b32 exec_lo, exec_lo, s61
	v_add_co_u32 v21, vcc_lo, v21, v0
	s_wait_alu 0xfffd
	v_add_co_ci_u32_e64 v22, null, 0, v22, vcc_lo
	s_and_b32 s70, s78, 0x7fffffff
	s_mov_b32 s11, exec_lo
	s_wait_alu 0xfffe
	v_cmpx_gt_u64_e64 s[70:71], v[21:22]
	s_cbranch_execz .LBB110_87
; %bb.84:                               ;   in Loop: Header=BB110_23 Depth=1
	s_mul_i32 s79, s79, s59
	s_lshl_b32 s13, s59, 1
	s_wait_alu 0xfffe
	v_lshl_add_u32 v23, s79, 3, v26
	s_mov_b32 s12, 0
.LBB110_85:                             ;   Parent Loop BB110_23 Depth=1
                                        ; =>  This Inner Loop Header: Depth=2
	ds_load_i16 v24, v23
	v_add_co_u32 v21, vcc_lo, v21, v2
	s_wait_alu 0xfffd
	v_add_co_ci_u32_e64 v22, null, 0, v22, vcc_lo
	v_add_nc_u32_e32 v23, s13, v23
	s_delay_alu instid0(VALU_DEP_2) | instskip(SKIP_2) | instid1(VALU_DEP_1)
	v_cmp_le_u64_e32 vcc_lo, s[70:71], v[21:22]
	s_wait_dscnt 0x0
	v_add_nc_u32_e32 v24, 0x8000, v24
	v_and_b32_e32 v35, v24, v33
	v_bfe_u32 v24, v24, s97, 2
	s_delay_alu instid0(VALU_DEP_2) | instskip(NEXT) | instid1(VALU_DEP_2)
	v_cmp_eq_u32_e64 s6, v35, v30
	v_cmp_eq_u32_e64 s7, 0, v24
	;; [unrolled: 1-line block ×5, first 2 shown]
	s_and_b32 s7, s6, s7
	s_wait_alu 0xfffe
	v_cndmask_b32_e64 v24, 0, 1, s7
	s_and_b32 s7, s6, s8
	s_wait_alu 0xfffe
	v_cndmask_b32_e64 v35, 0, 1, s7
	s_and_b32 s7, s6, s9
	s_and_b32 s6, s6, s10
	s_wait_alu 0xfffe
	v_cndmask_b32_e64 v36, 0, 1, s7
	v_cndmask_b32_e64 v37, 0, 1, s6
	v_cmp_ne_u32_e64 s6, 0, v24
	v_cmp_ne_u32_e64 s7, 0, v35
	s_delay_alu instid0(VALU_DEP_4) | instskip(NEXT) | instid1(VALU_DEP_4)
	v_cmp_ne_u32_e64 s8, 0, v36
	v_cmp_ne_u32_e64 s9, 0, v37
	s_bcnt1_i32_b32 s6, s6
	s_bcnt1_i32_b32 s7, s7
	s_wait_alu 0xfffe
	v_add_co_u32 v4, s6, v4, s6
	s_bcnt1_i32_b32 s8, s8
	v_add_co_ci_u32_e64 v5, null, 0, v5, s6
	v_add_co_u32 v6, s6, v6, s7
	s_bcnt1_i32_b32 s9, s9
	v_add_co_ci_u32_e64 v7, null, 0, v7, s6
	s_wait_alu 0xfffe
	v_add_co_u32 v8, s6, v8, s8
	s_wait_alu 0xf1ff
	v_add_co_ci_u32_e64 v9, null, 0, v9, s6
	v_add_co_u32 v10, s6, v10, s9
	s_wait_alu 0xf1ff
	v_add_co_ci_u32_e64 v11, null, 0, v11, s6
	s_or_b32 s12, vcc_lo, s12
	s_wait_alu 0xfffe
	s_and_not1_b32 exec_lo, exec_lo, s12
	s_cbranch_execnz .LBB110_85
; %bb.86:                               ;   in Loop: Header=BB110_23 Depth=1
	s_or_b32 exec_lo, exec_lo, s12
.LBB110_87:                             ;   in Loop: Header=BB110_23 Depth=1
	s_delay_alu instid0(SALU_CYCLE_1)
	s_or_b32 exec_lo, exec_lo, s11
	s_lshl_b32 s6, s100, 7
	s_and_saveexec_b32 s7, s1
	s_cbranch_execnz .LBB110_58
	s_branch .LBB110_59
.LBB110_88:                             ;   in Loop: Header=BB110_23 Depth=1
                                        ; implicit-def: $sgpr6_sgpr7
	s_branch .LBB110_67
.LBB110_89:                             ;   in Loop: Header=BB110_23 Depth=1
	s_mov_b32 s8, 0
	s_and_not1_b32 vcc_lo, exec_lo, s95
	s_wait_alu 0xfffe
	s_cbranch_vccnz .LBB110_92
.LBB110_90:                             ;   in Loop: Header=BB110_23 Depth=1
	s_lshl_b32 s9, s100, 10
	s_lshl_b32 s8, s8, 5
	s_wait_alu 0xfffe
	v_add3_u32 v2, s9, s8, v32
	s_mov_b32 s8, s91
.LBB110_91:                             ;   Parent Loop BB110_23 Depth=1
                                        ; =>  This Inner Loop Header: Depth=2
	ds_load_b64 v[6:7], v2
	v_add_nc_u32_e32 v2, 32, v2
	s_wait_alu 0xfffe
	s_add_co_i32 s8, s8, -1
	s_wait_alu 0xfffe
	s_cmp_lg_u32 s8, 0
	s_wait_dscnt 0x0
	v_add_co_u32 v4, vcc_lo, v6, v4
	s_wait_alu 0xfffd
	v_add_co_ci_u32_e64 v5, null, v7, v5, vcc_lo
	s_cbranch_scc1 .LBB110_91
.LBB110_92:                             ;   in Loop: Header=BB110_23 Depth=1
	v_add_lshl_u32 v2, s6, v25, 3
	ds_store_b64 v2, v[4:5] offset:3072
.LBB110_93:                             ;   in Loop: Header=BB110_23 Depth=1
	s_wait_alu 0xfffe
	s_or_b32 exec_lo, exec_lo, s7
	s_lshl_b32 s6, s6, 3
	s_wait_loadcnt_dscnt 0x0
	s_wait_alu 0xfffe
	v_mov_b32_e32 v2, s6
	s_barrier_signal -1
	s_barrier_wait -1
	global_inv scope:SCOPE_SE
	v_cmp_eq_u64_e32 vcc_lo, 1, v[19:20]
	ds_load_b128 v[4:7], v2 offset:3072
	ds_load_b128 v[8:11], v2 offset:3088
	s_lshl_b32 s16, 3, s97
	s_mov_b32 s18, -1
	s_wait_alu 0xfffe
	s_not_b32 s20, s16
                                        ; implicit-def: $sgpr22
                                        ; implicit-def: $sgpr21
	s_wait_dscnt 0x1
	v_cmp_eq_u64_e64 s6, 1, v[4:5]
	s_wait_dscnt 0x0
	v_readfirstlane_b32 s10, v8
	v_readfirstlane_b32 s11, v9
	;; [unrolled: 1-line block ×4, first 2 shown]
	s_and_b32 s19, s6, vcc_lo
	s_mov_b32 s6, -1
	s_wait_alu 0xfffe
	s_and_saveexec_b32 s17, s19
	s_cbranch_execz .LBB110_125
; %bb.94:                               ;   in Loop: Header=BB110_23 Depth=1
	ds_load_b64 v[8:9], v3 offset:5120
	s_wait_loadcnt_dscnt 0x0
	s_barrier_signal -1
	s_barrier_wait -1
	global_inv scope:SCOPE_SE
	v_readfirstlane_b32 s6, v8
	v_readfirstlane_b32 s7, v9
	s_and_saveexec_b32 s12, s3
; %bb.95:                               ;   in Loop: Header=BB110_23 Depth=1
	ds_store_b16 v27, v3
; %bb.96:                               ;   in Loop: Header=BB110_23 Depth=1
	s_wait_alu 0xfffe
	s_or_b32 exec_lo, exec_lo, s12
	v_and_b32_e32 v30, s20, v30
	v_or_b32_e32 v33, s16, v33
	s_mov_b32 s21, -1
	s_mov_b32 s22, 0
	s_cmp_eq_u64 s[6:7], 0
	s_mov_b32 s14, 0
	s_mov_b32 s15, -1
	s_wait_loadcnt_dscnt 0x0
	s_barrier_signal -1
	s_barrier_wait -1
	global_inv scope:SCOPE_SE
                                        ; implicit-def: $vgpr34
	s_cbranch_scc1 .LBB110_110
; %bb.97:                               ;   in Loop: Header=BB110_23 Depth=1
	s_add_nc_u64 s[12:13], s[6:7], s[72:73]
	s_mov_b32 s14, s71
	s_wait_alu 0xfffe
	s_mov_b32 s15, s13
	s_wait_alu 0xfffe
	s_cmp_lg_u64 s[14:15], 0
	s_cbranch_scc0 .LBB110_151
; %bb.98:                               ;   in Loop: Header=BB110_23 Depth=1
	s_cvt_f32_u32 s14, s66
	s_sub_nc_u64 s[24:25], 0, s[66:67]
	s_wait_alu 0xfffe
	s_delay_alu instid0(SALU_CYCLE_1) | instskip(SKIP_1) | instid1(SALU_CYCLE_2)
	s_fmamk_f32 s14, s99, 0x0, s14
	s_wait_alu 0xfffe
	v_s_rcp_f32 s14, s14
	s_delay_alu instid0(TRANS32_DEP_1) | instskip(SKIP_1) | instid1(SALU_CYCLE_2)
	s_mul_f32 s14, s14, 0x5f7ffffc
	s_wait_alu 0xfffe
	s_mul_f32 s15, s14, 0x2f800000
	s_wait_alu 0xfffe
	s_delay_alu instid0(SALU_CYCLE_2) | instskip(SKIP_1) | instid1(SALU_CYCLE_2)
	s_trunc_f32 s15, s15
	s_wait_alu 0xfffe
	s_fmamk_f32 s14, s15, 0xcf800000, s14
	s_cvt_u32_f32 s15, s15
	s_wait_alu 0xfffe
	s_delay_alu instid0(SALU_CYCLE_1) | instskip(SKIP_1) | instid1(SALU_CYCLE_2)
	s_cvt_u32_f32 s14, s14
	s_wait_alu 0xfffe
	s_mul_u64 s[44:45], s[24:25], s[14:15]
	s_wait_alu 0xfffe
	s_mul_hi_u32 s47, s14, s45
	s_mul_i32 s46, s14, s45
	s_mul_hi_u32 s70, s14, s44
	s_mul_i32 s59, s15, s44
	s_wait_alu 0xfffe
	s_add_nc_u64 s[46:47], s[70:71], s[46:47]
	s_mul_hi_u32 s23, s15, s44
	s_mul_hi_u32 s60, s15, s45
	s_mul_i32 s44, s15, s45
	s_wait_alu 0xfffe
	s_add_co_u32 s45, s46, s59
	s_add_co_ci_u32 s70, s47, s23
	s_add_co_ci_u32 s45, s60, 0
	s_wait_alu 0xfffe
	s_add_nc_u64 s[44:45], s[70:71], s[44:45]
	s_wait_alu 0xfffe
	s_add_co_u32 s14, s14, s44
	s_cselect_b32 s23, -1, 0
	s_wait_alu 0xfffe
	s_cmp_lg_u32 s23, 0
	s_add_co_ci_u32 s15, s15, s45
	s_wait_alu 0xfffe
	s_mul_u64 s[24:25], s[24:25], s[14:15]
	s_wait_alu 0xfffe
	s_mul_hi_u32 s45, s14, s25
	s_mul_i32 s44, s14, s25
	s_mul_hi_u32 s70, s14, s24
	s_mul_i32 s46, s15, s24
	s_wait_alu 0xfffe
	s_add_nc_u64 s[44:45], s[70:71], s[44:45]
	s_mul_hi_u32 s23, s15, s24
	s_mul_hi_u32 s47, s15, s25
	s_mul_i32 s24, s15, s25
	s_wait_alu 0xfffe
	s_add_co_u32 s25, s44, s46
	s_add_co_ci_u32 s70, s45, s23
	s_add_co_ci_u32 s25, s47, 0
	s_wait_alu 0xfffe
	s_add_nc_u64 s[24:25], s[70:71], s[24:25]
	s_wait_alu 0xfffe
	s_add_co_u32 s14, s14, s24
	s_cselect_b32 s23, -1, 0
	s_wait_alu 0xfffe
	s_mul_hi_u32 s70, s12, s14
	s_cmp_lg_u32 s23, 0
	s_mul_hi_u32 s23, s13, s14
	s_add_co_ci_u32 s24, s15, s25
	s_mul_i32 s25, s13, s14
	s_wait_alu 0xfffe
	s_mul_hi_u32 s15, s12, s24
	s_mul_i32 s14, s12, s24
	s_mul_hi_u32 s44, s13, s24
	s_wait_alu 0xfffe
	s_add_nc_u64 s[14:15], s[70:71], s[14:15]
	s_mul_i32 s24, s13, s24
	s_wait_alu 0xfffe
	s_add_co_u32 s14, s14, s25
	s_add_co_ci_u32 s70, s15, s23
	s_add_co_ci_u32 s25, s44, 0
	s_wait_alu 0xfffe
	s_add_nc_u64 s[14:15], s[70:71], s[24:25]
	s_wait_alu 0xfffe
	s_mul_u64 s[14:15], s[66:67], s[14:15]
	s_wait_alu 0xfffe
	s_sub_co_u32 s14, s12, s14
	s_cselect_b32 s23, -1, 0
	s_wait_alu 0xfffe
	s_cmp_lg_u32 s23, 0
	s_sub_co_ci_u32 s15, s13, s15
	s_sub_co_u32 s23, s14, s66
	s_cselect_b32 s24, -1, 0
	s_wait_alu 0xfffe
	s_cmp_lg_u32 s24, 0
	s_sub_co_ci_u32 s24, s15, 0
	;; [unrolled: 5-line block ×3, first 2 shown]
	s_cmp_ge_u32 s23, s66
	s_cselect_b32 s45, -1, 0
	s_cmp_eq_u32 s24, 0
	s_wait_alu 0xfffe
	s_cselect_b32 s45, s45, -1
	s_wait_alu 0xfffe
	s_cmp_lg_u32 s45, 0
	s_cselect_b32 s24, s44, s24
	s_cselect_b32 s23, s25, s23
	s_cmp_ge_u32 s14, s66
	s_cselect_b32 s25, -1, 0
	s_cmp_eq_u32 s15, 0
	s_wait_alu 0xfffe
	s_cselect_b32 s25, s25, -1
	s_wait_alu 0xfffe
	s_cmp_lg_u32 s25, 0
	s_cselect_b32 s15, s24, s15
	s_cselect_b32 s14, s23, s14
	s_cbranch_execnz .LBB110_100
.LBB110_99:                             ;   in Loop: Header=BB110_23 Depth=1
	v_cvt_f32_u32_e32 v2, s66
	s_sub_co_i32 s15, 0, s66
	s_delay_alu instid0(VALU_DEP_1) | instskip(NEXT) | instid1(TRANS32_DEP_1)
	v_rcp_iflag_f32_e32 v2, v2
	v_mul_f32_e32 v2, 0x4f7ffffe, v2
	s_delay_alu instid0(VALU_DEP_1) | instskip(NEXT) | instid1(VALU_DEP_1)
	v_cvt_u32_f32_e32 v2, v2
	v_readfirstlane_b32 s14, v2
	s_wait_alu 0xfffe
	s_mul_i32 s15, s15, s14
	s_wait_alu 0xfffe
	s_mul_hi_u32 s15, s14, s15
	s_wait_alu 0xfffe
	s_add_co_i32 s14, s14, s15
	s_wait_alu 0xfffe
	s_mul_hi_u32 s14, s12, s14
	s_wait_alu 0xfffe
	s_mul_i32 s14, s14, s66
	s_wait_alu 0xfffe
	s_sub_co_i32 s14, s12, s14
	s_wait_alu 0xfffe
	s_sub_co_i32 s15, s14, s66
	s_cmp_ge_u32 s14, s66
	s_wait_alu 0xfffe
	s_cselect_b32 s14, s15, s14
	s_wait_alu 0xfffe
	s_sub_co_i32 s15, s14, s66
	s_cmp_ge_u32 s14, s66
	s_wait_alu 0xfffe
	s_cselect_b32 s70, s15, s14
	s_wait_alu 0xfffe
	s_mov_b64 s[14:15], s[70:71]
.LBB110_100:                            ;   in Loop: Header=BB110_23 Depth=1
	s_wait_alu 0xfffe
	s_sub_nc_u64 s[12:13], s[12:13], s[14:15]
	s_mov_b32 s15, 0
	s_mov_b32 s14, 0
	s_mov_b32 s23, exec_lo
                                        ; implicit-def: $vgpr34
	s_wait_alu 0xfffe
	v_cmpx_gt_u64_e64 s[12:13], v[0:1]
	s_cbranch_execz .LBB110_109
; %bb.101:                              ;   in Loop: Header=BB110_23 Depth=1
	v_dual_mov_b32 v2, v26 :: v_dual_mov_b32 v9, v1
	v_mov_b32_e32 v8, v0
                                        ; implicit-def: $sgpr24
	s_branch .LBB110_104
.LBB110_102:                            ;   in Loop: Header=BB110_104 Depth=2
	s_wait_alu 0xfffe
	s_or_b32 exec_lo, exec_lo, s25
	s_wait_loadcnt_dscnt 0x0
	s_barrier_signal -1
	s_barrier_wait -1
	global_inv scope:SCOPE_SE
	ds_load_b32 v10, v3 offset:3072
	s_mov_b32 s25, -1
	s_mov_b32 s44, -1
	s_wait_loadcnt_dscnt 0x0
	s_barrier_signal -1
	s_barrier_wait -1
	global_inv scope:SCOPE_SE
	v_and_b32_e32 v11, 0xffff, v10
	s_delay_alu instid0(VALU_DEP_1)
	v_cmp_ne_u32_e32 vcc_lo, 0, v11
	s_cbranch_vccz .LBB110_107
.LBB110_103:                            ;   in Loop: Header=BB110_104 Depth=2
	s_wait_alu 0xfffe
	s_and_b32 s25, exec_lo, s25
	s_wait_alu 0xfffe
	s_or_b32 s14, s25, s14
	s_and_not1_b32 s24, s24, exec_lo
	s_and_b32 s25, s44, exec_lo
	s_wait_alu 0xfffe
	s_or_b32 s24, s24, s25
	s_and_not1_b32 exec_lo, exec_lo, s14
	s_cbranch_execz .LBB110_108
.LBB110_104:                            ;   Parent Loop BB110_23 Depth=1
                                        ; =>  This Inner Loop Header: Depth=2
	s_mov_b32 s25, exec_lo
	s_delay_alu instid0(VALU_DEP_1)
	v_cmpx_gt_u64_e64 s[6:7], v[8:9]
	s_cbranch_execz .LBB110_102
; %bb.105:                              ;   in Loop: Header=BB110_104 Depth=2
	ds_load_u16 v10, v2
	s_wait_dscnt 0x0
	v_bfe_i32 v11, v10, 0, 16
	s_delay_alu instid0(VALU_DEP_1) | instskip(NEXT) | instid1(VALU_DEP_1)
	v_add_nc_u32_e32 v11, 0x8000, v11
	v_and_b32_e32 v11, v11, v33
	s_delay_alu instid0(VALU_DEP_1)
	v_cmp_eq_u32_e32 vcc_lo, v11, v30
	s_and_b32 exec_lo, exec_lo, vcc_lo
	s_cbranch_execz .LBB110_102
; %bb.106:                              ;   in Loop: Header=BB110_104 Depth=2
	v_perm_b32 v10, v10, 1, 0x5040100
	ds_store_b32 v3, v10 offset:3072
	s_branch .LBB110_102
.LBB110_107:                            ;   in Loop: Header=BB110_104 Depth=2
	v_add_co_u32 v8, vcc_lo, v8, s66
	s_wait_alu 0xfffd
	v_add_co_ci_u32_e64 v9, null, 0, v9, vcc_lo
	v_add_nc_u32_e32 v2, s96, v2
	s_mov_b32 s44, 0
	s_delay_alu instid0(VALU_DEP_2)
	v_cmp_le_u64_e32 vcc_lo, s[12:13], v[8:9]
	s_or_not1_b32 s25, vcc_lo, exec_lo
	s_branch .LBB110_103
.LBB110_108:                            ;   in Loop: Header=BB110_23 Depth=1
	s_or_b32 exec_lo, exec_lo, s14
	v_lshrrev_b32_e32 v34, 16, v10
	s_wait_alu 0xfffe
	s_and_b32 s14, s24, exec_lo
.LBB110_109:                            ;   in Loop: Header=BB110_23 Depth=1
	s_or_b32 exec_lo, exec_lo, s23
.LBB110_110:                            ;   in Loop: Header=BB110_23 Depth=1
	s_wait_alu 0xfffe
	s_and_b32 vcc_lo, exec_lo, s15
	s_wait_alu 0xfffe
	s_cbranch_vccz .LBB110_124
; %bb.111:                              ;   in Loop: Header=BB110_23 Depth=1
	s_mov_b32 s6, s71
	s_mov_b32 s7, s75
	s_wait_alu 0xfffe
	s_cmp_lg_u64 s[6:7], 0
	s_cbranch_scc0 .LBB110_155
; %bb.112:                              ;   in Loop: Header=BB110_23 Depth=1
	s_cvt_f32_u32 s6, s66
	s_sub_nc_u64 s[12:13], 0, s[66:67]
	s_wait_alu 0xfffe
	s_delay_alu instid0(SALU_CYCLE_1) | instskip(SKIP_1) | instid1(SALU_CYCLE_2)
	s_fmamk_f32 s6, s99, 0x0, s6
	s_wait_alu 0xfffe
	v_s_rcp_f32 s6, s6
	s_delay_alu instid0(TRANS32_DEP_1) | instskip(SKIP_1) | instid1(SALU_CYCLE_2)
	s_mul_f32 s6, s6, 0x5f7ffffc
	s_wait_alu 0xfffe
	s_mul_f32 s7, s6, 0x2f800000
	s_wait_alu 0xfffe
	s_delay_alu instid0(SALU_CYCLE_2) | instskip(SKIP_1) | instid1(SALU_CYCLE_2)
	s_trunc_f32 s7, s7
	s_wait_alu 0xfffe
	s_fmamk_f32 s6, s7, 0xcf800000, s6
	s_cvt_u32_f32 s7, s7
	s_wait_alu 0xfffe
	s_delay_alu instid0(SALU_CYCLE_1) | instskip(SKIP_1) | instid1(SALU_CYCLE_2)
	s_cvt_u32_f32 s6, s6
	s_wait_alu 0xfffe
	s_mul_u64 s[22:23], s[12:13], s[6:7]
	s_wait_alu 0xfffe
	s_mul_hi_u32 s25, s6, s23
	s_mul_i32 s24, s6, s23
	s_mul_hi_u32 s70, s6, s22
	s_mul_i32 s21, s7, s22
	s_wait_alu 0xfffe
	s_add_nc_u64 s[24:25], s[70:71], s[24:25]
	s_mul_hi_u32 s15, s7, s22
	s_mul_hi_u32 s44, s7, s23
	s_wait_alu 0xfffe
	s_add_co_u32 s21, s24, s21
	s_add_co_ci_u32 s70, s25, s15
	s_mul_i32 s22, s7, s23
	s_add_co_ci_u32 s23, s44, 0
	s_wait_alu 0xfffe
	s_add_nc_u64 s[22:23], s[70:71], s[22:23]
	s_wait_alu 0xfffe
	s_add_co_u32 s6, s6, s22
	s_cselect_b32 s15, -1, 0
	s_wait_alu 0xfffe
	s_cmp_lg_u32 s15, 0
	s_add_co_ci_u32 s7, s7, s23
	s_wait_alu 0xfffe
	s_mul_u64 s[12:13], s[12:13], s[6:7]
	s_wait_alu 0xfffe
	s_mul_hi_u32 s23, s6, s13
	s_mul_i32 s22, s6, s13
	s_mul_hi_u32 s70, s6, s12
	s_mul_i32 s21, s7, s12
	s_wait_alu 0xfffe
	s_add_nc_u64 s[22:23], s[70:71], s[22:23]
	s_mul_hi_u32 s15, s7, s12
	s_mul_hi_u32 s24, s7, s13
	s_mul_i32 s12, s7, s13
	s_wait_alu 0xfffe
	s_add_co_u32 s13, s22, s21
	s_add_co_ci_u32 s70, s23, s15
	s_add_co_ci_u32 s13, s24, 0
	s_wait_alu 0xfffe
	s_add_nc_u64 s[12:13], s[70:71], s[12:13]
	s_wait_alu 0xfffe
	s_add_co_u32 s6, s6, s12
	s_cselect_b32 s12, -1, 0
	s_wait_alu 0xfffe
	s_mul_hi_u32 s70, s74, s6
	s_cmp_lg_u32 s12, 0
	s_mul_hi_u32 s15, s75, s6
	s_add_co_ci_u32 s12, s7, s13
	s_mul_i32 s13, s75, s6
	s_wait_alu 0xfffe
	s_mul_hi_u32 s7, s74, s12
	s_mul_i32 s6, s74, s12
	s_mul_hi_u32 s21, s75, s12
	s_wait_alu 0xfffe
	s_add_nc_u64 s[6:7], s[70:71], s[6:7]
	s_mul_i32 s12, s75, s12
	s_wait_alu 0xfffe
	s_add_co_u32 s6, s6, s13
	s_add_co_ci_u32 s70, s7, s15
	s_add_co_ci_u32 s13, s21, 0
	s_wait_alu 0xfffe
	s_add_nc_u64 s[6:7], s[70:71], s[12:13]
	s_wait_alu 0xfffe
	s_mul_u64 s[6:7], s[66:67], s[6:7]
	s_wait_alu 0xfffe
	s_sub_co_u32 s6, s74, s6
	s_cselect_b32 s12, -1, 0
	s_wait_alu 0xfffe
	s_cmp_lg_u32 s12, 0
	s_sub_co_ci_u32 s7, s75, s7
	s_sub_co_u32 s12, s6, s66
	s_cselect_b32 s13, -1, 0
	s_wait_alu 0xfffe
	s_cmp_lg_u32 s13, 0
	s_sub_co_ci_u32 s13, s7, 0
	;; [unrolled: 5-line block ×3, first 2 shown]
	s_cmp_ge_u32 s12, s66
	s_cselect_b32 s22, -1, 0
	s_cmp_eq_u32 s13, 0
	s_wait_alu 0xfffe
	s_cselect_b32 s22, s22, -1
	s_wait_alu 0xfffe
	s_cmp_lg_u32 s22, 0
	s_cselect_b32 s13, s21, s13
	s_cselect_b32 s12, s15, s12
	s_cmp_ge_u32 s6, s66
	s_cselect_b32 s15, -1, 0
	s_cmp_eq_u32 s7, 0
	s_wait_alu 0xfffe
	s_cselect_b32 s15, s15, -1
	s_wait_alu 0xfffe
	s_cmp_lg_u32 s15, 0
	s_cselect_b32 s7, s13, s7
	s_cselect_b32 s6, s12, s6
	s_cbranch_execnz .LBB110_114
.LBB110_113:                            ;   in Loop: Header=BB110_23 Depth=1
	v_cvt_f32_u32_e32 v2, s66
	s_sub_co_i32 s7, 0, s66
	s_delay_alu instid0(VALU_DEP_1) | instskip(NEXT) | instid1(TRANS32_DEP_1)
	v_rcp_iflag_f32_e32 v2, v2
	v_mul_f32_e32 v2, 0x4f7ffffe, v2
	s_delay_alu instid0(VALU_DEP_1) | instskip(NEXT) | instid1(VALU_DEP_1)
	v_cvt_u32_f32_e32 v2, v2
	v_readfirstlane_b32 s6, v2
	s_wait_alu 0xfffe
	s_mul_i32 s7, s7, s6
	s_wait_alu 0xfffe
	s_mul_hi_u32 s7, s6, s7
	s_wait_alu 0xfffe
	s_add_co_i32 s6, s6, s7
	s_wait_alu 0xfffe
	s_mul_hi_u32 s6, s74, s6
	s_wait_alu 0xfffe
	s_mul_i32 s6, s6, s66
	s_wait_alu 0xfffe
	s_sub_co_i32 s6, s74, s6
	s_wait_alu 0xfffe
	s_sub_co_i32 s7, s6, s66
	s_cmp_ge_u32 s6, s66
	s_wait_alu 0xfffe
	s_cselect_b32 s6, s7, s6
	s_wait_alu 0xfffe
	s_sub_co_i32 s7, s6, s66
	s_cmp_ge_u32 s6, s66
	s_wait_alu 0xfffe
	s_cselect_b32 s70, s7, s6
	s_wait_alu 0xfffe
	s_mov_b64 s[6:7], s[70:71]
.LBB110_114:                            ;   in Loop: Header=BB110_23 Depth=1
	s_wait_alu 0xfffe
	s_sub_nc_u64 s[6:7], s[74:75], s[6:7]
	s_mov_b32 s12, exec_lo
                                        ; implicit-def: $vgpr34
	s_wait_alu 0xfffe
	v_cmpx_gt_u64_e64 s[6:7], v[0:1]
	s_cbranch_execz .LBB110_123
; %bb.115:                              ;   in Loop: Header=BB110_23 Depth=1
	v_dual_mov_b32 v9, v1 :: v_dual_mov_b32 v8, v0
	s_mov_b32 s13, 0
                                        ; implicit-def: $sgpr15
	s_branch .LBB110_118
.LBB110_116:                            ;   in Loop: Header=BB110_118 Depth=2
	s_wait_alu 0xfffe
	s_or_b32 exec_lo, exec_lo, s21
	s_wait_loadcnt_dscnt 0x0
	s_barrier_signal -1
	s_barrier_wait -1
	global_inv scope:SCOPE_SE
	ds_load_b32 v2, v3 offset:3072
	s_mov_b32 s22, -1
	s_mov_b32 s21, -1
	s_wait_loadcnt_dscnt 0x0
	s_barrier_signal -1
	s_barrier_wait -1
	global_inv scope:SCOPE_SE
	v_and_b32_e32 v10, 0xffff, v2
	s_delay_alu instid0(VALU_DEP_1)
	v_cmp_ne_u32_e32 vcc_lo, 0, v10
	s_cbranch_vccz .LBB110_121
.LBB110_117:                            ;   in Loop: Header=BB110_118 Depth=2
	s_wait_alu 0xfffe
	s_and_b32 s22, exec_lo, s22
	s_wait_alu 0xfffe
	s_or_b32 s13, s22, s13
	s_and_not1_b32 s15, s15, exec_lo
	s_and_b32 s21, s21, exec_lo
	s_wait_alu 0xfffe
	s_or_b32 s15, s15, s21
	s_and_not1_b32 exec_lo, exec_lo, s13
	s_cbranch_execz .LBB110_122
.LBB110_118:                            ;   Parent Loop BB110_23 Depth=1
                                        ; =>  This Inner Loop Header: Depth=2
	s_mov_b32 s21, exec_lo
	s_delay_alu instid0(VALU_DEP_1)
	v_cmpx_gt_u64_e64 s[28:29], v[8:9]
	s_cbranch_execz .LBB110_116
; %bb.119:                              ;   in Loop: Header=BB110_118 Depth=2
	v_mul_lo_u32 v2, v9, s56
	v_mul_lo_u32 v21, v8, s57
	v_mad_co_u64_u32 v[10:11], null, v8, s56, 0
	s_delay_alu instid0(VALU_DEP_1) | instskip(NEXT) | instid1(VALU_DEP_1)
	v_add3_u32 v11, v11, v21, v2
	v_lshlrev_b64_e32 v[10:11], 1, v[10:11]
	s_delay_alu instid0(VALU_DEP_1) | instskip(SKIP_1) | instid1(VALU_DEP_2)
	v_add_co_u32 v10, vcc_lo, s64, v10
	s_wait_alu 0xfffd
	v_add_co_ci_u32_e64 v11, null, s65, v11, vcc_lo
	global_load_u16 v2, v[10:11], off
	s_wait_loadcnt 0x0
	v_bfe_i32 v10, v2, 0, 16
	s_delay_alu instid0(VALU_DEP_1) | instskip(NEXT) | instid1(VALU_DEP_1)
	v_add_nc_u32_e32 v10, 0x8000, v10
	v_and_b32_e32 v10, v10, v33
	s_delay_alu instid0(VALU_DEP_1)
	v_cmp_eq_u32_e32 vcc_lo, v10, v30
	s_and_b32 exec_lo, exec_lo, vcc_lo
	s_cbranch_execz .LBB110_116
; %bb.120:                              ;   in Loop: Header=BB110_118 Depth=2
	v_perm_b32 v2, v2, 1, 0x5040100
	ds_store_b32 v3, v2 offset:3072
	s_branch .LBB110_116
.LBB110_121:                            ;   in Loop: Header=BB110_118 Depth=2
	v_add_co_u32 v8, vcc_lo, v8, s66
	s_wait_alu 0xfffd
	v_add_co_ci_u32_e64 v9, null, 0, v9, vcc_lo
	s_mov_b32 s21, 0
	v_cmp_le_u64_e32 vcc_lo, s[6:7], v[8:9]
	s_or_not1_b32 s22, vcc_lo, exec_lo
	s_branch .LBB110_117
.LBB110_122:                            ;   in Loop: Header=BB110_23 Depth=1
	s_or_b32 exec_lo, exec_lo, s13
	v_lshrrev_b32_e32 v34, 16, v2
	s_and_not1_b32 s6, s14, exec_lo
	s_wait_alu 0xfffe
	s_and_b32 s7, s15, exec_lo
	s_wait_alu 0xfffe
	s_or_b32 s14, s6, s7
.LBB110_123:                            ;   in Loop: Header=BB110_23 Depth=1
	s_or_b32 exec_lo, exec_lo, s12
	s_mov_b32 s21, 0
	s_mov_b32 s22, -1
.LBB110_124:                            ;   in Loop: Header=BB110_23 Depth=1
	s_wait_alu 0xfffe
	s_or_not1_b32 s6, s14, exec_lo
.LBB110_125:                            ;   in Loop: Header=BB110_23 Depth=1
	s_wait_alu 0xfffe
	s_or_b32 exec_lo, exec_lo, s17
	s_delay_alu instid0(SALU_CYCLE_1)
	s_and_not1_b32 s7, vcc_hi, exec_lo
	s_and_b32 s12, s22, exec_lo
	s_and_not1_b32 s13, s103, exec_lo
	s_and_b32 s14, s21, exec_lo
	s_and_not1_b32 s102, s102, exec_lo
	s_wait_alu 0xfffe
	s_or_b32 vcc_hi, s7, s12
	s_or_b32 s103, s13, s14
                                        ; implicit-def: $vgpr8_vgpr9
	s_and_saveexec_b32 s17, s6
	s_cbranch_execz .LBB110_22
; %bb.126:                              ;   in Loop: Header=BB110_23 Depth=1
	v_mov_b32_e32 v8, 1
	v_dual_mov_b32 v9, 0 :: v_dual_mov_b32 v2, 1
	s_xor_b32 s12, s19, -1
	s_mov_b32 s7, 0
	s_wait_alu 0xfffe
	s_and_saveexec_b32 s6, s12
	s_cbranch_execz .LBB110_135
; %bb.127:                              ;   in Loop: Header=BB110_23 Depth=1
	s_mov_b32 s7, exec_lo
	v_cmpx_le_u64_e64 v[19:20], v[4:5]
	s_wait_alu 0xfffe
	s_xor_b32 s7, exec_lo, s7
	s_cbranch_execz .LBB110_132
; %bb.128:                              ;   in Loop: Header=BB110_23 Depth=1
	ds_load_b64 v[8:9], v3 offset:5120
	v_and_b32_e32 v30, s20, v30
	v_or_b32_e32 v33, s16, v33
	s_wait_dscnt 0x0
	v_cmp_ne_u64_e32 vcc_lo, 0, v[8:9]
	s_cbranch_vccnz .LBB110_132
; %bb.129:                              ;   in Loop: Header=BB110_23 Depth=1
	s_and_saveexec_b32 s12, s2
; %bb.130:                              ;   in Loop: Header=BB110_23 Depth=1
	ds_store_b64 v3, v[4:5] offset:5128
; %bb.131:                              ;   in Loop: Header=BB110_23 Depth=1
	s_wait_alu 0xfffe
	s_or_b32 exec_lo, exec_lo, s12
	s_wait_loadcnt_dscnt 0x0
	s_barrier_signal -1
	s_barrier_wait -1
	global_inv scope:SCOPE_SE
.LBB110_132:                            ;   in Loop: Header=BB110_23 Depth=1
	s_wait_alu 0xfffe
	s_or_saveexec_b32 s7, s7
	v_mov_b32_e32 v2, 8
	s_mov_b32 s12, 0
	s_wait_alu 0xfffe
	s_xor_b32 exec_lo, exec_lo, s7
; %bb.133:                              ;   in Loop: Header=BB110_23 Depth=1
	v_sub_co_u32 v19, vcc_lo, v19, v4
	s_wait_alu 0xfffd
	v_sub_co_ci_u32_e64 v20, null, v20, v5, vcc_lo
	v_mov_b32_e32 v2, 0
	s_mov_b32 s12, exec_lo
; %bb.134:                              ;   in Loop: Header=BB110_23 Depth=1
	s_or_b32 exec_lo, exec_lo, s7
	s_delay_alu instid0(VALU_DEP_2)
	v_dual_mov_b32 v8, v19 :: v_dual_mov_b32 v9, v20
	s_wait_alu 0xfffe
	s_and_b32 s7, s12, exec_lo
.LBB110_135:                            ;   in Loop: Header=BB110_23 Depth=1
	s_wait_alu 0xfffe
	s_or_b32 exec_lo, exec_lo, s6
	s_mov_b32 s18, -1
	s_mov_b32 s6, -1
                                        ; implicit-def: $sgpr21
                                        ; implicit-def: $sgpr22
	s_and_saveexec_b32 s12, s7
	s_wait_alu 0xfffe
	s_xor_b32 s19, exec_lo, s12
	s_cbranch_execz .LBB110_280
; %bb.136:                              ;   in Loop: Header=BB110_23 Depth=1
	v_cmp_eq_u64_e32 vcc_lo, 1, v[6:7]
	v_cmp_eq_u64_e64 s6, 1, v[8:9]
                                        ; implicit-def: $sgpr22
                                        ; implicit-def: $sgpr21
	s_and_b32 s24, vcc_lo, s6
	s_mov_b32 s6, -1
	s_wait_alu 0xfffe
	s_and_saveexec_b32 s23, s24
	s_cbranch_execz .LBB110_173
; %bb.137:                              ;   in Loop: Header=BB110_23 Depth=1
	ds_load_b64 v[4:5], v3 offset:5120
	s_wait_loadcnt_dscnt 0x0
	s_barrier_signal -1
	s_barrier_wait -1
	global_inv scope:SCOPE_SE
	v_readfirstlane_b32 s6, v4
	v_readfirstlane_b32 s7, v5
	s_and_saveexec_b32 s12, s3
; %bb.138:                              ;   in Loop: Header=BB110_23 Depth=1
	ds_store_b16 v27, v3
; %bb.139:                              ;   in Loop: Header=BB110_23 Depth=1
	s_wait_alu 0xfffe
	s_or_b32 exec_lo, exec_lo, s12
	s_lshl_b32 s12, 1, s97
	v_or_b32_e32 v33, s16, v33
	s_wait_alu 0xfffe
	v_and_or_b32 v30, v30, s20, s12
	s_mov_b32 s21, -1
	s_mov_b32 s22, 0
	s_cmp_eq_u64 s[6:7], 0
	s_mov_b32 s14, 0
	s_mov_b32 s15, -1
	s_wait_loadcnt_dscnt 0x0
	s_barrier_signal -1
	s_barrier_wait -1
	global_inv scope:SCOPE_SE
                                        ; implicit-def: $vgpr34
	s_cbranch_scc1 .LBB110_158
; %bb.140:                              ;   in Loop: Header=BB110_23 Depth=1
	s_add_nc_u64 s[12:13], s[6:7], s[72:73]
	s_mov_b32 s14, s71
	s_wait_alu 0xfffe
	s_mov_b32 s15, s13
	s_wait_alu 0xfffe
	s_cmp_lg_u64 s[14:15], 0
	s_cbranch_scc0 .LBB110_200
; %bb.141:                              ;   in Loop: Header=BB110_23 Depth=1
	s_cvt_f32_u32 s14, s66
	s_sub_nc_u64 s[44:45], 0, s[66:67]
	s_wait_alu 0xfffe
	s_delay_alu instid0(SALU_CYCLE_1) | instskip(SKIP_1) | instid1(SALU_CYCLE_2)
	s_fmamk_f32 s14, s99, 0x0, s14
	s_wait_alu 0xfffe
	v_s_rcp_f32 s14, s14
	s_delay_alu instid0(TRANS32_DEP_1) | instskip(SKIP_1) | instid1(SALU_CYCLE_2)
	s_mul_f32 s14, s14, 0x5f7ffffc
	s_wait_alu 0xfffe
	s_mul_f32 s15, s14, 0x2f800000
	s_wait_alu 0xfffe
	s_delay_alu instid0(SALU_CYCLE_2) | instskip(SKIP_1) | instid1(SALU_CYCLE_2)
	s_trunc_f32 s15, s15
	s_wait_alu 0xfffe
	s_fmamk_f32 s14, s15, 0xcf800000, s14
	s_cvt_u32_f32 s15, s15
	s_wait_alu 0xfffe
	s_delay_alu instid0(SALU_CYCLE_1) | instskip(SKIP_1) | instid1(SALU_CYCLE_2)
	s_cvt_u32_f32 s14, s14
	s_wait_alu 0xfffe
	s_mul_u64 s[46:47], s[44:45], s[14:15]
	s_wait_alu 0xfffe
	s_mul_hi_u32 s61, s14, s47
	s_mul_i32 s60, s14, s47
	s_mul_hi_u32 s70, s14, s46
	s_mul_i32 s59, s15, s46
	s_wait_alu 0xfffe
	s_add_nc_u64 s[60:61], s[70:71], s[60:61]
	s_mul_hi_u32 s25, s15, s46
	s_mul_hi_u32 s78, s15, s47
	s_mul_i32 s46, s15, s47
	s_wait_alu 0xfffe
	s_add_co_u32 s47, s60, s59
	s_add_co_ci_u32 s70, s61, s25
	s_add_co_ci_u32 s47, s78, 0
	s_wait_alu 0xfffe
	s_add_nc_u64 s[46:47], s[70:71], s[46:47]
	s_wait_alu 0xfffe
	s_add_co_u32 s14, s14, s46
	s_cselect_b32 s25, -1, 0
	s_wait_alu 0xfffe
	s_cmp_lg_u32 s25, 0
	s_add_co_ci_u32 s15, s15, s47
	s_wait_alu 0xfffe
	s_mul_u64 s[44:45], s[44:45], s[14:15]
	s_wait_alu 0xfffe
	s_mul_hi_u32 s47, s14, s45
	s_mul_i32 s46, s14, s45
	s_mul_hi_u32 s70, s14, s44
	s_mul_i32 s59, s15, s44
	s_wait_alu 0xfffe
	s_add_nc_u64 s[46:47], s[70:71], s[46:47]
	s_mul_hi_u32 s25, s15, s44
	s_mul_hi_u32 s60, s15, s45
	s_mul_i32 s44, s15, s45
	s_wait_alu 0xfffe
	s_add_co_u32 s45, s46, s59
	s_add_co_ci_u32 s70, s47, s25
	s_add_co_ci_u32 s45, s60, 0
	s_wait_alu 0xfffe
	s_add_nc_u64 s[44:45], s[70:71], s[44:45]
	s_wait_alu 0xfffe
	s_add_co_u32 s14, s14, s44
	s_cselect_b32 s25, -1, 0
	s_wait_alu 0xfffe
	s_mul_hi_u32 s70, s12, s14
	s_cmp_lg_u32 s25, 0
	s_mul_hi_u32 s25, s13, s14
	s_add_co_ci_u32 s44, s15, s45
	s_mul_i32 s45, s13, s14
	s_wait_alu 0xfffe
	s_mul_hi_u32 s15, s12, s44
	s_mul_i32 s14, s12, s44
	s_mul_hi_u32 s46, s13, s44
	s_wait_alu 0xfffe
	s_add_nc_u64 s[14:15], s[70:71], s[14:15]
	s_mul_i32 s44, s13, s44
	s_wait_alu 0xfffe
	s_add_co_u32 s14, s14, s45
	s_add_co_ci_u32 s70, s15, s25
	s_add_co_ci_u32 s45, s46, 0
	s_wait_alu 0xfffe
	s_add_nc_u64 s[14:15], s[70:71], s[44:45]
	s_wait_alu 0xfffe
	s_mul_u64 s[14:15], s[66:67], s[14:15]
	s_wait_alu 0xfffe
	s_sub_co_u32 s14, s12, s14
	s_cselect_b32 s25, -1, 0
	s_wait_alu 0xfffe
	s_cmp_lg_u32 s25, 0
	s_sub_co_ci_u32 s15, s13, s15
	s_sub_co_u32 s25, s14, s66
	s_cselect_b32 s44, -1, 0
	s_wait_alu 0xfffe
	s_cmp_lg_u32 s44, 0
	s_sub_co_ci_u32 s44, s15, 0
	;; [unrolled: 5-line block ×3, first 2 shown]
	s_cmp_ge_u32 s25, s66
	s_cselect_b32 s47, -1, 0
	s_cmp_eq_u32 s44, 0
	s_wait_alu 0xfffe
	s_cselect_b32 s47, s47, -1
	s_wait_alu 0xfffe
	s_cmp_lg_u32 s47, 0
	s_cselect_b32 s44, s46, s44
	s_cselect_b32 s25, s45, s25
	s_cmp_ge_u32 s14, s66
	s_cselect_b32 s45, -1, 0
	s_cmp_eq_u32 s15, 0
	s_wait_alu 0xfffe
	s_cselect_b32 s45, s45, -1
	s_wait_alu 0xfffe
	s_cmp_lg_u32 s45, 0
	s_cselect_b32 s15, s44, s15
	s_cselect_b32 s14, s25, s14
	s_cbranch_execnz .LBB110_143
.LBB110_142:                            ;   in Loop: Header=BB110_23 Depth=1
	v_cvt_f32_u32_e32 v4, s66
	s_sub_co_i32 s15, 0, s66
	s_delay_alu instid0(VALU_DEP_1) | instskip(NEXT) | instid1(TRANS32_DEP_1)
	v_rcp_iflag_f32_e32 v4, v4
	v_mul_f32_e32 v4, 0x4f7ffffe, v4
	s_delay_alu instid0(VALU_DEP_1) | instskip(NEXT) | instid1(VALU_DEP_1)
	v_cvt_u32_f32_e32 v4, v4
	v_readfirstlane_b32 s14, v4
	s_wait_alu 0xfffe
	s_mul_i32 s15, s15, s14
	s_wait_alu 0xfffe
	s_mul_hi_u32 s15, s14, s15
	s_wait_alu 0xfffe
	s_add_co_i32 s14, s14, s15
	s_wait_alu 0xfffe
	s_mul_hi_u32 s14, s12, s14
	s_wait_alu 0xfffe
	s_mul_i32 s14, s14, s66
	s_wait_alu 0xfffe
	s_sub_co_i32 s14, s12, s14
	s_wait_alu 0xfffe
	s_sub_co_i32 s15, s14, s66
	s_cmp_ge_u32 s14, s66
	s_wait_alu 0xfffe
	s_cselect_b32 s14, s15, s14
	s_wait_alu 0xfffe
	s_sub_co_i32 s15, s14, s66
	s_cmp_ge_u32 s14, s66
	s_wait_alu 0xfffe
	s_cselect_b32 s70, s15, s14
	s_wait_alu 0xfffe
	s_mov_b64 s[14:15], s[70:71]
.LBB110_143:                            ;   in Loop: Header=BB110_23 Depth=1
	s_wait_alu 0xfffe
	s_sub_nc_u64 s[12:13], s[12:13], s[14:15]
	s_mov_b32 s15, 0
	s_mov_b32 s14, 0
	s_mov_b32 s25, exec_lo
                                        ; implicit-def: $vgpr34
	s_wait_alu 0xfffe
	v_cmpx_gt_u64_e64 s[12:13], v[0:1]
	s_cbranch_execz .LBB110_157
; %bb.144:                              ;   in Loop: Header=BB110_23 Depth=1
	v_dual_mov_b32 v10, v26 :: v_dual_mov_b32 v5, v1
	v_mov_b32_e32 v4, v0
                                        ; implicit-def: $sgpr44
	s_branch .LBB110_147
.LBB110_145:                            ;   in Loop: Header=BB110_147 Depth=2
	s_wait_alu 0xfffe
	s_or_b32 exec_lo, exec_lo, s45
	s_wait_loadcnt_dscnt 0x0
	s_barrier_signal -1
	s_barrier_wait -1
	global_inv scope:SCOPE_SE
	ds_load_b32 v11, v3 offset:3072
	s_mov_b32 s45, -1
	s_mov_b32 s46, -1
	s_wait_loadcnt_dscnt 0x0
	s_barrier_signal -1
	s_barrier_wait -1
	global_inv scope:SCOPE_SE
	v_and_b32_e32 v19, 0xffff, v11
	s_delay_alu instid0(VALU_DEP_1)
	v_cmp_ne_u32_e32 vcc_lo, 0, v19
	s_cbranch_vccz .LBB110_150
.LBB110_146:                            ;   in Loop: Header=BB110_147 Depth=2
	s_wait_alu 0xfffe
	s_and_b32 s45, exec_lo, s45
	s_wait_alu 0xfffe
	s_or_b32 s14, s45, s14
	s_and_not1_b32 s44, s44, exec_lo
	s_and_b32 s45, s46, exec_lo
	s_wait_alu 0xfffe
	s_or_b32 s44, s44, s45
	s_and_not1_b32 exec_lo, exec_lo, s14
	s_cbranch_execz .LBB110_156
.LBB110_147:                            ;   Parent Loop BB110_23 Depth=1
                                        ; =>  This Inner Loop Header: Depth=2
	s_mov_b32 s45, exec_lo
	s_delay_alu instid0(VALU_DEP_1)
	v_cmpx_gt_u64_e64 s[6:7], v[4:5]
	s_cbranch_execz .LBB110_145
; %bb.148:                              ;   in Loop: Header=BB110_147 Depth=2
	ds_load_u16 v11, v10
	s_wait_dscnt 0x0
	v_bfe_i32 v19, v11, 0, 16
	s_delay_alu instid0(VALU_DEP_1) | instskip(NEXT) | instid1(VALU_DEP_1)
	v_add_nc_u32_e32 v19, 0x8000, v19
	v_and_b32_e32 v19, v19, v33
	s_delay_alu instid0(VALU_DEP_1)
	v_cmp_eq_u32_e32 vcc_lo, v19, v30
	s_and_b32 exec_lo, exec_lo, vcc_lo
	s_cbranch_execz .LBB110_145
; %bb.149:                              ;   in Loop: Header=BB110_147 Depth=2
	v_perm_b32 v11, v11, 1, 0x5040100
	ds_store_b32 v3, v11 offset:3072
	s_branch .LBB110_145
.LBB110_150:                            ;   in Loop: Header=BB110_147 Depth=2
	v_add_co_u32 v4, vcc_lo, v4, s66
	s_wait_alu 0xfffd
	v_add_co_ci_u32_e64 v5, null, 0, v5, vcc_lo
	v_add_nc_u32_e32 v10, s96, v10
	s_mov_b32 s46, 0
	s_delay_alu instid0(VALU_DEP_2)
	v_cmp_le_u64_e32 vcc_lo, s[12:13], v[4:5]
	s_or_not1_b32 s45, vcc_lo, exec_lo
	s_branch .LBB110_146
.LBB110_151:                            ;   in Loop: Header=BB110_23 Depth=1
                                        ; implicit-def: $sgpr14_sgpr15
	s_branch .LBB110_99
.LBB110_152:                            ;   in Loop: Header=BB110_23 Depth=1
	s_or_b32 exec_lo, exec_lo, s9
	s_wait_dscnt 0x0
	s_barrier_signal -1
	s_barrier_wait -1
	global_inv scope:SCOPE_SE
	s_and_saveexec_b32 s6, s2
	s_cbranch_execz .LBB110_154
; %bb.153:                              ;   in Loop: Header=BB110_23 Depth=1
	ds_load_b32 v4, v3 offset:5144
	s_wait_dscnt 0x0
	v_ashrrev_i32_e32 v5, 31, v4
	ds_store_b64 v3, v[4:5] offset:5120
.LBB110_154:                            ;   in Loop: Header=BB110_23 Depth=1
	s_wait_alu 0xfffe
	s_or_b32 exec_lo, exec_lo, s6
	s_wait_loadcnt_dscnt 0x0
	s_barrier_signal -1
	s_mov_b32 s6, -1
	s_barrier_wait -1
	s_and_b32 vcc_lo, exec_lo, s8
	s_wait_alu 0xfffe
	s_cbranch_vccnz .LBB110_38
	s_branch .LBB110_53
.LBB110_155:                            ;   in Loop: Header=BB110_23 Depth=1
                                        ; implicit-def: $sgpr6_sgpr7
	s_branch .LBB110_113
.LBB110_156:                            ;   in Loop: Header=BB110_23 Depth=1
	s_or_b32 exec_lo, exec_lo, s14
	v_lshrrev_b32_e32 v34, 16, v11
	s_wait_alu 0xfffe
	s_and_b32 s14, s44, exec_lo
.LBB110_157:                            ;   in Loop: Header=BB110_23 Depth=1
	s_or_b32 exec_lo, exec_lo, s25
.LBB110_158:                            ;   in Loop: Header=BB110_23 Depth=1
	s_wait_alu 0xfffe
	s_and_b32 vcc_lo, exec_lo, s15
	s_wait_alu 0xfffe
	s_cbranch_vccz .LBB110_172
; %bb.159:                              ;   in Loop: Header=BB110_23 Depth=1
	s_mov_b32 s6, s71
	s_mov_b32 s7, s75
	s_wait_alu 0xfffe
	s_cmp_lg_u64 s[6:7], 0
	s_cbranch_scc0 .LBB110_201
; %bb.160:                              ;   in Loop: Header=BB110_23 Depth=1
	s_cvt_f32_u32 s6, s66
	s_sub_nc_u64 s[12:13], 0, s[66:67]
	s_wait_alu 0xfffe
	s_delay_alu instid0(SALU_CYCLE_1) | instskip(SKIP_1) | instid1(SALU_CYCLE_2)
	s_fmamk_f32 s6, s99, 0x0, s6
	s_wait_alu 0xfffe
	v_s_rcp_f32 s6, s6
	s_delay_alu instid0(TRANS32_DEP_1) | instskip(SKIP_1) | instid1(SALU_CYCLE_2)
	s_mul_f32 s6, s6, 0x5f7ffffc
	s_wait_alu 0xfffe
	s_mul_f32 s7, s6, 0x2f800000
	s_wait_alu 0xfffe
	s_delay_alu instid0(SALU_CYCLE_2) | instskip(SKIP_1) | instid1(SALU_CYCLE_2)
	s_trunc_f32 s7, s7
	s_wait_alu 0xfffe
	s_fmamk_f32 s6, s7, 0xcf800000, s6
	s_cvt_u32_f32 s7, s7
	s_wait_alu 0xfffe
	s_delay_alu instid0(SALU_CYCLE_1) | instskip(SKIP_1) | instid1(SALU_CYCLE_2)
	s_cvt_u32_f32 s6, s6
	s_wait_alu 0xfffe
	s_mul_u64 s[44:45], s[12:13], s[6:7]
	s_wait_alu 0xfffe
	s_mul_hi_u32 s47, s6, s45
	s_mul_i32 s46, s6, s45
	s_mul_hi_u32 s70, s6, s44
	s_mul_i32 s21, s7, s44
	s_wait_alu 0xfffe
	s_add_nc_u64 s[46:47], s[70:71], s[46:47]
	s_mul_hi_u32 s15, s7, s44
	s_mul_hi_u32 s22, s7, s45
	s_wait_alu 0xfffe
	s_add_co_u32 s21, s46, s21
	s_add_co_ci_u32 s70, s47, s15
	s_mul_i32 s44, s7, s45
	s_add_co_ci_u32 s45, s22, 0
	s_wait_alu 0xfffe
	s_add_nc_u64 s[44:45], s[70:71], s[44:45]
	s_wait_alu 0xfffe
	s_add_co_u32 s6, s6, s44
	s_cselect_b32 s15, -1, 0
	s_wait_alu 0xfffe
	s_cmp_lg_u32 s15, 0
	s_add_co_ci_u32 s7, s7, s45
	s_wait_alu 0xfffe
	s_mul_u64 s[12:13], s[12:13], s[6:7]
	s_wait_alu 0xfffe
	s_mul_hi_u32 s45, s6, s13
	s_mul_i32 s44, s6, s13
	s_mul_hi_u32 s70, s6, s12
	s_mul_i32 s21, s7, s12
	s_wait_alu 0xfffe
	s_add_nc_u64 s[44:45], s[70:71], s[44:45]
	s_mul_hi_u32 s15, s7, s12
	s_mul_hi_u32 s22, s7, s13
	s_mul_i32 s12, s7, s13
	s_wait_alu 0xfffe
	s_add_co_u32 s13, s44, s21
	s_add_co_ci_u32 s70, s45, s15
	s_add_co_ci_u32 s13, s22, 0
	s_wait_alu 0xfffe
	s_add_nc_u64 s[12:13], s[70:71], s[12:13]
	s_wait_alu 0xfffe
	s_add_co_u32 s6, s6, s12
	s_cselect_b32 s12, -1, 0
	s_wait_alu 0xfffe
	s_mul_hi_u32 s70, s74, s6
	s_cmp_lg_u32 s12, 0
	s_mul_hi_u32 s15, s75, s6
	s_add_co_ci_u32 s12, s7, s13
	s_mul_i32 s13, s75, s6
	s_wait_alu 0xfffe
	s_mul_hi_u32 s7, s74, s12
	s_mul_i32 s6, s74, s12
	s_mul_hi_u32 s21, s75, s12
	s_wait_alu 0xfffe
	s_add_nc_u64 s[6:7], s[70:71], s[6:7]
	s_mul_i32 s12, s75, s12
	s_wait_alu 0xfffe
	s_add_co_u32 s6, s6, s13
	s_add_co_ci_u32 s70, s7, s15
	s_add_co_ci_u32 s13, s21, 0
	s_wait_alu 0xfffe
	s_add_nc_u64 s[6:7], s[70:71], s[12:13]
	s_wait_alu 0xfffe
	s_mul_u64 s[6:7], s[66:67], s[6:7]
	s_wait_alu 0xfffe
	s_sub_co_u32 s6, s74, s6
	s_cselect_b32 s12, -1, 0
	s_wait_alu 0xfffe
	s_cmp_lg_u32 s12, 0
	s_sub_co_ci_u32 s7, s75, s7
	s_sub_co_u32 s12, s6, s66
	s_cselect_b32 s13, -1, 0
	s_wait_alu 0xfffe
	s_cmp_lg_u32 s13, 0
	s_sub_co_ci_u32 s13, s7, 0
	;; [unrolled: 5-line block ×3, first 2 shown]
	s_cmp_ge_u32 s12, s66
	s_cselect_b32 s22, -1, 0
	s_cmp_eq_u32 s13, 0
	s_wait_alu 0xfffe
	s_cselect_b32 s22, s22, -1
	s_wait_alu 0xfffe
	s_cmp_lg_u32 s22, 0
	s_cselect_b32 s13, s21, s13
	s_cselect_b32 s12, s15, s12
	s_cmp_ge_u32 s6, s66
	s_cselect_b32 s15, -1, 0
	s_cmp_eq_u32 s7, 0
	s_wait_alu 0xfffe
	s_cselect_b32 s15, s15, -1
	s_wait_alu 0xfffe
	s_cmp_lg_u32 s15, 0
	s_cselect_b32 s7, s13, s7
	s_cselect_b32 s6, s12, s6
	s_cbranch_execnz .LBB110_162
.LBB110_161:                            ;   in Loop: Header=BB110_23 Depth=1
	v_cvt_f32_u32_e32 v4, s66
	s_sub_co_i32 s7, 0, s66
	s_delay_alu instid0(VALU_DEP_1) | instskip(NEXT) | instid1(TRANS32_DEP_1)
	v_rcp_iflag_f32_e32 v4, v4
	v_mul_f32_e32 v4, 0x4f7ffffe, v4
	s_delay_alu instid0(VALU_DEP_1) | instskip(NEXT) | instid1(VALU_DEP_1)
	v_cvt_u32_f32_e32 v4, v4
	v_readfirstlane_b32 s6, v4
	s_wait_alu 0xfffe
	s_mul_i32 s7, s7, s6
	s_wait_alu 0xfffe
	s_mul_hi_u32 s7, s6, s7
	s_wait_alu 0xfffe
	s_add_co_i32 s6, s6, s7
	s_wait_alu 0xfffe
	s_mul_hi_u32 s6, s74, s6
	s_wait_alu 0xfffe
	s_mul_i32 s6, s6, s66
	s_wait_alu 0xfffe
	s_sub_co_i32 s6, s74, s6
	s_wait_alu 0xfffe
	s_sub_co_i32 s7, s6, s66
	s_cmp_ge_u32 s6, s66
	s_wait_alu 0xfffe
	s_cselect_b32 s6, s7, s6
	s_wait_alu 0xfffe
	s_sub_co_i32 s7, s6, s66
	s_cmp_ge_u32 s6, s66
	s_wait_alu 0xfffe
	s_cselect_b32 s70, s7, s6
	s_wait_alu 0xfffe
	s_mov_b64 s[6:7], s[70:71]
.LBB110_162:                            ;   in Loop: Header=BB110_23 Depth=1
	s_wait_alu 0xfffe
	s_sub_nc_u64 s[6:7], s[74:75], s[6:7]
	s_mov_b32 s12, exec_lo
                                        ; implicit-def: $vgpr34
	s_wait_alu 0xfffe
	v_cmpx_gt_u64_e64 s[6:7], v[0:1]
	s_cbranch_execz .LBB110_171
; %bb.163:                              ;   in Loop: Header=BB110_23 Depth=1
	v_dual_mov_b32 v5, v1 :: v_dual_mov_b32 v4, v0
	s_mov_b32 s13, 0
                                        ; implicit-def: $sgpr15
	s_branch .LBB110_166
.LBB110_164:                            ;   in Loop: Header=BB110_166 Depth=2
	s_wait_alu 0xfffe
	s_or_b32 exec_lo, exec_lo, s21
	s_wait_loadcnt_dscnt 0x0
	s_barrier_signal -1
	s_barrier_wait -1
	global_inv scope:SCOPE_SE
	ds_load_b32 v10, v3 offset:3072
	s_mov_b32 s22, -1
	s_mov_b32 s21, -1
	s_wait_loadcnt_dscnt 0x0
	s_barrier_signal -1
	s_barrier_wait -1
	global_inv scope:SCOPE_SE
	v_and_b32_e32 v11, 0xffff, v10
	s_delay_alu instid0(VALU_DEP_1)
	v_cmp_eq_u32_e32 vcc_lo, 0, v11
	s_cbranch_vccnz .LBB110_169
.LBB110_165:                            ;   in Loop: Header=BB110_166 Depth=2
	s_wait_alu 0xfffe
	s_and_b32 s22, exec_lo, s22
	s_wait_alu 0xfffe
	s_or_b32 s13, s22, s13
	s_and_not1_b32 s15, s15, exec_lo
	s_and_b32 s21, s21, exec_lo
	s_wait_alu 0xfffe
	s_or_b32 s15, s15, s21
	s_and_not1_b32 exec_lo, exec_lo, s13
	s_cbranch_execz .LBB110_170
.LBB110_166:                            ;   Parent Loop BB110_23 Depth=1
                                        ; =>  This Inner Loop Header: Depth=2
	s_mov_b32 s21, exec_lo
	s_delay_alu instid0(VALU_DEP_1)
	v_cmpx_gt_u64_e64 s[28:29], v[4:5]
	s_cbranch_execz .LBB110_164
; %bb.167:                              ;   in Loop: Header=BB110_166 Depth=2
	v_mul_lo_u32 v19, v5, s56
	v_mul_lo_u32 v20, v4, s57
	v_mad_co_u64_u32 v[10:11], null, v4, s56, 0
	s_delay_alu instid0(VALU_DEP_1) | instskip(NEXT) | instid1(VALU_DEP_1)
	v_add3_u32 v11, v11, v20, v19
	v_lshlrev_b64_e32 v[10:11], 1, v[10:11]
	s_delay_alu instid0(VALU_DEP_1) | instskip(SKIP_1) | instid1(VALU_DEP_2)
	v_add_co_u32 v10, vcc_lo, s64, v10
	s_wait_alu 0xfffd
	v_add_co_ci_u32_e64 v11, null, s65, v11, vcc_lo
	global_load_u16 v10, v[10:11], off
	s_wait_loadcnt 0x0
	v_bfe_i32 v11, v10, 0, 16
	s_delay_alu instid0(VALU_DEP_1) | instskip(NEXT) | instid1(VALU_DEP_1)
	v_add_nc_u32_e32 v11, 0x8000, v11
	v_and_b32_e32 v11, v11, v33
	s_delay_alu instid0(VALU_DEP_1)
	v_cmp_eq_u32_e32 vcc_lo, v11, v30
	s_and_b32 exec_lo, exec_lo, vcc_lo
	s_cbranch_execz .LBB110_164
; %bb.168:                              ;   in Loop: Header=BB110_166 Depth=2
	v_perm_b32 v10, v10, 1, 0x5040100
	ds_store_b32 v3, v10 offset:3072
	s_branch .LBB110_164
.LBB110_169:                            ;   in Loop: Header=BB110_166 Depth=2
	v_add_co_u32 v4, vcc_lo, v4, s66
	s_wait_alu 0xfffd
	v_add_co_ci_u32_e64 v5, null, 0, v5, vcc_lo
	s_mov_b32 s21, 0
	v_cmp_le_u64_e32 vcc_lo, s[6:7], v[4:5]
	s_or_not1_b32 s22, vcc_lo, exec_lo
	s_branch .LBB110_165
.LBB110_170:                            ;   in Loop: Header=BB110_23 Depth=1
	s_or_b32 exec_lo, exec_lo, s13
	v_lshrrev_b32_e32 v34, 16, v10
	s_and_not1_b32 s6, s14, exec_lo
	s_wait_alu 0xfffe
	s_and_b32 s7, s15, exec_lo
	s_wait_alu 0xfffe
	s_or_b32 s14, s6, s7
.LBB110_171:                            ;   in Loop: Header=BB110_23 Depth=1
	s_or_b32 exec_lo, exec_lo, s12
	s_mov_b32 s21, 0
	s_mov_b32 s22, -1
.LBB110_172:                            ;   in Loop: Header=BB110_23 Depth=1
	s_wait_alu 0xfffe
	s_or_not1_b32 s6, s14, exec_lo
.LBB110_173:                            ;   in Loop: Header=BB110_23 Depth=1
	s_wait_alu 0xfffe
	s_or_b32 exec_lo, exec_lo, s23
	s_mov_b32 s7, 0
	s_and_saveexec_b32 s23, s6
	s_cbranch_execz .LBB110_279
; %bb.174:                              ;   in Loop: Header=BB110_23 Depth=1
	v_mov_b32_e32 v4, 1
	v_dual_mov_b32 v5, 0 :: v_dual_mov_b32 v2, 1
	s_xor_b32 s12, s24, -1
	s_wait_alu 0xfffe
	s_and_saveexec_b32 s6, s12
	s_cbranch_execz .LBB110_184
; %bb.175:                              ;   in Loop: Header=BB110_23 Depth=1
	s_mov_b32 s7, exec_lo
	v_cmpx_le_u64_e64 v[8:9], v[6:7]
	s_wait_alu 0xfffe
	s_xor_b32 s7, exec_lo, s7
	s_cbranch_execz .LBB110_181
; %bb.176:                              ;   in Loop: Header=BB110_23 Depth=1
	ds_load_b64 v[4:5], v3 offset:5120
	s_lshl_b32 s12, 1, s97
	v_or_b32_e32 v33, s16, v33
	s_wait_alu 0xfffe
	v_and_or_b32 v30, v30, s20, s12
	s_wait_dscnt 0x0
	v_cmp_ne_u64_e32 vcc_lo, 0, v[4:5]
	s_cbranch_vccnz .LBB110_180
; %bb.177:                              ;   in Loop: Header=BB110_23 Depth=1
	s_and_saveexec_b32 s12, s2
; %bb.178:                              ;   in Loop: Header=BB110_23 Depth=1
	ds_store_b64 v3, v[6:7] offset:5128
; %bb.179:                              ;   in Loop: Header=BB110_23 Depth=1
	s_wait_alu 0xfffe
	s_or_b32 exec_lo, exec_lo, s12
	s_wait_loadcnt_dscnt 0x0
	s_barrier_signal -1
	s_barrier_wait -1
	global_inv scope:SCOPE_SE
.LBB110_180:                            ;   in Loop: Header=BB110_23 Depth=1
                                        ; implicit-def: $vgpr4_vgpr5_vgpr6_vgpr7
.LBB110_181:                            ;   in Loop: Header=BB110_23 Depth=1
	s_wait_alu 0xfffe
	s_or_saveexec_b32 s7, s7
	v_mov_b32_e32 v2, 8
	s_mov_b32 s12, 0
	s_wait_alu 0xfffe
	s_xor_b32 exec_lo, exec_lo, s7
; %bb.182:                              ;   in Loop: Header=BB110_23 Depth=1
	v_sub_co_u32 v8, vcc_lo, v8, v6
	s_wait_alu 0xfffd
	v_sub_co_ci_u32_e64 v9, null, v9, v7, vcc_lo
	v_mov_b32_e32 v2, 0
	s_mov_b32 s12, exec_lo
; %bb.183:                              ;   in Loop: Header=BB110_23 Depth=1
	s_or_b32 exec_lo, exec_lo, s7
	s_delay_alu instid0(VALU_DEP_2)
	v_dual_mov_b32 v4, v8 :: v_dual_mov_b32 v5, v9
	s_wait_alu 0xfffe
	s_and_b32 s7, s12, exec_lo
.LBB110_184:                            ;   in Loop: Header=BB110_23 Depth=1
	s_wait_alu 0xfffe
	s_or_b32 exec_lo, exec_lo, s6
	s_mov_b32 s6, -1
                                        ; implicit-def: $sgpr25
                                        ; implicit-def: $sgpr59
	s_and_saveexec_b32 s24, s7
	s_cbranch_execz .LBB110_278
; %bb.185:                              ;   in Loop: Header=BB110_23 Depth=1
	v_cmp_eq_u64_e32 vcc_lo, 1, v[4:5]
	s_cmp_eq_u64 s[10:11], 1
                                        ; implicit-def: $sgpr59
                                        ; implicit-def: $sgpr25
	s_cselect_b32 s6, -1, 0
	s_wait_alu 0xfffe
	s_and_b32 s78, s6, vcc_lo
	s_mov_b32 s6, -1
	s_wait_alu 0xfffe
	s_and_saveexec_b32 s79, s78
	s_cbranch_execz .LBB110_219
; %bb.186:                              ;   in Loop: Header=BB110_23 Depth=1
	ds_load_b64 v[6:7], v3 offset:5120
	s_wait_loadcnt_dscnt 0x0
	s_barrier_signal -1
	s_barrier_wait -1
	global_inv scope:SCOPE_SE
	v_readfirstlane_b32 s6, v6
	v_readfirstlane_b32 s7, v7
	s_and_saveexec_b32 s12, s3
; %bb.187:                              ;   in Loop: Header=BB110_23 Depth=1
	ds_store_b16 v27, v3
; %bb.188:                              ;   in Loop: Header=BB110_23 Depth=1
	s_wait_alu 0xfffe
	s_or_b32 exec_lo, exec_lo, s12
	s_lshl_b32 s12, 2, s97
	v_or_b32_e32 v33, s16, v33
	s_wait_alu 0xfffe
	v_and_or_b32 v30, v30, s20, s12
	s_mov_b32 s25, -1
	s_mov_b32 s59, 0
	s_cmp_eq_u64 s[6:7], 0
	s_mov_b32 s14, 0
	s_mov_b32 s15, -1
	s_wait_loadcnt_dscnt 0x0
	s_barrier_signal -1
	s_barrier_wait -1
	global_inv scope:SCOPE_SE
                                        ; implicit-def: $vgpr34
	s_cbranch_scc1 .LBB110_204
; %bb.189:                              ;   in Loop: Header=BB110_23 Depth=1
	s_add_nc_u64 s[12:13], s[6:7], s[72:73]
	s_mov_b32 s14, s71
	s_wait_alu 0xfffe
	s_mov_b32 s15, s13
	s_wait_alu 0xfffe
	s_cmp_lg_u64 s[14:15], 0
	s_cbranch_scc0 .LBB110_245
; %bb.190:                              ;   in Loop: Header=BB110_23 Depth=1
	s_cvt_f32_u32 s14, s66
	s_sub_nc_u64 s[44:45], 0, s[66:67]
	s_wait_alu 0xfffe
	s_delay_alu instid0(SALU_CYCLE_1) | instskip(SKIP_1) | instid1(SALU_CYCLE_2)
	s_fmamk_f32 s14, s99, 0x0, s14
	s_wait_alu 0xfffe
	v_s_rcp_f32 s14, s14
	s_delay_alu instid0(TRANS32_DEP_1) | instskip(SKIP_1) | instid1(SALU_CYCLE_2)
	s_mul_f32 s14, s14, 0x5f7ffffc
	s_wait_alu 0xfffe
	s_mul_f32 s15, s14, 0x2f800000
	s_wait_alu 0xfffe
	s_delay_alu instid0(SALU_CYCLE_2) | instskip(SKIP_1) | instid1(SALU_CYCLE_2)
	s_trunc_f32 s15, s15
	s_wait_alu 0xfffe
	s_fmamk_f32 s14, s15, 0xcf800000, s14
	s_cvt_u32_f32 s15, s15
	s_wait_alu 0xfffe
	s_delay_alu instid0(SALU_CYCLE_1) | instskip(SKIP_1) | instid1(SALU_CYCLE_2)
	s_cvt_u32_f32 s14, s14
	s_wait_alu 0xfffe
	s_mul_u64 s[46:47], s[44:45], s[14:15]
	s_wait_alu 0xfffe
	s_mul_hi_u32 s61, s14, s47
	s_mul_i32 s60, s14, s47
	s_mul_hi_u32 s70, s14, s46
	s_mul_i32 s81, s15, s46
	s_wait_alu 0xfffe
	s_add_nc_u64 s[60:61], s[70:71], s[60:61]
	s_mul_hi_u32 s80, s15, s46
	s_mul_hi_u32 s82, s15, s47
	s_mul_i32 s46, s15, s47
	s_wait_alu 0xfffe
	s_add_co_u32 s47, s60, s81
	s_add_co_ci_u32 s70, s61, s80
	s_add_co_ci_u32 s47, s82, 0
	s_wait_alu 0xfffe
	s_add_nc_u64 s[46:47], s[70:71], s[46:47]
	s_wait_alu 0xfffe
	s_add_co_u32 s14, s14, s46
	s_cselect_b32 s46, -1, 0
	s_wait_alu 0xfffe
	s_cmp_lg_u32 s46, 0
	s_add_co_ci_u32 s15, s15, s47
	s_wait_alu 0xfffe
	s_mul_u64 s[44:45], s[44:45], s[14:15]
	s_wait_alu 0xfffe
	s_mul_hi_u32 s47, s14, s45
	s_mul_i32 s46, s14, s45
	s_mul_hi_u32 s70, s14, s44
	s_mul_i32 s61, s15, s44
	s_wait_alu 0xfffe
	s_add_nc_u64 s[46:47], s[70:71], s[46:47]
	s_mul_hi_u32 s60, s15, s44
	s_mul_hi_u32 s80, s15, s45
	s_mul_i32 s44, s15, s45
	s_wait_alu 0xfffe
	s_add_co_u32 s45, s46, s61
	s_add_co_ci_u32 s70, s47, s60
	s_add_co_ci_u32 s45, s80, 0
	s_wait_alu 0xfffe
	s_add_nc_u64 s[44:45], s[70:71], s[44:45]
	s_wait_alu 0xfffe
	s_add_co_u32 s14, s14, s44
	s_cselect_b32 s44, -1, 0
	s_wait_alu 0xfffe
	s_mul_hi_u32 s70, s12, s14
	s_cmp_lg_u32 s44, 0
	s_mul_hi_u32 s46, s13, s14
	s_add_co_ci_u32 s44, s15, s45
	s_mul_i32 s45, s13, s14
	s_wait_alu 0xfffe
	s_mul_hi_u32 s15, s12, s44
	s_mul_i32 s14, s12, s44
	s_mul_hi_u32 s47, s13, s44
	s_wait_alu 0xfffe
	s_add_nc_u64 s[14:15], s[70:71], s[14:15]
	s_mul_i32 s44, s13, s44
	s_wait_alu 0xfffe
	s_add_co_u32 s14, s14, s45
	s_add_co_ci_u32 s70, s15, s46
	s_add_co_ci_u32 s45, s47, 0
	s_wait_alu 0xfffe
	s_add_nc_u64 s[14:15], s[70:71], s[44:45]
	s_wait_alu 0xfffe
	s_mul_u64 s[14:15], s[66:67], s[14:15]
	s_wait_alu 0xfffe
	s_sub_co_u32 s14, s12, s14
	s_cselect_b32 s44, -1, 0
	s_wait_alu 0xfffe
	s_cmp_lg_u32 s44, 0
	s_sub_co_ci_u32 s15, s13, s15
	s_sub_co_u32 s44, s14, s66
	s_cselect_b32 s45, -1, 0
	s_wait_alu 0xfffe
	s_cmp_lg_u32 s45, 0
	s_sub_co_ci_u32 s45, s15, 0
	;; [unrolled: 5-line block ×3, first 2 shown]
	s_cmp_ge_u32 s44, s66
	s_cselect_b32 s60, -1, 0
	s_cmp_eq_u32 s45, 0
	s_wait_alu 0xfffe
	s_cselect_b32 s60, s60, -1
	s_wait_alu 0xfffe
	s_cmp_lg_u32 s60, 0
	s_cselect_b32 s45, s47, s45
	s_cselect_b32 s44, s46, s44
	s_cmp_ge_u32 s14, s66
	s_cselect_b32 s46, -1, 0
	s_cmp_eq_u32 s15, 0
	s_wait_alu 0xfffe
	s_cselect_b32 s46, s46, -1
	s_wait_alu 0xfffe
	s_cmp_lg_u32 s46, 0
	s_cselect_b32 s15, s45, s15
	s_cselect_b32 s14, s44, s14
	s_cbranch_execnz .LBB110_192
.LBB110_191:                            ;   in Loop: Header=BB110_23 Depth=1
	v_cvt_f32_u32_e32 v6, s66
	s_sub_co_i32 s15, 0, s66
	s_delay_alu instid0(VALU_DEP_1) | instskip(NEXT) | instid1(TRANS32_DEP_1)
	v_rcp_iflag_f32_e32 v6, v6
	v_mul_f32_e32 v6, 0x4f7ffffe, v6
	s_delay_alu instid0(VALU_DEP_1) | instskip(NEXT) | instid1(VALU_DEP_1)
	v_cvt_u32_f32_e32 v6, v6
	v_readfirstlane_b32 s14, v6
	s_wait_alu 0xfffe
	s_mul_i32 s15, s15, s14
	s_wait_alu 0xfffe
	s_mul_hi_u32 s15, s14, s15
	s_wait_alu 0xfffe
	s_add_co_i32 s14, s14, s15
	s_wait_alu 0xfffe
	s_mul_hi_u32 s14, s12, s14
	s_wait_alu 0xfffe
	s_mul_i32 s14, s14, s66
	s_wait_alu 0xfffe
	s_sub_co_i32 s14, s12, s14
	s_wait_alu 0xfffe
	s_sub_co_i32 s15, s14, s66
	s_cmp_ge_u32 s14, s66
	s_wait_alu 0xfffe
	s_cselect_b32 s14, s15, s14
	s_wait_alu 0xfffe
	s_sub_co_i32 s15, s14, s66
	s_cmp_ge_u32 s14, s66
	s_wait_alu 0xfffe
	s_cselect_b32 s70, s15, s14
	s_wait_alu 0xfffe
	s_mov_b64 s[14:15], s[70:71]
.LBB110_192:                            ;   in Loop: Header=BB110_23 Depth=1
	s_wait_alu 0xfffe
	s_sub_nc_u64 s[12:13], s[12:13], s[14:15]
	s_mov_b32 s15, 0
	s_mov_b32 s14, 0
	s_mov_b32 s44, exec_lo
                                        ; implicit-def: $vgpr34
	s_wait_alu 0xfffe
	v_cmpx_gt_u64_e64 s[12:13], v[0:1]
	s_cbranch_execz .LBB110_203
; %bb.193:                              ;   in Loop: Header=BB110_23 Depth=1
	v_dual_mov_b32 v8, v26 :: v_dual_mov_b32 v7, v1
	v_mov_b32_e32 v6, v0
                                        ; implicit-def: $sgpr45
	s_branch .LBB110_196
.LBB110_194:                            ;   in Loop: Header=BB110_196 Depth=2
	s_wait_alu 0xfffe
	s_or_b32 exec_lo, exec_lo, s46
	s_wait_loadcnt_dscnt 0x0
	s_barrier_signal -1
	s_barrier_wait -1
	global_inv scope:SCOPE_SE
	ds_load_b32 v9, v3 offset:3072
	s_mov_b32 s46, -1
	s_mov_b32 s47, -1
	s_wait_loadcnt_dscnt 0x0
	s_barrier_signal -1
	s_barrier_wait -1
	global_inv scope:SCOPE_SE
	v_and_b32_e32 v10, 0xffff, v9
	s_delay_alu instid0(VALU_DEP_1)
	v_cmp_ne_u32_e32 vcc_lo, 0, v10
	s_cbranch_vccz .LBB110_199
.LBB110_195:                            ;   in Loop: Header=BB110_196 Depth=2
	s_wait_alu 0xfffe
	s_and_b32 s46, exec_lo, s46
	s_wait_alu 0xfffe
	s_or_b32 s14, s46, s14
	s_and_not1_b32 s45, s45, exec_lo
	s_and_b32 s46, s47, exec_lo
	s_wait_alu 0xfffe
	s_or_b32 s45, s45, s46
	s_and_not1_b32 exec_lo, exec_lo, s14
	s_cbranch_execz .LBB110_202
.LBB110_196:                            ;   Parent Loop BB110_23 Depth=1
                                        ; =>  This Inner Loop Header: Depth=2
	s_mov_b32 s46, exec_lo
	s_delay_alu instid0(VALU_DEP_1)
	v_cmpx_gt_u64_e64 s[6:7], v[6:7]
	s_cbranch_execz .LBB110_194
; %bb.197:                              ;   in Loop: Header=BB110_196 Depth=2
	ds_load_u16 v9, v8
	s_wait_dscnt 0x0
	v_bfe_i32 v10, v9, 0, 16
	s_delay_alu instid0(VALU_DEP_1) | instskip(NEXT) | instid1(VALU_DEP_1)
	v_add_nc_u32_e32 v10, 0x8000, v10
	v_and_b32_e32 v10, v10, v33
	s_delay_alu instid0(VALU_DEP_1)
	v_cmp_eq_u32_e32 vcc_lo, v10, v30
	s_and_b32 exec_lo, exec_lo, vcc_lo
	s_cbranch_execz .LBB110_194
; %bb.198:                              ;   in Loop: Header=BB110_196 Depth=2
	v_perm_b32 v9, v9, 1, 0x5040100
	ds_store_b32 v3, v9 offset:3072
	s_branch .LBB110_194
.LBB110_199:                            ;   in Loop: Header=BB110_196 Depth=2
	v_add_co_u32 v6, vcc_lo, v6, s66
	s_wait_alu 0xfffd
	v_add_co_ci_u32_e64 v7, null, 0, v7, vcc_lo
	v_add_nc_u32_e32 v8, s96, v8
	s_mov_b32 s47, 0
	s_delay_alu instid0(VALU_DEP_2)
	v_cmp_le_u64_e32 vcc_lo, s[12:13], v[6:7]
	s_or_not1_b32 s46, vcc_lo, exec_lo
	s_branch .LBB110_195
.LBB110_200:                            ;   in Loop: Header=BB110_23 Depth=1
                                        ; implicit-def: $sgpr14_sgpr15
	s_branch .LBB110_142
.LBB110_201:                            ;   in Loop: Header=BB110_23 Depth=1
                                        ; implicit-def: $sgpr6_sgpr7
	s_branch .LBB110_161
.LBB110_202:                            ;   in Loop: Header=BB110_23 Depth=1
	s_or_b32 exec_lo, exec_lo, s14
	v_lshrrev_b32_e32 v34, 16, v9
	s_wait_alu 0xfffe
	s_and_b32 s14, s45, exec_lo
.LBB110_203:                            ;   in Loop: Header=BB110_23 Depth=1
	s_or_b32 exec_lo, exec_lo, s44
.LBB110_204:                            ;   in Loop: Header=BB110_23 Depth=1
	s_wait_alu 0xfffe
	s_and_b32 vcc_lo, exec_lo, s15
	s_wait_alu 0xfffe
	s_cbranch_vccz .LBB110_218
; %bb.205:                              ;   in Loop: Header=BB110_23 Depth=1
	s_mov_b32 s6, s71
	s_mov_b32 s7, s75
	s_wait_alu 0xfffe
	s_cmp_lg_u64 s[6:7], 0
	s_cbranch_scc0 .LBB110_246
; %bb.206:                              ;   in Loop: Header=BB110_23 Depth=1
	s_cvt_f32_u32 s6, s66
	s_sub_nc_u64 s[12:13], 0, s[66:67]
	s_wait_alu 0xfffe
	s_delay_alu instid0(SALU_CYCLE_1) | instskip(SKIP_1) | instid1(SALU_CYCLE_2)
	s_fmamk_f32 s6, s99, 0x0, s6
	s_wait_alu 0xfffe
	v_s_rcp_f32 s6, s6
	s_delay_alu instid0(TRANS32_DEP_1) | instskip(SKIP_1) | instid1(SALU_CYCLE_2)
	s_mul_f32 s6, s6, 0x5f7ffffc
	s_wait_alu 0xfffe
	s_mul_f32 s7, s6, 0x2f800000
	s_wait_alu 0xfffe
	s_delay_alu instid0(SALU_CYCLE_2) | instskip(SKIP_1) | instid1(SALU_CYCLE_2)
	s_trunc_f32 s7, s7
	s_wait_alu 0xfffe
	s_fmamk_f32 s6, s7, 0xcf800000, s6
	s_cvt_u32_f32 s7, s7
	s_wait_alu 0xfffe
	s_delay_alu instid0(SALU_CYCLE_1) | instskip(SKIP_1) | instid1(SALU_CYCLE_2)
	s_cvt_u32_f32 s6, s6
	s_wait_alu 0xfffe
	s_mul_u64 s[44:45], s[12:13], s[6:7]
	s_wait_alu 0xfffe
	s_mul_hi_u32 s47, s6, s45
	s_mul_i32 s46, s6, s45
	s_mul_hi_u32 s70, s6, s44
	s_mul_i32 s25, s7, s44
	s_wait_alu 0xfffe
	s_add_nc_u64 s[46:47], s[70:71], s[46:47]
	s_mul_hi_u32 s15, s7, s44
	s_mul_hi_u32 s59, s7, s45
	s_wait_alu 0xfffe
	s_add_co_u32 s25, s46, s25
	s_add_co_ci_u32 s70, s47, s15
	s_mul_i32 s44, s7, s45
	s_add_co_ci_u32 s45, s59, 0
	s_wait_alu 0xfffe
	s_add_nc_u64 s[44:45], s[70:71], s[44:45]
	s_wait_alu 0xfffe
	s_add_co_u32 s6, s6, s44
	s_cselect_b32 s15, -1, 0
	s_wait_alu 0xfffe
	s_cmp_lg_u32 s15, 0
	s_add_co_ci_u32 s7, s7, s45
	s_wait_alu 0xfffe
	s_mul_u64 s[12:13], s[12:13], s[6:7]
	s_wait_alu 0xfffe
	s_mul_hi_u32 s45, s6, s13
	s_mul_i32 s44, s6, s13
	s_mul_hi_u32 s70, s6, s12
	s_mul_i32 s25, s7, s12
	s_wait_alu 0xfffe
	s_add_nc_u64 s[44:45], s[70:71], s[44:45]
	s_mul_hi_u32 s15, s7, s12
	s_mul_hi_u32 s46, s7, s13
	s_mul_i32 s12, s7, s13
	s_wait_alu 0xfffe
	s_add_co_u32 s13, s44, s25
	s_add_co_ci_u32 s70, s45, s15
	s_add_co_ci_u32 s13, s46, 0
	s_wait_alu 0xfffe
	s_add_nc_u64 s[12:13], s[70:71], s[12:13]
	s_wait_alu 0xfffe
	s_add_co_u32 s6, s6, s12
	s_cselect_b32 s12, -1, 0
	s_wait_alu 0xfffe
	s_mul_hi_u32 s70, s74, s6
	s_cmp_lg_u32 s12, 0
	s_mul_hi_u32 s15, s75, s6
	s_add_co_ci_u32 s12, s7, s13
	s_mul_i32 s13, s75, s6
	s_wait_alu 0xfffe
	s_mul_hi_u32 s7, s74, s12
	s_mul_i32 s6, s74, s12
	s_mul_hi_u32 s25, s75, s12
	s_wait_alu 0xfffe
	s_add_nc_u64 s[6:7], s[70:71], s[6:7]
	s_mul_i32 s12, s75, s12
	s_wait_alu 0xfffe
	s_add_co_u32 s6, s6, s13
	s_add_co_ci_u32 s70, s7, s15
	s_add_co_ci_u32 s13, s25, 0
	s_wait_alu 0xfffe
	s_add_nc_u64 s[6:7], s[70:71], s[12:13]
	s_wait_alu 0xfffe
	s_mul_u64 s[6:7], s[66:67], s[6:7]
	s_wait_alu 0xfffe
	s_sub_co_u32 s6, s74, s6
	s_cselect_b32 s12, -1, 0
	s_wait_alu 0xfffe
	s_cmp_lg_u32 s12, 0
	s_sub_co_ci_u32 s7, s75, s7
	s_sub_co_u32 s12, s6, s66
	s_cselect_b32 s13, -1, 0
	s_wait_alu 0xfffe
	s_cmp_lg_u32 s13, 0
	s_sub_co_ci_u32 s13, s7, 0
	;; [unrolled: 5-line block ×3, first 2 shown]
	s_cmp_ge_u32 s12, s66
	s_cselect_b32 s44, -1, 0
	s_cmp_eq_u32 s13, 0
	s_wait_alu 0xfffe
	s_cselect_b32 s44, s44, -1
	s_wait_alu 0xfffe
	s_cmp_lg_u32 s44, 0
	s_cselect_b32 s13, s25, s13
	s_cselect_b32 s12, s15, s12
	s_cmp_ge_u32 s6, s66
	s_cselect_b32 s15, -1, 0
	s_cmp_eq_u32 s7, 0
	s_wait_alu 0xfffe
	s_cselect_b32 s15, s15, -1
	s_wait_alu 0xfffe
	s_cmp_lg_u32 s15, 0
	s_cselect_b32 s7, s13, s7
	s_cselect_b32 s6, s12, s6
	s_cbranch_execnz .LBB110_208
.LBB110_207:                            ;   in Loop: Header=BB110_23 Depth=1
	v_cvt_f32_u32_e32 v6, s66
	s_sub_co_i32 s7, 0, s66
	s_delay_alu instid0(VALU_DEP_1) | instskip(NEXT) | instid1(TRANS32_DEP_1)
	v_rcp_iflag_f32_e32 v6, v6
	v_mul_f32_e32 v6, 0x4f7ffffe, v6
	s_delay_alu instid0(VALU_DEP_1) | instskip(NEXT) | instid1(VALU_DEP_1)
	v_cvt_u32_f32_e32 v6, v6
	v_readfirstlane_b32 s6, v6
	s_wait_alu 0xfffe
	s_mul_i32 s7, s7, s6
	s_wait_alu 0xfffe
	s_mul_hi_u32 s7, s6, s7
	s_wait_alu 0xfffe
	s_add_co_i32 s6, s6, s7
	s_wait_alu 0xfffe
	s_mul_hi_u32 s6, s74, s6
	s_wait_alu 0xfffe
	s_mul_i32 s6, s6, s66
	s_wait_alu 0xfffe
	s_sub_co_i32 s6, s74, s6
	s_wait_alu 0xfffe
	s_sub_co_i32 s7, s6, s66
	s_cmp_ge_u32 s6, s66
	s_wait_alu 0xfffe
	s_cselect_b32 s6, s7, s6
	s_wait_alu 0xfffe
	s_sub_co_i32 s7, s6, s66
	s_cmp_ge_u32 s6, s66
	s_wait_alu 0xfffe
	s_cselect_b32 s70, s7, s6
	s_wait_alu 0xfffe
	s_mov_b64 s[6:7], s[70:71]
.LBB110_208:                            ;   in Loop: Header=BB110_23 Depth=1
	s_wait_alu 0xfffe
	s_sub_nc_u64 s[6:7], s[74:75], s[6:7]
	s_mov_b32 s12, exec_lo
                                        ; implicit-def: $vgpr34
	s_wait_alu 0xfffe
	v_cmpx_gt_u64_e64 s[6:7], v[0:1]
	s_cbranch_execz .LBB110_217
; %bb.209:                              ;   in Loop: Header=BB110_23 Depth=1
	v_dual_mov_b32 v7, v1 :: v_dual_mov_b32 v6, v0
	s_mov_b32 s13, 0
                                        ; implicit-def: $sgpr15
	s_branch .LBB110_212
.LBB110_210:                            ;   in Loop: Header=BB110_212 Depth=2
	s_wait_alu 0xfffe
	s_or_b32 exec_lo, exec_lo, s25
	s_wait_loadcnt_dscnt 0x0
	s_barrier_signal -1
	s_barrier_wait -1
	global_inv scope:SCOPE_SE
	ds_load_b32 v8, v3 offset:3072
	s_mov_b32 s44, -1
	s_mov_b32 s25, -1
	s_wait_loadcnt_dscnt 0x0
	s_barrier_signal -1
	s_barrier_wait -1
	global_inv scope:SCOPE_SE
	v_and_b32_e32 v9, 0xffff, v8
	s_delay_alu instid0(VALU_DEP_1)
	v_cmp_eq_u32_e32 vcc_lo, 0, v9
	s_cbranch_vccnz .LBB110_215
.LBB110_211:                            ;   in Loop: Header=BB110_212 Depth=2
	s_wait_alu 0xfffe
	s_and_b32 s44, exec_lo, s44
	s_wait_alu 0xfffe
	s_or_b32 s13, s44, s13
	s_and_not1_b32 s15, s15, exec_lo
	s_and_b32 s25, s25, exec_lo
	s_wait_alu 0xfffe
	s_or_b32 s15, s15, s25
	s_and_not1_b32 exec_lo, exec_lo, s13
	s_cbranch_execz .LBB110_216
.LBB110_212:                            ;   Parent Loop BB110_23 Depth=1
                                        ; =>  This Inner Loop Header: Depth=2
	s_mov_b32 s25, exec_lo
	s_delay_alu instid0(VALU_DEP_1)
	v_cmpx_gt_u64_e64 s[28:29], v[6:7]
	s_cbranch_execz .LBB110_210
; %bb.213:                              ;   in Loop: Header=BB110_212 Depth=2
	v_mul_lo_u32 v10, v7, s56
	v_mul_lo_u32 v11, v6, s57
	v_mad_co_u64_u32 v[8:9], null, v6, s56, 0
	s_delay_alu instid0(VALU_DEP_1) | instskip(NEXT) | instid1(VALU_DEP_1)
	v_add3_u32 v9, v9, v11, v10
	v_lshlrev_b64_e32 v[8:9], 1, v[8:9]
	s_delay_alu instid0(VALU_DEP_1) | instskip(SKIP_1) | instid1(VALU_DEP_2)
	v_add_co_u32 v8, vcc_lo, s64, v8
	s_wait_alu 0xfffd
	v_add_co_ci_u32_e64 v9, null, s65, v9, vcc_lo
	global_load_u16 v8, v[8:9], off
	s_wait_loadcnt 0x0
	v_bfe_i32 v9, v8, 0, 16
	s_delay_alu instid0(VALU_DEP_1) | instskip(NEXT) | instid1(VALU_DEP_1)
	v_add_nc_u32_e32 v9, 0x8000, v9
	v_and_b32_e32 v9, v9, v33
	s_delay_alu instid0(VALU_DEP_1)
	v_cmp_eq_u32_e32 vcc_lo, v9, v30
	s_and_b32 exec_lo, exec_lo, vcc_lo
	s_cbranch_execz .LBB110_210
; %bb.214:                              ;   in Loop: Header=BB110_212 Depth=2
	v_perm_b32 v8, v8, 1, 0x5040100
	ds_store_b32 v3, v8 offset:3072
	s_branch .LBB110_210
.LBB110_215:                            ;   in Loop: Header=BB110_212 Depth=2
	v_add_co_u32 v6, vcc_lo, v6, s66
	s_wait_alu 0xfffd
	v_add_co_ci_u32_e64 v7, null, 0, v7, vcc_lo
	s_mov_b32 s25, 0
	v_cmp_le_u64_e32 vcc_lo, s[6:7], v[6:7]
	s_or_not1_b32 s44, vcc_lo, exec_lo
	s_branch .LBB110_211
.LBB110_216:                            ;   in Loop: Header=BB110_23 Depth=1
	s_or_b32 exec_lo, exec_lo, s13
	v_lshrrev_b32_e32 v34, 16, v8
	s_and_not1_b32 s6, s14, exec_lo
	s_wait_alu 0xfffe
	s_and_b32 s7, s15, exec_lo
	s_wait_alu 0xfffe
	s_or_b32 s14, s6, s7
.LBB110_217:                            ;   in Loop: Header=BB110_23 Depth=1
	s_or_b32 exec_lo, exec_lo, s12
	s_mov_b32 s25, 0
	s_mov_b32 s59, -1
.LBB110_218:                            ;   in Loop: Header=BB110_23 Depth=1
	s_wait_alu 0xfffe
	s_or_not1_b32 s6, s14, exec_lo
.LBB110_219:                            ;   in Loop: Header=BB110_23 Depth=1
	s_wait_alu 0xfffe
	s_or_b32 exec_lo, exec_lo, s79
	s_mov_b32 s7, 0
	s_and_saveexec_b32 s14, s6
	s_cbranch_execz .LBB110_277
; %bb.220:                              ;   in Loop: Header=BB110_23 Depth=1
	v_mov_b32_e32 v6, 1
	v_dual_mov_b32 v7, 0 :: v_dual_mov_b32 v2, 1
	s_xor_b32 s12, s78, -1
	s_wait_alu 0xfffe
	s_and_saveexec_b32 s6, s12
	s_cbranch_execz .LBB110_229
; %bb.221:                              ;   in Loop: Header=BB110_23 Depth=1
	s_mov_b32 s7, exec_lo
	v_cmpx_ge_u64_e64 s[10:11], v[4:5]
	s_wait_alu 0xfffe
	s_xor_b32 s7, exec_lo, s7
	s_cbranch_execz .LBB110_226
; %bb.222:                              ;   in Loop: Header=BB110_23 Depth=1
	ds_load_b64 v[6:7], v3 offset:5120
	s_lshl_b32 s12, 2, s97
	v_or_b32_e32 v33, s16, v33
	s_wait_alu 0xfffe
	v_and_or_b32 v30, v30, s20, s12
	s_wait_dscnt 0x0
	v_cmp_ne_u64_e32 vcc_lo, 0, v[6:7]
	s_cbranch_vccnz .LBB110_226
; %bb.223:                              ;   in Loop: Header=BB110_23 Depth=1
	s_and_saveexec_b32 s12, s2
; %bb.224:                              ;   in Loop: Header=BB110_23 Depth=1
	v_dual_mov_b32 v6, s10 :: v_dual_mov_b32 v7, s11
	ds_store_b64 v3, v[6:7] offset:5128
; %bb.225:                              ;   in Loop: Header=BB110_23 Depth=1
	s_wait_alu 0xfffe
	s_or_b32 exec_lo, exec_lo, s12
	s_wait_loadcnt_dscnt 0x0
	s_barrier_signal -1
	s_barrier_wait -1
	global_inv scope:SCOPE_SE
.LBB110_226:                            ;   in Loop: Header=BB110_23 Depth=1
	s_wait_alu 0xfffe
	s_or_saveexec_b32 s7, s7
	v_mov_b32_e32 v2, 8
	s_mov_b32 s12, 0
	s_wait_alu 0xfffe
	s_xor_b32 exec_lo, exec_lo, s7
; %bb.227:                              ;   in Loop: Header=BB110_23 Depth=1
	v_sub_co_u32 v4, vcc_lo, v4, s10
	s_wait_alu 0xfffd
	v_subrev_co_ci_u32_e64 v5, null, s11, v5, vcc_lo
	v_mov_b32_e32 v2, 0
	s_mov_b32 s12, exec_lo
; %bb.228:                              ;   in Loop: Header=BB110_23 Depth=1
	s_or_b32 exec_lo, exec_lo, s7
	s_delay_alu instid0(VALU_DEP_2)
	v_dual_mov_b32 v7, v5 :: v_dual_mov_b32 v6, v4
	s_wait_alu 0xfffe
	s_and_b32 s7, s12, exec_lo
.LBB110_229:                            ;   in Loop: Header=BB110_23 Depth=1
	s_wait_alu 0xfffe
	s_or_b32 exec_lo, exec_lo, s6
	s_mov_b32 s6, -1
                                        ; implicit-def: $sgpr80
                                        ; implicit-def: $sgpr79
	s_and_saveexec_b32 s15, s7
	s_cbranch_execz .LBB110_276
; %bb.230:                              ;   in Loop: Header=BB110_23 Depth=1
	v_cmp_eq_u64_e32 vcc_lo, 1, v[6:7]
	s_cmp_eq_u64 s[8:9], 1
	s_mov_b32 s7, -1
	s_cselect_b32 s6, -1, 0
                                        ; implicit-def: $sgpr80
                                        ; implicit-def: $sgpr79
	s_wait_alu 0xfffe
	s_and_b32 s20, s6, vcc_lo
	s_wait_alu 0xfffe
	s_and_saveexec_b32 s78, s20
	s_cbranch_execz .LBB110_264
; %bb.231:                              ;   in Loop: Header=BB110_23 Depth=1
	ds_load_b64 v[4:5], v3 offset:5120
	s_wait_loadcnt_dscnt 0x0
	s_barrier_signal -1
	s_barrier_wait -1
	global_inv scope:SCOPE_SE
	v_readfirstlane_b32 s6, v4
	v_readfirstlane_b32 s7, v5
	s_and_saveexec_b32 s10, s3
; %bb.232:                              ;   in Loop: Header=BB110_23 Depth=1
	ds_store_b16 v27, v3
; %bb.233:                              ;   in Loop: Header=BB110_23 Depth=1
	s_wait_alu 0xfffe
	s_or_b32 exec_lo, exec_lo, s10
	v_or_b32_e32 v30, s16, v30
	v_or_b32_e32 v33, s16, v33
	s_mov_b32 s79, -1
	s_mov_b32 s80, 0
	s_cmp_eq_u64 s[6:7], 0
	s_mov_b32 s12, 0
	s_mov_b32 s13, -1
	s_wait_loadcnt_dscnt 0x0
	s_barrier_signal -1
	s_barrier_wait -1
	global_inv scope:SCOPE_SE
                                        ; implicit-def: $vgpr34
	s_cbranch_scc1 .LBB110_249
; %bb.234:                              ;   in Loop: Header=BB110_23 Depth=1
	s_add_nc_u64 s[10:11], s[6:7], s[72:73]
	s_mov_b32 s12, s71
	s_wait_alu 0xfffe
	s_mov_b32 s13, s11
	s_wait_alu 0xfffe
	s_cmp_lg_u64 s[12:13], 0
	s_cbranch_scc0 .LBB110_283
; %bb.235:                              ;   in Loop: Header=BB110_23 Depth=1
	s_cvt_f32_u32 s12, s66
	s_sub_nc_u64 s[44:45], 0, s[66:67]
	s_wait_alu 0xfffe
	s_delay_alu instid0(SALU_CYCLE_1) | instskip(SKIP_1) | instid1(SALU_CYCLE_2)
	s_fmamk_f32 s12, s99, 0x0, s12
	s_wait_alu 0xfffe
	v_s_rcp_f32 s12, s12
	s_delay_alu instid0(TRANS32_DEP_1) | instskip(SKIP_1) | instid1(SALU_CYCLE_2)
	s_mul_f32 s12, s12, 0x5f7ffffc
	s_wait_alu 0xfffe
	s_mul_f32 s13, s12, 0x2f800000
	s_wait_alu 0xfffe
	s_delay_alu instid0(SALU_CYCLE_2) | instskip(SKIP_1) | instid1(SALU_CYCLE_2)
	s_trunc_f32 s13, s13
	s_wait_alu 0xfffe
	s_fmamk_f32 s12, s13, 0xcf800000, s12
	s_cvt_u32_f32 s13, s13
	s_wait_alu 0xfffe
	s_delay_alu instid0(SALU_CYCLE_1) | instskip(SKIP_1) | instid1(SALU_CYCLE_2)
	s_cvt_u32_f32 s12, s12
	s_wait_alu 0xfffe
	s_mul_u64 s[46:47], s[44:45], s[12:13]
	s_wait_alu 0xfffe
	s_mul_hi_u32 s61, s12, s47
	s_mul_i32 s60, s12, s47
	s_mul_hi_u32 s70, s12, s46
	s_mul_i32 s82, s13, s46
	s_wait_alu 0xfffe
	s_add_nc_u64 s[60:61], s[70:71], s[60:61]
	s_mul_hi_u32 s81, s13, s46
	s_mul_hi_u32 s83, s13, s47
	s_mul_i32 s46, s13, s47
	s_wait_alu 0xfffe
	s_add_co_u32 s47, s60, s82
	s_add_co_ci_u32 s70, s61, s81
	s_add_co_ci_u32 s47, s83, 0
	s_wait_alu 0xfffe
	s_add_nc_u64 s[46:47], s[70:71], s[46:47]
	s_wait_alu 0xfffe
	s_add_co_u32 s12, s12, s46
	s_cselect_b32 s46, -1, 0
	s_wait_alu 0xfffe
	s_cmp_lg_u32 s46, 0
	s_add_co_ci_u32 s13, s13, s47
	s_wait_alu 0xfffe
	s_mul_u64 s[44:45], s[44:45], s[12:13]
	s_wait_alu 0xfffe
	s_mul_hi_u32 s47, s12, s45
	s_mul_i32 s46, s12, s45
	s_mul_hi_u32 s70, s12, s44
	s_mul_i32 s61, s13, s44
	s_wait_alu 0xfffe
	s_add_nc_u64 s[46:47], s[70:71], s[46:47]
	s_mul_hi_u32 s60, s13, s44
	s_mul_hi_u32 s81, s13, s45
	s_mul_i32 s44, s13, s45
	s_wait_alu 0xfffe
	s_add_co_u32 s45, s46, s61
	s_add_co_ci_u32 s70, s47, s60
	s_add_co_ci_u32 s45, s81, 0
	s_wait_alu 0xfffe
	s_add_nc_u64 s[44:45], s[70:71], s[44:45]
	s_wait_alu 0xfffe
	s_add_co_u32 s12, s12, s44
	s_cselect_b32 s44, -1, 0
	s_wait_alu 0xfffe
	s_mul_hi_u32 s70, s10, s12
	s_cmp_lg_u32 s44, 0
	s_mul_hi_u32 s46, s11, s12
	s_add_co_ci_u32 s44, s13, s45
	s_mul_i32 s45, s11, s12
	s_wait_alu 0xfffe
	s_mul_hi_u32 s13, s10, s44
	s_mul_i32 s12, s10, s44
	s_mul_hi_u32 s47, s11, s44
	s_wait_alu 0xfffe
	s_add_nc_u64 s[12:13], s[70:71], s[12:13]
	s_mul_i32 s44, s11, s44
	s_wait_alu 0xfffe
	s_add_co_u32 s12, s12, s45
	s_add_co_ci_u32 s70, s13, s46
	s_add_co_ci_u32 s45, s47, 0
	s_wait_alu 0xfffe
	s_add_nc_u64 s[12:13], s[70:71], s[44:45]
	s_wait_alu 0xfffe
	s_mul_u64 s[12:13], s[66:67], s[12:13]
	s_wait_alu 0xfffe
	s_sub_co_u32 s12, s10, s12
	s_cselect_b32 s44, -1, 0
	s_wait_alu 0xfffe
	s_cmp_lg_u32 s44, 0
	s_sub_co_ci_u32 s13, s11, s13
	s_sub_co_u32 s44, s12, s66
	s_cselect_b32 s45, -1, 0
	s_wait_alu 0xfffe
	s_cmp_lg_u32 s45, 0
	s_sub_co_ci_u32 s45, s13, 0
	;; [unrolled: 5-line block ×3, first 2 shown]
	s_cmp_ge_u32 s44, s66
	s_cselect_b32 s60, -1, 0
	s_cmp_eq_u32 s45, 0
	s_wait_alu 0xfffe
	s_cselect_b32 s60, s60, -1
	s_wait_alu 0xfffe
	s_cmp_lg_u32 s60, 0
	s_cselect_b32 s45, s47, s45
	s_cselect_b32 s44, s46, s44
	s_cmp_ge_u32 s12, s66
	s_cselect_b32 s46, -1, 0
	s_cmp_eq_u32 s13, 0
	s_wait_alu 0xfffe
	s_cselect_b32 s46, s46, -1
	s_wait_alu 0xfffe
	s_cmp_lg_u32 s46, 0
	s_cselect_b32 s13, s45, s13
	s_cselect_b32 s12, s44, s12
	s_cbranch_execnz .LBB110_237
.LBB110_236:                            ;   in Loop: Header=BB110_23 Depth=1
	v_cvt_f32_u32_e32 v4, s66
	s_sub_co_i32 s13, 0, s66
	s_delay_alu instid0(VALU_DEP_1) | instskip(NEXT) | instid1(TRANS32_DEP_1)
	v_rcp_iflag_f32_e32 v4, v4
	v_mul_f32_e32 v4, 0x4f7ffffe, v4
	s_delay_alu instid0(VALU_DEP_1) | instskip(NEXT) | instid1(VALU_DEP_1)
	v_cvt_u32_f32_e32 v4, v4
	v_readfirstlane_b32 s12, v4
	s_wait_alu 0xfffe
	s_mul_i32 s13, s13, s12
	s_wait_alu 0xfffe
	s_mul_hi_u32 s13, s12, s13
	s_wait_alu 0xfffe
	s_add_co_i32 s12, s12, s13
	s_wait_alu 0xfffe
	s_mul_hi_u32 s12, s10, s12
	s_wait_alu 0xfffe
	s_mul_i32 s12, s12, s66
	s_wait_alu 0xfffe
	s_sub_co_i32 s12, s10, s12
	s_wait_alu 0xfffe
	s_sub_co_i32 s13, s12, s66
	s_cmp_ge_u32 s12, s66
	s_wait_alu 0xfffe
	s_cselect_b32 s12, s13, s12
	s_wait_alu 0xfffe
	s_sub_co_i32 s13, s12, s66
	s_cmp_ge_u32 s12, s66
	s_wait_alu 0xfffe
	s_cselect_b32 s70, s13, s12
	s_wait_alu 0xfffe
	s_mov_b64 s[12:13], s[70:71]
.LBB110_237:                            ;   in Loop: Header=BB110_23 Depth=1
	s_wait_alu 0xfffe
	s_sub_nc_u64 s[10:11], s[10:11], s[12:13]
	s_mov_b32 s13, 0
	s_mov_b32 s12, 0
	s_mov_b32 s44, exec_lo
                                        ; implicit-def: $vgpr34
	s_wait_alu 0xfffe
	v_cmpx_gt_u64_e64 s[10:11], v[0:1]
	s_cbranch_execz .LBB110_248
; %bb.238:                              ;   in Loop: Header=BB110_23 Depth=1
	v_dual_mov_b32 v8, v26 :: v_dual_mov_b32 v5, v1
	v_mov_b32_e32 v4, v0
                                        ; implicit-def: $sgpr45
	s_branch .LBB110_241
.LBB110_239:                            ;   in Loop: Header=BB110_241 Depth=2
	s_wait_alu 0xfffe
	s_or_b32 exec_lo, exec_lo, s46
	s_wait_loadcnt_dscnt 0x0
	s_barrier_signal -1
	s_barrier_wait -1
	global_inv scope:SCOPE_SE
	ds_load_b32 v9, v3 offset:3072
	s_mov_b32 s46, -1
	s_mov_b32 s47, -1
	s_wait_loadcnt_dscnt 0x0
	s_barrier_signal -1
	s_barrier_wait -1
	global_inv scope:SCOPE_SE
	v_and_b32_e32 v10, 0xffff, v9
	s_delay_alu instid0(VALU_DEP_1)
	v_cmp_ne_u32_e32 vcc_lo, 0, v10
	s_cbranch_vccz .LBB110_244
.LBB110_240:                            ;   in Loop: Header=BB110_241 Depth=2
	s_wait_alu 0xfffe
	s_and_b32 s46, exec_lo, s46
	s_wait_alu 0xfffe
	s_or_b32 s12, s46, s12
	s_and_not1_b32 s45, s45, exec_lo
	s_and_b32 s46, s47, exec_lo
	s_wait_alu 0xfffe
	s_or_b32 s45, s45, s46
	s_and_not1_b32 exec_lo, exec_lo, s12
	s_cbranch_execz .LBB110_247
.LBB110_241:                            ;   Parent Loop BB110_23 Depth=1
                                        ; =>  This Inner Loop Header: Depth=2
	s_mov_b32 s46, exec_lo
	s_delay_alu instid0(VALU_DEP_1)
	v_cmpx_gt_u64_e64 s[6:7], v[4:5]
	s_cbranch_execz .LBB110_239
; %bb.242:                              ;   in Loop: Header=BB110_241 Depth=2
	ds_load_u16 v9, v8
	s_wait_dscnt 0x0
	v_bfe_i32 v10, v9, 0, 16
	s_delay_alu instid0(VALU_DEP_1) | instskip(NEXT) | instid1(VALU_DEP_1)
	v_add_nc_u32_e32 v10, 0x8000, v10
	v_and_b32_e32 v10, v10, v33
	s_delay_alu instid0(VALU_DEP_1)
	v_cmp_eq_u32_e32 vcc_lo, v10, v30
	s_and_b32 exec_lo, exec_lo, vcc_lo
	s_cbranch_execz .LBB110_239
; %bb.243:                              ;   in Loop: Header=BB110_241 Depth=2
	v_perm_b32 v9, v9, 1, 0x5040100
	ds_store_b32 v3, v9 offset:3072
	s_branch .LBB110_239
.LBB110_244:                            ;   in Loop: Header=BB110_241 Depth=2
	v_add_co_u32 v4, vcc_lo, v4, s66
	s_wait_alu 0xfffd
	v_add_co_ci_u32_e64 v5, null, 0, v5, vcc_lo
	v_add_nc_u32_e32 v8, s96, v8
	s_mov_b32 s47, 0
	s_delay_alu instid0(VALU_DEP_2)
	v_cmp_le_u64_e32 vcc_lo, s[10:11], v[4:5]
	s_or_not1_b32 s46, vcc_lo, exec_lo
	s_branch .LBB110_240
.LBB110_245:                            ;   in Loop: Header=BB110_23 Depth=1
                                        ; implicit-def: $sgpr14_sgpr15
	s_branch .LBB110_191
.LBB110_246:                            ;   in Loop: Header=BB110_23 Depth=1
                                        ; implicit-def: $sgpr6_sgpr7
	s_branch .LBB110_207
.LBB110_247:                            ;   in Loop: Header=BB110_23 Depth=1
	s_or_b32 exec_lo, exec_lo, s12
	v_lshrrev_b32_e32 v34, 16, v9
	s_wait_alu 0xfffe
	s_and_b32 s12, s45, exec_lo
.LBB110_248:                            ;   in Loop: Header=BB110_23 Depth=1
	s_or_b32 exec_lo, exec_lo, s44
.LBB110_249:                            ;   in Loop: Header=BB110_23 Depth=1
	s_wait_alu 0xfffe
	s_and_b32 vcc_lo, exec_lo, s13
	s_wait_alu 0xfffe
	s_cbranch_vccz .LBB110_263
; %bb.250:                              ;   in Loop: Header=BB110_23 Depth=1
	s_mov_b32 s6, s71
	s_mov_b32 s7, s75
	s_wait_alu 0xfffe
	s_cmp_lg_u64 s[6:7], 0
	s_cbranch_scc0 .LBB110_284
; %bb.251:                              ;   in Loop: Header=BB110_23 Depth=1
	s_cvt_f32_u32 s6, s66
	s_sub_nc_u64 s[10:11], 0, s[66:67]
	s_wait_alu 0xfffe
	s_delay_alu instid0(SALU_CYCLE_1) | instskip(SKIP_1) | instid1(SALU_CYCLE_2)
	s_fmamk_f32 s6, s99, 0x0, s6
	s_wait_alu 0xfffe
	v_s_rcp_f32 s6, s6
	s_delay_alu instid0(TRANS32_DEP_1) | instskip(SKIP_1) | instid1(SALU_CYCLE_2)
	s_mul_f32 s6, s6, 0x5f7ffffc
	s_wait_alu 0xfffe
	s_mul_f32 s7, s6, 0x2f800000
	s_wait_alu 0xfffe
	s_delay_alu instid0(SALU_CYCLE_2) | instskip(SKIP_1) | instid1(SALU_CYCLE_2)
	s_trunc_f32 s7, s7
	s_wait_alu 0xfffe
	s_fmamk_f32 s6, s7, 0xcf800000, s6
	s_cvt_u32_f32 s7, s7
	s_wait_alu 0xfffe
	s_delay_alu instid0(SALU_CYCLE_1) | instskip(SKIP_1) | instid1(SALU_CYCLE_2)
	s_cvt_u32_f32 s6, s6
	s_wait_alu 0xfffe
	s_mul_u64 s[44:45], s[10:11], s[6:7]
	s_wait_alu 0xfffe
	s_mul_hi_u32 s47, s6, s45
	s_mul_i32 s46, s6, s45
	s_mul_hi_u32 s70, s6, s44
	s_mul_i32 s60, s7, s44
	s_wait_alu 0xfffe
	s_add_nc_u64 s[46:47], s[70:71], s[46:47]
	s_mul_hi_u32 s13, s7, s44
	s_mul_hi_u32 s61, s7, s45
	s_mul_i32 s44, s7, s45
	s_wait_alu 0xfffe
	s_add_co_u32 s45, s46, s60
	s_add_co_ci_u32 s70, s47, s13
	s_add_co_ci_u32 s45, s61, 0
	s_wait_alu 0xfffe
	s_add_nc_u64 s[44:45], s[70:71], s[44:45]
	s_wait_alu 0xfffe
	s_add_co_u32 s6, s6, s44
	s_cselect_b32 s13, -1, 0
	s_wait_alu 0xfffe
	s_cmp_lg_u32 s13, 0
	s_add_co_ci_u32 s7, s7, s45
	s_wait_alu 0xfffe
	s_mul_u64 s[10:11], s[10:11], s[6:7]
	s_wait_alu 0xfffe
	s_mul_hi_u32 s45, s6, s11
	s_mul_i32 s44, s6, s11
	s_mul_hi_u32 s70, s6, s10
	s_mul_i32 s46, s7, s10
	s_wait_alu 0xfffe
	s_add_nc_u64 s[44:45], s[70:71], s[44:45]
	s_mul_hi_u32 s13, s7, s10
	s_mul_hi_u32 s47, s7, s11
	s_mul_i32 s10, s7, s11
	s_wait_alu 0xfffe
	s_add_co_u32 s11, s44, s46
	s_add_co_ci_u32 s70, s45, s13
	s_add_co_ci_u32 s11, s47, 0
	s_wait_alu 0xfffe
	s_add_nc_u64 s[10:11], s[70:71], s[10:11]
	s_wait_alu 0xfffe
	s_add_co_u32 s6, s6, s10
	s_cselect_b32 s10, -1, 0
	s_wait_alu 0xfffe
	s_mul_hi_u32 s70, s74, s6
	s_cmp_lg_u32 s10, 0
	s_mul_hi_u32 s13, s75, s6
	s_add_co_ci_u32 s10, s7, s11
	s_mul_i32 s11, s75, s6
	s_wait_alu 0xfffe
	s_mul_hi_u32 s7, s74, s10
	s_mul_i32 s6, s74, s10
	s_mul_hi_u32 s44, s75, s10
	s_wait_alu 0xfffe
	s_add_nc_u64 s[6:7], s[70:71], s[6:7]
	s_mul_i32 s10, s75, s10
	s_wait_alu 0xfffe
	s_add_co_u32 s6, s6, s11
	s_add_co_ci_u32 s70, s7, s13
	s_add_co_ci_u32 s11, s44, 0
	s_wait_alu 0xfffe
	s_add_nc_u64 s[6:7], s[70:71], s[10:11]
	s_wait_alu 0xfffe
	s_mul_u64 s[6:7], s[66:67], s[6:7]
	s_wait_alu 0xfffe
	s_sub_co_u32 s6, s74, s6
	s_cselect_b32 s10, -1, 0
	s_wait_alu 0xfffe
	s_cmp_lg_u32 s10, 0
	s_sub_co_ci_u32 s7, s75, s7
	s_sub_co_u32 s10, s6, s66
	s_cselect_b32 s11, -1, 0
	s_wait_alu 0xfffe
	s_cmp_lg_u32 s11, 0
	s_sub_co_ci_u32 s11, s7, 0
	;; [unrolled: 5-line block ×3, first 2 shown]
	s_cmp_ge_u32 s10, s66
	s_cselect_b32 s45, -1, 0
	s_cmp_eq_u32 s11, 0
	s_wait_alu 0xfffe
	s_cselect_b32 s45, s45, -1
	s_wait_alu 0xfffe
	s_cmp_lg_u32 s45, 0
	s_cselect_b32 s11, s44, s11
	s_cselect_b32 s10, s13, s10
	s_cmp_ge_u32 s6, s66
	s_cselect_b32 s13, -1, 0
	s_cmp_eq_u32 s7, 0
	s_wait_alu 0xfffe
	s_cselect_b32 s13, s13, -1
	s_wait_alu 0xfffe
	s_cmp_lg_u32 s13, 0
	s_cselect_b32 s7, s11, s7
	s_cselect_b32 s6, s10, s6
	s_cbranch_execnz .LBB110_253
.LBB110_252:                            ;   in Loop: Header=BB110_23 Depth=1
	v_cvt_f32_u32_e32 v4, s66
	s_sub_co_i32 s7, 0, s66
	s_delay_alu instid0(VALU_DEP_1) | instskip(NEXT) | instid1(TRANS32_DEP_1)
	v_rcp_iflag_f32_e32 v4, v4
	v_mul_f32_e32 v4, 0x4f7ffffe, v4
	s_delay_alu instid0(VALU_DEP_1) | instskip(NEXT) | instid1(VALU_DEP_1)
	v_cvt_u32_f32_e32 v4, v4
	v_readfirstlane_b32 s6, v4
	s_wait_alu 0xfffe
	s_mul_i32 s7, s7, s6
	s_wait_alu 0xfffe
	s_mul_hi_u32 s7, s6, s7
	s_wait_alu 0xfffe
	s_add_co_i32 s6, s6, s7
	s_wait_alu 0xfffe
	s_mul_hi_u32 s6, s74, s6
	s_wait_alu 0xfffe
	s_mul_i32 s6, s6, s66
	s_wait_alu 0xfffe
	s_sub_co_i32 s6, s74, s6
	s_wait_alu 0xfffe
	s_sub_co_i32 s7, s6, s66
	s_cmp_ge_u32 s6, s66
	s_wait_alu 0xfffe
	s_cselect_b32 s6, s7, s6
	s_wait_alu 0xfffe
	s_sub_co_i32 s7, s6, s66
	s_cmp_ge_u32 s6, s66
	s_wait_alu 0xfffe
	s_cselect_b32 s70, s7, s6
	s_wait_alu 0xfffe
	s_mov_b64 s[6:7], s[70:71]
.LBB110_253:                            ;   in Loop: Header=BB110_23 Depth=1
	s_wait_alu 0xfffe
	s_sub_nc_u64 s[6:7], s[74:75], s[6:7]
	s_mov_b32 s10, exec_lo
                                        ; implicit-def: $vgpr34
	s_wait_alu 0xfffe
	v_cmpx_gt_u64_e64 s[6:7], v[0:1]
	s_cbranch_execz .LBB110_262
; %bb.254:                              ;   in Loop: Header=BB110_23 Depth=1
	v_dual_mov_b32 v5, v1 :: v_dual_mov_b32 v4, v0
	s_mov_b32 s11, 0
                                        ; implicit-def: $sgpr13
	s_branch .LBB110_257
.LBB110_255:                            ;   in Loop: Header=BB110_257 Depth=2
	s_wait_alu 0xfffe
	s_or_b32 exec_lo, exec_lo, s44
	s_wait_loadcnt_dscnt 0x0
	s_barrier_signal -1
	s_barrier_wait -1
	global_inv scope:SCOPE_SE
	ds_load_b32 v8, v3 offset:3072
	s_mov_b32 s45, -1
	s_mov_b32 s44, -1
	s_wait_loadcnt_dscnt 0x0
	s_barrier_signal -1
	s_barrier_wait -1
	global_inv scope:SCOPE_SE
	v_and_b32_e32 v9, 0xffff, v8
	s_delay_alu instid0(VALU_DEP_1)
	v_cmp_eq_u32_e32 vcc_lo, 0, v9
	s_cbranch_vccnz .LBB110_260
.LBB110_256:                            ;   in Loop: Header=BB110_257 Depth=2
	s_wait_alu 0xfffe
	s_and_b32 s45, exec_lo, s45
	s_wait_alu 0xfffe
	s_or_b32 s11, s45, s11
	s_and_not1_b32 s13, s13, exec_lo
	s_and_b32 s44, s44, exec_lo
	s_wait_alu 0xfffe
	s_or_b32 s13, s13, s44
	s_and_not1_b32 exec_lo, exec_lo, s11
	s_cbranch_execz .LBB110_261
.LBB110_257:                            ;   Parent Loop BB110_23 Depth=1
                                        ; =>  This Inner Loop Header: Depth=2
	s_mov_b32 s44, exec_lo
	s_delay_alu instid0(VALU_DEP_1)
	v_cmpx_gt_u64_e64 s[28:29], v[4:5]
	s_cbranch_execz .LBB110_255
; %bb.258:                              ;   in Loop: Header=BB110_257 Depth=2
	v_mul_lo_u32 v10, v5, s56
	v_mul_lo_u32 v11, v4, s57
	v_mad_co_u64_u32 v[8:9], null, v4, s56, 0
	s_delay_alu instid0(VALU_DEP_1) | instskip(NEXT) | instid1(VALU_DEP_1)
	v_add3_u32 v9, v9, v11, v10
	v_lshlrev_b64_e32 v[8:9], 1, v[8:9]
	s_delay_alu instid0(VALU_DEP_1) | instskip(SKIP_1) | instid1(VALU_DEP_2)
	v_add_co_u32 v8, vcc_lo, s64, v8
	s_wait_alu 0xfffd
	v_add_co_ci_u32_e64 v9, null, s65, v9, vcc_lo
	global_load_u16 v8, v[8:9], off
	s_wait_loadcnt 0x0
	v_bfe_i32 v9, v8, 0, 16
	s_delay_alu instid0(VALU_DEP_1) | instskip(NEXT) | instid1(VALU_DEP_1)
	v_add_nc_u32_e32 v9, 0x8000, v9
	v_and_b32_e32 v9, v9, v33
	s_delay_alu instid0(VALU_DEP_1)
	v_cmp_eq_u32_e32 vcc_lo, v9, v30
	s_and_b32 exec_lo, exec_lo, vcc_lo
	s_cbranch_execz .LBB110_255
; %bb.259:                              ;   in Loop: Header=BB110_257 Depth=2
	v_perm_b32 v8, v8, 1, 0x5040100
	ds_store_b32 v3, v8 offset:3072
	s_branch .LBB110_255
.LBB110_260:                            ;   in Loop: Header=BB110_257 Depth=2
	v_add_co_u32 v4, vcc_lo, v4, s66
	s_wait_alu 0xfffd
	v_add_co_ci_u32_e64 v5, null, 0, v5, vcc_lo
	s_mov_b32 s44, 0
	v_cmp_le_u64_e32 vcc_lo, s[6:7], v[4:5]
	s_or_not1_b32 s45, vcc_lo, exec_lo
	s_branch .LBB110_256
.LBB110_261:                            ;   in Loop: Header=BB110_23 Depth=1
	s_or_b32 exec_lo, exec_lo, s11
	v_lshrrev_b32_e32 v34, 16, v8
	s_and_not1_b32 s6, s12, exec_lo
	s_wait_alu 0xfffe
	s_and_b32 s7, s13, exec_lo
	s_wait_alu 0xfffe
	s_or_b32 s12, s6, s7
.LBB110_262:                            ;   in Loop: Header=BB110_23 Depth=1
	s_or_b32 exec_lo, exec_lo, s10
	s_mov_b32 s79, 0
	s_mov_b32 s80, -1
.LBB110_263:                            ;   in Loop: Header=BB110_23 Depth=1
	s_wait_alu 0xfffe
	s_or_not1_b32 s7, s12, exec_lo
.LBB110_264:                            ;   in Loop: Header=BB110_23 Depth=1
	s_wait_alu 0xfffe
	s_or_b32 exec_lo, exec_lo, s78
	s_mov_b32 s10, 0
	s_and_saveexec_b32 s6, s7
	s_cbranch_execz .LBB110_275
; %bb.265:                              ;   in Loop: Header=BB110_23 Depth=1
	v_mov_b32_e32 v4, 1
	v_dual_mov_b32 v5, 0 :: v_dual_mov_b32 v2, 1
	s_xor_b32 s10, s20, -1
	s_wait_alu 0xfffe
	s_and_saveexec_b32 s7, s10
	s_cbranch_execz .LBB110_274
; %bb.266:                              ;   in Loop: Header=BB110_23 Depth=1
	s_mov_b32 s10, exec_lo
	v_cmpx_ge_u64_e64 s[8:9], v[6:7]
	s_wait_alu 0xfffe
	s_xor_b32 s10, exec_lo, s10
	s_cbranch_execz .LBB110_271
; %bb.267:                              ;   in Loop: Header=BB110_23 Depth=1
	ds_load_b64 v[4:5], v3 offset:5120
	v_or_b32_e32 v30, s16, v30
	v_or_b32_e32 v33, s16, v33
	s_wait_dscnt 0x0
	v_cmp_ne_u64_e32 vcc_lo, 0, v[4:5]
	s_cbranch_vccnz .LBB110_271
; %bb.268:                              ;   in Loop: Header=BB110_23 Depth=1
	s_and_saveexec_b32 s11, s2
; %bb.269:                              ;   in Loop: Header=BB110_23 Depth=1
	v_dual_mov_b32 v4, s8 :: v_dual_mov_b32 v5, s9
	ds_store_b64 v3, v[4:5] offset:5128
; %bb.270:                              ;   in Loop: Header=BB110_23 Depth=1
	s_wait_alu 0xfffe
	s_or_b32 exec_lo, exec_lo, s11
	s_wait_loadcnt_dscnt 0x0
	s_barrier_signal -1
	s_barrier_wait -1
	global_inv scope:SCOPE_SE
.LBB110_271:                            ;   in Loop: Header=BB110_23 Depth=1
	s_wait_alu 0xfffe
	s_and_not1_saveexec_b32 s10, s10
; %bb.272:                              ;   in Loop: Header=BB110_23 Depth=1
	v_sub_co_u32 v6, vcc_lo, v6, s8
	s_wait_alu 0xfffd
	v_subrev_co_ci_u32_e64 v7, null, s9, v7, vcc_lo
; %bb.273:                              ;   in Loop: Header=BB110_23 Depth=1
	s_wait_alu 0xfffe
	s_or_b32 exec_lo, exec_lo, s10
	v_mov_b32_e32 v4, v6
	s_delay_alu instid0(VALU_DEP_2)
	v_dual_mov_b32 v2, 8 :: v_dual_mov_b32 v5, v7
.LBB110_274:                            ;   in Loop: Header=BB110_23 Depth=1
	s_wait_alu 0xfffe
	s_or_b32 exec_lo, exec_lo, s7
	s_delay_alu instid0(VALU_DEP_1)
	v_dual_mov_b32 v7, v5 :: v_dual_mov_b32 v6, v4
	s_mov_b32 s10, exec_lo
.LBB110_275:                            ;   in Loop: Header=BB110_23 Depth=1
	s_wait_alu 0xfffe
	s_or_b32 exec_lo, exec_lo, s6
	s_delay_alu instid0(SALU_CYCLE_1)
	s_or_not1_b32 s6, s10, exec_lo
.LBB110_276:                            ;   in Loop: Header=BB110_23 Depth=1
	s_wait_alu 0xfffe
	s_or_b32 exec_lo, exec_lo, s15
	v_dual_mov_b32 v4, v6 :: v_dual_mov_b32 v5, v7
	s_and_not1_b32 s7, s59, exec_lo
	s_and_b32 s8, s80, exec_lo
	s_and_not1_b32 s9, s25, exec_lo
	s_and_b32 s10, s79, exec_lo
	s_wait_alu 0xfffe
	s_or_b32 s59, s7, s8
	s_or_b32 s25, s9, s10
	s_and_b32 s7, s6, exec_lo
.LBB110_277:                            ;   in Loop: Header=BB110_23 Depth=1
	s_wait_alu 0xfffe
	s_or_b32 exec_lo, exec_lo, s14
	s_delay_alu instid0(SALU_CYCLE_1)
	s_or_not1_b32 s6, s7, exec_lo
.LBB110_278:                            ;   in Loop: Header=BB110_23 Depth=1
	s_wait_alu 0xfffe
	s_or_b32 exec_lo, exec_lo, s24
	v_dual_mov_b32 v9, v5 :: v_dual_mov_b32 v8, v4
	s_and_not1_b32 s7, s22, exec_lo
	s_and_b32 s8, s59, exec_lo
	s_and_not1_b32 s9, s21, exec_lo
	s_and_b32 s10, s25, exec_lo
	s_wait_alu 0xfffe
	s_or_b32 s22, s7, s8
	s_or_b32 s21, s9, s10
	s_and_b32 s7, s6, exec_lo
.LBB110_279:                            ;   in Loop: Header=BB110_23 Depth=1
	s_wait_alu 0xfffe
	s_or_b32 exec_lo, exec_lo, s23
	s_delay_alu instid0(SALU_CYCLE_1)
	s_or_not1_b32 s6, s7, exec_lo
.LBB110_280:                            ;   in Loop: Header=BB110_23 Depth=1
	s_wait_alu 0xfffe
	s_or_b32 exec_lo, exec_lo, s19
	s_mov_b32 s7, 0
	s_and_saveexec_b32 s8, s6
	s_wait_alu 0xfffe
	s_xor_b32 s6, exec_lo, s8
	s_cbranch_execz .LBB110_21
; %bb.281:                              ;   in Loop: Header=BB110_23 Depth=1
	v_and_b32_e32 v2, 7, v2
	s_mov_b32 s8, -1
	s_mov_b32 s7, -1
	s_mov_b32 s9, exec_lo
	s_delay_alu instid0(VALU_DEP_1)
	v_cmpx_eq_u32_e32 0, v2
	s_cbranch_execz .LBB110_20
; %bb.282:                              ;   in Loop: Header=BB110_23 Depth=1
	s_xor_b32 s100, s100, 1
	s_add_co_i32 s10, s97, -2
	s_cmp_eq_u32 s97, 0
	s_wait_alu 0xfffe
	s_mov_b32 s97, s10
	s_cselect_b32 s8, -1, 0
	s_xor_b32 s7, exec_lo, -1
	s_wait_alu 0xfffe
	s_or_not1_b32 s8, s8, exec_lo
	s_branch .LBB110_20
.LBB110_283:                            ;   in Loop: Header=BB110_23 Depth=1
                                        ; implicit-def: $sgpr12_sgpr13
	s_branch .LBB110_236
.LBB110_284:                            ;   in Loop: Header=BB110_23 Depth=1
                                        ; implicit-def: $sgpr6_sgpr7
	s_branch .LBB110_252
.LBB110_285:
	s_or_b32 exec_lo, exec_lo, s98
	s_xor_b32 s4, s58, -1
	s_xor_b32 s1, s104, -1
	;; [unrolled: 1-line block ×3, first 2 shown]
	s_mov_b32 s2, 0
	s_and_saveexec_b32 s5, s1
	s_wait_alu 0xfffe
	s_xor_b32 s1, exec_lo, s5
	s_cbranch_execnz .LBB110_290
; %bb.286:
	s_and_not1_saveexec_b32 s0, s1
	s_cbranch_execnz .LBB110_303
.LBB110_287:
	s_or_b32 exec_lo, exec_lo, s0
	s_and_saveexec_b32 s0, s2
.LBB110_288:
	; divergent unreachable
.LBB110_289:
	s_endpgm
.LBB110_290:
	s_and_saveexec_b32 s2, s4
	s_delay_alu instid0(SALU_CYCLE_1)
	s_xor_b32 s2, exec_lo, s2
	s_cbranch_execz .LBB110_301
; %bb.291:
	s_and_saveexec_b32 s4, s3
	s_wait_alu 0xfffe
	s_xor_b32 s3, exec_lo, s4
; %bb.292:
	v_xor_b32_e32 v34, 0xffff8000, v30
; %bb.293:
	s_or_b32 exec_lo, exec_lo, s3
	s_mul_u64 s[4:5], s[54:55], s[40:41]
	s_mul_u64 s[6:7], s[54:55], s[48:49]
	s_wait_alu 0xfffe
	s_sub_nc_u64 s[4:5], s[52:53], s[4:5]
	s_mul_u64 s[8:9], s[52:53], s[42:43]
	s_wait_alu 0xfffe
	s_mul_u64 s[4:5], s[4:5], s[50:51]
	s_lshl_b64 s[6:7], s[6:7], 1
	s_sub_nc_u64 s[8:9], s[26:27], s[8:9]
	s_wait_alu 0xfffe
	s_add_nc_u64 s[6:7], s[68:69], s[6:7]
	s_lshl_b64 s[4:5], s[4:5], 1
	s_mul_u64 s[8:9], s[8:9], s[62:63]
	v_mov_b32_e32 v2, 0
	s_wait_alu 0xfffe
	s_add_nc_u64 s[4:5], s[6:7], s[4:5]
	s_lshl_b64 s[6:7], s[8:9], 1
	s_wait_alu 0xfffe
	s_add_nc_u64 s[4:5], s[4:5], s[6:7]
	global_store_b16 v2, v34, s[4:5]
	s_and_saveexec_b32 s3, s0
	s_cbranch_execz .LBB110_300
; %bb.294:
	s_mov_b32 s0, 0
                                        ; implicit-def: $sgpr4
                                        ; implicit-def: $sgpr6
                                        ; implicit-def: $sgpr5
	s_branch .LBB110_296
.LBB110_295:                            ;   in Loop: Header=BB110_296 Depth=1
	s_wait_alu 0xfffe
	s_or_b32 exec_lo, exec_lo, s7
	s_delay_alu instid0(SALU_CYCLE_1)
	s_and_b32 s7, exec_lo, s6
	s_wait_alu 0xfffe
	s_or_b32 s0, s7, s0
	s_and_not1_b32 s4, s4, exec_lo
	s_and_b32 s7, s5, exec_lo
	s_wait_alu 0xfffe
	s_or_b32 s4, s4, s7
	s_and_not1_b32 exec_lo, exec_lo, s0
	s_cbranch_execz .LBB110_298
.LBB110_296:                            ; =>This Inner Loop Header: Depth=1
	v_dual_mov_b32 v3, v1 :: v_dual_mov_b32 v2, v0
	s_wait_alu 0xfffe
	s_or_b32 s5, s5, exec_lo
	s_or_b32 s6, s6, exec_lo
	s_delay_alu instid0(VALU_DEP_1) | instskip(SKIP_2) | instid1(VALU_DEP_1)
	v_mul_lo_u32 v4, v3, s56
	v_mul_lo_u32 v5, v2, s57
	v_mad_co_u64_u32 v[0:1], null, v2, s56, 0
	v_add3_u32 v1, v1, v5, v4
	s_delay_alu instid0(VALU_DEP_1) | instskip(NEXT) | instid1(VALU_DEP_1)
	v_lshlrev_b64_e32 v[0:1], 1, v[0:1]
	v_add_co_u32 v0, vcc_lo, s64, v0
	s_wait_alu 0xfffd
	s_delay_alu instid0(VALU_DEP_2)
	v_add_co_ci_u32_e64 v1, null, s65, v1, vcc_lo
	global_load_u16 v0, v[0:1], off
	s_wait_loadcnt 0x0
	v_cmp_ne_u16_e32 vcc_lo, v0, v34
                                        ; implicit-def: $vgpr0_vgpr1
	s_and_saveexec_b32 s7, vcc_lo
	s_cbranch_execz .LBB110_295
; %bb.297:                              ;   in Loop: Header=BB110_296 Depth=1
	v_add_co_u32 v0, vcc_lo, v2, s66
	s_wait_alu 0xfffd
	v_add_co_ci_u32_e64 v1, null, 0, v3, vcc_lo
	s_wait_alu 0xfffe
	s_and_not1_b32 s6, s6, exec_lo
	s_and_not1_b32 s5, s5, exec_lo
	s_delay_alu instid0(VALU_DEP_1)
	v_cmp_le_u64_e32 vcc_lo, s[28:29], v[0:1]
	s_and_b32 s8, vcc_lo, exec_lo
	s_wait_alu 0xfffe
	s_or_b32 s6, s6, s8
	s_branch .LBB110_295
.LBB110_298:
	s_or_b32 exec_lo, exec_lo, s0
	s_wait_alu 0xfffe
	s_and_saveexec_b32 s0, s4
	s_delay_alu instid0(SALU_CYCLE_1)
	s_xor_b32 s0, exec_lo, s0
	s_cbranch_execz .LBB110_300
; %bb.299:
	v_readlane_b32 s8, v39, 2
	v_readlane_b32 s10, v39, 4
	;; [unrolled: 1-line block ×3, first 2 shown]
	s_mul_u64 s[4:5], s[34:35], s[36:37]
	v_readlane_b32 s9, v39, 3
	s_wait_alu 0xfffe
	s_sub_nc_u64 s[4:5], s[30:31], s[4:5]
	v_mov_b32_e32 v0, 0
	s_wait_alu 0xfffe
	s_mul_u64 s[4:5], s[4:5], s[10:11]
	v_readlane_b32 s10, v39, 6
	v_readlane_b32 s11, v39, 7
	s_mul_u64 s[6:7], s[34:35], s[8:9]
	s_mul_u64 s[8:9], s[30:31], s[38:39]
	s_wait_alu 0xfffe
	s_lshl_b64 s[6:7], s[6:7], 3
	s_sub_nc_u64 s[8:9], s[26:27], s[8:9]
	s_wait_alu 0xfffe
	s_add_nc_u64 s[6:7], s[10:11], s[6:7]
	v_readlane_b32 s10, v39, 0
	v_readlane_b32 s11, v39, 1
	s_lshl_b64 s[4:5], s[4:5], 3
	s_wait_alu 0xfffe
	s_add_nc_u64 s[4:5], s[6:7], s[4:5]
	s_mul_u64 s[8:9], s[8:9], s[10:11]
	s_wait_alu 0xfffe
	s_lshl_b64 s[6:7], s[8:9], 3
	s_wait_alu 0xfffe
	s_add_nc_u64 s[4:5], s[4:5], s[6:7]
	global_store_b64 v0, v[2:3], s[4:5]
.LBB110_300:
	s_or_b32 exec_lo, exec_lo, s3
.LBB110_301:
	s_or_saveexec_b32 s0, s2
	s_mov_b32 s2, 0
	s_xor_b32 exec_lo, exec_lo, s0
	s_cbranch_execnz .LBB110_304
.LBB110_302:
	s_or_b32 exec_lo, exec_lo, s0
	s_delay_alu instid0(SALU_CYCLE_1)
	s_and_b32 s2, s2, exec_lo
	s_and_not1_saveexec_b32 s0, s1
	s_cbranch_execz .LBB110_287
.LBB110_303:
	s_or_b32 s2, s2, exec_lo
	s_trap 2
	s_or_b32 exec_lo, exec_lo, s0
	s_and_saveexec_b32 s0, s2
	s_cbranch_execnz .LBB110_288
	s_branch .LBB110_289
.LBB110_304:
	s_mov_b32 s2, exec_lo
	s_trap 2
	s_branch .LBB110_302
	.section	.rodata,"a",@progbits
	.p2align	6, 0x0
	.amdhsa_kernel _ZN2at6native12_GLOBAL__N_112gatherMedianIsmLi3EEEvNS_4cuda6detail10TensorInfoIT_T0_EENS5_IlS7_EENS5_IKS6_S7_EES7_S7_S7_b
		.amdhsa_group_segment_fixed_size 5152
		.amdhsa_private_segment_fixed_size 0
		.amdhsa_kernarg_size 1536
		.amdhsa_user_sgpr_count 2
		.amdhsa_user_sgpr_dispatch_ptr 0
		.amdhsa_user_sgpr_queue_ptr 0
		.amdhsa_user_sgpr_kernarg_segment_ptr 1
		.amdhsa_user_sgpr_dispatch_id 0
		.amdhsa_user_sgpr_private_segment_size 0
		.amdhsa_wavefront_size32 1
		.amdhsa_uses_dynamic_stack 0
		.amdhsa_enable_private_segment 0
		.amdhsa_system_sgpr_workgroup_id_x 1
		.amdhsa_system_sgpr_workgroup_id_y 1
		.amdhsa_system_sgpr_workgroup_id_z 1
		.amdhsa_system_sgpr_workgroup_info 0
		.amdhsa_system_vgpr_workitem_id 0
		.amdhsa_next_free_vgpr 40
		.amdhsa_next_free_sgpr 105
		.amdhsa_reserve_vcc 1
		.amdhsa_float_round_mode_32 0
		.amdhsa_float_round_mode_16_64 0
		.amdhsa_float_denorm_mode_32 3
		.amdhsa_float_denorm_mode_16_64 3
		.amdhsa_fp16_overflow 0
		.amdhsa_workgroup_processor_mode 1
		.amdhsa_memory_ordered 1
		.amdhsa_forward_progress 1
		.amdhsa_inst_pref_size 151
		.amdhsa_round_robin_scheduling 0
		.amdhsa_exception_fp_ieee_invalid_op 0
		.amdhsa_exception_fp_denorm_src 0
		.amdhsa_exception_fp_ieee_div_zero 0
		.amdhsa_exception_fp_ieee_overflow 0
		.amdhsa_exception_fp_ieee_underflow 0
		.amdhsa_exception_fp_ieee_inexact 0
		.amdhsa_exception_int_div_zero 0
	.end_amdhsa_kernel
	.section	.text._ZN2at6native12_GLOBAL__N_112gatherMedianIsmLi3EEEvNS_4cuda6detail10TensorInfoIT_T0_EENS5_IlS7_EENS5_IKS6_S7_EES7_S7_S7_b,"axG",@progbits,_ZN2at6native12_GLOBAL__N_112gatherMedianIsmLi3EEEvNS_4cuda6detail10TensorInfoIT_T0_EENS5_IlS7_EENS5_IKS6_S7_EES7_S7_S7_b,comdat
.Lfunc_end110:
	.size	_ZN2at6native12_GLOBAL__N_112gatherMedianIsmLi3EEEvNS_4cuda6detail10TensorInfoIT_T0_EENS5_IlS7_EENS5_IKS6_S7_EES7_S7_S7_b, .Lfunc_end110-_ZN2at6native12_GLOBAL__N_112gatherMedianIsmLi3EEEvNS_4cuda6detail10TensorInfoIT_T0_EENS5_IlS7_EENS5_IKS6_S7_EES7_S7_S7_b
                                        ; -- End function
	.set _ZN2at6native12_GLOBAL__N_112gatherMedianIsmLi3EEEvNS_4cuda6detail10TensorInfoIT_T0_EENS5_IlS7_EENS5_IKS6_S7_EES7_S7_S7_b.num_vgpr, 40
	.set _ZN2at6native12_GLOBAL__N_112gatherMedianIsmLi3EEEvNS_4cuda6detail10TensorInfoIT_T0_EENS5_IlS7_EENS5_IKS6_S7_EES7_S7_S7_b.num_agpr, 0
	.set _ZN2at6native12_GLOBAL__N_112gatherMedianIsmLi3EEEvNS_4cuda6detail10TensorInfoIT_T0_EENS5_IlS7_EENS5_IKS6_S7_EES7_S7_S7_b.numbered_sgpr, 105
	.set _ZN2at6native12_GLOBAL__N_112gatherMedianIsmLi3EEEvNS_4cuda6detail10TensorInfoIT_T0_EENS5_IlS7_EENS5_IKS6_S7_EES7_S7_S7_b.num_named_barrier, 0
	.set _ZN2at6native12_GLOBAL__N_112gatherMedianIsmLi3EEEvNS_4cuda6detail10TensorInfoIT_T0_EENS5_IlS7_EENS5_IKS6_S7_EES7_S7_S7_b.private_seg_size, 0
	.set _ZN2at6native12_GLOBAL__N_112gatherMedianIsmLi3EEEvNS_4cuda6detail10TensorInfoIT_T0_EENS5_IlS7_EENS5_IKS6_S7_EES7_S7_S7_b.uses_vcc, 1
	.set _ZN2at6native12_GLOBAL__N_112gatherMedianIsmLi3EEEvNS_4cuda6detail10TensorInfoIT_T0_EENS5_IlS7_EENS5_IKS6_S7_EES7_S7_S7_b.uses_flat_scratch, 0
	.set _ZN2at6native12_GLOBAL__N_112gatherMedianIsmLi3EEEvNS_4cuda6detail10TensorInfoIT_T0_EENS5_IlS7_EENS5_IKS6_S7_EES7_S7_S7_b.has_dyn_sized_stack, 0
	.set _ZN2at6native12_GLOBAL__N_112gatherMedianIsmLi3EEEvNS_4cuda6detail10TensorInfoIT_T0_EENS5_IlS7_EENS5_IKS6_S7_EES7_S7_S7_b.has_recursion, 0
	.set _ZN2at6native12_GLOBAL__N_112gatherMedianIsmLi3EEEvNS_4cuda6detail10TensorInfoIT_T0_EENS5_IlS7_EENS5_IKS6_S7_EES7_S7_S7_b.has_indirect_call, 0
	.section	.AMDGPU.csdata,"",@progbits
; Kernel info:
; codeLenInByte = 19276
; TotalNumSgprs: 107
; NumVgprs: 40
; ScratchSize: 0
; MemoryBound: 0
; FloatMode: 240
; IeeeMode: 1
; LDSByteSize: 5152 bytes/workgroup (compile time only)
; SGPRBlocks: 0
; VGPRBlocks: 4
; NumSGPRsForWavesPerEU: 107
; NumVGPRsForWavesPerEU: 40
; Occupancy: 16
; WaveLimiterHint : 1
; COMPUTE_PGM_RSRC2:SCRATCH_EN: 0
; COMPUTE_PGM_RSRC2:USER_SGPR: 2
; COMPUTE_PGM_RSRC2:TRAP_HANDLER: 0
; COMPUTE_PGM_RSRC2:TGID_X_EN: 1
; COMPUTE_PGM_RSRC2:TGID_Y_EN: 1
; COMPUTE_PGM_RSRC2:TGID_Z_EN: 1
; COMPUTE_PGM_RSRC2:TIDIG_COMP_CNT: 0
	.section	.text._ZN2at6native12_GLOBAL__N_112gatherMedianIsmLin1EEEvNS_4cuda6detail10TensorInfoIT_T0_EENS5_IlS7_EENS5_IKS6_S7_EES7_S7_S7_b,"axG",@progbits,_ZN2at6native12_GLOBAL__N_112gatherMedianIsmLin1EEEvNS_4cuda6detail10TensorInfoIT_T0_EENS5_IlS7_EENS5_IKS6_S7_EES7_S7_S7_b,comdat
	.globl	_ZN2at6native12_GLOBAL__N_112gatherMedianIsmLin1EEEvNS_4cuda6detail10TensorInfoIT_T0_EENS5_IlS7_EENS5_IKS6_S7_EES7_S7_S7_b ; -- Begin function _ZN2at6native12_GLOBAL__N_112gatherMedianIsmLin1EEEvNS_4cuda6detail10TensorInfoIT_T0_EENS5_IlS7_EENS5_IKS6_S7_EES7_S7_S7_b
	.p2align	8
	.type	_ZN2at6native12_GLOBAL__N_112gatherMedianIsmLin1EEEvNS_4cuda6detail10TensorInfoIT_T0_EENS5_IlS7_EENS5_IKS6_S7_EES7_S7_S7_b,@function
_ZN2at6native12_GLOBAL__N_112gatherMedianIsmLin1EEEvNS_4cuda6detail10TensorInfoIT_T0_EENS5_IlS7_EENS5_IKS6_S7_EES7_S7_S7_b: ; @_ZN2at6native12_GLOBAL__N_112gatherMedianIsmLin1EEEvNS_4cuda6detail10TensorInfoIT_T0_EENS5_IlS7_EENS5_IKS6_S7_EES7_S7_S7_b
; %bb.0:
	s_clause 0x1
	s_load_b64 s[4:5], s[0:1], 0x500
	s_load_b128 s[28:31], s[0:1], 0x4e0
	s_lshr_b32 s2, ttmp7, 16
	s_and_b32 s3, ttmp7, 0xffff
	s_wait_kmcnt 0x0
	s_mul_i32 s2, s5, s2
	s_delay_alu instid0(SALU_CYCLE_1) | instskip(SKIP_2) | instid1(SALU_CYCLE_1)
	s_add_co_i32 s2, s2, s3
	s_mov_b32 s3, 0
	s_mul_i32 s2, s2, s4
	s_add_co_i32 s2, s2, ttmp9
	s_delay_alu instid0(SALU_CYCLE_1)
	v_cmp_le_u64_e64 s5, s[30:31], s[2:3]
	s_and_b32 vcc_lo, exec_lo, s5
	s_cbranch_vccnz .LBB111_302
; %bb.1:
	s_clause 0x1
	s_load_b32 s5, s[0:1], 0x198
	s_load_b64 s[30:31], s[0:1], 0x4f0
	s_mov_b64 s[26:27], 0
	s_mov_b64 s[36:37], s[2:3]
	s_wait_kmcnt 0x0
	s_cmp_lt_i32 s5, 2
	s_cbranch_scc1 .LBB111_9
; %bb.2:
	s_mov_b32 s6, 0
	s_add_co_i32 s8, s5, -1
	s_mov_b32 s9, s6
	s_add_co_i32 s5, s5, 1
	s_lshl_b64 s[8:9], s[8:9], 3
	s_mov_b64 s[10:11], s[2:3]
	s_add_nc_u64 s[8:9], s[0:1], s[8:9]
	s_delay_alu instid0(SALU_CYCLE_1)
	s_add_nc_u64 s[8:9], s[8:9], 8
.LBB111_3:                              ; =>This Inner Loop Header: Depth=1
	s_load_b64 s[12:13], s[8:9], 0x0
                                        ; implicit-def: $sgpr36_sgpr37
	s_wait_kmcnt 0x0
	s_or_b64 s[14:15], s[10:11], s[12:13]
	s_delay_alu instid0(SALU_CYCLE_1)
	s_mov_b32 s7, s15
	s_wait_alu 0xfffe
	s_cmp_lg_u64 s[6:7], 0
	s_mov_b32 s7, -1
	s_cbranch_scc0 .LBB111_5
; %bb.4:                                ;   in Loop: Header=BB111_3 Depth=1
	s_cvt_f32_u32 s7, s12
	s_cvt_f32_u32 s14, s13
	s_sub_nc_u64 s[16:17], 0, s[12:13]
	s_mov_b32 s19, s6
	s_mov_b32 s23, s6
	s_wait_alu 0xfffe
	s_fmamk_f32 s7, s14, 0x4f800000, s7
	s_wait_alu 0xfffe
	s_delay_alu instid0(SALU_CYCLE_2) | instskip(NEXT) | instid1(TRANS32_DEP_1)
	v_s_rcp_f32 s7, s7
	s_mul_f32 s7, s7, 0x5f7ffffc
	s_wait_alu 0xfffe
	s_delay_alu instid0(SALU_CYCLE_2) | instskip(NEXT) | instid1(SALU_CYCLE_3)
	s_mul_f32 s14, s7, 0x2f800000
	s_trunc_f32 s14, s14
	s_delay_alu instid0(SALU_CYCLE_3) | instskip(SKIP_2) | instid1(SALU_CYCLE_1)
	s_fmamk_f32 s7, s14, 0xcf800000, s7
	s_cvt_u32_f32 s15, s14
	s_wait_alu 0xfffe
	s_cvt_u32_f32 s14, s7
	s_delay_alu instid0(SALU_CYCLE_3) | instskip(NEXT) | instid1(SALU_CYCLE_1)
	s_mul_u64 s[20:21], s[16:17], s[14:15]
	s_mul_hi_u32 s25, s14, s21
	s_mul_i32 s24, s14, s21
	s_mul_hi_u32 s18, s14, s20
	s_mul_i32 s22, s15, s20
	s_add_nc_u64 s[18:19], s[18:19], s[24:25]
	s_mul_hi_u32 s7, s15, s20
	s_mul_hi_u32 s33, s15, s21
	s_add_co_u32 s18, s18, s22
	s_wait_alu 0xfffe
	s_add_co_ci_u32 s22, s19, s7
	s_mul_i32 s20, s15, s21
	s_add_co_ci_u32 s21, s33, 0
	s_delay_alu instid0(SALU_CYCLE_1)
	s_add_nc_u64 s[18:19], s[22:23], s[20:21]
	s_mov_b32 s21, s6
	s_add_co_u32 s14, s14, s18
	s_cselect_b32 s7, -1, 0
	s_wait_alu 0xfffe
	s_cmp_lg_u32 s7, 0
	s_add_co_ci_u32 s15, s15, s19
	s_mov_b32 s19, s6
	s_mul_u64 s[16:17], s[16:17], s[14:15]
	s_delay_alu instid0(SALU_CYCLE_1)
	s_mul_hi_u32 s23, s14, s17
	s_mul_i32 s22, s14, s17
	s_mul_hi_u32 s18, s14, s16
	s_mul_i32 s20, s15, s16
	s_add_nc_u64 s[18:19], s[18:19], s[22:23]
	s_mul_hi_u32 s7, s15, s16
	s_mul_hi_u32 s24, s15, s17
	s_mul_i32 s16, s15, s17
	s_add_co_u32 s17, s18, s20
	s_wait_alu 0xfffe
	s_add_co_ci_u32 s20, s19, s7
	s_add_co_ci_u32 s17, s24, 0
	s_mov_b32 s19, s6
	s_add_nc_u64 s[16:17], s[20:21], s[16:17]
	s_delay_alu instid0(SALU_CYCLE_1)
	s_add_co_u32 s7, s14, s16
	s_cselect_b32 s14, -1, 0
	s_wait_alu 0xfffe
	s_mul_hi_u32 s18, s10, s7
	s_cmp_lg_u32 s14, 0
	s_mul_hi_u32 s20, s11, s7
	s_add_co_ci_u32 s16, s15, s17
	s_mul_i32 s7, s11, s7
	s_mul_hi_u32 s15, s10, s16
	s_mul_i32 s14, s10, s16
	s_mul_hi_u32 s17, s11, s16
	s_add_nc_u64 s[14:15], s[18:19], s[14:15]
	s_mul_i32 s16, s11, s16
	s_wait_alu 0xfffe
	s_add_co_u32 s7, s14, s7
	s_add_co_ci_u32 s20, s15, s20
	s_add_co_ci_u32 s17, s17, 0
	s_delay_alu instid0(SALU_CYCLE_1) | instskip(NEXT) | instid1(SALU_CYCLE_1)
	s_add_nc_u64 s[14:15], s[20:21], s[16:17]
	s_mul_u64 s[16:17], s[12:13], s[14:15]
	s_delay_alu instid0(SALU_CYCLE_1)
	s_sub_co_u32 s7, s10, s16
	s_cselect_b32 s16, -1, 0
	s_sub_co_i32 s18, s11, s17
	s_cmp_lg_u32 s16, 0
	s_sub_co_ci_u32 s18, s18, s13
	s_wait_alu 0xfffe
	s_sub_co_u32 s19, s7, s12
	s_cselect_b32 s20, -1, 0
	s_delay_alu instid0(SALU_CYCLE_1) | instskip(SKIP_1) | instid1(SALU_CYCLE_1)
	s_cmp_lg_u32 s20, 0
	s_sub_co_ci_u32 s18, s18, 0
	s_cmp_ge_u32 s18, s13
	s_cselect_b32 s20, -1, 0
	s_cmp_ge_u32 s19, s12
	s_cselect_b32 s21, -1, 0
	s_cmp_eq_u32 s18, s13
	s_add_nc_u64 s[18:19], s[14:15], 1
	s_cselect_b32 s22, s21, s20
	s_add_nc_u64 s[20:21], s[14:15], 2
	s_cmp_lg_u32 s22, 0
	s_cselect_b32 s18, s20, s18
	s_cselect_b32 s19, s21, s19
	s_cmp_lg_u32 s16, 0
	s_sub_co_ci_u32 s16, s11, s17
	s_delay_alu instid0(SALU_CYCLE_1)
	s_cmp_ge_u32 s16, s13
	s_cselect_b32 s17, -1, 0
	s_cmp_ge_u32 s7, s12
	s_cselect_b32 s7, -1, 0
	s_cmp_eq_u32 s16, s13
	s_wait_alu 0xfffe
	s_cselect_b32 s7, s7, s17
	s_wait_alu 0xfffe
	s_cmp_lg_u32 s7, 0
	s_mov_b32 s7, 0
	s_cselect_b32 s37, s19, s15
	s_cselect_b32 s36, s18, s14
.LBB111_5:                              ;   in Loop: Header=BB111_3 Depth=1
	s_wait_alu 0xfffe
	s_and_not1_b32 vcc_lo, exec_lo, s7
	s_cbranch_vccnz .LBB111_7
; %bb.6:                                ;   in Loop: Header=BB111_3 Depth=1
	v_cvt_f32_u32_e32 v1, s12
	s_sub_co_i32 s14, 0, s12
	s_mov_b32 s37, s6
	s_delay_alu instid0(VALU_DEP_1) | instskip(NEXT) | instid1(TRANS32_DEP_1)
	v_rcp_iflag_f32_e32 v1, v1
	v_mul_f32_e32 v1, 0x4f7ffffe, v1
	s_delay_alu instid0(VALU_DEP_1) | instskip(NEXT) | instid1(VALU_DEP_1)
	v_cvt_u32_f32_e32 v1, v1
	v_readfirstlane_b32 s7, v1
	s_mul_i32 s14, s14, s7
	s_delay_alu instid0(SALU_CYCLE_1) | instskip(NEXT) | instid1(SALU_CYCLE_1)
	s_mul_hi_u32 s14, s7, s14
	s_add_co_i32 s7, s7, s14
	s_wait_alu 0xfffe
	s_mul_hi_u32 s7, s10, s7
	s_wait_alu 0xfffe
	s_mul_i32 s14, s7, s12
	s_add_co_i32 s15, s7, 1
	s_sub_co_i32 s14, s10, s14
	s_delay_alu instid0(SALU_CYCLE_1)
	s_sub_co_i32 s16, s14, s12
	s_cmp_ge_u32 s14, s12
	s_cselect_b32 s7, s15, s7
	s_cselect_b32 s14, s16, s14
	s_wait_alu 0xfffe
	s_add_co_i32 s15, s7, 1
	s_cmp_ge_u32 s14, s12
	s_cselect_b32 s36, s15, s7
.LBB111_7:                              ;   in Loop: Header=BB111_3 Depth=1
	s_load_b64 s[14:15], s[8:9], 0xc8
	s_mul_u64 s[12:13], s[36:37], s[12:13]
	s_add_co_i32 s5, s5, -1
	s_wait_alu 0xfffe
	s_sub_nc_u64 s[10:11], s[10:11], s[12:13]
	s_cmp_gt_u32 s5, 2
	s_add_nc_u64 s[8:9], s[8:9], -8
	s_wait_kmcnt 0x0
	s_mul_u64 s[10:11], s[14:15], s[10:11]
	s_delay_alu instid0(SALU_CYCLE_1)
	s_add_nc_u64 s[26:27], s[10:11], s[26:27]
	s_cbranch_scc0 .LBB111_9
; %bb.8:                                ;   in Loop: Header=BB111_3 Depth=1
	s_mov_b64 s[10:11], s[36:37]
	s_branch .LBB111_3
.LBB111_9:
	s_load_b32 s5, s[0:1], 0x338
	s_add_nc_u64 s[6:7], s[0:1], 0x500
	s_add_nc_u64 s[8:9], s[0:1], 0x1a0
	s_mov_b64 s[34:35], 0
	s_mov_b64 s[38:39], s[2:3]
	s_wait_kmcnt 0x0
	s_cmp_lt_i32 s5, 2
	s_cbranch_scc1 .LBB111_17
; %bb.10:
	s_mov_b32 s10, 0
	s_add_co_i32 s12, s5, -1
	s_mov_b32 s13, s10
	s_add_co_i32 s5, s5, 1
	s_wait_alu 0xfffe
	s_lshl_b64 s[12:13], s[12:13], 3
	s_mov_b64 s[14:15], s[2:3]
	s_wait_alu 0xfffe
	s_add_nc_u64 s[12:13], s[8:9], s[12:13]
	s_wait_alu 0xfffe
	s_add_nc_u64 s[12:13], s[12:13], 8
.LBB111_11:                             ; =>This Inner Loop Header: Depth=1
	s_load_b64 s[16:17], s[12:13], 0x0
                                        ; implicit-def: $sgpr38_sgpr39
	s_wait_kmcnt 0x0
	s_or_b64 s[18:19], s[14:15], s[16:17]
	s_delay_alu instid0(SALU_CYCLE_1)
	s_mov_b32 s11, s19
	s_wait_alu 0xfffe
	s_cmp_lg_u64 s[10:11], 0
	s_mov_b32 s11, -1
	s_cbranch_scc0 .LBB111_13
; %bb.12:                               ;   in Loop: Header=BB111_11 Depth=1
	s_cvt_f32_u32 s11, s16
	s_cvt_f32_u32 s18, s17
	s_sub_nc_u64 s[20:21], 0, s[16:17]
	s_mov_b32 s23, s10
	s_mov_b32 s39, s10
	s_wait_alu 0xfffe
	s_fmamk_f32 s11, s18, 0x4f800000, s11
	s_wait_alu 0xfffe
	s_delay_alu instid0(SALU_CYCLE_2) | instskip(NEXT) | instid1(TRANS32_DEP_1)
	v_s_rcp_f32 s11, s11
	s_mul_f32 s11, s11, 0x5f7ffffc
	s_wait_alu 0xfffe
	s_delay_alu instid0(SALU_CYCLE_2) | instskip(NEXT) | instid1(SALU_CYCLE_3)
	s_mul_f32 s18, s11, 0x2f800000
	s_trunc_f32 s18, s18
	s_delay_alu instid0(SALU_CYCLE_3) | instskip(SKIP_2) | instid1(SALU_CYCLE_1)
	s_fmamk_f32 s11, s18, 0xcf800000, s11
	s_cvt_u32_f32 s19, s18
	s_wait_alu 0xfffe
	s_cvt_u32_f32 s18, s11
	s_delay_alu instid0(SALU_CYCLE_3) | instskip(NEXT) | instid1(SALU_CYCLE_1)
	s_mul_u64 s[24:25], s[20:21], s[18:19]
	s_mul_hi_u32 s41, s18, s25
	s_mul_i32 s40, s18, s25
	s_mul_hi_u32 s22, s18, s24
	s_mul_i32 s33, s19, s24
	s_add_nc_u64 s[22:23], s[22:23], s[40:41]
	s_mul_hi_u32 s11, s19, s24
	s_mul_hi_u32 s42, s19, s25
	s_add_co_u32 s22, s22, s33
	s_wait_alu 0xfffe
	s_add_co_ci_u32 s38, s23, s11
	s_mul_i32 s24, s19, s25
	s_add_co_ci_u32 s25, s42, 0
	s_delay_alu instid0(SALU_CYCLE_1)
	s_add_nc_u64 s[22:23], s[38:39], s[24:25]
	s_mov_b32 s25, s10
	s_add_co_u32 s18, s18, s22
	s_cselect_b32 s11, -1, 0
	s_wait_alu 0xfffe
	s_cmp_lg_u32 s11, 0
	s_add_co_ci_u32 s19, s19, s23
	s_mov_b32 s23, s10
	s_mul_u64 s[20:21], s[20:21], s[18:19]
	s_delay_alu instid0(SALU_CYCLE_1)
	s_mul_hi_u32 s39, s18, s21
	s_mul_i32 s38, s18, s21
	s_mul_hi_u32 s22, s18, s20
	s_mul_i32 s24, s19, s20
	s_add_nc_u64 s[22:23], s[22:23], s[38:39]
	s_mul_hi_u32 s11, s19, s20
	s_mul_hi_u32 s33, s19, s21
	s_mul_i32 s20, s19, s21
	s_add_co_u32 s21, s22, s24
	s_wait_alu 0xfffe
	s_add_co_ci_u32 s24, s23, s11
	s_add_co_ci_u32 s21, s33, 0
	s_mov_b32 s23, s10
	s_add_nc_u64 s[20:21], s[24:25], s[20:21]
	s_delay_alu instid0(SALU_CYCLE_1)
	s_add_co_u32 s11, s18, s20
	s_cselect_b32 s18, -1, 0
	s_wait_alu 0xfffe
	s_mul_hi_u32 s22, s14, s11
	s_cmp_lg_u32 s18, 0
	s_mul_hi_u32 s24, s15, s11
	s_add_co_ci_u32 s20, s19, s21
	s_mul_i32 s11, s15, s11
	s_mul_hi_u32 s19, s14, s20
	s_mul_i32 s18, s14, s20
	s_mul_hi_u32 s21, s15, s20
	s_add_nc_u64 s[18:19], s[22:23], s[18:19]
	s_mul_i32 s20, s15, s20
	s_wait_alu 0xfffe
	s_add_co_u32 s11, s18, s11
	s_add_co_ci_u32 s24, s19, s24
	s_add_co_ci_u32 s21, s21, 0
	s_delay_alu instid0(SALU_CYCLE_1) | instskip(NEXT) | instid1(SALU_CYCLE_1)
	s_add_nc_u64 s[18:19], s[24:25], s[20:21]
	s_mul_u64 s[20:21], s[16:17], s[18:19]
	s_delay_alu instid0(SALU_CYCLE_1)
	s_sub_co_u32 s11, s14, s20
	s_cselect_b32 s20, -1, 0
	s_sub_co_i32 s22, s15, s21
	s_cmp_lg_u32 s20, 0
	s_sub_co_ci_u32 s22, s22, s17
	s_wait_alu 0xfffe
	s_sub_co_u32 s23, s11, s16
	s_cselect_b32 s24, -1, 0
	s_delay_alu instid0(SALU_CYCLE_1) | instskip(SKIP_1) | instid1(SALU_CYCLE_1)
	s_cmp_lg_u32 s24, 0
	s_sub_co_ci_u32 s22, s22, 0
	s_cmp_ge_u32 s22, s17
	s_cselect_b32 s24, -1, 0
	s_cmp_ge_u32 s23, s16
	s_cselect_b32 s25, -1, 0
	s_cmp_eq_u32 s22, s17
	s_add_nc_u64 s[22:23], s[18:19], 1
	s_cselect_b32 s33, s25, s24
	s_add_nc_u64 s[24:25], s[18:19], 2
	s_cmp_lg_u32 s33, 0
	s_cselect_b32 s22, s24, s22
	s_cselect_b32 s23, s25, s23
	s_cmp_lg_u32 s20, 0
	s_sub_co_ci_u32 s20, s15, s21
	s_delay_alu instid0(SALU_CYCLE_1)
	s_cmp_ge_u32 s20, s17
	s_cselect_b32 s21, -1, 0
	s_cmp_ge_u32 s11, s16
	s_cselect_b32 s11, -1, 0
	s_cmp_eq_u32 s20, s17
	s_wait_alu 0xfffe
	s_cselect_b32 s11, s11, s21
	s_wait_alu 0xfffe
	s_cmp_lg_u32 s11, 0
	s_mov_b32 s11, 0
	s_cselect_b32 s39, s23, s19
	s_cselect_b32 s38, s22, s18
.LBB111_13:                             ;   in Loop: Header=BB111_11 Depth=1
	s_wait_alu 0xfffe
	s_and_not1_b32 vcc_lo, exec_lo, s11
	s_cbranch_vccnz .LBB111_15
; %bb.14:                               ;   in Loop: Header=BB111_11 Depth=1
	v_cvt_f32_u32_e32 v1, s16
	s_sub_co_i32 s18, 0, s16
	s_mov_b32 s39, s10
	s_delay_alu instid0(VALU_DEP_1) | instskip(NEXT) | instid1(TRANS32_DEP_1)
	v_rcp_iflag_f32_e32 v1, v1
	v_mul_f32_e32 v1, 0x4f7ffffe, v1
	s_delay_alu instid0(VALU_DEP_1) | instskip(NEXT) | instid1(VALU_DEP_1)
	v_cvt_u32_f32_e32 v1, v1
	v_readfirstlane_b32 s11, v1
	s_mul_i32 s18, s18, s11
	s_delay_alu instid0(SALU_CYCLE_1) | instskip(NEXT) | instid1(SALU_CYCLE_1)
	s_mul_hi_u32 s18, s11, s18
	s_add_co_i32 s11, s11, s18
	s_wait_alu 0xfffe
	s_mul_hi_u32 s11, s14, s11
	s_wait_alu 0xfffe
	s_mul_i32 s18, s11, s16
	s_add_co_i32 s19, s11, 1
	s_sub_co_i32 s18, s14, s18
	s_delay_alu instid0(SALU_CYCLE_1)
	s_sub_co_i32 s20, s18, s16
	s_cmp_ge_u32 s18, s16
	s_cselect_b32 s11, s19, s11
	s_cselect_b32 s18, s20, s18
	s_wait_alu 0xfffe
	s_add_co_i32 s19, s11, 1
	s_cmp_ge_u32 s18, s16
	s_cselect_b32 s38, s19, s11
.LBB111_15:                             ;   in Loop: Header=BB111_11 Depth=1
	s_load_b64 s[18:19], s[12:13], 0xc8
	s_mul_u64 s[16:17], s[38:39], s[16:17]
	s_add_co_i32 s5, s5, -1
	s_wait_alu 0xfffe
	s_sub_nc_u64 s[14:15], s[14:15], s[16:17]
	s_cmp_gt_u32 s5, 2
	s_add_nc_u64 s[12:13], s[12:13], -8
	s_wait_kmcnt 0x0
	s_mul_u64 s[14:15], s[18:19], s[14:15]
	s_delay_alu instid0(SALU_CYCLE_1)
	s_add_nc_u64 s[34:35], s[14:15], s[34:35]
	s_cbranch_scc0 .LBB111_17
; %bb.16:                               ;   in Loop: Header=BB111_11 Depth=1
	s_mov_b64 s[14:15], s[38:39]
	s_branch .LBB111_11
.LBB111_17:
	s_clause 0x1
	s_load_b64 s[40:41], s[0:1], 0xd0
	s_load_b32 s5, s[0:1], 0x4d8
	s_mov_b64 s[10:11], 0
	s_wait_kmcnt 0x0
	s_cmp_lt_i32 s5, 2
	s_cbranch_scc1 .LBB111_25
; %bb.18:
	s_mov_b32 s12, 0
	s_add_co_i32 s10, s5, -1
	s_wait_alu 0xfffe
	s_mov_b32 s11, s12
	s_add_nc_u64 s[14:15], s[0:1], 0x340
	s_wait_alu 0xfffe
	s_lshl_b64 s[10:11], s[10:11], 3
	s_add_co_i32 s5, s5, 1
	s_wait_alu 0xfffe
	s_add_nc_u64 s[10:11], s[14:15], s[10:11]
	s_wait_alu 0xfffe
	s_add_nc_u64 s[14:15], s[10:11], 8
	s_mov_b64 s[10:11], 0
.LBB111_19:                             ; =>This Inner Loop Header: Depth=1
	s_load_b64 s[16:17], s[14:15], 0x0
	s_wait_kmcnt 0x0
	s_or_b64 s[18:19], s[2:3], s[16:17]
	s_delay_alu instid0(SALU_CYCLE_1)
	s_mov_b32 s13, s19
                                        ; implicit-def: $sgpr18_sgpr19
	s_wait_alu 0xfffe
	s_cmp_lg_u64 s[12:13], 0
	s_mov_b32 s13, -1
	s_cbranch_scc0 .LBB111_21
; %bb.20:                               ;   in Loop: Header=BB111_19 Depth=1
	s_cvt_f32_u32 s13, s16
	s_cvt_f32_u32 s18, s17
	s_sub_nc_u64 s[20:21], 0, s[16:17]
	s_mov_b32 s23, s12
	s_mov_b32 s43, s12
	s_wait_alu 0xfffe
	s_fmamk_f32 s13, s18, 0x4f800000, s13
	s_wait_alu 0xfffe
	s_delay_alu instid0(SALU_CYCLE_2) | instskip(NEXT) | instid1(TRANS32_DEP_1)
	v_s_rcp_f32 s13, s13
	s_mul_f32 s13, s13, 0x5f7ffffc
	s_wait_alu 0xfffe
	s_delay_alu instid0(SALU_CYCLE_2) | instskip(NEXT) | instid1(SALU_CYCLE_3)
	s_mul_f32 s18, s13, 0x2f800000
	s_trunc_f32 s18, s18
	s_delay_alu instid0(SALU_CYCLE_3) | instskip(SKIP_2) | instid1(SALU_CYCLE_1)
	s_fmamk_f32 s13, s18, 0xcf800000, s13
	s_cvt_u32_f32 s19, s18
	s_wait_alu 0xfffe
	s_cvt_u32_f32 s18, s13
	s_delay_alu instid0(SALU_CYCLE_3) | instskip(NEXT) | instid1(SALU_CYCLE_1)
	s_mul_u64 s[24:25], s[20:21], s[18:19]
	s_mul_hi_u32 s45, s18, s25
	s_mul_i32 s44, s18, s25
	s_mul_hi_u32 s22, s18, s24
	s_mul_i32 s33, s19, s24
	s_add_nc_u64 s[22:23], s[22:23], s[44:45]
	s_mul_hi_u32 s13, s19, s24
	s_mul_hi_u32 s46, s19, s25
	s_add_co_u32 s22, s22, s33
	s_wait_alu 0xfffe
	s_add_co_ci_u32 s42, s23, s13
	s_mul_i32 s24, s19, s25
	s_add_co_ci_u32 s25, s46, 0
	s_delay_alu instid0(SALU_CYCLE_1)
	s_add_nc_u64 s[22:23], s[42:43], s[24:25]
	s_mov_b32 s25, s12
	s_add_co_u32 s18, s18, s22
	s_cselect_b32 s13, -1, 0
	s_wait_alu 0xfffe
	s_cmp_lg_u32 s13, 0
	s_add_co_ci_u32 s19, s19, s23
	s_mov_b32 s23, s12
	s_mul_u64 s[20:21], s[20:21], s[18:19]
	s_delay_alu instid0(SALU_CYCLE_1)
	s_mul_hi_u32 s43, s18, s21
	s_mul_i32 s42, s18, s21
	s_mul_hi_u32 s22, s18, s20
	s_mul_i32 s24, s19, s20
	s_add_nc_u64 s[22:23], s[22:23], s[42:43]
	s_mul_hi_u32 s13, s19, s20
	s_mul_hi_u32 s33, s19, s21
	s_mul_i32 s20, s19, s21
	s_add_co_u32 s21, s22, s24
	s_wait_alu 0xfffe
	s_add_co_ci_u32 s24, s23, s13
	s_add_co_ci_u32 s21, s33, 0
	s_mov_b32 s23, s12
	s_add_nc_u64 s[20:21], s[24:25], s[20:21]
	s_delay_alu instid0(SALU_CYCLE_1)
	s_add_co_u32 s13, s18, s20
	s_cselect_b32 s18, -1, 0
	s_wait_alu 0xfffe
	s_mul_hi_u32 s22, s2, s13
	s_cmp_lg_u32 s18, 0
	s_mul_hi_u32 s24, s3, s13
	s_add_co_ci_u32 s20, s19, s21
	s_mul_i32 s13, s3, s13
	s_mul_hi_u32 s19, s2, s20
	s_mul_i32 s18, s2, s20
	s_mul_hi_u32 s21, s3, s20
	s_add_nc_u64 s[18:19], s[22:23], s[18:19]
	s_mul_i32 s20, s3, s20
	s_wait_alu 0xfffe
	s_add_co_u32 s13, s18, s13
	s_add_co_ci_u32 s24, s19, s24
	s_add_co_ci_u32 s21, s21, 0
	s_delay_alu instid0(SALU_CYCLE_1) | instskip(NEXT) | instid1(SALU_CYCLE_1)
	s_add_nc_u64 s[18:19], s[24:25], s[20:21]
	s_mul_u64 s[20:21], s[16:17], s[18:19]
	s_delay_alu instid0(SALU_CYCLE_1)
	s_sub_co_u32 s13, s2, s20
	s_cselect_b32 s20, -1, 0
	s_sub_co_i32 s22, s3, s21
	s_cmp_lg_u32 s20, 0
	s_sub_co_ci_u32 s22, s22, s17
	s_wait_alu 0xfffe
	s_sub_co_u32 s23, s13, s16
	s_cselect_b32 s24, -1, 0
	s_delay_alu instid0(SALU_CYCLE_1) | instskip(SKIP_1) | instid1(SALU_CYCLE_1)
	s_cmp_lg_u32 s24, 0
	s_sub_co_ci_u32 s22, s22, 0
	s_cmp_ge_u32 s22, s17
	s_cselect_b32 s24, -1, 0
	s_cmp_ge_u32 s23, s16
	s_cselect_b32 s25, -1, 0
	s_cmp_eq_u32 s22, s17
	s_add_nc_u64 s[22:23], s[18:19], 1
	s_cselect_b32 s33, s25, s24
	s_add_nc_u64 s[24:25], s[18:19], 2
	s_cmp_lg_u32 s33, 0
	s_cselect_b32 s22, s24, s22
	s_cselect_b32 s23, s25, s23
	s_cmp_lg_u32 s20, 0
	s_sub_co_ci_u32 s20, s3, s21
	s_delay_alu instid0(SALU_CYCLE_1)
	s_cmp_ge_u32 s20, s17
	s_cselect_b32 s21, -1, 0
	s_cmp_ge_u32 s13, s16
	s_cselect_b32 s13, -1, 0
	s_cmp_eq_u32 s20, s17
	s_wait_alu 0xfffe
	s_cselect_b32 s13, s13, s21
	s_wait_alu 0xfffe
	s_cmp_lg_u32 s13, 0
	s_mov_b32 s13, 0
	s_cselect_b32 s19, s23, s19
	s_cselect_b32 s18, s22, s18
.LBB111_21:                             ;   in Loop: Header=BB111_19 Depth=1
	s_wait_alu 0xfffe
	s_and_not1_b32 vcc_lo, exec_lo, s13
	s_cbranch_vccnz .LBB111_23
; %bb.22:                               ;   in Loop: Header=BB111_19 Depth=1
	v_cvt_f32_u32_e32 v1, s16
	s_sub_co_i32 s18, 0, s16
	s_delay_alu instid0(VALU_DEP_1) | instskip(NEXT) | instid1(TRANS32_DEP_1)
	v_rcp_iflag_f32_e32 v1, v1
	v_mul_f32_e32 v1, 0x4f7ffffe, v1
	s_delay_alu instid0(VALU_DEP_1) | instskip(NEXT) | instid1(VALU_DEP_1)
	v_cvt_u32_f32_e32 v1, v1
	v_readfirstlane_b32 s13, v1
	s_mul_i32 s18, s18, s13
	s_delay_alu instid0(SALU_CYCLE_1) | instskip(NEXT) | instid1(SALU_CYCLE_1)
	s_mul_hi_u32 s18, s13, s18
	s_add_co_i32 s13, s13, s18
	s_wait_alu 0xfffe
	s_mul_hi_u32 s13, s2, s13
	s_wait_alu 0xfffe
	s_mul_i32 s18, s13, s16
	s_add_co_i32 s19, s13, 1
	s_sub_co_i32 s18, s2, s18
	s_delay_alu instid0(SALU_CYCLE_1)
	s_sub_co_i32 s20, s18, s16
	s_cmp_ge_u32 s18, s16
	s_cselect_b32 s13, s19, s13
	s_cselect_b32 s18, s20, s18
	s_wait_alu 0xfffe
	s_add_co_i32 s19, s13, 1
	s_cmp_ge_u32 s18, s16
	s_cselect_b32 s18, s19, s13
	s_mov_b32 s19, s12
.LBB111_23:                             ;   in Loop: Header=BB111_19 Depth=1
	s_load_b64 s[20:21], s[14:15], 0xc8
	s_mul_u64 s[16:17], s[18:19], s[16:17]
	s_add_co_i32 s5, s5, -1
	s_wait_alu 0xfffe
	s_sub_nc_u64 s[2:3], s[2:3], s[16:17]
	s_cmp_gt_u32 s5, 2
	s_add_nc_u64 s[14:15], s[14:15], -8
	s_wait_kmcnt 0x0
	s_wait_alu 0xfffe
	s_mul_u64 s[2:3], s[20:21], s[2:3]
	s_wait_alu 0xfffe
	s_add_nc_u64 s[10:11], s[2:3], s[10:11]
	s_cbranch_scc0 .LBB111_26
; %bb.24:                               ;   in Loop: Header=BB111_19 Depth=1
	s_mov_b64 s[2:3], s[18:19]
	s_branch .LBB111_19
.LBB111_25:
	s_mov_b64 s[18:19], s[2:3]
.LBB111_26:
	s_load_b64 s[42:43], s[8:9], 0xd0
	v_cmp_eq_u32_e64 s2, 0, v0
	s_and_saveexec_b32 s3, s2
; %bb.27:
	v_mov_b32_e32 v1, 0
	s_delay_alu instid0(VALU_DEP_1)
	v_mov_b32_e32 v2, v1
	ds_store_b64 v1, v[1:2] offset:5136
; %bb.28:
	s_wait_alu 0xfffe
	s_or_b32 exec_lo, exec_lo, s3
	v_dual_mov_b32 v1, 0 :: v_dual_mov_b32 v30, s29
	s_wait_dscnt 0x0
	s_barrier_signal -1
	s_barrier_wait -1
	global_inv scope:SCOPE_SE
	s_wait_loadcnt 0x0
	s_barrier_signal -1
	s_barrier_wait -1
	global_inv scope:SCOPE_SE
	ds_load_b64 v[1:2], v1 offset:5136
	s_load_b32 s3, s[0:1], 0x4f8
	v_mov_b32_e32 v29, s28
	s_wait_dscnt 0x0
	v_cmp_gt_i64_e32 vcc_lo, 1, v[1:2]
	s_wait_kmcnt 0x0
	s_bitcmp1_b32 s3, 0
	s_cselect_b32 s3, -1, 0
	s_wait_alu 0xfffe
	s_or_b32 s3, s3, vcc_lo
	s_wait_alu 0xfffe
	s_and_not1_b32 vcc_lo, exec_lo, s3
	s_cbranch_vccnz .LBB111_30
; %bb.29:
	v_not_b32_e32 v1, v1
	v_not_b32_e32 v2, v2
	s_delay_alu instid0(VALU_DEP_2) | instskip(NEXT) | instid1(VALU_DEP_1)
	v_add_co_u32 v1, vcc_lo, s28, v1
	v_add_co_ci_u32_e64 v2, null, s29, v2, vcc_lo
	s_delay_alu instid0(VALU_DEP_1) | instskip(NEXT) | instid1(VALU_DEP_1)
	v_lshrrev_b64 v[1:2], 1, v[1:2]
	v_add_co_u32 v29, vcc_lo, v1, 1
	s_wait_alu 0xfffd
	s_delay_alu instid0(VALU_DEP_2)
	v_add_co_ci_u32_e64 v30, null, 0, v2, vcc_lo
.LBB111_30:
	s_clause 0x1
	s_load_b64 s[12:13], s[0:1], 0x410
	s_load_b64 s[8:9], s[0:1], 0x340
	s_and_saveexec_b32 s3, s2
	s_cbranch_execz .LBB111_32
; %bb.31:
	v_dual_mov_b32 v1, 0 :: v_dual_mov_b32 v4, s29
	s_delay_alu instid0(VALU_DEP_1)
	v_dual_mov_b32 v3, s28 :: v_dual_mov_b32 v2, v1
	ds_store_b32 v1, v1 offset:5144
	ds_store_b128 v1, v[1:4] offset:5120
.LBB111_32:
	s_wait_alu 0xfffe
	s_or_b32 exec_lo, exec_lo, s3
	v_mad_co_u64_u32 v[4:5], null, s30, v0, 0
	v_mov_b32_e32 v3, 0
	v_mbcnt_lo_u32_b32 v41, -1, 0
	s_wait_kmcnt 0x0
	s_mul_u64 s[12:13], s[12:13], s[18:19]
	v_cmp_gt_u32_e32 vcc_lo, 32, v0
	s_wait_alu 0xfffe
	s_lshl_b64 s[12:13], s[12:13], 1
	s_lshl_b64 s[50:51], s[10:11], 1
	v_mov_b32_e32 v2, v5
	v_cmp_gt_i32_e64 s3, 4, v41
	s_wait_alu 0xfffe
	s_add_nc_u64 s[14:15], s[8:9], s[12:13]
	s_clause 0x1
	s_load_b64 s[48:49], s[0:1], 0x0
	s_load_b64 s[44:45], s[0:1], 0x1a0
	s_add_nc_u64 s[52:53], s[14:15], s[50:51]
	v_mad_co_u64_u32 v[5:6], null, s31, v0, v[2:3]
	v_dual_mov_b32 v17, v3 :: v_dual_add_nc_u32 v2, 2, v0
	s_and_b32 s33, vcc_lo, s3
	s_wait_loadcnt_dscnt 0x0
	s_barrier_signal -1
	s_barrier_wait -1
	s_delay_alu instid0(VALU_DEP_2)
	v_lshlrev_b64_e32 v[6:7], 1, v[4:5]
	global_inv scope:SCOPE_SE
	s_load_b32 s5, s[6:7], 0xc
	v_lshlrev_b64_e64 v[8:9], v41, -1
	v_dual_mov_b32 v51, 0 :: v_dual_lshlrev_b32 v46, 3, v0
	v_add_co_u32 v12, vcc_lo, s52, v6
	s_wait_alu 0xfffd
	v_add_co_ci_u32_e64 v13, null, s53, v7, vcc_lo
	v_cmp_gt_u64_e32 vcc_lo, s[28:29], v[2:3]
	v_not_b32_e32 v44, v8
	v_not_b32_e32 v8, v0
	v_or_b32_e32 v10, 6, v46
	v_or_b32_e32 v27, 2, v46
	;; [unrolled: 1-line block ×3, first 2 shown]
	s_wait_alu 0xfffd
	v_cndmask_b32_e64 v2, v2, s28, vcc_lo
	v_cndmask_b32_e64 v9, 0, s29, vcc_lo
	v_mad_co_u64_u32 v[21:22], null, s30, v10, s[14:15]
	v_mad_co_u64_u32 v[25:26], null, s30, v27, s[14:15]
	s_delay_alu instid0(VALU_DEP_4) | instskip(SKIP_3) | instid1(VALU_DEP_3)
	v_add_co_u32 v8, vcc_lo, v2, v8
	s_wait_alu 0xfffd
	v_add_co_ci_u32_e64 v9, null, -1, v9, vcc_lo
	v_dual_mov_b32 v1, v3 :: v_dual_lshlrev_b32 v42, 1, v0
	v_and_b32_e32 v18, -2, v8
	s_wait_kmcnt 0x0
	s_and_b32 s46, s5, 0xffff
	s_bfe_u32 s10, s5, 0xb0005
	s_cmp_gt_u32 s46, 31
	v_mad_co_u64_u32 v[23:24], null, s30, v14, s[14:15]
	v_add_co_u32 v20, vcc_lo, v18, v0
	s_wait_alu 0xfffd
	v_add_co_ci_u32_e64 v2, null, 0, v9, vcc_lo
	v_dual_mov_b32 v2, v22 :: v_dual_add_nc_u32 v43, 0xc00, v42
	s_cselect_b32 s85, -1, 0
	s_movk_i32 s5, 0x3e0
	s_cmp_lt_u32 ttmp9, s4
	v_dual_mov_b32 v19, v9 :: v_dual_lshlrev_b32 v16, 2, v0
	v_and_or_b32 v45, v0, s5, 0xc00
	s_cselect_b32 s54, 12, 18
	s_wait_alu 0xfffe
	s_add_co_i32 s5, s10, -1
	s_bfe_u32 s88, s46, 0x30005
	s_wait_alu 0xfffe
	s_and_b32 s5, s5, 0xffff
	v_mad_co_u64_u32 v[10:11], null, s31, v10, v[2:3]
	v_cmp_lt_u64_e64 s4, 1, v[8:9]
	s_wait_alu 0xfffe
	s_cmp_gt_u32 s5, 6
	v_cmp_ne_u64_e64 s5, v[8:9], v[18:19]
	v_dual_mov_b32 v8, v24 :: v_dual_mov_b32 v47, 0
	v_mov_b32_e32 v9, v26
	v_lshlrev_b64_e32 v[4:5], 3, v[4:5]
	s_cselect_b32 s89, -1, 0
	s_and_b32 s90, s10, 0x7f8
	s_add_nc_u64 s[10:11], s[12:13], s[50:51]
	v_mad_co_u64_u32 v[14:15], null, s31, v14, v[8:9]
	v_mad_co_u64_u32 v[8:9], null, s31, v27, v[9:10]
	s_cmp_lg_u32 s88, 0
	s_wait_alu 0xfffe
	s_add_nc_u64 s[62:63], s[8:9], s[10:11]
	s_add_nc_u64 s[8:9], s[8:9], s[50:51]
	s_cselect_b32 s91, -1, 0
	s_lshl_b64 s[64:65], s[30:31], 1
	v_add_co_u32 v27, vcc_lo, s14, v4
	s_add_nc_u64 s[8:9], s[8:9], s[12:13]
	s_mov_b32 s55, 0
	v_mul_lo_u32 v49, 0, s64
	v_mov_b32_e32 v24, v14
	s_wait_alu 0xfffd
	v_add_co_ci_u32_e64 v28, null, s15, v5, vcc_lo
	v_add_co_u32 v14, vcc_lo, s8, v6
	v_cmp_gt_u64_e64 s0, s[28:29], v[0:1]
	v_cmp_lt_u64_e64 s84, 0x600, s[28:29]
	s_mov_b32 s47, s55
	v_cmp_eq_u32_e64 s1, 0, v41
	v_cmp_gt_u32_e64 s3, 2, v0
	v_mov_b32_e32 v22, v10
	v_mov_b32_e32 v26, v8
	v_lshl_or_b32 v48, v41, 3, 0xc00
	s_wait_alu 0xfffd
	v_add_co_ci_u32_e64 v15, null, s9, v7, vcc_lo
	v_mov_b32_e32 v50, 0
	s_add_nc_u64 s[58:59], s[46:47], -1
	s_mul_u64 s[10:11], s[30:31], s[46:47]
	s_add_nc_u64 s[60:61], s[58:59], s[28:29]
	s_mov_b32 s86, s30
	s_mov_b32 s87, s31
	s_lshl_b64 s[66:67], s[30:31], 3
	s_lshl_b32 s92, s46, 1
	s_wait_alu 0xfffe
	s_lshl_b64 s[56:57], s[10:11], 1
	s_mov_b32 s94, 14
	s_mov_b32 s93, 0x4f800000
	s_add_nc_u64 s[68:69], s[6:7], s[54:55]
	s_mov_b32 s95, 0
	s_mov_b32 s96, 0
                                        ; implicit-def: $sgpr100
                                        ; implicit-def: $sgpr102
                                        ; implicit-def: $sgpr97
                                        ; implicit-def: $sgpr99
                                        ; implicit-def: $sgpr101
                                        ; implicit-def: $sgpr98
	s_branch .LBB111_36
.LBB111_33:                             ;   in Loop: Header=BB111_36 Depth=1
	s_wait_alu 0xfffe
	s_or_b32 exec_lo, exec_lo, s9
	s_delay_alu instid0(SALU_CYCLE_1)
	s_and_b32 s7, s7, exec_lo
	s_and_not1_b32 s22, s22, exec_lo
	s_and_not1_b32 s21, s21, exec_lo
	s_or_not1_b32 s18, s8, exec_lo
.LBB111_34:                             ;   in Loop: Header=BB111_36 Depth=1
	s_wait_alu 0xfffe
	s_or_b32 exec_lo, exec_lo, s6
	s_delay_alu instid0(SALU_CYCLE_1)
	s_and_not1_b32 s6, s98, exec_lo
	s_and_b32 s7, s7, exec_lo
	s_and_not1_b32 s8, s99, exec_lo
	s_wait_alu 0xfffe
	s_or_b32 s98, s6, s7
	s_and_not1_b32 s6, s101, exec_lo
	s_and_b32 s7, s22, exec_lo
	s_and_b32 s9, s21, exec_lo
	s_wait_alu 0xfffe
	s_or_b32 s101, s6, s7
	s_or_b32 s99, s8, s9
	s_or_not1_b32 s18, s18, exec_lo
.LBB111_35:                             ;   in Loop: Header=BB111_36 Depth=1
	s_wait_alu 0xfffe
	s_or_b32 exec_lo, exec_lo, s17
	s_delay_alu instid0(SALU_CYCLE_1)
	s_and_b32 s6, exec_lo, s18
	v_dual_mov_b32 v30, v9 :: v_dual_mov_b32 v29, v8
	s_wait_alu 0xfffe
	s_or_b32 s95, s6, s95
	s_and_not1_b32 s6, s97, exec_lo
	s_and_b32 s7, s98, exec_lo
	s_and_not1_b32 s8, s102, exec_lo
	s_wait_alu 0xfffe
	s_or_b32 s97, s6, s7
	s_and_b32 s6, s101, exec_lo
	s_and_not1_b32 s7, s100, exec_lo
	s_and_b32 s9, s99, exec_lo
	s_wait_alu 0xfffe
	s_or_b32 s102, s8, s6
	s_or_b32 s100, s7, s9
	s_and_not1_b32 exec_lo, exec_lo, s95
	s_cbranch_execz .LBB111_298
.LBB111_36:                             ; =>This Loop Header: Depth=1
                                        ;     Child Loop BB111_41 Depth 2
                                        ;     Child Loop BB111_55 Depth 2
	;; [unrolled: 1-line block ×17, first 2 shown]
	ds_load_b128 v[4:7], v3 offset:5120
	s_wait_dscnt 0x0
	v_readfirstlane_b32 s71, v5
	v_readfirstlane_b32 s70, v4
	s_cmp_lg_u64 s[70:71], 0
	s_cbranch_scc1 .LBB111_68
; %bb.37:                               ;   in Loop: Header=BB111_36 Depth=1
	s_and_b32 vcc_lo, exec_lo, s84
	s_wait_alu 0xfffe
	s_cbranch_vccz .LBB111_49
; %bb.38:                               ;   in Loop: Header=BB111_36 Depth=1
	v_cmp_gt_u64_e32 vcc_lo, 0x601, v[6:7]
	s_mov_b32 s8, 0
	s_mov_b32 s6, 0
	s_cbranch_vccz .LBB111_50
; %bb.39:                               ;   in Loop: Header=BB111_36 Depth=1
	global_load_u16 v2, v3, s[68:69]
	global_load_u16 v8, v[12:13], off
	s_mov_b32 s9, 0
	s_wait_loadcnt 0x1
	v_and_b32_e32 v2, 0xffff, v2
	s_delay_alu instid0(VALU_DEP_1) | instskip(SKIP_3) | instid1(VALU_DEP_3)
	v_add_co_u32 v4, s6, v0, v2
	s_wait_alu 0xf1fe
	v_add_co_ci_u32_e64 v5, null, 0, 0, s6
	v_mul_lo_u32 v6, v2, s65
	v_mul_lo_u32 v10, s65, v4
	v_mul_hi_u32 v11, v2, s64
	s_delay_alu instid0(VALU_DEP_4) | instskip(SKIP_2) | instid1(VALU_DEP_2)
	v_mul_lo_u32 v7, s64, v5
	v_mad_co_u64_u32 v[4:5], null, s64, v4, s[62:63]
	v_add_nc_u32_e32 v6, v6, v49
	v_add3_u32 v5, v10, v5, v7
	s_delay_alu instid0(VALU_DEP_2)
	v_dual_mov_b32 v7, v1 :: v_dual_add_nc_u32 v10, v6, v11
	v_mul_lo_u32 v9, v2, s64
	v_mov_b32_e32 v6, v0
	s_branch .LBB111_41
.LBB111_40:                             ;   in Loop: Header=BB111_41 Depth=2
	s_wait_alu 0xfffe
	s_or_b32 exec_lo, exec_lo, s7
	v_add_co_u32 v4, vcc_lo, v4, v9
	s_wait_alu 0xfffd
	v_add_co_ci_u32_e64 v5, null, v5, v10, vcc_lo
	v_mov_b32_e32 v8, v11
	s_and_not1_b32 exec_lo, exec_lo, s9
	s_cbranch_execz .LBB111_165
.LBB111_41:                             ;   Parent Loop BB111_36 Depth=1
                                        ; =>  This Inner Loop Header: Depth=2
	s_delay_alu instid0(VALU_DEP_1)
	v_add_co_u32 v6, vcc_lo, v6, v2
	s_wait_alu 0xfffd
	v_add_co_ci_u32_e64 v7, null, 0, v7, vcc_lo
	s_wait_dscnt 0x0
	v_mov_b32_e32 v31, 0
	v_mov_b32_e32 v11, 0
	s_mov_b32 s7, exec_lo
	v_cmp_le_u64_e32 vcc_lo, s[28:29], v[6:7]
	v_cmpx_gt_u64_e64 s[28:29], v[6:7]
	s_cbranch_execz .LBB111_43
; %bb.42:                               ;   in Loop: Header=BB111_41 Depth=2
	global_load_u16 v11, v[4:5], off
.LBB111_43:                             ;   in Loop: Header=BB111_41 Depth=2
	s_wait_alu 0xfffe
	s_or_b32 exec_lo, exec_lo, s7
	s_wait_loadcnt 0x0
	v_bfe_i32 v32, v8, 0, 16
	s_delay_alu instid0(VALU_DEP_1) | instskip(NEXT) | instid1(VALU_DEP_1)
	v_add_nc_u32_e32 v32, 0x8000, v32
	v_and_b32_e32 v32, v32, v50
	s_delay_alu instid0(VALU_DEP_1)
	v_cmp_eq_u32_e64 s6, v32, v47
	s_cmp_lg_u32 s6, 0
	s_cselect_b32 s7, -1, 0
	s_wait_alu 0xfffe
	s_and_b32 s7, s1, s7
	s_wait_alu 0xfffe
	s_and_saveexec_b32 s10, s7
	s_cbranch_execz .LBB111_47
; %bb.44:                               ;   in Loop: Header=BB111_41 Depth=2
	s_mov_b32 s13, exec_lo
	s_bcnt1_i32_b32 s11, s6
	s_wait_alu 0xfffe
	v_mbcnt_lo_u32_b32 v31, s13, 0
	s_mov_b32 s12, exec_lo
                                        ; implicit-def: $vgpr32
	s_delay_alu instid0(VALU_DEP_1)
	v_cmpx_eq_u32_e32 0, v31
; %bb.45:                               ;   in Loop: Header=BB111_41 Depth=2
	s_bcnt1_i32_b32 s7, s13
	s_wait_alu 0xfffe
	s_mul_i32 s7, s11, s7
	s_wait_alu 0xfffe
	v_mov_b32_e32 v32, s7
	ds_add_rtn_u32 v32, v3, v32 offset:5144
; %bb.46:                               ;   in Loop: Header=BB111_41 Depth=2
	s_or_b32 exec_lo, exec_lo, s12
	s_wait_dscnt 0x0
	v_readfirstlane_b32 s7, v32
	s_wait_alu 0xf1ff
	s_delay_alu instid0(VALU_DEP_1)
	v_mad_u32_u24 v31, s11, v31, s7
.LBB111_47:                             ;   in Loop: Header=BB111_41 Depth=2
	s_wait_alu 0xfffe
	s_or_b32 exec_lo, exec_lo, s10
	ds_bpermute_b32 v31, v3, v31
	s_and_b32 s7, exec_lo, vcc_lo
	s_wait_alu 0xfffe
	s_or_b32 s9, s7, s9
	s_and_saveexec_b32 s7, s6
	s_cbranch_execz .LBB111_40
; %bb.48:                               ;   in Loop: Header=BB111_41 Depth=2
	v_and_b32_e32 v32, s6, v44
	s_delay_alu instid0(VALU_DEP_1) | instskip(NEXT) | instid1(VALU_DEP_1)
	v_bcnt_u32_b32 v32, v32, 0
	v_lshlrev_b32_e32 v32, 1, v32
	s_wait_dscnt 0x0
	s_delay_alu instid0(VALU_DEP_1)
	v_lshl_add_u32 v31, v31, 1, v32
	ds_store_b16 v31, v8
	s_branch .LBB111_40
.LBB111_49:                             ;   in Loop: Header=BB111_36 Depth=1
	s_mov_b32 s8, -1
	s_mov_b32 s6, 0
.LBB111_50:                             ;   in Loop: Header=BB111_36 Depth=1
	s_wait_alu 0xfffe
	s_and_b32 vcc_lo, exec_lo, s8
	s_wait_alu 0xfffe
	s_cbranch_vccz .LBB111_66
.LBB111_51:                             ;   in Loop: Header=BB111_36 Depth=1
	s_and_saveexec_b32 s7, s0
	s_cbranch_execz .LBB111_63
; %bb.52:                               ;   in Loop: Header=BB111_36 Depth=1
	global_load_u16 v4, v3, s[68:69]
	global_load_u16 v31, v[12:13], off
	v_mov_b32_e32 v6, v0
	s_mov_b32 s12, exec_lo
	s_wait_loadcnt 0x1
	v_and_b32_e32 v2, 0xffff, v4
	v_readfirstlane_b32 s6, v4
	s_delay_alu instid0(VALU_DEP_2) | instskip(NEXT) | instid1(VALU_DEP_1)
	v_add_nc_u32_e32 v2, v2, v0
	v_cmpx_gt_u64_e64 s[28:29], v[2:3]
	s_cbranch_execz .LBB111_62
; %bb.53:                               ;   in Loop: Header=BB111_36 Depth=1
	s_and_b32 s54, s6, 0xffff
	v_dual_mov_b32 v9, v1 :: v_dual_mov_b32 v8, v0
	s_wait_alu 0xfffe
	s_cmp_eq_u32 s54, 1
	v_dual_mov_b32 v5, v3 :: v_dual_mov_b32 v4, v2
	s_cselect_b32 s6, -1, 0
                                        ; implicit-def: $vgpr6_vgpr7
	s_wait_alu 0xfffe
	s_and_b32 s9, s4, s6
	s_mov_b32 s6, -1
	s_wait_alu 0xfffe
	s_and_saveexec_b32 s8, s9
	s_cbranch_execz .LBB111_57
; %bb.54:                               ;   in Loop: Header=BB111_36 Depth=1
	v_add_co_u32 v4, s6, v2, 1
	s_wait_alu 0xf1ff
	v_add_co_ci_u32_e64 v5, null, 0, 0, s6
	s_wait_loadcnt 0x0
	v_dual_mov_b32 v8, v18 :: v_dual_lshlrev_b32 v11, 16, v31
	v_dual_mov_b32 v9, v19 :: v_dual_mov_b32 v10, v42
	s_delay_alu instid0(VALU_DEP_3)
	v_mov_b32_e32 v7, v5
	v_dual_mov_b32 v6, v4 :: v_dual_mov_b32 v5, v3
	v_mov_b32_e32 v4, v2
	s_mov_b32 s9, 0
.LBB111_55:                             ;   Parent Loop BB111_36 Depth=1
                                        ; =>  This Inner Loop Header: Depth=2
	s_delay_alu instid0(VALU_DEP_2) | instskip(NEXT) | instid1(VALU_DEP_2)
	v_mul_lo_u32 v35, v5, s30
	v_mul_lo_u32 v36, v4, s31
	v_mad_co_u64_u32 v[31:32], null, v4, s30, 0
	v_mul_lo_u32 v37, v7, s86
	v_mul_lo_u32 v38, v6, s87
	v_mad_co_u64_u32 v[33:34], null, v6, s86, 0
	s_delay_alu instid0(VALU_DEP_4) | instskip(NEXT) | instid1(VALU_DEP_2)
	v_add3_u32 v32, v32, v36, v35
	v_add3_u32 v34, v34, v38, v37
	s_delay_alu instid0(VALU_DEP_2) | instskip(NEXT) | instid1(VALU_DEP_2)
	v_lshlrev_b64_e32 v[31:32], 1, v[31:32]
	v_lshlrev_b64_e32 v[33:34], 1, v[33:34]
	s_delay_alu instid0(VALU_DEP_2) | instskip(SKIP_1) | instid1(VALU_DEP_3)
	v_add_co_u32 v31, vcc_lo, s52, v31
	s_wait_alu 0xfffd
	v_add_co_ci_u32_e64 v32, null, s53, v32, vcc_lo
	s_delay_alu instid0(VALU_DEP_3)
	v_add_co_u32 v33, vcc_lo, s52, v33
	s_wait_alu 0xfffd
	v_add_co_ci_u32_e64 v34, null, s53, v34, vcc_lo
	s_clause 0x1
	global_load_u16 v32, v[31:32], off
	global_load_u16 v31, v[33:34], off
	v_add_co_u32 v8, vcc_lo, v8, -2
	s_wait_alu 0xfffd
	v_add_co_ci_u32_e64 v9, null, -1, v9, vcc_lo
	v_add_co_u32 v6, vcc_lo, v6, 2
	s_wait_alu 0xfffd
	v_add_co_ci_u32_e64 v7, null, 0, v7, vcc_lo
	s_delay_alu instid0(VALU_DEP_3) | instskip(SKIP_4) | instid1(VALU_DEP_3)
	v_cmp_eq_u64_e64 s6, 0, v[8:9]
	v_add_co_u32 v4, vcc_lo, v4, 2
	s_wait_alu 0xfffd
	v_add_co_ci_u32_e64 v5, null, 0, v5, vcc_lo
	s_wait_alu 0xfffe
	s_or_b32 s9, s6, s9
	s_wait_loadcnt 0x1
	v_alignbit_b32 v11, v32, v11, 16
	s_wait_loadcnt 0x0
	v_perm_b32 v32, v31, v32, 0x5040100
	ds_store_b32 v10, v11
	v_dual_mov_b32 v11, v32 :: v_dual_add_nc_u32 v10, 4, v10
	s_wait_alu 0xfffe
	s_and_not1_b32 exec_lo, exec_lo, s9
	s_cbranch_execnz .LBB111_55
; %bb.56:                               ;   in Loop: Header=BB111_36 Depth=1
	s_or_b32 exec_lo, exec_lo, s9
	v_add_co_u32 v4, vcc_lo, v2, v18
	s_wait_alu 0xfffd
	v_add_co_ci_u32_e64 v5, null, 0, v19, vcc_lo
	v_dual_mov_b32 v8, v20 :: v_dual_mov_b32 v9, v21
	s_delay_alu instid0(VALU_DEP_3)
	v_add_co_u32 v6, vcc_lo, v4, -1
	s_or_not1_b32 s6, s5, exec_lo
	s_wait_alu 0xfffd
	v_add_co_ci_u32_e64 v2, null, -1, v5, vcc_lo
.LBB111_57:                             ;   in Loop: Header=BB111_36 Depth=1
	s_wait_alu 0xfffe
	s_or_b32 exec_lo, exec_lo, s8
	s_and_saveexec_b32 s13, s6
	s_cbranch_execz .LBB111_61
; %bb.58:                               ;   in Loop: Header=BB111_36 Depth=1
	v_mad_co_u64_u32 v[10:11], null, s64, v4, s[62:63]
	v_mul_lo_u32 v2, s64, v5
	v_mul_lo_u32 v6, s65, v4
	s_sub_nc_u64 s[8:9], 0, s[54:55]
	s_mul_u64 s[10:11], s[64:65], s[54:55]
	s_mov_b32 s14, 0
	s_delay_alu instid0(VALU_DEP_1)
	v_add3_u32 v11, v6, v11, v2
.LBB111_59:                             ;   Parent Loop BB111_36 Depth=1
                                        ; =>  This Inner Loop Header: Depth=2
	global_load_u16 v2, v[10:11], off
	v_dual_mov_b32 v7, v5 :: v_dual_mov_b32 v6, v4
	v_lshlrev_b32_e32 v8, 1, v8
	s_wait_alu 0xfffe
	v_add_co_u32 v10, vcc_lo, v10, s10
	s_wait_alu 0xfffd
	v_add_co_ci_u32_e64 v11, null, s11, v11, vcc_lo
	v_add_co_u32 v4, s6, v6, s54
	s_wait_alu 0xf1ff
	v_add_co_ci_u32_e64 v5, null, 0, v7, s6
	s_wait_loadcnt 0x1
	ds_store_b16 v8, v31
	v_dual_mov_b32 v9, v7 :: v_dual_mov_b32 v8, v6
	v_cmp_le_u64_e32 vcc_lo, s[28:29], v[4:5]
	v_add_co_u32 v6, s6, s8, v4
	s_wait_alu 0xf1ff
	v_add_co_ci_u32_e64 v7, null, s9, v5, s6
	s_or_b32 s14, vcc_lo, s14
	s_wait_loadcnt 0x0
	v_mov_b32_e32 v31, v2
	s_wait_alu 0xfffe
	s_and_not1_b32 exec_lo, exec_lo, s14
	s_cbranch_execnz .LBB111_59
; %bb.60:                               ;   in Loop: Header=BB111_36 Depth=1
	s_or_b32 exec_lo, exec_lo, s14
	v_mov_b32_e32 v31, v2
.LBB111_61:                             ;   in Loop: Header=BB111_36 Depth=1
	s_wait_alu 0xfffe
	s_or_b32 exec_lo, exec_lo, s13
.LBB111_62:                             ;   in Loop: Header=BB111_36 Depth=1
	s_wait_alu 0xfffe
	s_or_b32 exec_lo, exec_lo, s12
	v_lshlrev_b32_e32 v2, 1, v6
	s_wait_loadcnt 0x0
	ds_store_b16 v2, v31
.LBB111_63:                             ;   in Loop: Header=BB111_36 Depth=1
	s_wait_alu 0xfffe
	s_or_b32 exec_lo, exec_lo, s7
	s_wait_loadcnt_dscnt 0x0
	s_barrier_signal -1
	s_barrier_wait -1
	global_inv scope:SCOPE_SE
	s_and_saveexec_b32 s6, s2
; %bb.64:                               ;   in Loop: Header=BB111_36 Depth=1
	v_dual_mov_b32 v4, s28 :: v_dual_mov_b32 v5, s29
	ds_store_b64 v3, v[4:5] offset:5120
; %bb.65:                               ;   in Loop: Header=BB111_36 Depth=1
	s_wait_alu 0xfffe
	s_or_b32 exec_lo, exec_lo, s6
	s_wait_loadcnt_dscnt 0x0
	s_barrier_signal -1
	s_mov_b32 s6, -1
	s_barrier_wait -1
.LBB111_66:                             ;   in Loop: Header=BB111_36 Depth=1
	s_wait_alu 0xfffe
	s_and_b32 vcc_lo, exec_lo, s6
	s_mov_b64 s[70:71], 0
	s_wait_alu 0xfffe
	s_cbranch_vccz .LBB111_68
; %bb.67:                               ;   in Loop: Header=BB111_36 Depth=1
	s_wait_loadcnt 0x0
	global_inv scope:SCOPE_SE
	ds_load_b64 v[4:5], v3 offset:5120
	s_wait_dscnt 0x0
	v_readfirstlane_b32 s70, v4
.LBB111_68:                             ;   in Loop: Header=BB111_36 Depth=1
	s_delay_alu instid0(VALU_DEP_1)
	s_cmp_lt_i32 s70, 1
	s_mov_b32 s6, -1
                                        ; implicit-def: $vgpr4_vgpr5
                                        ; implicit-def: $vgpr8_vgpr9
	s_cbranch_scc1 .LBB111_78
; %bb.69:                               ;   in Loop: Header=BB111_36 Depth=1
	s_wait_alu 0xfffe
	s_and_b32 vcc_lo, exec_lo, s6
	s_wait_alu 0xfffe
	s_cbranch_vccnz .LBB111_92
.LBB111_70:                             ;   in Loop: Header=BB111_36 Depth=1
	s_lshl_b32 s6, s96, 7
	s_and_saveexec_b32 s7, s1
	s_cbranch_execz .LBB111_72
.LBB111_71:                             ;   in Loop: Header=BB111_36 Depth=1
	s_wait_alu 0xfffe
	v_lshl_add_u32 v2, s6, 3, v45
	ds_store_b128 v2, v[4:7]
	ds_store_b128 v2, v[8:11] offset:16
.LBB111_72:                             ;   in Loop: Header=BB111_36 Depth=1
	s_wait_alu 0xfffe
	s_or_b32 exec_lo, exec_lo, s7
	s_wait_loadcnt_dscnt 0x0
	s_barrier_signal -1
	s_barrier_wait -1
	global_inv scope:SCOPE_SE
	s_and_saveexec_b32 s7, s33
	s_cbranch_execz .LBB111_106
; %bb.73:                               ;   in Loop: Header=BB111_36 Depth=1
	v_mov_b32_e32 v4, 0
	v_mov_b32_e32 v5, 0
	s_and_not1_b32 vcc_lo, exec_lo, s85
	s_wait_alu 0xfffe
	s_cbranch_vccnz .LBB111_105
; %bb.74:                               ;   in Loop: Header=BB111_36 Depth=1
	v_mov_b32_e32 v4, 0
	v_mov_b32_e32 v5, 0
	s_and_not1_b32 vcc_lo, exec_lo, s89
	s_wait_alu 0xfffe
	s_cbranch_vccnz .LBB111_102
; %bb.75:                               ;   in Loop: Header=BB111_36 Depth=1
	v_lshl_add_u32 v2, s96, 10, v48
	s_mov_b32 s8, 0
.LBB111_76:                             ;   Parent Loop BB111_36 Depth=1
                                        ; =>  This Inner Loop Header: Depth=2
	ds_load_2addr_b64 v[6:9], v2 offset1:4
	ds_load_2addr_b64 v[31:34], v2 offset0:8 offset1:12
	ds_load_2addr_b64 v[35:38], v2 offset0:16 offset1:20
	s_wait_alu 0xfffe
	s_add_co_i32 s8, s8, 8
	s_wait_alu 0xfffe
	s_cmp_eq_u32 s90, s8
	s_wait_dscnt 0x2
	v_add_co_u32 v4, vcc_lo, v6, v4
	s_wait_alu 0xfffd
	v_add_co_ci_u32_e64 v5, null, v7, v5, vcc_lo
	s_delay_alu instid0(VALU_DEP_2) | instskip(SKIP_1) | instid1(VALU_DEP_2)
	v_add_co_u32 v8, vcc_lo, v8, v4
	s_wait_alu 0xfffd
	v_add_co_ci_u32_e64 v9, null, v9, v5, vcc_lo
	ds_load_2addr_b64 v[4:7], v2 offset0:24 offset1:28
	s_wait_dscnt 0x2
	v_add_co_u32 v8, vcc_lo, v31, v8
	s_wait_alu 0xfffd
	v_add_co_ci_u32_e64 v9, null, v32, v9, vcc_lo
	v_add_nc_u32_e32 v2, 0x100, v2
	s_delay_alu instid0(VALU_DEP_3) | instskip(SKIP_1) | instid1(VALU_DEP_3)
	v_add_co_u32 v8, vcc_lo, v33, v8
	s_wait_alu 0xfffd
	v_add_co_ci_u32_e64 v9, null, v34, v9, vcc_lo
	s_wait_dscnt 0x1
	s_delay_alu instid0(VALU_DEP_2) | instskip(SKIP_1) | instid1(VALU_DEP_2)
	v_add_co_u32 v8, vcc_lo, v35, v8
	s_wait_alu 0xfffd
	v_add_co_ci_u32_e64 v9, null, v36, v9, vcc_lo
	s_delay_alu instid0(VALU_DEP_2) | instskip(SKIP_1) | instid1(VALU_DEP_2)
	v_add_co_u32 v8, vcc_lo, v37, v8
	s_wait_alu 0xfffd
	v_add_co_ci_u32_e64 v9, null, v38, v9, vcc_lo
	s_wait_dscnt 0x0
	s_delay_alu instid0(VALU_DEP_2) | instskip(SKIP_1) | instid1(VALU_DEP_2)
	v_add_co_u32 v4, vcc_lo, v4, v8
	s_wait_alu 0xfffd
	v_add_co_ci_u32_e64 v5, null, v5, v9, vcc_lo
	s_delay_alu instid0(VALU_DEP_2) | instskip(SKIP_1) | instid1(VALU_DEP_2)
	v_add_co_u32 v4, vcc_lo, v6, v4
	s_wait_alu 0xfffd
	v_add_co_ci_u32_e64 v5, null, v7, v5, vcc_lo
	s_cbranch_scc0 .LBB111_76
; %bb.77:                               ;   in Loop: Header=BB111_36 Depth=1
	s_mov_b32 s8, s90
	s_and_not1_b32 vcc_lo, exec_lo, s91
	s_wait_alu 0xfffe
	s_cbranch_vccz .LBB111_103
	s_branch .LBB111_105
.LBB111_78:                             ;   in Loop: Header=BB111_36 Depth=1
	global_load_u16 v2, v3, s[68:69]
	s_mov_b32 s7, s29
	s_wait_loadcnt 0x0
	v_readfirstlane_b32 s6, v2
	s_wait_alu 0xfffe
	s_and_b32 s8, 0xffff, s6
	s_mov_b32 s6, s55
	s_wait_alu 0xfffe
	s_lshl_b32 s72, s8, 2
	s_cmp_lg_u64 s[6:7], 0
	s_cbranch_scc0 .LBB111_101
; %bb.79:                               ;   in Loop: Header=BB111_36 Depth=1
	s_wait_alu 0xfffe
	s_cvt_f32_u32 s6, s72
	s_mov_b32 s73, s55
	s_wait_alu 0xfffe
	s_sub_nc_u64 s[8:9], 0, s[72:73]
	s_fmamk_f32 s6, s93, 0x0, s6
	s_wait_alu 0xfffe
	s_delay_alu instid0(SALU_CYCLE_2) | instskip(NEXT) | instid1(TRANS32_DEP_1)
	v_s_rcp_f32 s6, s6
	s_mul_f32 s6, s6, 0x5f7ffffc
	s_wait_alu 0xfffe
	s_delay_alu instid0(SALU_CYCLE_2) | instskip(SKIP_1) | instid1(SALU_CYCLE_2)
	s_mul_f32 s7, s6, 0x2f800000
	s_wait_alu 0xfffe
	s_trunc_f32 s7, s7
	s_wait_alu 0xfffe
	s_delay_alu instid0(SALU_CYCLE_2) | instskip(SKIP_2) | instid1(SALU_CYCLE_1)
	s_fmamk_f32 s6, s7, 0xcf800000, s6
	s_cvt_u32_f32 s7, s7
	s_wait_alu 0xfffe
	s_cvt_u32_f32 s6, s6
	s_wait_alu 0xfffe
	s_delay_alu instid0(SALU_CYCLE_2)
	s_mul_u64 s[10:11], s[8:9], s[6:7]
	s_wait_alu 0xfffe
	s_mul_hi_u32 s13, s6, s11
	s_mul_i32 s12, s6, s11
	s_mul_hi_u32 s54, s6, s10
	s_mul_i32 s15, s7, s10
	s_wait_alu 0xfffe
	s_add_nc_u64 s[12:13], s[54:55], s[12:13]
	s_mul_hi_u32 s14, s7, s10
	s_mul_hi_u32 s16, s7, s11
	s_mul_i32 s10, s7, s11
	s_wait_alu 0xfffe
	s_add_co_u32 s11, s12, s15
	s_add_co_ci_u32 s54, s13, s14
	s_add_co_ci_u32 s11, s16, 0
	s_wait_alu 0xfffe
	s_add_nc_u64 s[10:11], s[54:55], s[10:11]
	s_wait_alu 0xfffe
	s_add_co_u32 s6, s6, s10
	s_cselect_b32 s10, -1, 0
	s_wait_alu 0xfffe
	s_cmp_lg_u32 s10, 0
	s_add_co_ci_u32 s7, s7, s11
	s_wait_alu 0xfffe
	s_mul_u64 s[8:9], s[8:9], s[6:7]
	s_wait_alu 0xfffe
	s_mul_hi_u32 s11, s6, s9
	s_mul_i32 s10, s6, s9
	s_mul_hi_u32 s54, s6, s8
	s_mul_i32 s13, s7, s8
	s_wait_alu 0xfffe
	s_add_nc_u64 s[10:11], s[54:55], s[10:11]
	s_mul_hi_u32 s12, s7, s8
	s_mul_hi_u32 s14, s7, s9
	s_mul_i32 s8, s7, s9
	s_wait_alu 0xfffe
	s_add_co_u32 s9, s10, s13
	s_add_co_ci_u32 s54, s11, s12
	s_add_co_ci_u32 s9, s14, 0
	s_wait_alu 0xfffe
	s_add_nc_u64 s[8:9], s[54:55], s[8:9]
	s_wait_alu 0xfffe
	s_add_co_u32 s6, s6, s8
	s_cselect_b32 s8, -1, 0
	s_wait_alu 0xfffe
	s_mul_hi_u32 s54, s28, s6
	s_cmp_lg_u32 s8, 0
	s_mul_hi_u32 s10, s29, s6
	s_add_co_ci_u32 s8, s7, s9
	s_mul_i32 s9, s29, s6
	s_wait_alu 0xfffe
	s_mul_hi_u32 s7, s28, s8
	s_mul_i32 s6, s28, s8
	s_mul_hi_u32 s11, s29, s8
	s_wait_alu 0xfffe
	s_add_nc_u64 s[6:7], s[54:55], s[6:7]
	s_mul_i32 s8, s29, s8
	s_wait_alu 0xfffe
	s_add_co_u32 s6, s6, s9
	s_add_co_ci_u32 s54, s7, s10
	s_add_co_ci_u32 s9, s11, 0
	s_wait_alu 0xfffe
	s_add_nc_u64 s[6:7], s[54:55], s[8:9]
	s_wait_alu 0xfffe
	s_mul_u64 s[6:7], s[72:73], s[6:7]
	s_wait_alu 0xfffe
	s_sub_co_u32 s6, s28, s6
	s_cselect_b32 s8, -1, 0
	s_wait_alu 0xfffe
	s_cmp_lg_u32 s8, 0
	s_sub_co_ci_u32 s7, s29, s7
	s_sub_co_u32 s8, s6, s72
	s_cselect_b32 s9, -1, 0
	s_wait_alu 0xfffe
	s_cmp_lg_u32 s9, 0
	s_sub_co_ci_u32 s9, s7, 0
	;; [unrolled: 5-line block ×3, first 2 shown]
	s_cmp_ge_u32 s8, s72
	s_cselect_b32 s12, -1, 0
	s_cmp_eq_u32 s9, 0
	s_wait_alu 0xfffe
	s_cselect_b32 s12, s12, -1
	s_wait_alu 0xfffe
	s_cmp_lg_u32 s12, 0
	s_cselect_b32 s9, s11, s9
	s_cselect_b32 s8, s10, s8
	s_cmp_ge_u32 s6, s72
	s_cselect_b32 s10, -1, 0
	s_cmp_eq_u32 s7, 0
	s_wait_alu 0xfffe
	s_cselect_b32 s10, s10, -1
	s_wait_alu 0xfffe
	s_cmp_lg_u32 s10, 0
	s_cselect_b32 s7, s9, s7
	s_cselect_b32 s6, s8, s6
	s_cbranch_execnz .LBB111_81
.LBB111_80:                             ;   in Loop: Header=BB111_36 Depth=1
	s_wait_alu 0xfffe
	v_cvt_f32_u32_e32 v4, s72
	s_sub_co_i32 s7, 0, s72
	s_delay_alu instid0(VALU_DEP_1) | instskip(NEXT) | instid1(TRANS32_DEP_1)
	v_rcp_iflag_f32_e32 v4, v4
	v_mul_f32_e32 v4, 0x4f7ffffe, v4
	s_delay_alu instid0(VALU_DEP_1) | instskip(NEXT) | instid1(VALU_DEP_1)
	v_cvt_u32_f32_e32 v4, v4
	v_readfirstlane_b32 s6, v4
	s_wait_alu 0xfffe
	s_mul_i32 s7, s7, s6
	s_wait_alu 0xfffe
	s_mul_hi_u32 s7, s6, s7
	s_wait_alu 0xfffe
	s_add_co_i32 s6, s6, s7
	s_wait_alu 0xfffe
	s_mul_hi_u32 s6, s28, s6
	s_wait_alu 0xfffe
	s_mul_i32 s6, s6, s72
	s_wait_alu 0xfffe
	s_sub_co_i32 s6, s28, s6
	s_wait_alu 0xfffe
	s_sub_co_i32 s7, s6, s72
	s_cmp_ge_u32 s6, s72
	s_wait_alu 0xfffe
	s_cselect_b32 s6, s7, s6
	s_wait_alu 0xfffe
	s_sub_co_i32 s7, s6, s72
	s_cmp_ge_u32 s6, s72
	s_wait_alu 0xfffe
	s_cselect_b32 s54, s7, s6
	s_wait_alu 0xfffe
	s_mov_b64 s[6:7], s[54:55]
.LBB111_81:                             ;   in Loop: Header=BB111_36 Depth=1
	v_mov_b32_e32 v4, 0
	v_dual_mov_b32 v8, 0 :: v_dual_mov_b32 v5, 0
	v_dual_mov_b32 v6, 0 :: v_dual_mov_b32 v9, 0
	;; [unrolled: 1-line block ×3, first 2 shown]
	v_dual_mov_b32 v11, 0 :: v_dual_and_b32 v2, 0xffff, v2
	s_wait_alu 0xfffe
	s_sub_nc_u64 s[74:75], s[28:29], s[6:7]
	s_mov_b32 s71, exec_lo
	s_wait_alu 0xfffe
	v_cmpx_gt_u64_e64 s[74:75], v[16:17]
	s_cbranch_execz .LBB111_85
; %bb.82:                               ;   in Loop: Header=BB111_36 Depth=1
	v_mul_lo_u32 v4, v2, s67
	v_mul_lo_u32 v5, 0, s66
	v_mul_hi_u32 v6, v2, s66
	v_mul_lo_u32 v52, v2, s66
	v_mov_b32_e32 v32, v28
	v_mov_b32_e32 v34, v26
	v_dual_mov_b32 v36, v24 :: v_dual_mov_b32 v33, v25
	v_dual_mov_b32 v31, v27 :: v_dual_add_nc_u32 v4, v4, v5
	v_dual_mov_b32 v38, v22 :: v_dual_mov_b32 v35, v23
	v_dual_mov_b32 v37, v21 :: v_dual_mov_b32 v40, v17
	v_mov_b32_e32 v39, v16
	s_delay_alu instid0(VALU_DEP_4)
	v_add_nc_u32_e32 v53, v4, v6
	s_mov_b64 s[76:77], 0
	s_mov_b32 s73, 0
	s_mov_b64 s[78:79], 0
	s_mov_b64 s[80:81], 0
	;; [unrolled: 1-line block ×3, first 2 shown]
.LBB111_83:                             ;   Parent Loop BB111_36 Depth=1
                                        ; =>  This Inner Loop Header: Depth=2
	v_add_co_u32 v4, vcc_lo, v31, s50
	s_wait_alu 0xfffd
	v_add_co_ci_u32_e64 v5, null, s51, v32, vcc_lo
	v_add_co_u32 v6, vcc_lo, v33, s50
	s_wait_alu 0xfffd
	v_add_co_ci_u32_e64 v7, null, s51, v34, vcc_lo
	;; [unrolled: 3-line block ×4, first 2 shown]
	global_load_i16 v4, v[4:5], off
	global_load_i16 v5, v[6:7], off
	;; [unrolled: 1-line block ×4, first 2 shown]
	v_add_co_u32 v39, vcc_lo, v39, s72
	s_wait_alu 0xfffd
	v_add_co_ci_u32_e64 v40, null, 0, v40, vcc_lo
	v_add_co_u32 v37, vcc_lo, v37, v52
	s_wait_alu 0xfffd
	v_add_co_ci_u32_e64 v38, null, v38, v53, vcc_lo
	;; [unrolled: 3-line block ×5, first 2 shown]
	v_cmp_le_u64_e32 vcc_lo, s[74:75], v[39:40]
	s_wait_loadcnt 0x3
	v_add_nc_u32_e32 v4, 0x8000, v4
	s_wait_loadcnt 0x2
	v_add_nc_u32_e32 v5, 0x8000, v5
	;; [unrolled: 2-line block ×4, first 2 shown]
	v_and_b32_e32 v8, v4, v50
	v_bfe_u32 v4, v4, s94, 2
	v_and_b32_e32 v9, v5, v50
	v_bfe_u32 v5, v5, s94, 2
	v_and_b32_e32 v10, v6, v50
	v_bfe_u32 v6, v6, s94, 2
	v_cmp_eq_u32_e64 s6, v8, v47
	v_cmp_eq_u32_e64 s10, 0, v4
	v_and_b32_e32 v11, v7, v50
	v_bfe_u32 v7, v7, s94, 2
	v_cmp_eq_u32_e64 s7, v9, v47
	v_cmp_eq_u32_e64 s11, 0, v5
	;; [unrolled: 1-line block ×4, first 2 shown]
	s_and_b32 s10, s6, s10
	v_cmp_eq_u32_e64 s9, v11, v47
	v_cmp_eq_u32_e64 s13, 0, v7
	;; [unrolled: 1-line block ×5, first 2 shown]
	s_wait_alu 0xfffe
	v_cndmask_b32_e64 v4, 0, 1, s10
	s_and_b32 s10, s7, s11
	v_cmp_eq_u32_e64 s15, 1, v5
	v_cmp_eq_u32_e64 s19, 2, v5
	v_cmp_eq_u32_e64 s23, 3, v5
	s_wait_alu 0xfffe
	v_cndmask_b32_e64 v5, 0, 1, s10
	s_and_b32 s10, s8, s12
	v_cmp_eq_u32_e64 s16, 1, v6
	v_cmp_eq_u32_e64 s20, 2, v6
	v_cmp_eq_u32_e64 s24, 3, v6
	;; [unrolled: 6-line block ×3, first 2 shown]
	s_wait_alu 0xfffe
	v_cndmask_b32_e64 v7, 0, 1, s10
	s_and_b32 s10, s6, s14
	s_wait_alu 0xfffe
	v_cndmask_b32_e64 v8, 0, 1, s10
	s_and_b32 s10, s7, s15
	;; [unrolled: 3-line block ×4, first 2 shown]
	v_cmp_ne_u32_e64 s11, 0, v9
	s_wait_alu 0xfffe
	v_cndmask_b32_e64 v11, 0, 1, s10
	s_and_b32 s10, s6, s18
	s_and_b32 s6, s6, s22
	s_wait_alu 0xfffe
	v_cndmask_b32_e64 v54, 0, 1, s10
	v_cndmask_b32_e64 v58, 0, 1, s6
	s_and_b32 s6, s7, s23
	s_and_b32 s10, s7, s19
	s_wait_alu 0xfffe
	v_cndmask_b32_e64 v59, 0, 1, s6
	s_and_b32 s6, s8, s24
	v_cndmask_b32_e64 v55, 0, 1, s10
	s_and_b32 s10, s8, s20
	s_wait_alu 0xfffe
	v_cndmask_b32_e64 v60, 0, 1, s6
	s_and_b32 s6, s9, s25
	v_cndmask_b32_e64 v56, 0, 1, s10
	s_and_b32 s10, s9, s21
	s_wait_alu 0xfffe
	v_cndmask_b32_e64 v61, 0, 1, s6
	v_cmp_ne_u32_e64 s6, 0, v4
	v_cmp_ne_u32_e64 s7, 0, v5
	v_cndmask_b32_e64 v57, 0, 1, s10
	v_cmp_ne_u32_e64 s8, 0, v6
	v_cmp_ne_u32_e64 s10, 0, v8
	;; [unrolled: 1-line block ×6, first 2 shown]
	s_bcnt1_i32_b32 s6, s6
	s_bcnt1_i32_b32 s7, s7
	v_cmp_ne_u32_e64 s13, 0, v11
	v_cmp_ne_u32_e64 s16, 0, v56
	;; [unrolled: 1-line block ×4, first 2 shown]
	s_bcnt1_i32_b32 s8, s8
	s_bcnt1_i32_b32 s10, s10
	;; [unrolled: 1-line block ×3, first 2 shown]
	s_wait_alu 0xfffe
	s_add_co_i32 s6, s7, s6
	v_cmp_ne_u32_e64 s17, 0, v57
	v_cmp_ne_u32_e64 s20, 0, v60
	s_bcnt1_i32_b32 s9, s9
	s_bcnt1_i32_b32 s12, s12
	;; [unrolled: 1-line block ×4, first 2 shown]
	s_add_co_i32 s7, s11, s10
	s_wait_alu 0xfffe
	s_add_co_i32 s6, s6, s8
	v_cmp_ne_u32_e64 s21, 0, v61
	s_bcnt1_i32_b32 s13, s13
	s_bcnt1_i32_b32 s16, s16
	;; [unrolled: 1-line block ×4, first 2 shown]
	s_add_co_i32 s10, s15, s14
	s_add_co_i32 s7, s7, s12
	s_wait_alu 0xfffe
	s_add_co_i32 s54, s6, s9
	s_bcnt1_i32_b32 s17, s17
	s_bcnt1_i32_b32 s20, s20
	s_add_co_i32 s11, s19, s18
	s_add_co_i32 s8, s10, s16
	s_wait_alu 0xfffe
	s_add_nc_u64 s[82:83], s[82:83], s[54:55]
	s_add_co_i32 s54, s7, s13
	s_bcnt1_i32_b32 s21, s21
	s_add_co_i32 s10, s11, s20
	s_wait_alu 0xfffe
	s_add_nc_u64 s[80:81], s[80:81], s[54:55]
	s_add_co_i32 s54, s8, s17
	v_mov_b32_e32 v4, s82
	s_wait_alu 0xfffe
	s_add_nc_u64 s[78:79], s[78:79], s[54:55]
	s_add_co_i32 s54, s10, s21
	v_mov_b32_e32 v6, s80
	s_wait_alu 0xfffe
	s_add_nc_u64 s[76:77], s[76:77], s[54:55]
	v_mov_b32_e32 v8, s78
	s_wait_alu 0xfffe
	v_dual_mov_b32 v10, s76 :: v_dual_mov_b32 v5, s83
	v_mov_b32_e32 v7, s81
	v_mov_b32_e32 v9, s79
	;; [unrolled: 1-line block ×3, first 2 shown]
	s_or_b32 s73, vcc_lo, s73
	s_wait_alu 0xfffe
	s_and_not1_b32 exec_lo, exec_lo, s73
	s_cbranch_execnz .LBB111_83
; %bb.84:                               ;   in Loop: Header=BB111_36 Depth=1
	s_or_b32 exec_lo, exec_lo, s73
.LBB111_85:                             ;   in Loop: Header=BB111_36 Depth=1
	s_delay_alu instid0(SALU_CYCLE_1)
	s_or_b32 exec_lo, exec_lo, s71
	v_add_co_u32 v31, s6, s74, v0
	s_wait_alu 0xf1ff
	v_add_co_ci_u32_e64 v32, null, s75, 0, s6
	s_mov_b32 s10, exec_lo
	v_cmpx_gt_u64_e64 s[28:29], v[31:32]
	s_cbranch_execz .LBB111_91
; %bb.86:                               ;   in Loop: Header=BB111_36 Depth=1
	v_mul_lo_u32 v35, v32, s30
	v_mul_lo_u32 v36, v31, s31
	v_mad_co_u64_u32 v[33:34], null, v31, s30, 0
	s_mov_b32 s11, 0
	v_add3_u32 v34, v34, v36, v35
	s_delay_alu instid0(VALU_DEP_1) | instskip(NEXT) | instid1(VALU_DEP_1)
	v_lshlrev_b64_e32 v[33:34], 1, v[33:34]
	v_add_co_u32 v33, vcc_lo, s52, v33
	s_wait_alu 0xfffd
	s_delay_alu instid0(VALU_DEP_2)
	v_add_co_ci_u32_e64 v34, null, s53, v34, vcc_lo
	global_load_u16 v34, v[33:34], off
	s_branch .LBB111_88
.LBB111_87:                             ;   in Loop: Header=BB111_88 Depth=2
	s_wait_alu 0xfffe
	s_or_b32 exec_lo, exec_lo, s7
	s_wait_loadcnt 0x0
	v_bfe_i32 v34, v34, 0, 16
	s_and_b32 s8, exec_lo, vcc_lo
	s_wait_alu 0xfffe
	s_or_b32 s11, s8, s11
	s_delay_alu instid0(VALU_DEP_1) | instskip(NEXT) | instid1(VALU_DEP_1)
	v_add_nc_u32_e32 v34, 0x8000, v34
	v_and_b32_e32 v35, v34, v50
	v_bfe_u32 v34, v34, s94, 2
	s_delay_alu instid0(VALU_DEP_2) | instskip(NEXT) | instid1(VALU_DEP_2)
	v_cmp_eq_u32_e64 s6, v35, v47
	v_cmp_eq_u32_e64 s7, 0, v34
	v_cmp_eq_u32_e32 vcc_lo, 1, v34
	v_cmp_eq_u32_e64 s8, 2, v34
	s_and_b32 s7, s6, s7
	s_wait_alu 0xfffe
	v_cndmask_b32_e64 v35, 0, 1, s7
	s_and_b32 s7, s6, vcc_lo
	v_cmp_eq_u32_e32 vcc_lo, 3, v34
	s_wait_alu 0xfffe
	v_cndmask_b32_e64 v36, 0, 1, s7
	s_and_b32 s7, s6, s8
	s_wait_alu 0xfffe
	v_cndmask_b32_e64 v37, 0, 1, s7
	v_cmp_ne_u32_e64 s7, 0, v35
	v_cmp_ne_u32_e64 s8, 0, v36
	s_and_b32 s6, s6, vcc_lo
	s_wait_alu 0xfffe
	v_cndmask_b32_e64 v34, 0, 1, s6
	s_bcnt1_i32_b32 s6, s7
	v_cmp_ne_u32_e64 s9, 0, v37
	s_bcnt1_i32_b32 s7, s8
	s_wait_alu 0xfffe
	v_add_co_u32 v4, vcc_lo, v4, s6
	s_wait_alu 0xfffd
	v_add_co_ci_u32_e64 v5, null, 0, v5, vcc_lo
	v_add_co_u32 v6, vcc_lo, v6, s7
	s_wait_alu 0xfffd
	v_add_co_ci_u32_e64 v7, null, 0, v7, vcc_lo
	v_cmp_ne_u32_e32 vcc_lo, 0, v34
	s_bcnt1_i32_b32 s8, s9
	v_mov_b32_e32 v34, v33
	s_wait_alu 0xfffe
	v_add_co_u32 v8, s6, v8, s8
	s_wait_alu 0xf1ff
	v_add_co_ci_u32_e64 v9, null, 0, v9, s6
	s_bcnt1_i32_b32 s6, vcc_lo
	s_wait_alu 0xfffe
	v_add_co_u32 v10, vcc_lo, v10, s6
	s_wait_alu 0xfffd
	v_add_co_ci_u32_e64 v11, null, 0, v11, vcc_lo
	s_and_not1_b32 exec_lo, exec_lo, s11
	s_cbranch_execz .LBB111_90
.LBB111_88:                             ;   Parent Loop BB111_36 Depth=1
                                        ; =>  This Inner Loop Header: Depth=2
	v_add_co_u32 v31, vcc_lo, v31, v2
	s_wait_alu 0xfffd
	v_add_co_ci_u32_e64 v32, null, 0, v32, vcc_lo
	v_mov_b32_e32 v33, 0
	s_mov_b32 s7, exec_lo
	s_delay_alu instid0(VALU_DEP_2)
	v_cmp_le_u64_e32 vcc_lo, s[28:29], v[31:32]
	v_cmpx_gt_u64_e64 s[28:29], v[31:32]
	s_cbranch_execz .LBB111_87
; %bb.89:                               ;   in Loop: Header=BB111_88 Depth=2
	v_mul_lo_u32 v33, v32, s30
	v_mul_lo_u32 v37, v31, s31
	v_mad_co_u64_u32 v[35:36], null, v31, s30, 0
	s_delay_alu instid0(VALU_DEP_1) | instskip(NEXT) | instid1(VALU_DEP_1)
	v_add3_u32 v36, v36, v37, v33
	v_lshlrev_b64_e32 v[35:36], 1, v[35:36]
	s_delay_alu instid0(VALU_DEP_1) | instskip(SKIP_1) | instid1(VALU_DEP_2)
	v_add_co_u32 v35, s6, s52, v35
	s_wait_alu 0xf1ff
	v_add_co_ci_u32_e64 v36, null, s53, v36, s6
	global_load_u16 v33, v[35:36], off
	s_branch .LBB111_87
.LBB111_90:                             ;   in Loop: Header=BB111_36 Depth=1
	s_or_b32 exec_lo, exec_lo, s11
.LBB111_91:                             ;   in Loop: Header=BB111_36 Depth=1
	s_wait_alu 0xfffe
	s_or_b32 exec_lo, exec_lo, s10
	s_branch .LBB111_70
.LBB111_92:                             ;   in Loop: Header=BB111_36 Depth=1
	global_load_u16 v2, v3, s[68:69]
	v_mov_b32_e32 v6, 0
	v_mov_b32_e32 v8, 0
	v_dual_mov_b32 v10, 0 :: v_dual_mov_b32 v9, 0
	v_mov_b32_e32 v11, 0
	s_mov_b32 s82, exec_lo
	v_mov_b32_e32 v7, 0
	s_wait_loadcnt 0x0
	v_readfirstlane_b32 s6, v2
	v_and_b32_e32 v2, 0xffff, v2
	s_and_b32 s71, 0xffff, s6
	s_delay_alu instid0(SALU_CYCLE_1) | instskip(SKIP_4) | instid1(SALU_CYCLE_1)
	s_lshl_b32 s81, s71, 2
	s_wait_alu 0xfffe
	s_cvt_f32_u32 s6, s81
	s_sub_co_i32 s7, 0, s81
	s_wait_alu 0xfffe
	v_rcp_iflag_f32_e32 v4, s6
	s_delay_alu instid0(TRANS32_DEP_1) | instskip(SKIP_2) | instid1(SALU_CYCLE_2)
	v_readfirstlane_b32 s6, v4
	s_mul_f32 s6, s6, 0x4f7ffffe
	s_wait_alu 0xfffe
	s_cvt_u32_f32 s6, s6
	s_wait_alu 0xfffe
	s_delay_alu instid0(SALU_CYCLE_2)
	s_mul_i32 s7, s7, s6
	s_wait_alu 0xfffe
	s_mul_hi_u32 s7, s6, s7
	s_wait_alu 0xfffe
	s_add_co_i32 s6, s6, s7
	s_wait_alu 0xfffe
	s_mul_hi_u32 s6, s70, s6
	s_wait_alu 0xfffe
	s_mul_i32 s7, s6, s81
	s_add_co_i32 s8, s6, 1
	s_wait_alu 0xfffe
	s_sub_co_i32 s7, s70, s7
	s_wait_alu 0xfffe
	s_sub_co_i32 s9, s7, s81
	s_cmp_ge_u32 s7, s81
	s_cselect_b32 s6, s8, s6
	s_wait_alu 0xfffe
	s_cselect_b32 s7, s9, s7
	s_add_co_i32 s8, s6, 1
	s_wait_alu 0xfffe
	s_cmp_ge_u32 s7, s81
	s_cselect_b32 s80, s8, s6
	s_wait_alu 0xfffe
	v_mul_hi_u32 v5, s80, v2
	v_mul_lo_u32 v4, s80, v2
	s_delay_alu instid0(VALU_DEP_1) | instskip(SKIP_2) | instid1(VALU_DEP_3)
	v_lshlrev_b64_e32 v[31:32], 2, v[4:5]
	v_mov_b32_e32 v4, 0
	v_mov_b32_e32 v5, 0
	v_cmpx_gt_u64_e64 v[31:32], v[16:17]
	s_cbranch_execz .LBB111_96
; %bb.93:                               ;   in Loop: Header=BB111_36 Depth=1
	v_dual_mov_b32 v35, v46 :: v_dual_mov_b32 v34, v17
	v_mov_b32_e32 v33, v16
	s_lshl_b32 s83, s71, 3
	s_mov_b64 s[72:73], 0
	s_mov_b32 s103, 0
	s_mov_b64 s[74:75], 0
	s_mov_b64 s[76:77], 0
	;; [unrolled: 1-line block ×3, first 2 shown]
.LBB111_94:                             ;   Parent Loop BB111_36 Depth=1
                                        ; =>  This Inner Loop Header: Depth=2
	ds_load_b64 v[4:5], v35
	v_add_co_u32 v33, vcc_lo, v33, s81
	s_wait_alu 0xfffd
	v_add_co_ci_u32_e64 v34, null, 0, v34, vcc_lo
	s_delay_alu instid0(VALU_DEP_1)
	v_cmp_ge_u64_e32 vcc_lo, v[33:34], v[31:32]
	s_wait_dscnt 0x0
	v_bfe_i32 v6, v4, 0, 16
	v_ashrrev_i32_e32 v4, 16, v4
	v_bfe_i32 v7, v5, 0, 16
	v_ashrrev_i32_e32 v5, 16, v5
	s_delay_alu instid0(VALU_DEP_4) | instskip(NEXT) | instid1(VALU_DEP_4)
	v_add_nc_u32_e32 v6, 0x8000, v6
	v_add_nc_u32_e32 v4, 0x8000, v4
	s_delay_alu instid0(VALU_DEP_4) | instskip(NEXT) | instid1(VALU_DEP_4)
	v_add_nc_u32_e32 v7, 0x8000, v7
	v_add_nc_u32_e32 v5, 0x8000, v5
	s_delay_alu instid0(VALU_DEP_4)
	v_and_b32_e32 v8, v6, v50
	v_bfe_u32 v6, v6, s94, 2
	v_and_b32_e32 v9, v4, v50
	v_bfe_u32 v4, v4, s94, 2
	;; [unrolled: 2-line block ×3, first 2 shown]
	v_cmp_eq_u32_e64 s6, v8, v47
	v_cmp_eq_u32_e64 s10, 0, v6
	v_and_b32_e32 v11, v5, v50
	v_bfe_u32 v5, v5, s94, 2
	v_cmp_eq_u32_e64 s7, v9, v47
	v_cmp_eq_u32_e64 s11, 0, v4
	;; [unrolled: 1-line block ×4, first 2 shown]
	s_and_b32 s10, s6, s10
	v_cmp_eq_u32_e64 s9, v11, v47
	v_cmp_eq_u32_e64 s13, 0, v5
	;; [unrolled: 1-line block ×5, first 2 shown]
	s_wait_alu 0xfffe
	v_cndmask_b32_e64 v4, 0, 1, s10
	s_and_b32 s10, s7, s11
	v_cmp_eq_u32_e64 s14, 1, v6
	v_cmp_eq_u32_e64 s17, 1, v5
	;; [unrolled: 1-line block ×4, first 2 shown]
	s_wait_alu 0xfffe
	v_cndmask_b32_e64 v5, 0, 1, s10
	s_and_b32 s10, s8, s12
	v_cmp_eq_u32_e64 s18, 2, v6
	v_cmp_eq_u32_e64 s22, 3, v6
	s_wait_alu 0xfffe
	v_cndmask_b32_e64 v6, 0, 1, s10
	s_and_b32 s10, s9, s13
	v_cmp_eq_u32_e64 s16, 1, v7
	v_cmp_eq_u32_e64 s20, 2, v7
	;; [unrolled: 1-line block ×3, first 2 shown]
	s_wait_alu 0xfffe
	v_cndmask_b32_e64 v7, 0, 1, s10
	s_and_b32 s10, s6, s14
	s_wait_alu 0xfffe
	v_cndmask_b32_e64 v8, 0, 1, s10
	s_and_b32 s10, s7, s15
	;; [unrolled: 3-line block ×4, first 2 shown]
	v_cmp_ne_u32_e64 s11, 0, v9
	s_wait_alu 0xfffe
	v_cndmask_b32_e64 v11, 0, 1, s10
	s_and_b32 s10, s6, s18
	s_and_b32 s6, s6, s22
	s_wait_alu 0xfffe
	v_cndmask_b32_e64 v36, 0, 1, s10
	v_cndmask_b32_e64 v40, 0, 1, s6
	s_and_b32 s6, s7, s23
	s_and_b32 s10, s7, s19
	s_wait_alu 0xfffe
	v_cndmask_b32_e64 v52, 0, 1, s6
	s_and_b32 s6, s8, s24
	v_cndmask_b32_e64 v37, 0, 1, s10
	s_and_b32 s10, s8, s20
	s_wait_alu 0xfffe
	v_cndmask_b32_e64 v53, 0, 1, s6
	s_and_b32 s6, s9, s25
	v_cndmask_b32_e64 v38, 0, 1, s10
	s_and_b32 s10, s9, s21
	s_wait_alu 0xfffe
	v_cndmask_b32_e64 v54, 0, 1, s6
	v_cmp_ne_u32_e64 s6, 0, v4
	v_cmp_ne_u32_e64 s7, 0, v5
	v_cndmask_b32_e64 v39, 0, 1, s10
	v_cmp_ne_u32_e64 s8, 0, v6
	v_cmp_ne_u32_e64 s10, 0, v8
	;; [unrolled: 1-line block ×6, first 2 shown]
	s_bcnt1_i32_b32 s6, s6
	s_bcnt1_i32_b32 s7, s7
	v_cmp_ne_u32_e64 s13, 0, v11
	v_cmp_ne_u32_e64 s16, 0, v38
	v_cmp_ne_u32_e64 s18, 0, v40
	v_cmp_ne_u32_e64 s19, 0, v52
	s_bcnt1_i32_b32 s8, s8
	s_bcnt1_i32_b32 s10, s10
	;; [unrolled: 1-line block ×3, first 2 shown]
	s_wait_alu 0xfffe
	s_add_co_i32 s6, s7, s6
	v_cmp_ne_u32_e64 s17, 0, v39
	v_cmp_ne_u32_e64 s20, 0, v53
	s_bcnt1_i32_b32 s9, s9
	s_bcnt1_i32_b32 s12, s12
	;; [unrolled: 1-line block ×4, first 2 shown]
	s_add_co_i32 s7, s11, s10
	s_wait_alu 0xfffe
	s_add_co_i32 s6, s6, s8
	v_cmp_ne_u32_e64 s21, 0, v54
	s_bcnt1_i32_b32 s13, s13
	s_bcnt1_i32_b32 s16, s16
	;; [unrolled: 1-line block ×4, first 2 shown]
	s_add_co_i32 s10, s15, s14
	s_add_co_i32 s7, s7, s12
	s_wait_alu 0xfffe
	s_add_co_i32 s54, s6, s9
	s_bcnt1_i32_b32 s17, s17
	s_bcnt1_i32_b32 s20, s20
	s_add_co_i32 s11, s19, s18
	s_add_co_i32 s8, s10, s16
	s_wait_alu 0xfffe
	s_add_nc_u64 s[78:79], s[78:79], s[54:55]
	s_add_co_i32 s54, s7, s13
	s_bcnt1_i32_b32 s21, s21
	s_add_co_i32 s10, s11, s20
	s_wait_alu 0xfffe
	s_add_nc_u64 s[76:77], s[76:77], s[54:55]
	s_add_co_i32 s54, s8, s17
	v_dual_mov_b32 v4, s78 :: v_dual_add_nc_u32 v35, s83, v35
	s_wait_alu 0xfffe
	s_add_nc_u64 s[74:75], s[74:75], s[54:55]
	s_add_co_i32 s54, s10, s21
	v_mov_b32_e32 v6, s76
	s_wait_alu 0xfffe
	s_add_nc_u64 s[72:73], s[72:73], s[54:55]
	v_mov_b32_e32 v8, s74
	s_wait_alu 0xfffe
	v_dual_mov_b32 v10, s72 :: v_dual_mov_b32 v5, s79
	v_mov_b32_e32 v7, s77
	v_mov_b32_e32 v9, s75
	;; [unrolled: 1-line block ×3, first 2 shown]
	s_or_b32 s103, vcc_lo, s103
	s_delay_alu instid0(SALU_CYCLE_1)
	s_and_not1_b32 exec_lo, exec_lo, s103
	s_cbranch_execnz .LBB111_94
; %bb.95:                               ;   in Loop: Header=BB111_36 Depth=1
	s_or_b32 exec_lo, exec_lo, s103
.LBB111_96:                             ;   in Loop: Header=BB111_36 Depth=1
	s_delay_alu instid0(SALU_CYCLE_1)
	s_or_b32 exec_lo, exec_lo, s82
	v_add_co_u32 v31, vcc_lo, v31, v0
	s_wait_alu 0xfffd
	v_add_co_ci_u32_e64 v32, null, 0, v32, vcc_lo
	s_and_b32 s54, s70, 0x7fffffff
	s_mov_b32 s11, exec_lo
	s_wait_alu 0xfffe
	v_cmpx_gt_u64_e64 s[54:55], v[31:32]
	s_cbranch_execz .LBB111_100
; %bb.97:                               ;   in Loop: Header=BB111_36 Depth=1
	s_mul_i32 s80, s80, s71
	s_lshl_b32 s13, s71, 1
	s_wait_alu 0xfffe
	v_lshl_add_u32 v33, s80, 3, v42
	s_mov_b32 s12, 0
.LBB111_98:                             ;   Parent Loop BB111_36 Depth=1
                                        ; =>  This Inner Loop Header: Depth=2
	ds_load_i16 v34, v33
	v_add_co_u32 v31, vcc_lo, v31, v2
	s_wait_alu 0xfffd
	v_add_co_ci_u32_e64 v32, null, 0, v32, vcc_lo
	v_add_nc_u32_e32 v33, s13, v33
	s_delay_alu instid0(VALU_DEP_2) | instskip(SKIP_2) | instid1(VALU_DEP_1)
	v_cmp_le_u64_e32 vcc_lo, s[54:55], v[31:32]
	s_wait_dscnt 0x0
	v_add_nc_u32_e32 v34, 0x8000, v34
	v_and_b32_e32 v35, v34, v50
	v_bfe_u32 v34, v34, s94, 2
	s_delay_alu instid0(VALU_DEP_2) | instskip(NEXT) | instid1(VALU_DEP_2)
	v_cmp_eq_u32_e64 s6, v35, v47
	v_cmp_eq_u32_e64 s7, 0, v34
	;; [unrolled: 1-line block ×5, first 2 shown]
	s_and_b32 s7, s6, s7
	s_wait_alu 0xfffe
	v_cndmask_b32_e64 v34, 0, 1, s7
	s_and_b32 s7, s6, s8
	s_wait_alu 0xfffe
	v_cndmask_b32_e64 v35, 0, 1, s7
	s_and_b32 s7, s6, s9
	s_and_b32 s6, s6, s10
	s_wait_alu 0xfffe
	v_cndmask_b32_e64 v36, 0, 1, s7
	v_cndmask_b32_e64 v37, 0, 1, s6
	v_cmp_ne_u32_e64 s6, 0, v34
	v_cmp_ne_u32_e64 s7, 0, v35
	s_delay_alu instid0(VALU_DEP_4) | instskip(NEXT) | instid1(VALU_DEP_4)
	v_cmp_ne_u32_e64 s8, 0, v36
	v_cmp_ne_u32_e64 s9, 0, v37
	s_bcnt1_i32_b32 s6, s6
	s_bcnt1_i32_b32 s7, s7
	s_wait_alu 0xfffe
	v_add_co_u32 v4, s6, v4, s6
	s_bcnt1_i32_b32 s8, s8
	v_add_co_ci_u32_e64 v5, null, 0, v5, s6
	v_add_co_u32 v6, s6, v6, s7
	s_bcnt1_i32_b32 s9, s9
	v_add_co_ci_u32_e64 v7, null, 0, v7, s6
	s_wait_alu 0xfffe
	v_add_co_u32 v8, s6, v8, s8
	s_wait_alu 0xf1ff
	v_add_co_ci_u32_e64 v9, null, 0, v9, s6
	v_add_co_u32 v10, s6, v10, s9
	s_wait_alu 0xf1ff
	v_add_co_ci_u32_e64 v11, null, 0, v11, s6
	s_or_b32 s12, vcc_lo, s12
	s_wait_alu 0xfffe
	s_and_not1_b32 exec_lo, exec_lo, s12
	s_cbranch_execnz .LBB111_98
; %bb.99:                               ;   in Loop: Header=BB111_36 Depth=1
	s_or_b32 exec_lo, exec_lo, s12
.LBB111_100:                            ;   in Loop: Header=BB111_36 Depth=1
	s_delay_alu instid0(SALU_CYCLE_1)
	s_or_b32 exec_lo, exec_lo, s11
	s_lshl_b32 s6, s96, 7
	s_and_saveexec_b32 s7, s1
	s_cbranch_execnz .LBB111_71
	s_branch .LBB111_72
.LBB111_101:                            ;   in Loop: Header=BB111_36 Depth=1
                                        ; implicit-def: $sgpr6_sgpr7
	s_branch .LBB111_80
.LBB111_102:                            ;   in Loop: Header=BB111_36 Depth=1
	s_mov_b32 s8, 0
	s_and_not1_b32 vcc_lo, exec_lo, s91
	s_wait_alu 0xfffe
	s_cbranch_vccnz .LBB111_105
.LBB111_103:                            ;   in Loop: Header=BB111_36 Depth=1
	s_lshl_b32 s9, s96, 10
	s_lshl_b32 s8, s8, 5
	s_wait_alu 0xfffe
	v_add3_u32 v2, s9, s8, v48
	s_mov_b32 s8, s88
.LBB111_104:                            ;   Parent Loop BB111_36 Depth=1
                                        ; =>  This Inner Loop Header: Depth=2
	ds_load_b64 v[6:7], v2
	v_add_nc_u32_e32 v2, 32, v2
	s_wait_alu 0xfffe
	s_add_co_i32 s8, s8, -1
	s_wait_alu 0xfffe
	s_cmp_lg_u32 s8, 0
	s_wait_dscnt 0x0
	v_add_co_u32 v4, vcc_lo, v6, v4
	s_wait_alu 0xfffd
	v_add_co_ci_u32_e64 v5, null, v7, v5, vcc_lo
	s_cbranch_scc1 .LBB111_104
.LBB111_105:                            ;   in Loop: Header=BB111_36 Depth=1
	v_add_lshl_u32 v2, s6, v41, 3
	ds_store_b64 v2, v[4:5] offset:3072
.LBB111_106:                            ;   in Loop: Header=BB111_36 Depth=1
	s_wait_alu 0xfffe
	s_or_b32 exec_lo, exec_lo, s7
	s_lshl_b32 s6, s6, 3
	s_wait_loadcnt_dscnt 0x0
	s_wait_alu 0xfffe
	v_mov_b32_e32 v2, s6
	s_barrier_signal -1
	s_barrier_wait -1
	global_inv scope:SCOPE_SE
	v_cmp_eq_u64_e32 vcc_lo, 1, v[29:30]
	ds_load_b128 v[4:7], v2 offset:3072
	ds_load_b128 v[8:11], v2 offset:3088
	s_lshl_b32 s16, 3, s94
	s_mov_b32 s18, -1
	s_wait_alu 0xfffe
	s_not_b32 s20, s16
                                        ; implicit-def: $sgpr22
                                        ; implicit-def: $sgpr21
	s_wait_dscnt 0x1
	v_cmp_eq_u64_e64 s6, 1, v[4:5]
	s_wait_dscnt 0x0
	v_readfirstlane_b32 s10, v8
	v_readfirstlane_b32 s11, v9
	;; [unrolled: 1-line block ×4, first 2 shown]
	s_and_b32 s19, s6, vcc_lo
	s_mov_b32 s6, -1
	s_and_saveexec_b32 s17, s19
	s_cbranch_execz .LBB111_138
; %bb.107:                              ;   in Loop: Header=BB111_36 Depth=1
	ds_load_b64 v[8:9], v3 offset:5120
	s_wait_loadcnt_dscnt 0x0
	s_barrier_signal -1
	s_barrier_wait -1
	global_inv scope:SCOPE_SE
	v_readfirstlane_b32 s6, v8
	v_readfirstlane_b32 s7, v9
	s_and_saveexec_b32 s12, s3
; %bb.108:                              ;   in Loop: Header=BB111_36 Depth=1
	ds_store_b16 v43, v3
; %bb.109:                              ;   in Loop: Header=BB111_36 Depth=1
	s_wait_alu 0xfffe
	s_or_b32 exec_lo, exec_lo, s12
	v_and_b32_e32 v47, s20, v47
	v_or_b32_e32 v50, s16, v50
	s_mov_b32 s21, -1
	s_mov_b32 s22, 0
	s_cmp_eq_u64 s[6:7], 0
	s_mov_b32 s14, 0
	s_mov_b32 s15, -1
	s_wait_loadcnt_dscnt 0x0
	s_barrier_signal -1
	s_barrier_wait -1
	global_inv scope:SCOPE_SE
                                        ; implicit-def: $vgpr51
	s_cbranch_scc1 .LBB111_123
; %bb.110:                              ;   in Loop: Header=BB111_36 Depth=1
	s_add_nc_u64 s[12:13], s[6:7], s[58:59]
	s_mov_b32 s14, s55
	s_wait_alu 0xfffe
	s_mov_b32 s15, s13
	s_wait_alu 0xfffe
	s_cmp_lg_u64 s[14:15], 0
	s_cbranch_scc0 .LBB111_164
; %bb.111:                              ;   in Loop: Header=BB111_36 Depth=1
	s_cvt_f32_u32 s14, s46
	s_sub_nc_u64 s[24:25], 0, s[46:47]
	s_wait_alu 0xfffe
	s_delay_alu instid0(SALU_CYCLE_1) | instskip(SKIP_1) | instid1(SALU_CYCLE_2)
	s_fmamk_f32 s14, s93, 0x0, s14
	s_wait_alu 0xfffe
	v_s_rcp_f32 s14, s14
	s_delay_alu instid0(TRANS32_DEP_1) | instskip(SKIP_1) | instid1(SALU_CYCLE_2)
	s_mul_f32 s14, s14, 0x5f7ffffc
	s_wait_alu 0xfffe
	s_mul_f32 s15, s14, 0x2f800000
	s_wait_alu 0xfffe
	s_delay_alu instid0(SALU_CYCLE_2) | instskip(SKIP_1) | instid1(SALU_CYCLE_2)
	s_trunc_f32 s15, s15
	s_wait_alu 0xfffe
	s_fmamk_f32 s14, s15, 0xcf800000, s14
	s_cvt_u32_f32 s15, s15
	s_wait_alu 0xfffe
	s_delay_alu instid0(SALU_CYCLE_1) | instskip(SKIP_1) | instid1(SALU_CYCLE_2)
	s_cvt_u32_f32 s14, s14
	s_wait_alu 0xfffe
	s_mul_u64 s[70:71], s[24:25], s[14:15]
	s_delay_alu instid0(SALU_CYCLE_1)
	s_mul_hi_u32 s73, s14, s71
	s_mul_i32 s72, s14, s71
	s_mul_hi_u32 s54, s14, s70
	s_mul_i32 s74, s15, s70
	s_wait_alu 0xfffe
	s_add_nc_u64 s[72:73], s[54:55], s[72:73]
	s_mul_hi_u32 s23, s15, s70
	s_mul_hi_u32 s75, s15, s71
	s_wait_alu 0xfffe
	s_add_co_u32 s54, s72, s74
	s_add_co_ci_u32 s54, s73, s23
	s_mul_i32 s70, s15, s71
	s_add_co_ci_u32 s71, s75, 0
	s_wait_alu 0xfffe
	s_add_nc_u64 s[70:71], s[54:55], s[70:71]
	s_delay_alu instid0(SALU_CYCLE_1) | instskip(SKIP_1) | instid1(SALU_CYCLE_1)
	s_add_co_u32 s14, s14, s70
	s_cselect_b32 s23, -1, 0
	s_cmp_lg_u32 s23, 0
	s_add_co_ci_u32 s15, s15, s71
	s_wait_alu 0xfffe
	s_mul_u64 s[24:25], s[24:25], s[14:15]
	s_delay_alu instid0(SALU_CYCLE_1)
	s_mul_hi_u32 s71, s14, s25
	s_mul_i32 s70, s14, s25
	s_mul_hi_u32 s54, s14, s24
	s_mul_i32 s72, s15, s24
	s_wait_alu 0xfffe
	s_add_nc_u64 s[70:71], s[54:55], s[70:71]
	s_mul_hi_u32 s23, s15, s24
	s_mul_hi_u32 s73, s15, s25
	s_mul_i32 s24, s15, s25
	s_add_co_u32 s25, s70, s72
	s_add_co_ci_u32 s54, s71, s23
	s_wait_alu 0xfffe
	s_add_co_ci_u32 s25, s73, 0
	s_delay_alu instid0(SALU_CYCLE_1) | instskip(NEXT) | instid1(SALU_CYCLE_1)
	s_add_nc_u64 s[24:25], s[54:55], s[24:25]
	s_add_co_u32 s14, s14, s24
	s_cselect_b32 s23, -1, 0
	s_wait_alu 0xfffe
	s_mul_hi_u32 s54, s12, s14
	s_cmp_lg_u32 s23, 0
	s_mul_hi_u32 s23, s13, s14
	s_add_co_ci_u32 s24, s15, s25
	s_mul_i32 s25, s13, s14
	s_mul_hi_u32 s15, s12, s24
	s_mul_i32 s14, s12, s24
	s_mul_hi_u32 s70, s13, s24
	s_wait_alu 0xfffe
	s_add_nc_u64 s[14:15], s[54:55], s[14:15]
	s_mul_i32 s24, s13, s24
	s_wait_alu 0xfffe
	s_add_co_u32 s14, s14, s25
	s_add_co_ci_u32 s54, s15, s23
	s_add_co_ci_u32 s25, s70, 0
	s_wait_alu 0xfffe
	s_add_nc_u64 s[14:15], s[54:55], s[24:25]
	s_wait_alu 0xfffe
	s_mul_u64 s[14:15], s[46:47], s[14:15]
	s_wait_alu 0xfffe
	s_sub_co_u32 s14, s12, s14
	s_cselect_b32 s23, -1, 0
	s_delay_alu instid0(SALU_CYCLE_1) | instskip(SKIP_4) | instid1(SALU_CYCLE_1)
	s_cmp_lg_u32 s23, 0
	s_sub_co_ci_u32 s15, s13, s15
	s_wait_alu 0xfffe
	s_sub_co_u32 s23, s14, s46
	s_cselect_b32 s24, -1, 0
	s_cmp_lg_u32 s24, 0
	s_sub_co_ci_u32 s24, s15, 0
	s_sub_co_u32 s25, s23, s46
	s_cselect_b32 s54, -1, 0
	s_wait_alu 0xfffe
	s_cmp_lg_u32 s54, 0
	s_sub_co_ci_u32 s54, s24, 0
	s_cmp_ge_u32 s23, s46
	s_cselect_b32 s70, -1, 0
	s_cmp_eq_u32 s24, 0
	s_cselect_b32 s70, s70, -1
	s_delay_alu instid0(SALU_CYCLE_1)
	s_cmp_lg_u32 s70, 0
	s_wait_alu 0xfffe
	s_cselect_b32 s24, s54, s24
	s_cselect_b32 s23, s25, s23
	s_cmp_ge_u32 s14, s46
	s_cselect_b32 s25, -1, 0
	s_cmp_eq_u32 s15, 0
	s_cselect_b32 s25, s25, -1
	s_delay_alu instid0(SALU_CYCLE_1)
	s_cmp_lg_u32 s25, 0
	s_cselect_b32 s15, s24, s15
	s_cselect_b32 s14, s23, s14
	s_cbranch_execnz .LBB111_113
.LBB111_112:                            ;   in Loop: Header=BB111_36 Depth=1
	v_cvt_f32_u32_e32 v2, s46
	s_sub_co_i32 s15, 0, s46
	s_delay_alu instid0(VALU_DEP_1) | instskip(NEXT) | instid1(TRANS32_DEP_1)
	v_rcp_iflag_f32_e32 v2, v2
	v_mul_f32_e32 v2, 0x4f7ffffe, v2
	s_delay_alu instid0(VALU_DEP_1) | instskip(NEXT) | instid1(VALU_DEP_1)
	v_cvt_u32_f32_e32 v2, v2
	v_readfirstlane_b32 s14, v2
	s_wait_alu 0xfffe
	s_mul_i32 s15, s15, s14
	s_wait_alu 0xfffe
	s_mul_hi_u32 s15, s14, s15
	s_wait_alu 0xfffe
	s_add_co_i32 s14, s14, s15
	s_wait_alu 0xfffe
	s_mul_hi_u32 s14, s12, s14
	s_wait_alu 0xfffe
	s_mul_i32 s14, s14, s46
	s_wait_alu 0xfffe
	s_sub_co_i32 s14, s12, s14
	s_wait_alu 0xfffe
	s_sub_co_i32 s15, s14, s46
	s_cmp_ge_u32 s14, s46
	s_wait_alu 0xfffe
	s_cselect_b32 s14, s15, s14
	s_wait_alu 0xfffe
	s_sub_co_i32 s15, s14, s46
	s_cmp_ge_u32 s14, s46
	s_wait_alu 0xfffe
	s_cselect_b32 s54, s15, s14
	s_wait_alu 0xfffe
	s_mov_b64 s[14:15], s[54:55]
.LBB111_113:                            ;   in Loop: Header=BB111_36 Depth=1
	s_wait_alu 0xfffe
	s_sub_nc_u64 s[12:13], s[12:13], s[14:15]
	s_mov_b32 s15, 0
	s_mov_b32 s14, 0
	s_mov_b32 s23, exec_lo
                                        ; implicit-def: $vgpr51
	s_wait_alu 0xfffe
	v_cmpx_gt_u64_e64 s[12:13], v[0:1]
	s_cbranch_execz .LBB111_122
; %bb.114:                              ;   in Loop: Header=BB111_36 Depth=1
	v_dual_mov_b32 v2, v42 :: v_dual_mov_b32 v9, v1
	v_mov_b32_e32 v8, v0
                                        ; implicit-def: $sgpr24
	s_branch .LBB111_117
.LBB111_115:                            ;   in Loop: Header=BB111_117 Depth=2
	s_or_b32 exec_lo, exec_lo, s25
	s_wait_loadcnt_dscnt 0x0
	s_barrier_signal -1
	s_barrier_wait -1
	global_inv scope:SCOPE_SE
	ds_load_b32 v10, v3 offset:3072
	s_mov_b32 s25, -1
	s_mov_b32 s54, -1
	s_wait_loadcnt_dscnt 0x0
	s_barrier_signal -1
	s_barrier_wait -1
	global_inv scope:SCOPE_SE
	v_and_b32_e32 v11, 0xffff, v10
	s_delay_alu instid0(VALU_DEP_1)
	v_cmp_ne_u32_e32 vcc_lo, 0, v11
	s_cbranch_vccz .LBB111_120
.LBB111_116:                            ;   in Loop: Header=BB111_117 Depth=2
	s_and_b32 s25, exec_lo, s25
	s_delay_alu instid0(SALU_CYCLE_1) | instskip(SKIP_3) | instid1(SALU_CYCLE_1)
	s_or_b32 s14, s25, s14
	s_and_not1_b32 s24, s24, exec_lo
	s_wait_alu 0xfffe
	s_and_b32 s25, s54, exec_lo
	s_or_b32 s24, s24, s25
	s_and_not1_b32 exec_lo, exec_lo, s14
	s_cbranch_execz .LBB111_121
.LBB111_117:                            ;   Parent Loop BB111_36 Depth=1
                                        ; =>  This Inner Loop Header: Depth=2
	s_mov_b32 s25, exec_lo
	s_delay_alu instid0(VALU_DEP_1)
	v_cmpx_gt_u64_e64 s[6:7], v[8:9]
	s_cbranch_execz .LBB111_115
; %bb.118:                              ;   in Loop: Header=BB111_117 Depth=2
	ds_load_u16 v10, v2
	s_wait_dscnt 0x0
	v_bfe_i32 v11, v10, 0, 16
	s_delay_alu instid0(VALU_DEP_1) | instskip(NEXT) | instid1(VALU_DEP_1)
	v_add_nc_u32_e32 v11, 0x8000, v11
	v_and_b32_e32 v11, v11, v50
	s_delay_alu instid0(VALU_DEP_1)
	v_cmp_eq_u32_e32 vcc_lo, v11, v47
	s_and_b32 exec_lo, exec_lo, vcc_lo
	s_cbranch_execz .LBB111_115
; %bb.119:                              ;   in Loop: Header=BB111_117 Depth=2
	v_perm_b32 v10, v10, 1, 0x5040100
	ds_store_b32 v3, v10 offset:3072
	s_branch .LBB111_115
.LBB111_120:                            ;   in Loop: Header=BB111_117 Depth=2
	v_add_co_u32 v8, vcc_lo, v8, s46
	s_wait_alu 0xfffd
	v_add_co_ci_u32_e64 v9, null, 0, v9, vcc_lo
	v_add_nc_u32_e32 v2, s92, v2
	s_mov_b32 s54, 0
	s_delay_alu instid0(VALU_DEP_2)
	v_cmp_le_u64_e32 vcc_lo, s[12:13], v[8:9]
	s_or_not1_b32 s25, vcc_lo, exec_lo
	s_branch .LBB111_116
.LBB111_121:                            ;   in Loop: Header=BB111_36 Depth=1
	s_or_b32 exec_lo, exec_lo, s14
	v_lshrrev_b32_e32 v51, 16, v10
	s_and_b32 s14, s24, exec_lo
.LBB111_122:                            ;   in Loop: Header=BB111_36 Depth=1
	s_or_b32 exec_lo, exec_lo, s23
.LBB111_123:                            ;   in Loop: Header=BB111_36 Depth=1
	s_wait_alu 0xfffe
	s_and_b32 vcc_lo, exec_lo, s15
	s_wait_alu 0xfffe
	s_cbranch_vccz .LBB111_137
; %bb.124:                              ;   in Loop: Header=BB111_36 Depth=1
	s_mov_b32 s6, s55
	s_mov_b32 s7, s61
	s_wait_alu 0xfffe
	s_cmp_lg_u64 s[6:7], 0
	s_cbranch_scc0 .LBB111_168
; %bb.125:                              ;   in Loop: Header=BB111_36 Depth=1
	s_cvt_f32_u32 s6, s46
	s_sub_nc_u64 s[12:13], 0, s[46:47]
	s_wait_alu 0xfffe
	s_delay_alu instid0(SALU_CYCLE_1) | instskip(SKIP_1) | instid1(SALU_CYCLE_2)
	s_fmamk_f32 s6, s93, 0x0, s6
	s_wait_alu 0xfffe
	v_s_rcp_f32 s6, s6
	s_delay_alu instid0(TRANS32_DEP_1) | instskip(SKIP_1) | instid1(SALU_CYCLE_2)
	s_mul_f32 s6, s6, 0x5f7ffffc
	s_wait_alu 0xfffe
	s_mul_f32 s7, s6, 0x2f800000
	s_wait_alu 0xfffe
	s_delay_alu instid0(SALU_CYCLE_2) | instskip(SKIP_1) | instid1(SALU_CYCLE_2)
	s_trunc_f32 s7, s7
	s_wait_alu 0xfffe
	s_fmamk_f32 s6, s7, 0xcf800000, s6
	s_cvt_u32_f32 s7, s7
	s_wait_alu 0xfffe
	s_delay_alu instid0(SALU_CYCLE_1) | instskip(SKIP_1) | instid1(SALU_CYCLE_2)
	s_cvt_u32_f32 s6, s6
	s_wait_alu 0xfffe
	s_mul_u64 s[22:23], s[12:13], s[6:7]
	s_delay_alu instid0(SALU_CYCLE_1)
	s_mul_hi_u32 s25, s6, s23
	s_mul_i32 s24, s6, s23
	s_mul_hi_u32 s54, s6, s22
	s_mul_i32 s21, s7, s22
	s_wait_alu 0xfffe
	s_add_nc_u64 s[24:25], s[54:55], s[24:25]
	s_mul_hi_u32 s15, s7, s22
	s_mul_hi_u32 s70, s7, s23
	s_add_co_u32 s21, s24, s21
	s_wait_alu 0xfffe
	s_add_co_ci_u32 s54, s25, s15
	s_mul_i32 s22, s7, s23
	s_add_co_ci_u32 s23, s70, 0
	s_wait_alu 0xfffe
	s_add_nc_u64 s[22:23], s[54:55], s[22:23]
	s_delay_alu instid0(SALU_CYCLE_1)
	s_add_co_u32 s6, s6, s22
	s_cselect_b32 s15, -1, 0
	s_wait_alu 0xfffe
	s_cmp_lg_u32 s15, 0
	s_add_co_ci_u32 s7, s7, s23
	s_wait_alu 0xfffe
	s_mul_u64 s[12:13], s[12:13], s[6:7]
	s_wait_alu 0xfffe
	s_mul_hi_u32 s23, s6, s13
	s_mul_i32 s22, s6, s13
	s_mul_hi_u32 s54, s6, s12
	s_mul_i32 s21, s7, s12
	s_wait_alu 0xfffe
	s_add_nc_u64 s[22:23], s[54:55], s[22:23]
	s_mul_hi_u32 s15, s7, s12
	s_mul_hi_u32 s24, s7, s13
	s_mul_i32 s12, s7, s13
	s_add_co_u32 s13, s22, s21
	s_wait_alu 0xfffe
	s_add_co_ci_u32 s54, s23, s15
	s_add_co_ci_u32 s13, s24, 0
	s_wait_alu 0xfffe
	s_add_nc_u64 s[12:13], s[54:55], s[12:13]
	s_wait_alu 0xfffe
	s_add_co_u32 s6, s6, s12
	s_cselect_b32 s12, -1, 0
	s_wait_alu 0xfffe
	s_mul_hi_u32 s54, s60, s6
	s_cmp_lg_u32 s12, 0
	s_mul_hi_u32 s15, s61, s6
	s_add_co_ci_u32 s12, s7, s13
	s_mul_i32 s13, s61, s6
	s_wait_alu 0xfffe
	s_mul_hi_u32 s7, s60, s12
	s_mul_i32 s6, s60, s12
	s_mul_hi_u32 s21, s61, s12
	s_wait_alu 0xfffe
	s_add_nc_u64 s[6:7], s[54:55], s[6:7]
	s_mul_i32 s12, s61, s12
	s_wait_alu 0xfffe
	s_add_co_u32 s6, s6, s13
	s_add_co_ci_u32 s54, s7, s15
	s_add_co_ci_u32 s13, s21, 0
	s_wait_alu 0xfffe
	s_add_nc_u64 s[6:7], s[54:55], s[12:13]
	s_wait_alu 0xfffe
	s_mul_u64 s[6:7], s[46:47], s[6:7]
	s_wait_alu 0xfffe
	s_sub_co_u32 s6, s60, s6
	s_cselect_b32 s12, -1, 0
	s_wait_alu 0xfffe
	s_cmp_lg_u32 s12, 0
	s_sub_co_ci_u32 s7, s61, s7
	s_sub_co_u32 s12, s6, s46
	s_cselect_b32 s13, -1, 0
	s_wait_alu 0xfffe
	s_cmp_lg_u32 s13, 0
	s_sub_co_ci_u32 s13, s7, 0
	;; [unrolled: 5-line block ×3, first 2 shown]
	s_cmp_ge_u32 s12, s46
	s_cselect_b32 s22, -1, 0
	s_cmp_eq_u32 s13, 0
	s_cselect_b32 s22, s22, -1
	s_delay_alu instid0(SALU_CYCLE_1)
	s_cmp_lg_u32 s22, 0
	s_wait_alu 0xfffe
	s_cselect_b32 s13, s21, s13
	s_cselect_b32 s12, s15, s12
	s_cmp_ge_u32 s6, s46
	s_cselect_b32 s15, -1, 0
	s_cmp_eq_u32 s7, 0
	s_wait_alu 0xfffe
	s_cselect_b32 s15, s15, -1
	s_wait_alu 0xfffe
	s_cmp_lg_u32 s15, 0
	s_cselect_b32 s7, s13, s7
	s_cselect_b32 s6, s12, s6
	s_cbranch_execnz .LBB111_127
.LBB111_126:                            ;   in Loop: Header=BB111_36 Depth=1
	v_cvt_f32_u32_e32 v2, s46
	s_sub_co_i32 s7, 0, s46
	s_delay_alu instid0(VALU_DEP_1) | instskip(NEXT) | instid1(TRANS32_DEP_1)
	v_rcp_iflag_f32_e32 v2, v2
	v_mul_f32_e32 v2, 0x4f7ffffe, v2
	s_delay_alu instid0(VALU_DEP_1) | instskip(NEXT) | instid1(VALU_DEP_1)
	v_cvt_u32_f32_e32 v2, v2
	v_readfirstlane_b32 s6, v2
	s_wait_alu 0xfffe
	s_mul_i32 s7, s7, s6
	s_wait_alu 0xfffe
	s_mul_hi_u32 s7, s6, s7
	s_wait_alu 0xfffe
	s_add_co_i32 s6, s6, s7
	s_wait_alu 0xfffe
	s_mul_hi_u32 s6, s60, s6
	s_wait_alu 0xfffe
	s_mul_i32 s6, s6, s46
	s_wait_alu 0xfffe
	s_sub_co_i32 s6, s60, s6
	s_wait_alu 0xfffe
	s_sub_co_i32 s7, s6, s46
	s_cmp_ge_u32 s6, s46
	s_wait_alu 0xfffe
	s_cselect_b32 s6, s7, s6
	s_wait_alu 0xfffe
	s_sub_co_i32 s7, s6, s46
	s_cmp_ge_u32 s6, s46
	s_wait_alu 0xfffe
	s_cselect_b32 s54, s7, s6
	s_wait_alu 0xfffe
	s_mov_b64 s[6:7], s[54:55]
.LBB111_127:                            ;   in Loop: Header=BB111_36 Depth=1
	s_wait_alu 0xfffe
	s_sub_nc_u64 s[12:13], s[60:61], s[6:7]
	s_mov_b32 s7, exec_lo
                                        ; implicit-def: $vgpr51
	s_wait_alu 0xfffe
	v_cmpx_gt_u64_e64 s[12:13], v[0:1]
	s_cbranch_execz .LBB111_136
; %bb.128:                              ;   in Loop: Header=BB111_36 Depth=1
	v_dual_mov_b32 v8, v14 :: v_dual_mov_b32 v9, v15
	v_dual_mov_b32 v11, v1 :: v_dual_mov_b32 v10, v0
	s_mov_b32 s15, 0
                                        ; implicit-def: $sgpr21
	s_branch .LBB111_131
.LBB111_129:                            ;   in Loop: Header=BB111_131 Depth=2
	s_wait_alu 0xfffe
	s_or_b32 exec_lo, exec_lo, s6
	s_wait_loadcnt_dscnt 0x0
	s_barrier_signal -1
	s_barrier_wait -1
	global_inv scope:SCOPE_SE
	ds_load_b32 v2, v3 offset:3072
	s_mov_b32 s6, -1
	s_mov_b32 s22, -1
	s_wait_loadcnt_dscnt 0x0
	s_barrier_signal -1
	s_barrier_wait -1
	global_inv scope:SCOPE_SE
	v_and_b32_e32 v31, 0xffff, v2
	s_delay_alu instid0(VALU_DEP_1)
	v_cmp_ne_u32_e32 vcc_lo, 0, v31
	s_cbranch_vccz .LBB111_134
.LBB111_130:                            ;   in Loop: Header=BB111_131 Depth=2
	s_wait_alu 0xfffe
	s_and_b32 s6, exec_lo, s6
	s_wait_alu 0xfffe
	s_or_b32 s15, s6, s15
	s_and_not1_b32 s6, s21, exec_lo
	s_and_b32 s21, s22, exec_lo
	s_wait_alu 0xfffe
	s_or_b32 s21, s6, s21
	s_and_not1_b32 exec_lo, exec_lo, s15
	s_cbranch_execz .LBB111_135
.LBB111_131:                            ;   Parent Loop BB111_36 Depth=1
                                        ; =>  This Inner Loop Header: Depth=2
	s_mov_b32 s6, exec_lo
	s_delay_alu instid0(VALU_DEP_1)
	v_cmpx_gt_u64_e64 s[28:29], v[10:11]
	s_cbranch_execz .LBB111_129
; %bb.132:                              ;   in Loop: Header=BB111_131 Depth=2
	global_load_u16 v2, v[8:9], off
	s_wait_loadcnt 0x0
	v_bfe_i32 v31, v2, 0, 16
	s_delay_alu instid0(VALU_DEP_1) | instskip(NEXT) | instid1(VALU_DEP_1)
	v_add_nc_u32_e32 v31, 0x8000, v31
	v_and_b32_e32 v31, v31, v50
	s_delay_alu instid0(VALU_DEP_1)
	v_cmp_eq_u32_e32 vcc_lo, v31, v47
	s_and_b32 exec_lo, exec_lo, vcc_lo
	s_cbranch_execz .LBB111_129
; %bb.133:                              ;   in Loop: Header=BB111_131 Depth=2
	v_perm_b32 v2, v2, 1, 0x5040100
	ds_store_b32 v3, v2 offset:3072
	s_branch .LBB111_129
.LBB111_134:                            ;   in Loop: Header=BB111_131 Depth=2
	v_add_co_u32 v10, vcc_lo, v10, s46
	s_wait_alu 0xfffd
	v_add_co_ci_u32_e64 v11, null, 0, v11, vcc_lo
	v_add_co_u32 v8, s6, v8, s56
	s_wait_alu 0xf1fe
	v_add_co_ci_u32_e64 v9, null, s57, v9, s6
	s_delay_alu instid0(VALU_DEP_3)
	v_cmp_le_u64_e32 vcc_lo, s[12:13], v[10:11]
	s_mov_b32 s22, 0
	s_or_not1_b32 s6, vcc_lo, exec_lo
	s_branch .LBB111_130
.LBB111_135:                            ;   in Loop: Header=BB111_36 Depth=1
	s_or_b32 exec_lo, exec_lo, s15
	v_lshrrev_b32_e32 v51, 16, v2
	s_and_not1_b32 s6, s14, exec_lo
	s_wait_alu 0xfffe
	s_and_b32 s12, s21, exec_lo
	s_wait_alu 0xfffe
	s_or_b32 s14, s6, s12
.LBB111_136:                            ;   in Loop: Header=BB111_36 Depth=1
	s_or_b32 exec_lo, exec_lo, s7
	s_mov_b32 s21, 0
	s_mov_b32 s22, -1
.LBB111_137:                            ;   in Loop: Header=BB111_36 Depth=1
	s_wait_alu 0xfffe
	s_or_not1_b32 s6, s14, exec_lo
.LBB111_138:                            ;   in Loop: Header=BB111_36 Depth=1
	s_wait_alu 0xfffe
	s_or_b32 exec_lo, exec_lo, s17
	s_delay_alu instid0(SALU_CYCLE_1)
	s_and_not1_b32 s7, s101, exec_lo
	s_and_b32 s12, s22, exec_lo
	s_and_not1_b32 s13, s99, exec_lo
	s_and_b32 s14, s21, exec_lo
	s_and_not1_b32 s98, s98, exec_lo
	s_wait_alu 0xfffe
	s_or_b32 s101, s7, s12
	s_or_b32 s99, s13, s14
                                        ; implicit-def: $vgpr8_vgpr9
	s_and_saveexec_b32 s17, s6
	s_cbranch_execz .LBB111_35
; %bb.139:                              ;   in Loop: Header=BB111_36 Depth=1
	v_mov_b32_e32 v8, 1
	v_dual_mov_b32 v9, 0 :: v_dual_mov_b32 v2, 1
	s_xor_b32 s12, s19, -1
	s_mov_b32 s7, 0
	s_wait_alu 0xfffe
	s_and_saveexec_b32 s6, s12
	s_cbranch_execz .LBB111_148
; %bb.140:                              ;   in Loop: Header=BB111_36 Depth=1
	s_mov_b32 s7, exec_lo
	v_cmpx_le_u64_e64 v[29:30], v[4:5]
	s_wait_alu 0xfffe
	s_xor_b32 s7, exec_lo, s7
	s_cbranch_execz .LBB111_145
; %bb.141:                              ;   in Loop: Header=BB111_36 Depth=1
	ds_load_b64 v[8:9], v3 offset:5120
	v_and_b32_e32 v47, s20, v47
	v_or_b32_e32 v50, s16, v50
	s_wait_dscnt 0x0
	v_cmp_ne_u64_e32 vcc_lo, 0, v[8:9]
	s_cbranch_vccnz .LBB111_145
; %bb.142:                              ;   in Loop: Header=BB111_36 Depth=1
	s_and_saveexec_b32 s12, s2
; %bb.143:                              ;   in Loop: Header=BB111_36 Depth=1
	ds_store_b64 v3, v[4:5] offset:5128
; %bb.144:                              ;   in Loop: Header=BB111_36 Depth=1
	s_wait_alu 0xfffe
	s_or_b32 exec_lo, exec_lo, s12
	s_wait_loadcnt_dscnt 0x0
	s_barrier_signal -1
	s_barrier_wait -1
	global_inv scope:SCOPE_SE
.LBB111_145:                            ;   in Loop: Header=BB111_36 Depth=1
	s_wait_alu 0xfffe
	s_or_saveexec_b32 s7, s7
	v_mov_b32_e32 v2, 8
	s_mov_b32 s12, 0
	s_wait_alu 0xfffe
	s_xor_b32 exec_lo, exec_lo, s7
; %bb.146:                              ;   in Loop: Header=BB111_36 Depth=1
	v_sub_co_u32 v29, vcc_lo, v29, v4
	s_wait_alu 0xfffd
	v_sub_co_ci_u32_e64 v30, null, v30, v5, vcc_lo
	v_mov_b32_e32 v2, 0
	s_mov_b32 s12, exec_lo
; %bb.147:                              ;   in Loop: Header=BB111_36 Depth=1
	s_or_b32 exec_lo, exec_lo, s7
	s_delay_alu instid0(VALU_DEP_2)
	v_dual_mov_b32 v8, v29 :: v_dual_mov_b32 v9, v30
	s_wait_alu 0xfffe
	s_and_b32 s7, s12, exec_lo
.LBB111_148:                            ;   in Loop: Header=BB111_36 Depth=1
	s_wait_alu 0xfffe
	s_or_b32 exec_lo, exec_lo, s6
	s_mov_b32 s18, -1
	s_mov_b32 s6, -1
                                        ; implicit-def: $sgpr21
                                        ; implicit-def: $sgpr22
	s_and_saveexec_b32 s12, s7
	s_wait_alu 0xfffe
	s_xor_b32 s19, exec_lo, s12
	s_cbranch_execz .LBB111_293
; %bb.149:                              ;   in Loop: Header=BB111_36 Depth=1
	v_cmp_eq_u64_e32 vcc_lo, 1, v[6:7]
	v_cmp_eq_u64_e64 s6, 1, v[8:9]
                                        ; implicit-def: $sgpr22
                                        ; implicit-def: $sgpr21
	s_and_b32 s24, vcc_lo, s6
	s_mov_b32 s6, -1
	s_and_saveexec_b32 s23, s24
	s_cbranch_execz .LBB111_186
; %bb.150:                              ;   in Loop: Header=BB111_36 Depth=1
	ds_load_b64 v[4:5], v3 offset:5120
	s_wait_loadcnt_dscnt 0x0
	s_barrier_signal -1
	s_barrier_wait -1
	global_inv scope:SCOPE_SE
	v_readfirstlane_b32 s6, v4
	v_readfirstlane_b32 s7, v5
	s_and_saveexec_b32 s12, s3
; %bb.151:                              ;   in Loop: Header=BB111_36 Depth=1
	ds_store_b16 v43, v3
; %bb.152:                              ;   in Loop: Header=BB111_36 Depth=1
	s_wait_alu 0xfffe
	s_or_b32 exec_lo, exec_lo, s12
	s_lshl_b32 s12, 1, s94
	v_or_b32_e32 v50, s16, v50
	s_wait_alu 0xfffe
	v_and_or_b32 v47, v47, s20, s12
	s_mov_b32 s21, -1
	s_mov_b32 s22, 0
	s_cmp_eq_u64 s[6:7], 0
	s_mov_b32 s14, 0
	s_mov_b32 s15, -1
	s_wait_loadcnt_dscnt 0x0
	s_barrier_signal -1
	s_barrier_wait -1
	global_inv scope:SCOPE_SE
                                        ; implicit-def: $vgpr51
	s_cbranch_scc1 .LBB111_171
; %bb.153:                              ;   in Loop: Header=BB111_36 Depth=1
	s_add_nc_u64 s[12:13], s[6:7], s[58:59]
	s_mov_b32 s14, s55
	s_wait_alu 0xfffe
	s_mov_b32 s15, s13
	s_wait_alu 0xfffe
	s_cmp_lg_u64 s[14:15], 0
	s_cbranch_scc0 .LBB111_213
; %bb.154:                              ;   in Loop: Header=BB111_36 Depth=1
	s_cvt_f32_u32 s14, s46
	s_sub_nc_u64 s[70:71], 0, s[46:47]
	s_wait_alu 0xfffe
	s_delay_alu instid0(SALU_CYCLE_1) | instskip(SKIP_1) | instid1(SALU_CYCLE_2)
	s_fmamk_f32 s14, s93, 0x0, s14
	s_wait_alu 0xfffe
	v_s_rcp_f32 s14, s14
	s_delay_alu instid0(TRANS32_DEP_1) | instskip(SKIP_1) | instid1(SALU_CYCLE_2)
	s_mul_f32 s14, s14, 0x5f7ffffc
	s_wait_alu 0xfffe
	s_mul_f32 s15, s14, 0x2f800000
	s_wait_alu 0xfffe
	s_delay_alu instid0(SALU_CYCLE_2) | instskip(SKIP_1) | instid1(SALU_CYCLE_2)
	s_trunc_f32 s15, s15
	s_wait_alu 0xfffe
	s_fmamk_f32 s14, s15, 0xcf800000, s14
	s_cvt_u32_f32 s15, s15
	s_wait_alu 0xfffe
	s_delay_alu instid0(SALU_CYCLE_1) | instskip(SKIP_1) | instid1(SALU_CYCLE_2)
	s_cvt_u32_f32 s14, s14
	s_wait_alu 0xfffe
	s_mul_u64 s[72:73], s[70:71], s[14:15]
	s_wait_alu 0xfffe
	s_mul_hi_u32 s75, s14, s73
	s_mul_i32 s74, s14, s73
	s_mul_hi_u32 s54, s14, s72
	s_mul_i32 s76, s15, s72
	s_wait_alu 0xfffe
	s_add_nc_u64 s[74:75], s[54:55], s[74:75]
	s_mul_hi_u32 s25, s15, s72
	s_mul_hi_u32 s77, s15, s73
	s_wait_alu 0xfffe
	s_add_co_u32 s54, s74, s76
	s_add_co_ci_u32 s54, s75, s25
	s_mul_i32 s72, s15, s73
	s_add_co_ci_u32 s73, s77, 0
	s_wait_alu 0xfffe
	s_add_nc_u64 s[72:73], s[54:55], s[72:73]
	s_wait_alu 0xfffe
	s_add_co_u32 s14, s14, s72
	s_cselect_b32 s25, -1, 0
	s_delay_alu instid0(SALU_CYCLE_1) | instskip(SKIP_3) | instid1(SALU_CYCLE_1)
	s_cmp_lg_u32 s25, 0
	s_add_co_ci_u32 s15, s15, s73
	s_wait_alu 0xfffe
	s_mul_u64 s[70:71], s[70:71], s[14:15]
	s_mul_hi_u32 s73, s14, s71
	s_mul_i32 s72, s14, s71
	s_mul_hi_u32 s54, s14, s70
	s_mul_i32 s74, s15, s70
	s_wait_alu 0xfffe
	s_add_nc_u64 s[72:73], s[54:55], s[72:73]
	s_mul_hi_u32 s25, s15, s70
	s_mul_hi_u32 s75, s15, s71
	s_wait_alu 0xfffe
	s_add_co_u32 s54, s72, s74
	s_add_co_ci_u32 s54, s73, s25
	s_mul_i32 s70, s15, s71
	s_add_co_ci_u32 s71, s75, 0
	s_wait_alu 0xfffe
	s_add_nc_u64 s[70:71], s[54:55], s[70:71]
	s_delay_alu instid0(SALU_CYCLE_1)
	s_add_co_u32 s14, s14, s70
	s_cselect_b32 s25, -1, 0
	s_wait_alu 0xfffe
	s_mul_hi_u32 s54, s12, s14
	s_cmp_lg_u32 s25, 0
	s_mul_hi_u32 s25, s13, s14
	s_add_co_ci_u32 s70, s15, s71
	s_mul_i32 s71, s13, s14
	s_mul_hi_u32 s15, s12, s70
	s_mul_i32 s14, s12, s70
	s_mul_hi_u32 s72, s13, s70
	s_wait_alu 0xfffe
	s_add_nc_u64 s[14:15], s[54:55], s[14:15]
	s_mul_i32 s70, s13, s70
	s_wait_alu 0xfffe
	s_add_co_u32 s14, s14, s71
	s_add_co_ci_u32 s54, s15, s25
	s_add_co_ci_u32 s71, s72, 0
	s_wait_alu 0xfffe
	s_add_nc_u64 s[14:15], s[54:55], s[70:71]
	s_wait_alu 0xfffe
	s_mul_u64 s[14:15], s[46:47], s[14:15]
	s_wait_alu 0xfffe
	s_sub_co_u32 s14, s12, s14
	s_cselect_b32 s25, -1, 0
	s_delay_alu instid0(SALU_CYCLE_1)
	s_cmp_lg_u32 s25, 0
	s_sub_co_ci_u32 s15, s13, s15
	s_wait_alu 0xfffe
	s_sub_co_u32 s25, s14, s46
	s_cselect_b32 s54, -1, 0
	s_wait_alu 0xfffe
	s_cmp_lg_u32 s54, 0
	s_sub_co_ci_u32 s54, s15, 0
	s_sub_co_u32 s70, s25, s46
	s_cselect_b32 s71, -1, 0
	s_delay_alu instid0(SALU_CYCLE_1)
	s_cmp_lg_u32 s71, 0
	s_wait_alu 0xfffe
	s_sub_co_ci_u32 s71, s54, 0
	s_cmp_ge_u32 s25, s46
	s_cselect_b32 s72, -1, 0
	s_cmp_eq_u32 s54, 0
	s_wait_alu 0xfffe
	s_cselect_b32 s72, s72, -1
	s_wait_alu 0xfffe
	s_cmp_lg_u32 s72, 0
	s_cselect_b32 s54, s71, s54
	s_cselect_b32 s25, s70, s25
	s_cmp_ge_u32 s14, s46
	s_cselect_b32 s70, -1, 0
	s_cmp_eq_u32 s15, 0
	s_cselect_b32 s70, s70, -1
	s_delay_alu instid0(SALU_CYCLE_1)
	s_cmp_lg_u32 s70, 0
	s_wait_alu 0xfffe
	s_cselect_b32 s15, s54, s15
	s_cselect_b32 s14, s25, s14
	s_cbranch_execnz .LBB111_156
.LBB111_155:                            ;   in Loop: Header=BB111_36 Depth=1
	v_cvt_f32_u32_e32 v4, s46
	s_sub_co_i32 s15, 0, s46
	s_delay_alu instid0(VALU_DEP_1) | instskip(NEXT) | instid1(TRANS32_DEP_1)
	v_rcp_iflag_f32_e32 v4, v4
	v_mul_f32_e32 v4, 0x4f7ffffe, v4
	s_delay_alu instid0(VALU_DEP_1) | instskip(NEXT) | instid1(VALU_DEP_1)
	v_cvt_u32_f32_e32 v4, v4
	v_readfirstlane_b32 s14, v4
	s_wait_alu 0xfffe
	s_mul_i32 s15, s15, s14
	s_wait_alu 0xfffe
	s_mul_hi_u32 s15, s14, s15
	s_wait_alu 0xfffe
	s_add_co_i32 s14, s14, s15
	s_wait_alu 0xfffe
	s_mul_hi_u32 s14, s12, s14
	s_wait_alu 0xfffe
	s_mul_i32 s14, s14, s46
	s_wait_alu 0xfffe
	s_sub_co_i32 s14, s12, s14
	s_wait_alu 0xfffe
	s_sub_co_i32 s15, s14, s46
	s_cmp_ge_u32 s14, s46
	s_wait_alu 0xfffe
	s_cselect_b32 s14, s15, s14
	s_wait_alu 0xfffe
	s_sub_co_i32 s15, s14, s46
	s_cmp_ge_u32 s14, s46
	s_wait_alu 0xfffe
	s_cselect_b32 s54, s15, s14
	s_wait_alu 0xfffe
	s_mov_b64 s[14:15], s[54:55]
.LBB111_156:                            ;   in Loop: Header=BB111_36 Depth=1
	s_wait_alu 0xfffe
	s_sub_nc_u64 s[12:13], s[12:13], s[14:15]
	s_mov_b32 s15, 0
	s_mov_b32 s14, 0
	s_mov_b32 s25, exec_lo
                                        ; implicit-def: $vgpr51
	s_wait_alu 0xfffe
	v_cmpx_gt_u64_e64 s[12:13], v[0:1]
	s_cbranch_execz .LBB111_170
; %bb.157:                              ;   in Loop: Header=BB111_36 Depth=1
	v_dual_mov_b32 v10, v42 :: v_dual_mov_b32 v5, v1
	v_mov_b32_e32 v4, v0
                                        ; implicit-def: $sgpr54
	s_branch .LBB111_160
.LBB111_158:                            ;   in Loop: Header=BB111_160 Depth=2
	s_or_b32 exec_lo, exec_lo, s70
	s_wait_loadcnt_dscnt 0x0
	s_barrier_signal -1
	s_barrier_wait -1
	global_inv scope:SCOPE_SE
	ds_load_b32 v11, v3 offset:3072
	s_mov_b32 s70, -1
	s_mov_b32 s71, -1
	s_wait_loadcnt_dscnt 0x0
	s_barrier_signal -1
	s_barrier_wait -1
	global_inv scope:SCOPE_SE
	v_and_b32_e32 v29, 0xffff, v11
	s_delay_alu instid0(VALU_DEP_1)
	v_cmp_ne_u32_e32 vcc_lo, 0, v29
	s_cbranch_vccz .LBB111_163
.LBB111_159:                            ;   in Loop: Header=BB111_160 Depth=2
	s_and_b32 s70, exec_lo, s70
	s_delay_alu instid0(SALU_CYCLE_1)
	s_or_b32 s14, s70, s14
	s_wait_alu 0xfffe
	s_and_not1_b32 s54, s54, exec_lo
	s_and_b32 s70, s71, exec_lo
	s_wait_alu 0xfffe
	s_or_b32 s54, s54, s70
	s_and_not1_b32 exec_lo, exec_lo, s14
	s_cbranch_execz .LBB111_169
.LBB111_160:                            ;   Parent Loop BB111_36 Depth=1
                                        ; =>  This Inner Loop Header: Depth=2
	s_mov_b32 s70, exec_lo
	s_delay_alu instid0(VALU_DEP_1)
	v_cmpx_gt_u64_e64 s[6:7], v[4:5]
	s_cbranch_execz .LBB111_158
; %bb.161:                              ;   in Loop: Header=BB111_160 Depth=2
	ds_load_u16 v11, v10
	s_wait_dscnt 0x0
	v_bfe_i32 v29, v11, 0, 16
	s_delay_alu instid0(VALU_DEP_1) | instskip(NEXT) | instid1(VALU_DEP_1)
	v_add_nc_u32_e32 v29, 0x8000, v29
	v_and_b32_e32 v29, v29, v50
	s_delay_alu instid0(VALU_DEP_1)
	v_cmp_eq_u32_e32 vcc_lo, v29, v47
	s_and_b32 exec_lo, exec_lo, vcc_lo
	s_cbranch_execz .LBB111_158
; %bb.162:                              ;   in Loop: Header=BB111_160 Depth=2
	v_perm_b32 v11, v11, 1, 0x5040100
	ds_store_b32 v3, v11 offset:3072
	s_branch .LBB111_158
.LBB111_163:                            ;   in Loop: Header=BB111_160 Depth=2
	v_add_co_u32 v4, vcc_lo, v4, s46
	s_wait_alu 0xfffd
	v_add_co_ci_u32_e64 v5, null, 0, v5, vcc_lo
	v_add_nc_u32_e32 v10, s92, v10
	s_mov_b32 s71, 0
	s_delay_alu instid0(VALU_DEP_2)
	v_cmp_le_u64_e32 vcc_lo, s[12:13], v[4:5]
	s_or_not1_b32 s70, vcc_lo, exec_lo
	s_branch .LBB111_159
.LBB111_164:                            ;   in Loop: Header=BB111_36 Depth=1
                                        ; implicit-def: $sgpr14_sgpr15
	s_branch .LBB111_112
.LBB111_165:                            ;   in Loop: Header=BB111_36 Depth=1
	s_or_b32 exec_lo, exec_lo, s9
	s_wait_dscnt 0x0
	s_barrier_signal -1
	s_barrier_wait -1
	global_inv scope:SCOPE_SE
	s_and_saveexec_b32 s6, s2
	s_cbranch_execz .LBB111_167
; %bb.166:                              ;   in Loop: Header=BB111_36 Depth=1
	ds_load_b32 v4, v3 offset:5144
	s_wait_dscnt 0x0
	v_ashrrev_i32_e32 v5, 31, v4
	ds_store_b64 v3, v[4:5] offset:5120
.LBB111_167:                            ;   in Loop: Header=BB111_36 Depth=1
	s_wait_alu 0xfffe
	s_or_b32 exec_lo, exec_lo, s6
	s_wait_loadcnt_dscnt 0x0
	s_barrier_signal -1
	s_mov_b32 s6, -1
	s_barrier_wait -1
	s_and_b32 vcc_lo, exec_lo, s8
	s_wait_alu 0xfffe
	s_cbranch_vccnz .LBB111_51
	s_branch .LBB111_66
.LBB111_168:                            ;   in Loop: Header=BB111_36 Depth=1
                                        ; implicit-def: $sgpr6_sgpr7
	s_branch .LBB111_126
.LBB111_169:                            ;   in Loop: Header=BB111_36 Depth=1
	s_or_b32 exec_lo, exec_lo, s14
	v_lshrrev_b32_e32 v51, 16, v11
	s_wait_alu 0xfffe
	s_and_b32 s14, s54, exec_lo
.LBB111_170:                            ;   in Loop: Header=BB111_36 Depth=1
	s_or_b32 exec_lo, exec_lo, s25
.LBB111_171:                            ;   in Loop: Header=BB111_36 Depth=1
	s_wait_alu 0xfffe
	s_and_b32 vcc_lo, exec_lo, s15
	s_wait_alu 0xfffe
	s_cbranch_vccz .LBB111_185
; %bb.172:                              ;   in Loop: Header=BB111_36 Depth=1
	s_mov_b32 s6, s55
	s_mov_b32 s7, s61
	s_wait_alu 0xfffe
	s_cmp_lg_u64 s[6:7], 0
	s_cbranch_scc0 .LBB111_214
; %bb.173:                              ;   in Loop: Header=BB111_36 Depth=1
	s_cvt_f32_u32 s6, s46
	s_sub_nc_u64 s[12:13], 0, s[46:47]
	s_wait_alu 0xfffe
	s_delay_alu instid0(SALU_CYCLE_1) | instskip(SKIP_1) | instid1(SALU_CYCLE_2)
	s_fmamk_f32 s6, s93, 0x0, s6
	s_wait_alu 0xfffe
	v_s_rcp_f32 s6, s6
	s_delay_alu instid0(TRANS32_DEP_1) | instskip(SKIP_1) | instid1(SALU_CYCLE_2)
	s_mul_f32 s6, s6, 0x5f7ffffc
	s_wait_alu 0xfffe
	s_mul_f32 s7, s6, 0x2f800000
	s_wait_alu 0xfffe
	s_delay_alu instid0(SALU_CYCLE_2) | instskip(SKIP_1) | instid1(SALU_CYCLE_2)
	s_trunc_f32 s7, s7
	s_wait_alu 0xfffe
	s_fmamk_f32 s6, s7, 0xcf800000, s6
	s_cvt_u32_f32 s7, s7
	s_wait_alu 0xfffe
	s_delay_alu instid0(SALU_CYCLE_1) | instskip(SKIP_1) | instid1(SALU_CYCLE_2)
	s_cvt_u32_f32 s6, s6
	s_wait_alu 0xfffe
	s_mul_u64 s[70:71], s[12:13], s[6:7]
	s_delay_alu instid0(SALU_CYCLE_1)
	s_mul_hi_u32 s73, s6, s71
	s_mul_i32 s72, s6, s71
	s_mul_hi_u32 s54, s6, s70
	s_mul_i32 s21, s7, s70
	s_wait_alu 0xfffe
	s_add_nc_u64 s[72:73], s[54:55], s[72:73]
	s_mul_hi_u32 s15, s7, s70
	s_mul_hi_u32 s22, s7, s71
	s_wait_alu 0xfffe
	s_add_co_u32 s21, s72, s21
	s_add_co_ci_u32 s54, s73, s15
	s_mul_i32 s70, s7, s71
	s_add_co_ci_u32 s71, s22, 0
	s_wait_alu 0xfffe
	s_add_nc_u64 s[70:71], s[54:55], s[70:71]
	s_delay_alu instid0(SALU_CYCLE_1)
	s_add_co_u32 s6, s6, s70
	s_cselect_b32 s15, -1, 0
	s_wait_alu 0xfffe
	s_cmp_lg_u32 s15, 0
	s_add_co_ci_u32 s7, s7, s71
	s_wait_alu 0xfffe
	s_mul_u64 s[12:13], s[12:13], s[6:7]
	s_wait_alu 0xfffe
	s_mul_hi_u32 s71, s6, s13
	s_mul_i32 s70, s6, s13
	s_mul_hi_u32 s54, s6, s12
	s_mul_i32 s21, s7, s12
	s_wait_alu 0xfffe
	s_add_nc_u64 s[70:71], s[54:55], s[70:71]
	s_mul_hi_u32 s15, s7, s12
	s_mul_hi_u32 s22, s7, s13
	s_mul_i32 s12, s7, s13
	s_add_co_u32 s13, s70, s21
	s_wait_alu 0xfffe
	s_add_co_ci_u32 s54, s71, s15
	s_add_co_ci_u32 s13, s22, 0
	s_wait_alu 0xfffe
	s_add_nc_u64 s[12:13], s[54:55], s[12:13]
	s_wait_alu 0xfffe
	s_add_co_u32 s6, s6, s12
	s_cselect_b32 s12, -1, 0
	s_wait_alu 0xfffe
	s_mul_hi_u32 s54, s60, s6
	s_cmp_lg_u32 s12, 0
	s_mul_hi_u32 s15, s61, s6
	s_add_co_ci_u32 s12, s7, s13
	s_mul_i32 s13, s61, s6
	s_wait_alu 0xfffe
	s_mul_hi_u32 s7, s60, s12
	s_mul_i32 s6, s60, s12
	s_mul_hi_u32 s21, s61, s12
	s_wait_alu 0xfffe
	s_add_nc_u64 s[6:7], s[54:55], s[6:7]
	s_mul_i32 s12, s61, s12
	s_wait_alu 0xfffe
	s_add_co_u32 s6, s6, s13
	s_add_co_ci_u32 s54, s7, s15
	s_add_co_ci_u32 s13, s21, 0
	s_wait_alu 0xfffe
	s_add_nc_u64 s[6:7], s[54:55], s[12:13]
	s_wait_alu 0xfffe
	s_mul_u64 s[6:7], s[46:47], s[6:7]
	s_wait_alu 0xfffe
	s_sub_co_u32 s6, s60, s6
	s_cselect_b32 s12, -1, 0
	s_wait_alu 0xfffe
	s_cmp_lg_u32 s12, 0
	s_sub_co_ci_u32 s7, s61, s7
	s_sub_co_u32 s12, s6, s46
	s_cselect_b32 s13, -1, 0
	s_wait_alu 0xfffe
	s_cmp_lg_u32 s13, 0
	s_sub_co_ci_u32 s13, s7, 0
	;; [unrolled: 5-line block ×3, first 2 shown]
	s_cmp_ge_u32 s12, s46
	s_cselect_b32 s22, -1, 0
	s_cmp_eq_u32 s13, 0
	s_cselect_b32 s22, s22, -1
	s_delay_alu instid0(SALU_CYCLE_1)
	s_cmp_lg_u32 s22, 0
	s_wait_alu 0xfffe
	s_cselect_b32 s13, s21, s13
	s_cselect_b32 s12, s15, s12
	s_cmp_ge_u32 s6, s46
	s_cselect_b32 s15, -1, 0
	s_cmp_eq_u32 s7, 0
	s_wait_alu 0xfffe
	s_cselect_b32 s15, s15, -1
	s_wait_alu 0xfffe
	s_cmp_lg_u32 s15, 0
	s_cselect_b32 s7, s13, s7
	s_cselect_b32 s6, s12, s6
	s_cbranch_execnz .LBB111_175
.LBB111_174:                            ;   in Loop: Header=BB111_36 Depth=1
	v_cvt_f32_u32_e32 v4, s46
	s_sub_co_i32 s7, 0, s46
	s_delay_alu instid0(VALU_DEP_1) | instskip(NEXT) | instid1(TRANS32_DEP_1)
	v_rcp_iflag_f32_e32 v4, v4
	v_mul_f32_e32 v4, 0x4f7ffffe, v4
	s_delay_alu instid0(VALU_DEP_1) | instskip(NEXT) | instid1(VALU_DEP_1)
	v_cvt_u32_f32_e32 v4, v4
	v_readfirstlane_b32 s6, v4
	s_wait_alu 0xfffe
	s_mul_i32 s7, s7, s6
	s_wait_alu 0xfffe
	s_mul_hi_u32 s7, s6, s7
	s_wait_alu 0xfffe
	s_add_co_i32 s6, s6, s7
	s_wait_alu 0xfffe
	s_mul_hi_u32 s6, s60, s6
	s_wait_alu 0xfffe
	s_mul_i32 s6, s6, s46
	s_wait_alu 0xfffe
	s_sub_co_i32 s6, s60, s6
	s_wait_alu 0xfffe
	s_sub_co_i32 s7, s6, s46
	s_cmp_ge_u32 s6, s46
	s_wait_alu 0xfffe
	s_cselect_b32 s6, s7, s6
	s_wait_alu 0xfffe
	s_sub_co_i32 s7, s6, s46
	s_cmp_ge_u32 s6, s46
	s_wait_alu 0xfffe
	s_cselect_b32 s54, s7, s6
	s_wait_alu 0xfffe
	s_mov_b64 s[6:7], s[54:55]
.LBB111_175:                            ;   in Loop: Header=BB111_36 Depth=1
	s_wait_alu 0xfffe
	s_sub_nc_u64 s[12:13], s[60:61], s[6:7]
	s_mov_b32 s7, exec_lo
                                        ; implicit-def: $vgpr51
	s_wait_alu 0xfffe
	v_cmpx_gt_u64_e64 s[12:13], v[0:1]
	s_cbranch_execz .LBB111_184
; %bb.176:                              ;   in Loop: Header=BB111_36 Depth=1
	v_dual_mov_b32 v4, v14 :: v_dual_mov_b32 v5, v15
	v_dual_mov_b32 v11, v1 :: v_dual_mov_b32 v10, v0
	s_mov_b32 s15, 0
                                        ; implicit-def: $sgpr21
	s_branch .LBB111_179
.LBB111_177:                            ;   in Loop: Header=BB111_179 Depth=2
	s_wait_alu 0xfffe
	s_or_b32 exec_lo, exec_lo, s6
	s_wait_loadcnt_dscnt 0x0
	s_barrier_signal -1
	s_barrier_wait -1
	global_inv scope:SCOPE_SE
	ds_load_b32 v29, v3 offset:3072
	s_mov_b32 s6, -1
	s_mov_b32 s22, -1
	s_wait_loadcnt_dscnt 0x0
	s_barrier_signal -1
	s_barrier_wait -1
	global_inv scope:SCOPE_SE
	v_and_b32_e32 v30, 0xffff, v29
	s_delay_alu instid0(VALU_DEP_1)
	v_cmp_eq_u32_e32 vcc_lo, 0, v30
	s_cbranch_vccnz .LBB111_182
.LBB111_178:                            ;   in Loop: Header=BB111_179 Depth=2
	s_wait_alu 0xfffe
	s_and_b32 s6, exec_lo, s6
	s_wait_alu 0xfffe
	s_or_b32 s15, s6, s15
	s_and_not1_b32 s6, s21, exec_lo
	s_and_b32 s21, s22, exec_lo
	s_wait_alu 0xfffe
	s_or_b32 s21, s6, s21
	s_and_not1_b32 exec_lo, exec_lo, s15
	s_cbranch_execz .LBB111_183
.LBB111_179:                            ;   Parent Loop BB111_36 Depth=1
                                        ; =>  This Inner Loop Header: Depth=2
	s_mov_b32 s6, exec_lo
	s_delay_alu instid0(VALU_DEP_1)
	v_cmpx_gt_u64_e64 s[28:29], v[10:11]
	s_cbranch_execz .LBB111_177
; %bb.180:                              ;   in Loop: Header=BB111_179 Depth=2
	global_load_u16 v29, v[4:5], off
	s_wait_loadcnt 0x0
	v_bfe_i32 v30, v29, 0, 16
	s_delay_alu instid0(VALU_DEP_1) | instskip(NEXT) | instid1(VALU_DEP_1)
	v_add_nc_u32_e32 v30, 0x8000, v30
	v_and_b32_e32 v30, v30, v50
	s_delay_alu instid0(VALU_DEP_1)
	v_cmp_eq_u32_e32 vcc_lo, v30, v47
	s_and_b32 exec_lo, exec_lo, vcc_lo
	s_cbranch_execz .LBB111_177
; %bb.181:                              ;   in Loop: Header=BB111_179 Depth=2
	v_perm_b32 v29, v29, 1, 0x5040100
	ds_store_b32 v3, v29 offset:3072
	s_branch .LBB111_177
.LBB111_182:                            ;   in Loop: Header=BB111_179 Depth=2
	v_add_co_u32 v10, vcc_lo, v10, s46
	s_wait_alu 0xfffd
	v_add_co_ci_u32_e64 v11, null, 0, v11, vcc_lo
	v_add_co_u32 v4, s6, v4, s56
	s_wait_alu 0xf1fe
	v_add_co_ci_u32_e64 v5, null, s57, v5, s6
	s_delay_alu instid0(VALU_DEP_3)
	v_cmp_le_u64_e32 vcc_lo, s[12:13], v[10:11]
	s_mov_b32 s22, 0
	s_or_not1_b32 s6, vcc_lo, exec_lo
	s_branch .LBB111_178
.LBB111_183:                            ;   in Loop: Header=BB111_36 Depth=1
	s_or_b32 exec_lo, exec_lo, s15
	v_lshrrev_b32_e32 v51, 16, v29
	s_and_not1_b32 s6, s14, exec_lo
	s_wait_alu 0xfffe
	s_and_b32 s12, s21, exec_lo
	s_wait_alu 0xfffe
	s_or_b32 s14, s6, s12
.LBB111_184:                            ;   in Loop: Header=BB111_36 Depth=1
	s_or_b32 exec_lo, exec_lo, s7
	s_mov_b32 s21, 0
	s_mov_b32 s22, -1
.LBB111_185:                            ;   in Loop: Header=BB111_36 Depth=1
	s_wait_alu 0xfffe
	s_or_not1_b32 s6, s14, exec_lo
.LBB111_186:                            ;   in Loop: Header=BB111_36 Depth=1
	s_or_b32 exec_lo, exec_lo, s23
	s_mov_b32 s7, 0
	s_wait_alu 0xfffe
	s_and_saveexec_b32 s23, s6
	s_cbranch_execz .LBB111_292
; %bb.187:                              ;   in Loop: Header=BB111_36 Depth=1
	v_mov_b32_e32 v4, 1
	v_dual_mov_b32 v5, 0 :: v_dual_mov_b32 v2, 1
	s_xor_b32 s12, s24, -1
	s_wait_alu 0xfffe
	s_and_saveexec_b32 s6, s12
	s_cbranch_execz .LBB111_197
; %bb.188:                              ;   in Loop: Header=BB111_36 Depth=1
	s_mov_b32 s7, exec_lo
	v_cmpx_le_u64_e64 v[8:9], v[6:7]
	s_wait_alu 0xfffe
	s_xor_b32 s7, exec_lo, s7
	s_cbranch_execz .LBB111_194
; %bb.189:                              ;   in Loop: Header=BB111_36 Depth=1
	ds_load_b64 v[4:5], v3 offset:5120
	s_lshl_b32 s12, 1, s94
	v_or_b32_e32 v50, s16, v50
	s_wait_alu 0xfffe
	v_and_or_b32 v47, v47, s20, s12
	s_wait_dscnt 0x0
	v_cmp_ne_u64_e32 vcc_lo, 0, v[4:5]
	s_cbranch_vccnz .LBB111_193
; %bb.190:                              ;   in Loop: Header=BB111_36 Depth=1
	s_and_saveexec_b32 s12, s2
; %bb.191:                              ;   in Loop: Header=BB111_36 Depth=1
	ds_store_b64 v3, v[6:7] offset:5128
; %bb.192:                              ;   in Loop: Header=BB111_36 Depth=1
	s_wait_alu 0xfffe
	s_or_b32 exec_lo, exec_lo, s12
	s_wait_loadcnt_dscnt 0x0
	s_barrier_signal -1
	s_barrier_wait -1
	global_inv scope:SCOPE_SE
.LBB111_193:                            ;   in Loop: Header=BB111_36 Depth=1
                                        ; implicit-def: $vgpr4_vgpr5_vgpr6_vgpr7
.LBB111_194:                            ;   in Loop: Header=BB111_36 Depth=1
	s_wait_alu 0xfffe
	s_or_saveexec_b32 s7, s7
	v_mov_b32_e32 v2, 8
	s_mov_b32 s12, 0
	s_wait_alu 0xfffe
	s_xor_b32 exec_lo, exec_lo, s7
; %bb.195:                              ;   in Loop: Header=BB111_36 Depth=1
	v_sub_co_u32 v8, vcc_lo, v8, v6
	s_wait_alu 0xfffd
	v_sub_co_ci_u32_e64 v9, null, v9, v7, vcc_lo
	v_mov_b32_e32 v2, 0
	s_mov_b32 s12, exec_lo
; %bb.196:                              ;   in Loop: Header=BB111_36 Depth=1
	s_or_b32 exec_lo, exec_lo, s7
	s_delay_alu instid0(VALU_DEP_2)
	v_dual_mov_b32 v4, v8 :: v_dual_mov_b32 v5, v9
	s_wait_alu 0xfffe
	s_and_b32 s7, s12, exec_lo
.LBB111_197:                            ;   in Loop: Header=BB111_36 Depth=1
	s_wait_alu 0xfffe
	s_or_b32 exec_lo, exec_lo, s6
	s_mov_b32 s6, -1
                                        ; implicit-def: $sgpr25
                                        ; implicit-def: $sgpr70
	s_and_saveexec_b32 s24, s7
	s_cbranch_execz .LBB111_291
; %bb.198:                              ;   in Loop: Header=BB111_36 Depth=1
	v_cmp_eq_u64_e32 vcc_lo, 1, v[4:5]
	s_cmp_eq_u64 s[10:11], 1
                                        ; implicit-def: $sgpr70
                                        ; implicit-def: $sgpr25
	s_cselect_b32 s6, -1, 0
	s_wait_alu 0xfffe
	s_and_b32 s71, s6, vcc_lo
	s_mov_b32 s6, -1
	s_and_saveexec_b32 s72, s71
	s_cbranch_execz .LBB111_232
; %bb.199:                              ;   in Loop: Header=BB111_36 Depth=1
	ds_load_b64 v[6:7], v3 offset:5120
	s_wait_loadcnt_dscnt 0x0
	s_barrier_signal -1
	s_barrier_wait -1
	global_inv scope:SCOPE_SE
	v_readfirstlane_b32 s6, v6
	v_readfirstlane_b32 s7, v7
	s_and_saveexec_b32 s12, s3
; %bb.200:                              ;   in Loop: Header=BB111_36 Depth=1
	ds_store_b16 v43, v3
; %bb.201:                              ;   in Loop: Header=BB111_36 Depth=1
	s_wait_alu 0xfffe
	s_or_b32 exec_lo, exec_lo, s12
	s_lshl_b32 s12, 2, s94
	v_or_b32_e32 v50, s16, v50
	s_wait_alu 0xfffe
	v_and_or_b32 v47, v47, s20, s12
	s_mov_b32 s25, -1
	s_mov_b32 s70, 0
	s_cmp_eq_u64 s[6:7], 0
	s_mov_b32 s14, 0
	s_mov_b32 s15, -1
	s_wait_loadcnt_dscnt 0x0
	s_barrier_signal -1
	s_barrier_wait -1
	global_inv scope:SCOPE_SE
                                        ; implicit-def: $vgpr51
	s_cbranch_scc1 .LBB111_217
; %bb.202:                              ;   in Loop: Header=BB111_36 Depth=1
	s_add_nc_u64 s[12:13], s[6:7], s[58:59]
	s_mov_b32 s14, s55
	s_wait_alu 0xfffe
	s_mov_b32 s15, s13
	s_wait_alu 0xfffe
	s_cmp_lg_u64 s[14:15], 0
	s_cbranch_scc0 .LBB111_258
; %bb.203:                              ;   in Loop: Header=BB111_36 Depth=1
	s_cvt_f32_u32 s14, s46
	s_sub_nc_u64 s[74:75], 0, s[46:47]
	s_wait_alu 0xfffe
	s_delay_alu instid0(SALU_CYCLE_1) | instskip(SKIP_1) | instid1(SALU_CYCLE_2)
	s_fmamk_f32 s14, s93, 0x0, s14
	s_wait_alu 0xfffe
	v_s_rcp_f32 s14, s14
	s_delay_alu instid0(TRANS32_DEP_1) | instskip(SKIP_1) | instid1(SALU_CYCLE_2)
	s_mul_f32 s14, s14, 0x5f7ffffc
	s_wait_alu 0xfffe
	s_mul_f32 s15, s14, 0x2f800000
	s_wait_alu 0xfffe
	s_delay_alu instid0(SALU_CYCLE_2) | instskip(SKIP_1) | instid1(SALU_CYCLE_2)
	s_trunc_f32 s15, s15
	s_wait_alu 0xfffe
	s_fmamk_f32 s14, s15, 0xcf800000, s14
	s_cvt_u32_f32 s15, s15
	s_wait_alu 0xfffe
	s_delay_alu instid0(SALU_CYCLE_1) | instskip(SKIP_1) | instid1(SALU_CYCLE_2)
	s_cvt_u32_f32 s14, s14
	s_wait_alu 0xfffe
	s_mul_u64 s[76:77], s[74:75], s[14:15]
	s_wait_alu 0xfffe
	s_mul_hi_u32 s79, s14, s77
	s_mul_i32 s78, s14, s77
	s_mul_hi_u32 s54, s14, s76
	s_mul_i32 s80, s15, s76
	s_wait_alu 0xfffe
	s_add_nc_u64 s[78:79], s[54:55], s[78:79]
	s_mul_hi_u32 s73, s15, s76
	s_mul_hi_u32 s81, s15, s77
	s_wait_alu 0xfffe
	s_add_co_u32 s54, s78, s80
	s_add_co_ci_u32 s54, s79, s73
	s_mul_i32 s76, s15, s77
	s_add_co_ci_u32 s77, s81, 0
	s_wait_alu 0xfffe
	s_add_nc_u64 s[76:77], s[54:55], s[76:77]
	s_wait_alu 0xfffe
	s_add_co_u32 s14, s14, s76
	s_cselect_b32 s54, -1, 0
	s_wait_alu 0xfffe
	s_cmp_lg_u32 s54, 0
	s_add_co_ci_u32 s15, s15, s77
	s_wait_alu 0xfffe
	s_mul_u64 s[74:75], s[74:75], s[14:15]
	s_wait_alu 0xfffe
	s_mul_hi_u32 s77, s14, s75
	s_mul_i32 s76, s14, s75
	s_mul_hi_u32 s54, s14, s74
	s_mul_i32 s78, s15, s74
	s_wait_alu 0xfffe
	s_add_nc_u64 s[76:77], s[54:55], s[76:77]
	s_mul_hi_u32 s73, s15, s74
	s_mul_hi_u32 s79, s15, s75
	s_wait_alu 0xfffe
	s_add_co_u32 s54, s76, s78
	s_add_co_ci_u32 s54, s77, s73
	s_mul_i32 s74, s15, s75
	s_add_co_ci_u32 s75, s79, 0
	s_wait_alu 0xfffe
	s_add_nc_u64 s[74:75], s[54:55], s[74:75]
	s_wait_alu 0xfffe
	s_add_co_u32 s14, s14, s74
	s_cselect_b32 s73, -1, 0
	s_wait_alu 0xfffe
	s_mul_hi_u32 s54, s12, s14
	s_cmp_lg_u32 s73, 0
	s_mul_hi_u32 s73, s13, s14
	s_add_co_ci_u32 s74, s15, s75
	s_mul_i32 s75, s13, s14
	s_wait_alu 0xfffe
	s_mul_hi_u32 s15, s12, s74
	s_mul_i32 s14, s12, s74
	s_mul_hi_u32 s76, s13, s74
	s_wait_alu 0xfffe
	s_add_nc_u64 s[14:15], s[54:55], s[14:15]
	s_mul_i32 s74, s13, s74
	s_wait_alu 0xfffe
	s_add_co_u32 s14, s14, s75
	s_add_co_ci_u32 s54, s15, s73
	s_add_co_ci_u32 s75, s76, 0
	s_wait_alu 0xfffe
	s_add_nc_u64 s[14:15], s[54:55], s[74:75]
	s_wait_alu 0xfffe
	s_mul_u64 s[14:15], s[46:47], s[14:15]
	s_wait_alu 0xfffe
	s_sub_co_u32 s14, s12, s14
	s_cselect_b32 s54, -1, 0
	s_wait_alu 0xfffe
	s_cmp_lg_u32 s54, 0
	s_sub_co_ci_u32 s15, s13, s15
	s_sub_co_u32 s54, s14, s46
	s_cselect_b32 s73, -1, 0
	s_wait_alu 0xfffe
	s_cmp_lg_u32 s73, 0
	s_sub_co_ci_u32 s73, s15, 0
	;; [unrolled: 5-line block ×3, first 2 shown]
	s_cmp_ge_u32 s54, s46
	s_cselect_b32 s76, -1, 0
	s_cmp_eq_u32 s73, 0
	s_wait_alu 0xfffe
	s_cselect_b32 s76, s76, -1
	s_wait_alu 0xfffe
	s_cmp_lg_u32 s76, 0
	s_cselect_b32 s73, s75, s73
	s_cselect_b32 s54, s74, s54
	s_cmp_ge_u32 s14, s46
	s_cselect_b32 s74, -1, 0
	s_cmp_eq_u32 s15, 0
	s_wait_alu 0xfffe
	s_cselect_b32 s74, s74, -1
	s_wait_alu 0xfffe
	s_cmp_lg_u32 s74, 0
	s_cselect_b32 s15, s73, s15
	s_cselect_b32 s14, s54, s14
	s_cbranch_execnz .LBB111_205
.LBB111_204:                            ;   in Loop: Header=BB111_36 Depth=1
	v_cvt_f32_u32_e32 v6, s46
	s_sub_co_i32 s15, 0, s46
	s_delay_alu instid0(VALU_DEP_1) | instskip(NEXT) | instid1(TRANS32_DEP_1)
	v_rcp_iflag_f32_e32 v6, v6
	v_mul_f32_e32 v6, 0x4f7ffffe, v6
	s_delay_alu instid0(VALU_DEP_1) | instskip(NEXT) | instid1(VALU_DEP_1)
	v_cvt_u32_f32_e32 v6, v6
	v_readfirstlane_b32 s14, v6
	s_wait_alu 0xfffe
	s_mul_i32 s15, s15, s14
	s_wait_alu 0xfffe
	s_mul_hi_u32 s15, s14, s15
	s_wait_alu 0xfffe
	s_add_co_i32 s14, s14, s15
	s_wait_alu 0xfffe
	s_mul_hi_u32 s14, s12, s14
	s_wait_alu 0xfffe
	s_mul_i32 s14, s14, s46
	s_wait_alu 0xfffe
	s_sub_co_i32 s14, s12, s14
	s_wait_alu 0xfffe
	s_sub_co_i32 s15, s14, s46
	s_cmp_ge_u32 s14, s46
	s_wait_alu 0xfffe
	s_cselect_b32 s14, s15, s14
	s_wait_alu 0xfffe
	s_sub_co_i32 s15, s14, s46
	s_cmp_ge_u32 s14, s46
	s_wait_alu 0xfffe
	s_cselect_b32 s54, s15, s14
	s_wait_alu 0xfffe
	s_mov_b64 s[14:15], s[54:55]
.LBB111_205:                            ;   in Loop: Header=BB111_36 Depth=1
	s_wait_alu 0xfffe
	s_sub_nc_u64 s[12:13], s[12:13], s[14:15]
	s_mov_b32 s15, 0
	s_mov_b32 s14, 0
	s_mov_b32 s54, exec_lo
                                        ; implicit-def: $vgpr51
	s_wait_alu 0xfffe
	v_cmpx_gt_u64_e64 s[12:13], v[0:1]
	s_cbranch_execz .LBB111_216
; %bb.206:                              ;   in Loop: Header=BB111_36 Depth=1
	v_dual_mov_b32 v8, v42 :: v_dual_mov_b32 v7, v1
	v_mov_b32_e32 v6, v0
                                        ; implicit-def: $sgpr73
	s_branch .LBB111_209
.LBB111_207:                            ;   in Loop: Header=BB111_209 Depth=2
	s_wait_alu 0xfffe
	s_or_b32 exec_lo, exec_lo, s74
	s_wait_loadcnt_dscnt 0x0
	s_barrier_signal -1
	s_barrier_wait -1
	global_inv scope:SCOPE_SE
	ds_load_b32 v9, v3 offset:3072
	s_mov_b32 s74, -1
	s_mov_b32 s75, -1
	s_wait_loadcnt_dscnt 0x0
	s_barrier_signal -1
	s_barrier_wait -1
	global_inv scope:SCOPE_SE
	v_and_b32_e32 v10, 0xffff, v9
	s_delay_alu instid0(VALU_DEP_1)
	v_cmp_ne_u32_e32 vcc_lo, 0, v10
	s_cbranch_vccz .LBB111_212
.LBB111_208:                            ;   in Loop: Header=BB111_209 Depth=2
	s_wait_alu 0xfffe
	s_and_b32 s74, exec_lo, s74
	s_wait_alu 0xfffe
	s_or_b32 s14, s74, s14
	s_and_not1_b32 s73, s73, exec_lo
	s_and_b32 s74, s75, exec_lo
	s_wait_alu 0xfffe
	s_or_b32 s73, s73, s74
	s_and_not1_b32 exec_lo, exec_lo, s14
	s_cbranch_execz .LBB111_215
.LBB111_209:                            ;   Parent Loop BB111_36 Depth=1
                                        ; =>  This Inner Loop Header: Depth=2
	s_mov_b32 s74, exec_lo
	s_delay_alu instid0(VALU_DEP_1)
	v_cmpx_gt_u64_e64 s[6:7], v[6:7]
	s_cbranch_execz .LBB111_207
; %bb.210:                              ;   in Loop: Header=BB111_209 Depth=2
	ds_load_u16 v9, v8
	s_wait_dscnt 0x0
	v_bfe_i32 v10, v9, 0, 16
	s_delay_alu instid0(VALU_DEP_1) | instskip(NEXT) | instid1(VALU_DEP_1)
	v_add_nc_u32_e32 v10, 0x8000, v10
	v_and_b32_e32 v10, v10, v50
	s_delay_alu instid0(VALU_DEP_1)
	v_cmp_eq_u32_e32 vcc_lo, v10, v47
	s_and_b32 exec_lo, exec_lo, vcc_lo
	s_cbranch_execz .LBB111_207
; %bb.211:                              ;   in Loop: Header=BB111_209 Depth=2
	v_perm_b32 v9, v9, 1, 0x5040100
	ds_store_b32 v3, v9 offset:3072
	s_branch .LBB111_207
.LBB111_212:                            ;   in Loop: Header=BB111_209 Depth=2
	v_add_co_u32 v6, vcc_lo, v6, s46
	s_wait_alu 0xfffd
	v_add_co_ci_u32_e64 v7, null, 0, v7, vcc_lo
	v_add_nc_u32_e32 v8, s92, v8
	s_mov_b32 s75, 0
	s_delay_alu instid0(VALU_DEP_2)
	v_cmp_le_u64_e32 vcc_lo, s[12:13], v[6:7]
	s_or_not1_b32 s74, vcc_lo, exec_lo
	s_branch .LBB111_208
.LBB111_213:                            ;   in Loop: Header=BB111_36 Depth=1
                                        ; implicit-def: $sgpr14_sgpr15
	s_branch .LBB111_155
.LBB111_214:                            ;   in Loop: Header=BB111_36 Depth=1
                                        ; implicit-def: $sgpr6_sgpr7
	s_branch .LBB111_174
.LBB111_215:                            ;   in Loop: Header=BB111_36 Depth=1
	s_or_b32 exec_lo, exec_lo, s14
	v_lshrrev_b32_e32 v51, 16, v9
	s_wait_alu 0xfffe
	s_and_b32 s14, s73, exec_lo
.LBB111_216:                            ;   in Loop: Header=BB111_36 Depth=1
	s_or_b32 exec_lo, exec_lo, s54
.LBB111_217:                            ;   in Loop: Header=BB111_36 Depth=1
	s_wait_alu 0xfffe
	s_and_b32 vcc_lo, exec_lo, s15
	s_wait_alu 0xfffe
	s_cbranch_vccz .LBB111_231
; %bb.218:                              ;   in Loop: Header=BB111_36 Depth=1
	s_mov_b32 s6, s55
	s_mov_b32 s7, s61
	s_wait_alu 0xfffe
	s_cmp_lg_u64 s[6:7], 0
	s_cbranch_scc0 .LBB111_259
; %bb.219:                              ;   in Loop: Header=BB111_36 Depth=1
	s_cvt_f32_u32 s6, s46
	s_sub_nc_u64 s[12:13], 0, s[46:47]
	s_wait_alu 0xfffe
	s_delay_alu instid0(SALU_CYCLE_1) | instskip(SKIP_1) | instid1(SALU_CYCLE_2)
	s_fmamk_f32 s6, s93, 0x0, s6
	s_wait_alu 0xfffe
	v_s_rcp_f32 s6, s6
	s_delay_alu instid0(TRANS32_DEP_1) | instskip(SKIP_1) | instid1(SALU_CYCLE_2)
	s_mul_f32 s6, s6, 0x5f7ffffc
	s_wait_alu 0xfffe
	s_mul_f32 s7, s6, 0x2f800000
	s_wait_alu 0xfffe
	s_delay_alu instid0(SALU_CYCLE_2) | instskip(SKIP_1) | instid1(SALU_CYCLE_2)
	s_trunc_f32 s7, s7
	s_wait_alu 0xfffe
	s_fmamk_f32 s6, s7, 0xcf800000, s6
	s_cvt_u32_f32 s7, s7
	s_wait_alu 0xfffe
	s_delay_alu instid0(SALU_CYCLE_1) | instskip(SKIP_1) | instid1(SALU_CYCLE_2)
	s_cvt_u32_f32 s6, s6
	s_wait_alu 0xfffe
	s_mul_u64 s[74:75], s[12:13], s[6:7]
	s_wait_alu 0xfffe
	s_mul_hi_u32 s77, s6, s75
	s_mul_i32 s76, s6, s75
	s_mul_hi_u32 s54, s6, s74
	s_mul_i32 s25, s7, s74
	s_wait_alu 0xfffe
	s_add_nc_u64 s[76:77], s[54:55], s[76:77]
	s_mul_hi_u32 s15, s7, s74
	s_mul_hi_u32 s70, s7, s75
	s_wait_alu 0xfffe
	s_add_co_u32 s25, s76, s25
	s_add_co_ci_u32 s54, s77, s15
	s_mul_i32 s74, s7, s75
	s_add_co_ci_u32 s75, s70, 0
	s_wait_alu 0xfffe
	s_add_nc_u64 s[74:75], s[54:55], s[74:75]
	s_wait_alu 0xfffe
	s_add_co_u32 s6, s6, s74
	s_cselect_b32 s15, -1, 0
	s_wait_alu 0xfffe
	s_cmp_lg_u32 s15, 0
	s_add_co_ci_u32 s7, s7, s75
	s_wait_alu 0xfffe
	s_mul_u64 s[12:13], s[12:13], s[6:7]
	s_wait_alu 0xfffe
	s_mul_hi_u32 s75, s6, s13
	s_mul_i32 s74, s6, s13
	s_mul_hi_u32 s54, s6, s12
	s_mul_i32 s25, s7, s12
	s_wait_alu 0xfffe
	s_add_nc_u64 s[74:75], s[54:55], s[74:75]
	s_mul_hi_u32 s15, s7, s12
	s_mul_hi_u32 s70, s7, s13
	s_mul_i32 s12, s7, s13
	s_wait_alu 0xfffe
	s_add_co_u32 s13, s74, s25
	s_add_co_ci_u32 s54, s75, s15
	s_add_co_ci_u32 s13, s70, 0
	s_wait_alu 0xfffe
	s_add_nc_u64 s[12:13], s[54:55], s[12:13]
	s_wait_alu 0xfffe
	s_add_co_u32 s6, s6, s12
	s_cselect_b32 s12, -1, 0
	s_wait_alu 0xfffe
	s_mul_hi_u32 s54, s60, s6
	s_cmp_lg_u32 s12, 0
	s_mul_hi_u32 s15, s61, s6
	s_add_co_ci_u32 s12, s7, s13
	s_mul_i32 s13, s61, s6
	s_wait_alu 0xfffe
	s_mul_hi_u32 s7, s60, s12
	s_mul_i32 s6, s60, s12
	s_mul_hi_u32 s25, s61, s12
	s_wait_alu 0xfffe
	s_add_nc_u64 s[6:7], s[54:55], s[6:7]
	s_mul_i32 s12, s61, s12
	s_wait_alu 0xfffe
	s_add_co_u32 s6, s6, s13
	s_add_co_ci_u32 s54, s7, s15
	s_add_co_ci_u32 s13, s25, 0
	s_wait_alu 0xfffe
	s_add_nc_u64 s[6:7], s[54:55], s[12:13]
	s_wait_alu 0xfffe
	s_mul_u64 s[6:7], s[46:47], s[6:7]
	s_wait_alu 0xfffe
	s_sub_co_u32 s6, s60, s6
	s_cselect_b32 s12, -1, 0
	s_wait_alu 0xfffe
	s_cmp_lg_u32 s12, 0
	s_sub_co_ci_u32 s7, s61, s7
	s_sub_co_u32 s12, s6, s46
	s_cselect_b32 s13, -1, 0
	s_wait_alu 0xfffe
	s_cmp_lg_u32 s13, 0
	s_sub_co_ci_u32 s13, s7, 0
	s_sub_co_u32 s15, s12, s46
	s_cselect_b32 s25, -1, 0
	s_delay_alu instid0(SALU_CYCLE_1)
	s_cmp_lg_u32 s25, 0
	s_wait_alu 0xfffe
	s_sub_co_ci_u32 s25, s13, 0
	s_cmp_ge_u32 s12, s46
	s_cselect_b32 s54, -1, 0
	s_cmp_eq_u32 s13, 0
	s_wait_alu 0xfffe
	s_cselect_b32 s54, s54, -1
	s_wait_alu 0xfffe
	s_cmp_lg_u32 s54, 0
	s_cselect_b32 s13, s25, s13
	s_cselect_b32 s12, s15, s12
	s_cmp_ge_u32 s6, s46
	s_cselect_b32 s15, -1, 0
	s_cmp_eq_u32 s7, 0
	s_wait_alu 0xfffe
	s_cselect_b32 s15, s15, -1
	s_wait_alu 0xfffe
	s_cmp_lg_u32 s15, 0
	s_cselect_b32 s7, s13, s7
	s_cselect_b32 s6, s12, s6
	s_cbranch_execnz .LBB111_221
.LBB111_220:                            ;   in Loop: Header=BB111_36 Depth=1
	v_cvt_f32_u32_e32 v6, s46
	s_sub_co_i32 s7, 0, s46
	s_delay_alu instid0(VALU_DEP_1) | instskip(NEXT) | instid1(TRANS32_DEP_1)
	v_rcp_iflag_f32_e32 v6, v6
	v_mul_f32_e32 v6, 0x4f7ffffe, v6
	s_delay_alu instid0(VALU_DEP_1) | instskip(NEXT) | instid1(VALU_DEP_1)
	v_cvt_u32_f32_e32 v6, v6
	v_readfirstlane_b32 s6, v6
	s_wait_alu 0xfffe
	s_mul_i32 s7, s7, s6
	s_wait_alu 0xfffe
	s_mul_hi_u32 s7, s6, s7
	s_wait_alu 0xfffe
	s_add_co_i32 s6, s6, s7
	s_wait_alu 0xfffe
	s_mul_hi_u32 s6, s60, s6
	s_wait_alu 0xfffe
	s_mul_i32 s6, s6, s46
	s_wait_alu 0xfffe
	s_sub_co_i32 s6, s60, s6
	s_wait_alu 0xfffe
	s_sub_co_i32 s7, s6, s46
	s_cmp_ge_u32 s6, s46
	s_wait_alu 0xfffe
	s_cselect_b32 s6, s7, s6
	s_wait_alu 0xfffe
	s_sub_co_i32 s7, s6, s46
	s_cmp_ge_u32 s6, s46
	s_wait_alu 0xfffe
	s_cselect_b32 s54, s7, s6
	s_wait_alu 0xfffe
	s_mov_b64 s[6:7], s[54:55]
.LBB111_221:                            ;   in Loop: Header=BB111_36 Depth=1
	s_wait_alu 0xfffe
	s_sub_nc_u64 s[12:13], s[60:61], s[6:7]
	s_mov_b32 s7, exec_lo
                                        ; implicit-def: $vgpr51
	s_wait_alu 0xfffe
	v_cmpx_gt_u64_e64 s[12:13], v[0:1]
	s_cbranch_execz .LBB111_230
; %bb.222:                              ;   in Loop: Header=BB111_36 Depth=1
	v_dual_mov_b32 v6, v14 :: v_dual_mov_b32 v7, v15
	v_dual_mov_b32 v9, v1 :: v_dual_mov_b32 v8, v0
	s_mov_b32 s15, 0
                                        ; implicit-def: $sgpr25
	s_branch .LBB111_225
.LBB111_223:                            ;   in Loop: Header=BB111_225 Depth=2
	s_wait_alu 0xfffe
	s_or_b32 exec_lo, exec_lo, s6
	s_wait_loadcnt_dscnt 0x0
	s_barrier_signal -1
	s_barrier_wait -1
	global_inv scope:SCOPE_SE
	ds_load_b32 v10, v3 offset:3072
	s_mov_b32 s6, -1
	s_mov_b32 s54, -1
	s_wait_loadcnt_dscnt 0x0
	s_barrier_signal -1
	s_barrier_wait -1
	global_inv scope:SCOPE_SE
	v_and_b32_e32 v11, 0xffff, v10
	s_delay_alu instid0(VALU_DEP_1)
	v_cmp_eq_u32_e32 vcc_lo, 0, v11
	s_cbranch_vccnz .LBB111_228
.LBB111_224:                            ;   in Loop: Header=BB111_225 Depth=2
	s_wait_alu 0xfffe
	s_and_b32 s6, exec_lo, s6
	s_wait_alu 0xfffe
	s_or_b32 s15, s6, s15
	s_and_not1_b32 s6, s25, exec_lo
	s_and_b32 s25, s54, exec_lo
	s_wait_alu 0xfffe
	s_or_b32 s25, s6, s25
	s_and_not1_b32 exec_lo, exec_lo, s15
	s_cbranch_execz .LBB111_229
.LBB111_225:                            ;   Parent Loop BB111_36 Depth=1
                                        ; =>  This Inner Loop Header: Depth=2
	s_mov_b32 s6, exec_lo
	s_delay_alu instid0(VALU_DEP_1)
	v_cmpx_gt_u64_e64 s[28:29], v[8:9]
	s_cbranch_execz .LBB111_223
; %bb.226:                              ;   in Loop: Header=BB111_225 Depth=2
	global_load_u16 v10, v[6:7], off
	s_wait_loadcnt 0x0
	v_bfe_i32 v11, v10, 0, 16
	s_delay_alu instid0(VALU_DEP_1) | instskip(NEXT) | instid1(VALU_DEP_1)
	v_add_nc_u32_e32 v11, 0x8000, v11
	v_and_b32_e32 v11, v11, v50
	s_delay_alu instid0(VALU_DEP_1)
	v_cmp_eq_u32_e32 vcc_lo, v11, v47
	s_and_b32 exec_lo, exec_lo, vcc_lo
	s_cbranch_execz .LBB111_223
; %bb.227:                              ;   in Loop: Header=BB111_225 Depth=2
	v_perm_b32 v10, v10, 1, 0x5040100
	ds_store_b32 v3, v10 offset:3072
	s_branch .LBB111_223
.LBB111_228:                            ;   in Loop: Header=BB111_225 Depth=2
	v_add_co_u32 v8, vcc_lo, v8, s46
	s_wait_alu 0xfffd
	v_add_co_ci_u32_e64 v9, null, 0, v9, vcc_lo
	v_add_co_u32 v6, s6, v6, s56
	s_wait_alu 0xf1fe
	v_add_co_ci_u32_e64 v7, null, s57, v7, s6
	s_delay_alu instid0(VALU_DEP_3)
	v_cmp_le_u64_e32 vcc_lo, s[12:13], v[8:9]
	s_mov_b32 s54, 0
	s_or_not1_b32 s6, vcc_lo, exec_lo
	s_branch .LBB111_224
.LBB111_229:                            ;   in Loop: Header=BB111_36 Depth=1
	s_or_b32 exec_lo, exec_lo, s15
	v_lshrrev_b32_e32 v51, 16, v10
	s_and_not1_b32 s6, s14, exec_lo
	s_and_b32 s12, s25, exec_lo
	s_wait_alu 0xfffe
	s_or_b32 s14, s6, s12
.LBB111_230:                            ;   in Loop: Header=BB111_36 Depth=1
	s_or_b32 exec_lo, exec_lo, s7
	s_mov_b32 s25, 0
	s_mov_b32 s70, -1
.LBB111_231:                            ;   in Loop: Header=BB111_36 Depth=1
	s_wait_alu 0xfffe
	s_or_not1_b32 s6, s14, exec_lo
.LBB111_232:                            ;   in Loop: Header=BB111_36 Depth=1
	s_wait_alu 0xfffe
	s_or_b32 exec_lo, exec_lo, s72
	s_mov_b32 s7, 0
	s_and_saveexec_b32 s14, s6
	s_cbranch_execz .LBB111_290
; %bb.233:                              ;   in Loop: Header=BB111_36 Depth=1
	v_mov_b32_e32 v6, 1
	v_dual_mov_b32 v7, 0 :: v_dual_mov_b32 v2, 1
	s_xor_b32 s12, s71, -1
	s_wait_alu 0xfffe
	s_and_saveexec_b32 s6, s12
	s_cbranch_execz .LBB111_242
; %bb.234:                              ;   in Loop: Header=BB111_36 Depth=1
	s_mov_b32 s7, exec_lo
	v_cmpx_ge_u64_e64 s[10:11], v[4:5]
	s_wait_alu 0xfffe
	s_xor_b32 s7, exec_lo, s7
	s_cbranch_execz .LBB111_239
; %bb.235:                              ;   in Loop: Header=BB111_36 Depth=1
	ds_load_b64 v[6:7], v3 offset:5120
	s_lshl_b32 s12, 2, s94
	v_or_b32_e32 v50, s16, v50
	s_wait_alu 0xfffe
	v_and_or_b32 v47, v47, s20, s12
	s_wait_dscnt 0x0
	v_cmp_ne_u64_e32 vcc_lo, 0, v[6:7]
	s_cbranch_vccnz .LBB111_239
; %bb.236:                              ;   in Loop: Header=BB111_36 Depth=1
	s_and_saveexec_b32 s12, s2
; %bb.237:                              ;   in Loop: Header=BB111_36 Depth=1
	v_dual_mov_b32 v6, s10 :: v_dual_mov_b32 v7, s11
	ds_store_b64 v3, v[6:7] offset:5128
; %bb.238:                              ;   in Loop: Header=BB111_36 Depth=1
	s_wait_alu 0xfffe
	s_or_b32 exec_lo, exec_lo, s12
	s_wait_loadcnt_dscnt 0x0
	s_barrier_signal -1
	s_barrier_wait -1
	global_inv scope:SCOPE_SE
.LBB111_239:                            ;   in Loop: Header=BB111_36 Depth=1
	s_wait_alu 0xfffe
	s_or_saveexec_b32 s7, s7
	v_mov_b32_e32 v2, 8
	s_mov_b32 s12, 0
	s_wait_alu 0xfffe
	s_xor_b32 exec_lo, exec_lo, s7
; %bb.240:                              ;   in Loop: Header=BB111_36 Depth=1
	v_sub_co_u32 v4, vcc_lo, v4, s10
	s_wait_alu 0xfffd
	v_subrev_co_ci_u32_e64 v5, null, s11, v5, vcc_lo
	v_mov_b32_e32 v2, 0
	s_mov_b32 s12, exec_lo
; %bb.241:                              ;   in Loop: Header=BB111_36 Depth=1
	s_or_b32 exec_lo, exec_lo, s7
	s_delay_alu instid0(VALU_DEP_2)
	v_dual_mov_b32 v7, v5 :: v_dual_mov_b32 v6, v4
	s_wait_alu 0xfffe
	s_and_b32 s7, s12, exec_lo
.LBB111_242:                            ;   in Loop: Header=BB111_36 Depth=1
	s_wait_alu 0xfffe
	s_or_b32 exec_lo, exec_lo, s6
	s_mov_b32 s6, -1
                                        ; implicit-def: $sgpr73
                                        ; implicit-def: $sgpr72
	s_and_saveexec_b32 s15, s7
	s_cbranch_execz .LBB111_289
; %bb.243:                              ;   in Loop: Header=BB111_36 Depth=1
	v_cmp_eq_u64_e32 vcc_lo, 1, v[6:7]
	s_cmp_eq_u64 s[8:9], 1
	s_mov_b32 s7, -1
	s_cselect_b32 s6, -1, 0
                                        ; implicit-def: $sgpr73
                                        ; implicit-def: $sgpr72
	s_wait_alu 0xfffe
	s_and_b32 s20, s6, vcc_lo
	s_wait_alu 0xfffe
	s_and_saveexec_b32 s71, s20
	s_cbranch_execz .LBB111_277
; %bb.244:                              ;   in Loop: Header=BB111_36 Depth=1
	ds_load_b64 v[4:5], v3 offset:5120
	s_wait_loadcnt_dscnt 0x0
	s_barrier_signal -1
	s_barrier_wait -1
	global_inv scope:SCOPE_SE
	v_readfirstlane_b32 s6, v4
	v_readfirstlane_b32 s7, v5
	s_and_saveexec_b32 s10, s3
; %bb.245:                              ;   in Loop: Header=BB111_36 Depth=1
	ds_store_b16 v43, v3
; %bb.246:                              ;   in Loop: Header=BB111_36 Depth=1
	s_wait_alu 0xfffe
	s_or_b32 exec_lo, exec_lo, s10
	v_or_b32_e32 v47, s16, v47
	v_or_b32_e32 v50, s16, v50
	s_mov_b32 s72, -1
	s_mov_b32 s73, 0
	s_cmp_eq_u64 s[6:7], 0
	s_mov_b32 s12, 0
	s_mov_b32 s13, -1
	s_wait_loadcnt_dscnt 0x0
	s_barrier_signal -1
	s_barrier_wait -1
	global_inv scope:SCOPE_SE
                                        ; implicit-def: $vgpr51
	s_cbranch_scc1 .LBB111_262
; %bb.247:                              ;   in Loop: Header=BB111_36 Depth=1
	s_add_nc_u64 s[10:11], s[6:7], s[58:59]
	s_mov_b32 s12, s55
	s_wait_alu 0xfffe
	s_mov_b32 s13, s11
	s_wait_alu 0xfffe
	s_cmp_lg_u64 s[12:13], 0
	s_cbranch_scc0 .LBB111_296
; %bb.248:                              ;   in Loop: Header=BB111_36 Depth=1
	s_cvt_f32_u32 s12, s46
	s_sub_nc_u64 s[74:75], 0, s[46:47]
	s_wait_alu 0xfffe
	s_delay_alu instid0(SALU_CYCLE_1) | instskip(SKIP_1) | instid1(SALU_CYCLE_2)
	s_fmamk_f32 s12, s93, 0x0, s12
	s_wait_alu 0xfffe
	v_s_rcp_f32 s12, s12
	s_delay_alu instid0(TRANS32_DEP_1) | instskip(SKIP_1) | instid1(SALU_CYCLE_2)
	s_mul_f32 s12, s12, 0x5f7ffffc
	s_wait_alu 0xfffe
	s_mul_f32 s13, s12, 0x2f800000
	s_wait_alu 0xfffe
	s_delay_alu instid0(SALU_CYCLE_2) | instskip(SKIP_1) | instid1(SALU_CYCLE_2)
	s_trunc_f32 s13, s13
	s_wait_alu 0xfffe
	s_fmamk_f32 s12, s13, 0xcf800000, s12
	s_cvt_u32_f32 s13, s13
	s_wait_alu 0xfffe
	s_delay_alu instid0(SALU_CYCLE_1) | instskip(SKIP_1) | instid1(SALU_CYCLE_2)
	s_cvt_u32_f32 s12, s12
	s_wait_alu 0xfffe
	s_mul_u64 s[76:77], s[74:75], s[12:13]
	s_wait_alu 0xfffe
	s_mul_hi_u32 s79, s12, s77
	s_mul_i32 s78, s12, s77
	s_mul_hi_u32 s54, s12, s76
	s_mul_i32 s81, s13, s76
	s_wait_alu 0xfffe
	s_add_nc_u64 s[78:79], s[54:55], s[78:79]
	s_mul_hi_u32 s80, s13, s76
	s_mul_hi_u32 s82, s13, s77
	s_wait_alu 0xfffe
	s_add_co_u32 s54, s78, s81
	s_add_co_ci_u32 s54, s79, s80
	s_mul_i32 s76, s13, s77
	s_add_co_ci_u32 s77, s82, 0
	s_wait_alu 0xfffe
	s_add_nc_u64 s[76:77], s[54:55], s[76:77]
	s_wait_alu 0xfffe
	s_add_co_u32 s12, s12, s76
	s_cselect_b32 s54, -1, 0
	s_wait_alu 0xfffe
	s_cmp_lg_u32 s54, 0
	s_add_co_ci_u32 s13, s13, s77
	s_wait_alu 0xfffe
	s_mul_u64 s[74:75], s[74:75], s[12:13]
	s_wait_alu 0xfffe
	s_mul_hi_u32 s77, s12, s75
	s_mul_i32 s76, s12, s75
	s_mul_hi_u32 s54, s12, s74
	s_mul_i32 s79, s13, s74
	s_wait_alu 0xfffe
	s_add_nc_u64 s[76:77], s[54:55], s[76:77]
	s_mul_hi_u32 s78, s13, s74
	s_mul_hi_u32 s80, s13, s75
	s_wait_alu 0xfffe
	s_add_co_u32 s54, s76, s79
	s_add_co_ci_u32 s54, s77, s78
	s_mul_i32 s74, s13, s75
	s_add_co_ci_u32 s75, s80, 0
	s_wait_alu 0xfffe
	s_add_nc_u64 s[74:75], s[54:55], s[74:75]
	s_wait_alu 0xfffe
	s_add_co_u32 s12, s12, s74
	s_cselect_b32 s74, -1, 0
	s_wait_alu 0xfffe
	s_mul_hi_u32 s54, s10, s12
	s_cmp_lg_u32 s74, 0
	s_mul_hi_u32 s76, s11, s12
	s_add_co_ci_u32 s74, s13, s75
	s_mul_i32 s75, s11, s12
	s_wait_alu 0xfffe
	s_mul_hi_u32 s13, s10, s74
	s_mul_i32 s12, s10, s74
	s_mul_hi_u32 s77, s11, s74
	s_wait_alu 0xfffe
	s_add_nc_u64 s[12:13], s[54:55], s[12:13]
	s_mul_i32 s74, s11, s74
	s_wait_alu 0xfffe
	s_add_co_u32 s12, s12, s75
	s_add_co_ci_u32 s54, s13, s76
	s_add_co_ci_u32 s75, s77, 0
	s_wait_alu 0xfffe
	s_add_nc_u64 s[12:13], s[54:55], s[74:75]
	s_wait_alu 0xfffe
	s_mul_u64 s[12:13], s[46:47], s[12:13]
	s_wait_alu 0xfffe
	s_sub_co_u32 s12, s10, s12
	s_cselect_b32 s54, -1, 0
	s_wait_alu 0xfffe
	s_cmp_lg_u32 s54, 0
	s_sub_co_ci_u32 s13, s11, s13
	s_sub_co_u32 s54, s12, s46
	s_cselect_b32 s74, -1, 0
	s_wait_alu 0xfffe
	s_cmp_lg_u32 s74, 0
	s_sub_co_ci_u32 s74, s13, 0
	;; [unrolled: 5-line block ×3, first 2 shown]
	s_cmp_ge_u32 s54, s46
	s_cselect_b32 s77, -1, 0
	s_cmp_eq_u32 s74, 0
	s_wait_alu 0xfffe
	s_cselect_b32 s77, s77, -1
	s_wait_alu 0xfffe
	s_cmp_lg_u32 s77, 0
	s_cselect_b32 s74, s76, s74
	s_cselect_b32 s54, s75, s54
	s_cmp_ge_u32 s12, s46
	s_cselect_b32 s75, -1, 0
	s_cmp_eq_u32 s13, 0
	s_wait_alu 0xfffe
	s_cselect_b32 s75, s75, -1
	s_wait_alu 0xfffe
	s_cmp_lg_u32 s75, 0
	s_cselect_b32 s13, s74, s13
	s_cselect_b32 s12, s54, s12
	s_cbranch_execnz .LBB111_250
.LBB111_249:                            ;   in Loop: Header=BB111_36 Depth=1
	v_cvt_f32_u32_e32 v4, s46
	s_sub_co_i32 s13, 0, s46
	s_delay_alu instid0(VALU_DEP_1) | instskip(NEXT) | instid1(TRANS32_DEP_1)
	v_rcp_iflag_f32_e32 v4, v4
	v_mul_f32_e32 v4, 0x4f7ffffe, v4
	s_delay_alu instid0(VALU_DEP_1) | instskip(NEXT) | instid1(VALU_DEP_1)
	v_cvt_u32_f32_e32 v4, v4
	v_readfirstlane_b32 s12, v4
	s_wait_alu 0xfffe
	s_mul_i32 s13, s13, s12
	s_wait_alu 0xfffe
	s_mul_hi_u32 s13, s12, s13
	s_wait_alu 0xfffe
	s_add_co_i32 s12, s12, s13
	s_wait_alu 0xfffe
	s_mul_hi_u32 s12, s10, s12
	s_wait_alu 0xfffe
	s_mul_i32 s12, s12, s46
	s_wait_alu 0xfffe
	s_sub_co_i32 s12, s10, s12
	s_wait_alu 0xfffe
	s_sub_co_i32 s13, s12, s46
	s_cmp_ge_u32 s12, s46
	s_wait_alu 0xfffe
	s_cselect_b32 s12, s13, s12
	s_wait_alu 0xfffe
	s_sub_co_i32 s13, s12, s46
	s_cmp_ge_u32 s12, s46
	s_wait_alu 0xfffe
	s_cselect_b32 s54, s13, s12
	s_wait_alu 0xfffe
	s_mov_b64 s[12:13], s[54:55]
.LBB111_250:                            ;   in Loop: Header=BB111_36 Depth=1
	s_wait_alu 0xfffe
	s_sub_nc_u64 s[10:11], s[10:11], s[12:13]
	s_mov_b32 s13, 0
	s_mov_b32 s12, 0
	s_mov_b32 s54, exec_lo
                                        ; implicit-def: $vgpr51
	s_wait_alu 0xfffe
	v_cmpx_gt_u64_e64 s[10:11], v[0:1]
	s_cbranch_execz .LBB111_261
; %bb.251:                              ;   in Loop: Header=BB111_36 Depth=1
	v_dual_mov_b32 v8, v42 :: v_dual_mov_b32 v5, v1
	v_mov_b32_e32 v4, v0
                                        ; implicit-def: $sgpr74
	s_branch .LBB111_254
.LBB111_252:                            ;   in Loop: Header=BB111_254 Depth=2
	s_wait_alu 0xfffe
	s_or_b32 exec_lo, exec_lo, s75
	s_wait_loadcnt_dscnt 0x0
	s_barrier_signal -1
	s_barrier_wait -1
	global_inv scope:SCOPE_SE
	ds_load_b32 v9, v3 offset:3072
	s_mov_b32 s75, -1
	s_mov_b32 s76, -1
	s_wait_loadcnt_dscnt 0x0
	s_barrier_signal -1
	s_barrier_wait -1
	global_inv scope:SCOPE_SE
	v_and_b32_e32 v10, 0xffff, v9
	s_delay_alu instid0(VALU_DEP_1)
	v_cmp_ne_u32_e32 vcc_lo, 0, v10
	s_cbranch_vccz .LBB111_257
.LBB111_253:                            ;   in Loop: Header=BB111_254 Depth=2
	s_wait_alu 0xfffe
	s_and_b32 s75, exec_lo, s75
	s_wait_alu 0xfffe
	s_or_b32 s12, s75, s12
	s_and_not1_b32 s74, s74, exec_lo
	s_and_b32 s75, s76, exec_lo
	s_wait_alu 0xfffe
	s_or_b32 s74, s74, s75
	s_and_not1_b32 exec_lo, exec_lo, s12
	s_cbranch_execz .LBB111_260
.LBB111_254:                            ;   Parent Loop BB111_36 Depth=1
                                        ; =>  This Inner Loop Header: Depth=2
	s_mov_b32 s75, exec_lo
	s_delay_alu instid0(VALU_DEP_1)
	v_cmpx_gt_u64_e64 s[6:7], v[4:5]
	s_cbranch_execz .LBB111_252
; %bb.255:                              ;   in Loop: Header=BB111_254 Depth=2
	ds_load_u16 v9, v8
	s_wait_dscnt 0x0
	v_bfe_i32 v10, v9, 0, 16
	s_delay_alu instid0(VALU_DEP_1) | instskip(NEXT) | instid1(VALU_DEP_1)
	v_add_nc_u32_e32 v10, 0x8000, v10
	v_and_b32_e32 v10, v10, v50
	s_delay_alu instid0(VALU_DEP_1)
	v_cmp_eq_u32_e32 vcc_lo, v10, v47
	s_and_b32 exec_lo, exec_lo, vcc_lo
	s_cbranch_execz .LBB111_252
; %bb.256:                              ;   in Loop: Header=BB111_254 Depth=2
	v_perm_b32 v9, v9, 1, 0x5040100
	ds_store_b32 v3, v9 offset:3072
	s_branch .LBB111_252
.LBB111_257:                            ;   in Loop: Header=BB111_254 Depth=2
	v_add_co_u32 v4, vcc_lo, v4, s46
	s_wait_alu 0xfffd
	v_add_co_ci_u32_e64 v5, null, 0, v5, vcc_lo
	v_add_nc_u32_e32 v8, s92, v8
	s_mov_b32 s76, 0
	s_delay_alu instid0(VALU_DEP_2)
	v_cmp_le_u64_e32 vcc_lo, s[10:11], v[4:5]
	s_or_not1_b32 s75, vcc_lo, exec_lo
	s_branch .LBB111_253
.LBB111_258:                            ;   in Loop: Header=BB111_36 Depth=1
                                        ; implicit-def: $sgpr14_sgpr15
	s_branch .LBB111_204
.LBB111_259:                            ;   in Loop: Header=BB111_36 Depth=1
                                        ; implicit-def: $sgpr6_sgpr7
	s_branch .LBB111_220
.LBB111_260:                            ;   in Loop: Header=BB111_36 Depth=1
	s_or_b32 exec_lo, exec_lo, s12
	v_lshrrev_b32_e32 v51, 16, v9
	s_wait_alu 0xfffe
	s_and_b32 s12, s74, exec_lo
.LBB111_261:                            ;   in Loop: Header=BB111_36 Depth=1
	s_or_b32 exec_lo, exec_lo, s54
.LBB111_262:                            ;   in Loop: Header=BB111_36 Depth=1
	s_wait_alu 0xfffe
	s_and_b32 vcc_lo, exec_lo, s13
	s_wait_alu 0xfffe
	s_cbranch_vccz .LBB111_276
; %bb.263:                              ;   in Loop: Header=BB111_36 Depth=1
	s_mov_b32 s6, s55
	s_mov_b32 s7, s61
	s_wait_alu 0xfffe
	s_cmp_lg_u64 s[6:7], 0
	s_cbranch_scc0 .LBB111_297
; %bb.264:                              ;   in Loop: Header=BB111_36 Depth=1
	s_cvt_f32_u32 s6, s46
	s_sub_nc_u64 s[10:11], 0, s[46:47]
	s_wait_alu 0xfffe
	s_delay_alu instid0(SALU_CYCLE_1) | instskip(SKIP_1) | instid1(SALU_CYCLE_2)
	s_fmamk_f32 s6, s93, 0x0, s6
	s_wait_alu 0xfffe
	v_s_rcp_f32 s6, s6
	s_delay_alu instid0(TRANS32_DEP_1) | instskip(SKIP_1) | instid1(SALU_CYCLE_2)
	s_mul_f32 s6, s6, 0x5f7ffffc
	s_wait_alu 0xfffe
	s_mul_f32 s7, s6, 0x2f800000
	s_wait_alu 0xfffe
	s_delay_alu instid0(SALU_CYCLE_2) | instskip(SKIP_1) | instid1(SALU_CYCLE_2)
	s_trunc_f32 s7, s7
	s_wait_alu 0xfffe
	s_fmamk_f32 s6, s7, 0xcf800000, s6
	s_cvt_u32_f32 s7, s7
	s_wait_alu 0xfffe
	s_delay_alu instid0(SALU_CYCLE_1) | instskip(SKIP_1) | instid1(SALU_CYCLE_2)
	s_cvt_u32_f32 s6, s6
	s_wait_alu 0xfffe
	s_mul_u64 s[72:73], s[10:11], s[6:7]
	s_wait_alu 0xfffe
	s_mul_hi_u32 s75, s6, s73
	s_mul_i32 s74, s6, s73
	s_mul_hi_u32 s54, s6, s72
	s_mul_i32 s76, s7, s72
	s_wait_alu 0xfffe
	s_add_nc_u64 s[74:75], s[54:55], s[74:75]
	s_mul_hi_u32 s13, s7, s72
	s_mul_hi_u32 s77, s7, s73
	s_wait_alu 0xfffe
	s_add_co_u32 s54, s74, s76
	s_add_co_ci_u32 s54, s75, s13
	s_mul_i32 s72, s7, s73
	s_add_co_ci_u32 s73, s77, 0
	s_wait_alu 0xfffe
	s_add_nc_u64 s[72:73], s[54:55], s[72:73]
	s_wait_alu 0xfffe
	s_add_co_u32 s6, s6, s72
	s_cselect_b32 s13, -1, 0
	s_wait_alu 0xfffe
	s_cmp_lg_u32 s13, 0
	s_add_co_ci_u32 s7, s7, s73
	s_wait_alu 0xfffe
	s_mul_u64 s[10:11], s[10:11], s[6:7]
	s_wait_alu 0xfffe
	s_mul_hi_u32 s73, s6, s11
	s_mul_i32 s72, s6, s11
	s_mul_hi_u32 s54, s6, s10
	s_mul_i32 s74, s7, s10
	s_wait_alu 0xfffe
	s_add_nc_u64 s[72:73], s[54:55], s[72:73]
	s_mul_hi_u32 s13, s7, s10
	s_mul_hi_u32 s75, s7, s11
	s_mul_i32 s10, s7, s11
	s_wait_alu 0xfffe
	s_add_co_u32 s11, s72, s74
	s_add_co_ci_u32 s54, s73, s13
	s_add_co_ci_u32 s11, s75, 0
	s_wait_alu 0xfffe
	s_add_nc_u64 s[10:11], s[54:55], s[10:11]
	s_wait_alu 0xfffe
	s_add_co_u32 s6, s6, s10
	s_cselect_b32 s10, -1, 0
	s_wait_alu 0xfffe
	s_mul_hi_u32 s54, s60, s6
	s_cmp_lg_u32 s10, 0
	s_mul_hi_u32 s13, s61, s6
	s_add_co_ci_u32 s10, s7, s11
	s_mul_i32 s11, s61, s6
	s_wait_alu 0xfffe
	s_mul_hi_u32 s7, s60, s10
	s_mul_i32 s6, s60, s10
	s_mul_hi_u32 s72, s61, s10
	s_wait_alu 0xfffe
	s_add_nc_u64 s[6:7], s[54:55], s[6:7]
	s_mul_i32 s10, s61, s10
	s_wait_alu 0xfffe
	s_add_co_u32 s6, s6, s11
	s_add_co_ci_u32 s54, s7, s13
	s_add_co_ci_u32 s11, s72, 0
	s_wait_alu 0xfffe
	s_add_nc_u64 s[6:7], s[54:55], s[10:11]
	s_wait_alu 0xfffe
	s_mul_u64 s[6:7], s[46:47], s[6:7]
	s_wait_alu 0xfffe
	s_sub_co_u32 s6, s60, s6
	s_cselect_b32 s10, -1, 0
	s_wait_alu 0xfffe
	s_cmp_lg_u32 s10, 0
	s_sub_co_ci_u32 s7, s61, s7
	s_sub_co_u32 s10, s6, s46
	s_cselect_b32 s11, -1, 0
	s_wait_alu 0xfffe
	s_cmp_lg_u32 s11, 0
	s_sub_co_ci_u32 s11, s7, 0
	;; [unrolled: 5-line block ×3, first 2 shown]
	s_cmp_ge_u32 s10, s46
	s_cselect_b32 s72, -1, 0
	s_cmp_eq_u32 s11, 0
	s_wait_alu 0xfffe
	s_cselect_b32 s72, s72, -1
	s_wait_alu 0xfffe
	s_cmp_lg_u32 s72, 0
	s_cselect_b32 s11, s54, s11
	s_cselect_b32 s10, s13, s10
	s_cmp_ge_u32 s6, s46
	s_cselect_b32 s13, -1, 0
	s_cmp_eq_u32 s7, 0
	s_wait_alu 0xfffe
	s_cselect_b32 s13, s13, -1
	s_wait_alu 0xfffe
	s_cmp_lg_u32 s13, 0
	s_cselect_b32 s7, s11, s7
	s_cselect_b32 s6, s10, s6
	s_cbranch_execnz .LBB111_266
.LBB111_265:                            ;   in Loop: Header=BB111_36 Depth=1
	v_cvt_f32_u32_e32 v4, s46
	s_sub_co_i32 s7, 0, s46
	s_delay_alu instid0(VALU_DEP_1) | instskip(NEXT) | instid1(TRANS32_DEP_1)
	v_rcp_iflag_f32_e32 v4, v4
	v_mul_f32_e32 v4, 0x4f7ffffe, v4
	s_delay_alu instid0(VALU_DEP_1) | instskip(NEXT) | instid1(VALU_DEP_1)
	v_cvt_u32_f32_e32 v4, v4
	v_readfirstlane_b32 s6, v4
	s_wait_alu 0xfffe
	s_mul_i32 s7, s7, s6
	s_wait_alu 0xfffe
	s_mul_hi_u32 s7, s6, s7
	s_wait_alu 0xfffe
	s_add_co_i32 s6, s6, s7
	s_wait_alu 0xfffe
	s_mul_hi_u32 s6, s60, s6
	s_wait_alu 0xfffe
	s_mul_i32 s6, s6, s46
	s_wait_alu 0xfffe
	s_sub_co_i32 s6, s60, s6
	s_wait_alu 0xfffe
	s_sub_co_i32 s7, s6, s46
	s_cmp_ge_u32 s6, s46
	s_wait_alu 0xfffe
	s_cselect_b32 s6, s7, s6
	s_wait_alu 0xfffe
	s_sub_co_i32 s7, s6, s46
	s_cmp_ge_u32 s6, s46
	s_wait_alu 0xfffe
	s_cselect_b32 s54, s7, s6
	s_wait_alu 0xfffe
	s_mov_b64 s[6:7], s[54:55]
.LBB111_266:                            ;   in Loop: Header=BB111_36 Depth=1
	s_wait_alu 0xfffe
	s_sub_nc_u64 s[10:11], s[60:61], s[6:7]
	s_mov_b32 s7, exec_lo
                                        ; implicit-def: $vgpr51
	s_wait_alu 0xfffe
	v_cmpx_gt_u64_e64 s[10:11], v[0:1]
	s_cbranch_execz .LBB111_275
; %bb.267:                              ;   in Loop: Header=BB111_36 Depth=1
	v_dual_mov_b32 v4, v14 :: v_dual_mov_b32 v5, v15
	v_dual_mov_b32 v9, v1 :: v_dual_mov_b32 v8, v0
	s_mov_b32 s13, 0
                                        ; implicit-def: $sgpr54
	s_branch .LBB111_270
.LBB111_268:                            ;   in Loop: Header=BB111_270 Depth=2
	s_wait_alu 0xfffe
	s_or_b32 exec_lo, exec_lo, s6
	s_wait_loadcnt_dscnt 0x0
	s_barrier_signal -1
	s_barrier_wait -1
	global_inv scope:SCOPE_SE
	ds_load_b32 v10, v3 offset:3072
	s_mov_b32 s6, -1
	s_mov_b32 s72, -1
	s_wait_loadcnt_dscnt 0x0
	s_barrier_signal -1
	s_barrier_wait -1
	global_inv scope:SCOPE_SE
	v_and_b32_e32 v11, 0xffff, v10
	s_delay_alu instid0(VALU_DEP_1)
	v_cmp_eq_u32_e32 vcc_lo, 0, v11
	s_cbranch_vccnz .LBB111_273
.LBB111_269:                            ;   in Loop: Header=BB111_270 Depth=2
	s_wait_alu 0xfffe
	s_and_b32 s6, exec_lo, s6
	s_wait_alu 0xfffe
	s_or_b32 s13, s6, s13
	s_and_not1_b32 s6, s54, exec_lo
	s_and_b32 s54, s72, exec_lo
	s_wait_alu 0xfffe
	s_or_b32 s54, s6, s54
	s_and_not1_b32 exec_lo, exec_lo, s13
	s_cbranch_execz .LBB111_274
.LBB111_270:                            ;   Parent Loop BB111_36 Depth=1
                                        ; =>  This Inner Loop Header: Depth=2
	s_mov_b32 s6, exec_lo
	s_delay_alu instid0(VALU_DEP_1)
	v_cmpx_gt_u64_e64 s[28:29], v[8:9]
	s_cbranch_execz .LBB111_268
; %bb.271:                              ;   in Loop: Header=BB111_270 Depth=2
	global_load_u16 v10, v[4:5], off
	s_wait_loadcnt 0x0
	v_bfe_i32 v11, v10, 0, 16
	s_delay_alu instid0(VALU_DEP_1) | instskip(NEXT) | instid1(VALU_DEP_1)
	v_add_nc_u32_e32 v11, 0x8000, v11
	v_and_b32_e32 v11, v11, v50
	s_delay_alu instid0(VALU_DEP_1)
	v_cmp_eq_u32_e32 vcc_lo, v11, v47
	s_and_b32 exec_lo, exec_lo, vcc_lo
	s_cbranch_execz .LBB111_268
; %bb.272:                              ;   in Loop: Header=BB111_270 Depth=2
	v_perm_b32 v10, v10, 1, 0x5040100
	ds_store_b32 v3, v10 offset:3072
	s_branch .LBB111_268
.LBB111_273:                            ;   in Loop: Header=BB111_270 Depth=2
	v_add_co_u32 v8, vcc_lo, v8, s46
	s_wait_alu 0xfffd
	v_add_co_ci_u32_e64 v9, null, 0, v9, vcc_lo
	v_add_co_u32 v4, s6, v4, s56
	s_wait_alu 0xf1fe
	v_add_co_ci_u32_e64 v5, null, s57, v5, s6
	s_delay_alu instid0(VALU_DEP_3)
	v_cmp_le_u64_e32 vcc_lo, s[10:11], v[8:9]
	s_mov_b32 s72, 0
	s_or_not1_b32 s6, vcc_lo, exec_lo
	s_branch .LBB111_269
.LBB111_274:                            ;   in Loop: Header=BB111_36 Depth=1
	s_or_b32 exec_lo, exec_lo, s13
	v_lshrrev_b32_e32 v51, 16, v10
	s_and_not1_b32 s6, s12, exec_lo
	s_wait_alu 0xfffe
	s_and_b32 s10, s54, exec_lo
	s_wait_alu 0xfffe
	s_or_b32 s12, s6, s10
.LBB111_275:                            ;   in Loop: Header=BB111_36 Depth=1
	s_or_b32 exec_lo, exec_lo, s7
	s_mov_b32 s72, 0
	s_mov_b32 s73, -1
.LBB111_276:                            ;   in Loop: Header=BB111_36 Depth=1
	s_wait_alu 0xfffe
	s_or_not1_b32 s7, s12, exec_lo
.LBB111_277:                            ;   in Loop: Header=BB111_36 Depth=1
	s_or_b32 exec_lo, exec_lo, s71
	s_mov_b32 s10, 0
	s_wait_alu 0xfffe
	s_and_saveexec_b32 s6, s7
	s_cbranch_execz .LBB111_288
; %bb.278:                              ;   in Loop: Header=BB111_36 Depth=1
	v_mov_b32_e32 v4, 1
	v_dual_mov_b32 v5, 0 :: v_dual_mov_b32 v2, 1
	s_xor_b32 s10, s20, -1
	s_wait_alu 0xfffe
	s_and_saveexec_b32 s7, s10
	s_cbranch_execz .LBB111_287
; %bb.279:                              ;   in Loop: Header=BB111_36 Depth=1
	s_mov_b32 s10, exec_lo
	v_cmpx_ge_u64_e64 s[8:9], v[6:7]
	s_wait_alu 0xfffe
	s_xor_b32 s10, exec_lo, s10
	s_cbranch_execz .LBB111_284
; %bb.280:                              ;   in Loop: Header=BB111_36 Depth=1
	ds_load_b64 v[4:5], v3 offset:5120
	v_or_b32_e32 v47, s16, v47
	v_or_b32_e32 v50, s16, v50
	s_wait_dscnt 0x0
	v_cmp_ne_u64_e32 vcc_lo, 0, v[4:5]
	s_cbranch_vccnz .LBB111_284
; %bb.281:                              ;   in Loop: Header=BB111_36 Depth=1
	s_and_saveexec_b32 s11, s2
; %bb.282:                              ;   in Loop: Header=BB111_36 Depth=1
	v_dual_mov_b32 v4, s8 :: v_dual_mov_b32 v5, s9
	ds_store_b64 v3, v[4:5] offset:5128
; %bb.283:                              ;   in Loop: Header=BB111_36 Depth=1
	s_wait_alu 0xfffe
	s_or_b32 exec_lo, exec_lo, s11
	s_wait_loadcnt_dscnt 0x0
	s_barrier_signal -1
	s_barrier_wait -1
	global_inv scope:SCOPE_SE
.LBB111_284:                            ;   in Loop: Header=BB111_36 Depth=1
	s_wait_alu 0xfffe
	s_and_not1_saveexec_b32 s10, s10
; %bb.285:                              ;   in Loop: Header=BB111_36 Depth=1
	v_sub_co_u32 v6, vcc_lo, v6, s8
	s_wait_alu 0xfffd
	v_subrev_co_ci_u32_e64 v7, null, s9, v7, vcc_lo
; %bb.286:                              ;   in Loop: Header=BB111_36 Depth=1
	s_wait_alu 0xfffe
	s_or_b32 exec_lo, exec_lo, s10
	v_mov_b32_e32 v4, v6
	s_delay_alu instid0(VALU_DEP_2)
	v_dual_mov_b32 v2, 8 :: v_dual_mov_b32 v5, v7
.LBB111_287:                            ;   in Loop: Header=BB111_36 Depth=1
	s_wait_alu 0xfffe
	s_or_b32 exec_lo, exec_lo, s7
	s_delay_alu instid0(VALU_DEP_1)
	v_dual_mov_b32 v7, v5 :: v_dual_mov_b32 v6, v4
	s_mov_b32 s10, exec_lo
.LBB111_288:                            ;   in Loop: Header=BB111_36 Depth=1
	s_wait_alu 0xfffe
	s_or_b32 exec_lo, exec_lo, s6
	s_delay_alu instid0(SALU_CYCLE_1)
	s_or_not1_b32 s6, s10, exec_lo
.LBB111_289:                            ;   in Loop: Header=BB111_36 Depth=1
	s_wait_alu 0xfffe
	s_or_b32 exec_lo, exec_lo, s15
	v_dual_mov_b32 v4, v6 :: v_dual_mov_b32 v5, v7
	s_and_not1_b32 s7, s70, exec_lo
	s_and_b32 s8, s73, exec_lo
	s_and_not1_b32 s9, s25, exec_lo
	s_and_b32 s10, s72, exec_lo
	s_wait_alu 0xfffe
	s_or_b32 s70, s7, s8
	s_or_b32 s25, s9, s10
	s_and_b32 s7, s6, exec_lo
.LBB111_290:                            ;   in Loop: Header=BB111_36 Depth=1
	s_wait_alu 0xfffe
	s_or_b32 exec_lo, exec_lo, s14
	s_delay_alu instid0(SALU_CYCLE_1)
	s_or_not1_b32 s6, s7, exec_lo
.LBB111_291:                            ;   in Loop: Header=BB111_36 Depth=1
	s_or_b32 exec_lo, exec_lo, s24
	v_dual_mov_b32 v9, v5 :: v_dual_mov_b32 v8, v4
	s_and_not1_b32 s7, s22, exec_lo
	s_and_b32 s8, s70, exec_lo
	s_and_not1_b32 s9, s21, exec_lo
	s_and_b32 s10, s25, exec_lo
	s_wait_alu 0xfffe
	s_or_b32 s22, s7, s8
	s_or_b32 s21, s9, s10
	s_and_b32 s7, s6, exec_lo
.LBB111_292:                            ;   in Loop: Header=BB111_36 Depth=1
	s_or_b32 exec_lo, exec_lo, s23
	s_wait_alu 0xfffe
	s_or_not1_b32 s6, s7, exec_lo
.LBB111_293:                            ;   in Loop: Header=BB111_36 Depth=1
	s_or_b32 exec_lo, exec_lo, s19
	s_mov_b32 s7, 0
	s_wait_alu 0xfffe
	s_and_saveexec_b32 s8, s6
	s_wait_alu 0xfffe
	s_xor_b32 s6, exec_lo, s8
	s_cbranch_execz .LBB111_34
; %bb.294:                              ;   in Loop: Header=BB111_36 Depth=1
	v_and_b32_e32 v2, 7, v2
	s_mov_b32 s8, -1
	s_mov_b32 s7, -1
	s_mov_b32 s9, exec_lo
	s_delay_alu instid0(VALU_DEP_1)
	v_cmpx_eq_u32_e32 0, v2
	s_cbranch_execz .LBB111_33
; %bb.295:                              ;   in Loop: Header=BB111_36 Depth=1
	s_xor_b32 s96, s96, 1
	s_add_co_i32 s10, s94, -2
	s_cmp_eq_u32 s94, 0
	s_wait_alu 0xfffe
	s_mov_b32 s94, s10
	s_cselect_b32 s8, -1, 0
	s_xor_b32 s7, exec_lo, -1
	s_wait_alu 0xfffe
	s_or_not1_b32 s8, s8, exec_lo
	s_branch .LBB111_33
.LBB111_296:                            ;   in Loop: Header=BB111_36 Depth=1
                                        ; implicit-def: $sgpr12_sgpr13
	s_branch .LBB111_249
.LBB111_297:                            ;   in Loop: Header=BB111_36 Depth=1
                                        ; implicit-def: $sgpr6_sgpr7
	s_branch .LBB111_265
.LBB111_298:
	s_or_b32 exec_lo, exec_lo, s95
	s_xor_b32 s4, s102, -1
	s_xor_b32 s1, s100, -1
	;; [unrolled: 1-line block ×3, first 2 shown]
	s_mov_b32 s2, 0
	s_and_saveexec_b32 s5, s1
	s_wait_alu 0xfffe
	s_xor_b32 s1, exec_lo, s5
	s_cbranch_execnz .LBB111_303
; %bb.299:
	s_and_not1_saveexec_b32 s0, s1
	s_cbranch_execnz .LBB111_316
.LBB111_300:
	s_wait_alu 0xfffe
	s_or_b32 exec_lo, exec_lo, s0
	s_and_saveexec_b32 s0, s2
.LBB111_301:
	; divergent unreachable
.LBB111_302:
	s_endpgm
.LBB111_303:
	s_and_saveexec_b32 s2, s4
	s_wait_alu 0xfffe
	s_xor_b32 s2, exec_lo, s2
	s_cbranch_execz .LBB111_314
; %bb.304:
	s_and_saveexec_b32 s4, s3
	s_wait_alu 0xfffe
	s_xor_b32 s3, exec_lo, s4
; %bb.305:
	v_xor_b32_e32 v51, 0xffff8000, v47
; %bb.306:
	s_wait_alu 0xfffe
	s_or_b32 exec_lo, exec_lo, s3
	s_mul_u64 s[4:5], s[40:41], s[36:37]
	v_mov_b32_e32 v2, 0
	s_wait_alu 0xfffe
	s_lshl_b64 s[4:5], s[4:5], 1
	s_lshl_b64 s[6:7], s[26:27], 1
	s_wait_alu 0xfffe
	s_add_nc_u64 s[4:5], s[48:49], s[4:5]
	s_wait_alu 0xfffe
	s_add_nc_u64 s[4:5], s[4:5], s[6:7]
	global_store_b16 v2, v51, s[4:5]
	s_and_saveexec_b32 s3, s0
	s_cbranch_execz .LBB111_313
; %bb.307:
	s_mov_b32 s4, 0
                                        ; implicit-def: $sgpr5
                                        ; implicit-def: $sgpr7
                                        ; implicit-def: $sgpr6
	s_branch .LBB111_309
.LBB111_308:                            ;   in Loop: Header=BB111_309 Depth=1
	s_wait_alu 0xfffe
	s_or_b32 exec_lo, exec_lo, s8
	s_delay_alu instid0(SALU_CYCLE_1)
	s_and_b32 s0, exec_lo, s7
	s_wait_alu 0xfffe
	s_or_b32 s4, s0, s4
	s_and_not1_b32 s0, s5, exec_lo
	s_and_b32 s5, s6, exec_lo
	s_wait_alu 0xfffe
	s_or_b32 s5, s0, s5
	s_and_not1_b32 exec_lo, exec_lo, s4
	s_cbranch_execz .LBB111_311
.LBB111_309:                            ; =>This Inner Loop Header: Depth=1
	global_load_u16 v4, v[14:15], off
	v_dual_mov_b32 v3, v1 :: v_dual_mov_b32 v2, v0
	s_or_b32 s6, s6, exec_lo
	s_or_b32 s7, s7, exec_lo
	s_mov_b32 s8, exec_lo
                                        ; implicit-def: $vgpr0_vgpr1
	s_wait_loadcnt 0x0
	v_cmpx_ne_u16_e64 v4, v51
	s_cbranch_execz .LBB111_308
; %bb.310:                              ;   in Loop: Header=BB111_309 Depth=1
	v_add_co_u32 v0, vcc_lo, v2, s46
	s_wait_alu 0xfffd
	v_add_co_ci_u32_e64 v1, null, 0, v3, vcc_lo
	v_add_co_u32 v14, s0, v14, s56
	s_wait_alu 0xf1ff
	v_add_co_ci_u32_e64 v15, null, s57, v15, s0
	s_delay_alu instid0(VALU_DEP_3)
	v_cmp_le_u64_e32 vcc_lo, s[28:29], v[0:1]
	s_wait_alu 0xfffe
	s_and_not1_b32 s0, s7, exec_lo
	s_and_not1_b32 s6, s6, exec_lo
	s_and_b32 s7, vcc_lo, exec_lo
	s_wait_alu 0xfffe
	s_or_b32 s7, s0, s7
	s_branch .LBB111_308
.LBB111_311:
	s_or_b32 exec_lo, exec_lo, s4
	s_wait_alu 0xfffe
	s_and_saveexec_b32 s0, s5
	s_wait_alu 0xfffe
	s_xor_b32 s0, exec_lo, s0
	s_cbranch_execz .LBB111_313
; %bb.312:
	s_mul_u64 s[4:5], s[42:43], s[38:39]
	v_mov_b32_e32 v0, 0
	s_wait_alu 0xfffe
	s_lshl_b64 s[4:5], s[4:5], 3
	s_lshl_b64 s[6:7], s[34:35], 3
	s_wait_alu 0xfffe
	s_add_nc_u64 s[4:5], s[44:45], s[4:5]
	s_wait_alu 0xfffe
	s_add_nc_u64 s[4:5], s[4:5], s[6:7]
	global_store_b64 v0, v[2:3], s[4:5]
.LBB111_313:
	s_wait_alu 0xfffe
	s_or_b32 exec_lo, exec_lo, s3
.LBB111_314:
	s_wait_alu 0xfffe
	s_or_saveexec_b32 s0, s2
	s_mov_b32 s2, 0
	s_wait_alu 0xfffe
	s_xor_b32 exec_lo, exec_lo, s0
	s_cbranch_execnz .LBB111_317
.LBB111_315:
	s_or_b32 exec_lo, exec_lo, s0
	s_wait_alu 0xfffe
	s_and_b32 s2, s2, exec_lo
	s_and_not1_saveexec_b32 s0, s1
	s_cbranch_execz .LBB111_300
.LBB111_316:
	s_wait_alu 0xfffe
	s_or_b32 s2, s2, exec_lo
	s_trap 2
	s_or_b32 exec_lo, exec_lo, s0
	s_wait_alu 0xfffe
	s_and_saveexec_b32 s0, s2
	s_cbranch_execnz .LBB111_301
	s_branch .LBB111_302
.LBB111_317:
	s_mov_b32 s2, exec_lo
	s_trap 2
	s_branch .LBB111_315
	.section	.rodata,"a",@progbits
	.p2align	6, 0x0
	.amdhsa_kernel _ZN2at6native12_GLOBAL__N_112gatherMedianIsmLin1EEEvNS_4cuda6detail10TensorInfoIT_T0_EENS5_IlS7_EENS5_IKS6_S7_EES7_S7_S7_b
		.amdhsa_group_segment_fixed_size 5152
		.amdhsa_private_segment_fixed_size 0
		.amdhsa_kernarg_size 1536
		.amdhsa_user_sgpr_count 2
		.amdhsa_user_sgpr_dispatch_ptr 0
		.amdhsa_user_sgpr_queue_ptr 0
		.amdhsa_user_sgpr_kernarg_segment_ptr 1
		.amdhsa_user_sgpr_dispatch_id 0
		.amdhsa_user_sgpr_private_segment_size 0
		.amdhsa_wavefront_size32 1
		.amdhsa_uses_dynamic_stack 0
		.amdhsa_enable_private_segment 0
		.amdhsa_system_sgpr_workgroup_id_x 1
		.amdhsa_system_sgpr_workgroup_id_y 1
		.amdhsa_system_sgpr_workgroup_id_z 1
		.amdhsa_system_sgpr_workgroup_info 0
		.amdhsa_system_vgpr_workitem_id 0
		.amdhsa_next_free_vgpr 62
		.amdhsa_next_free_sgpr 104
		.amdhsa_reserve_vcc 1
		.amdhsa_float_round_mode_32 0
		.amdhsa_float_round_mode_16_64 0
		.amdhsa_float_denorm_mode_32 3
		.amdhsa_float_denorm_mode_16_64 3
		.amdhsa_fp16_overflow 0
		.amdhsa_workgroup_processor_mode 1
		.amdhsa_memory_ordered 1
		.amdhsa_forward_progress 1
		.amdhsa_inst_pref_size 163
		.amdhsa_round_robin_scheduling 0
		.amdhsa_exception_fp_ieee_invalid_op 0
		.amdhsa_exception_fp_denorm_src 0
		.amdhsa_exception_fp_ieee_div_zero 0
		.amdhsa_exception_fp_ieee_overflow 0
		.amdhsa_exception_fp_ieee_underflow 0
		.amdhsa_exception_fp_ieee_inexact 0
		.amdhsa_exception_int_div_zero 0
	.end_amdhsa_kernel
	.section	.text._ZN2at6native12_GLOBAL__N_112gatherMedianIsmLin1EEEvNS_4cuda6detail10TensorInfoIT_T0_EENS5_IlS7_EENS5_IKS6_S7_EES7_S7_S7_b,"axG",@progbits,_ZN2at6native12_GLOBAL__N_112gatherMedianIsmLin1EEEvNS_4cuda6detail10TensorInfoIT_T0_EENS5_IlS7_EENS5_IKS6_S7_EES7_S7_S7_b,comdat
.Lfunc_end111:
	.size	_ZN2at6native12_GLOBAL__N_112gatherMedianIsmLin1EEEvNS_4cuda6detail10TensorInfoIT_T0_EENS5_IlS7_EENS5_IKS6_S7_EES7_S7_S7_b, .Lfunc_end111-_ZN2at6native12_GLOBAL__N_112gatherMedianIsmLin1EEEvNS_4cuda6detail10TensorInfoIT_T0_EENS5_IlS7_EENS5_IKS6_S7_EES7_S7_S7_b
                                        ; -- End function
	.set _ZN2at6native12_GLOBAL__N_112gatherMedianIsmLin1EEEvNS_4cuda6detail10TensorInfoIT_T0_EENS5_IlS7_EENS5_IKS6_S7_EES7_S7_S7_b.num_vgpr, 62
	.set _ZN2at6native12_GLOBAL__N_112gatherMedianIsmLin1EEEvNS_4cuda6detail10TensorInfoIT_T0_EENS5_IlS7_EENS5_IKS6_S7_EES7_S7_S7_b.num_agpr, 0
	.set _ZN2at6native12_GLOBAL__N_112gatherMedianIsmLin1EEEvNS_4cuda6detail10TensorInfoIT_T0_EENS5_IlS7_EENS5_IKS6_S7_EES7_S7_S7_b.numbered_sgpr, 104
	.set _ZN2at6native12_GLOBAL__N_112gatherMedianIsmLin1EEEvNS_4cuda6detail10TensorInfoIT_T0_EENS5_IlS7_EENS5_IKS6_S7_EES7_S7_S7_b.num_named_barrier, 0
	.set _ZN2at6native12_GLOBAL__N_112gatherMedianIsmLin1EEEvNS_4cuda6detail10TensorInfoIT_T0_EENS5_IlS7_EENS5_IKS6_S7_EES7_S7_S7_b.private_seg_size, 0
	.set _ZN2at6native12_GLOBAL__N_112gatherMedianIsmLin1EEEvNS_4cuda6detail10TensorInfoIT_T0_EENS5_IlS7_EENS5_IKS6_S7_EES7_S7_S7_b.uses_vcc, 1
	.set _ZN2at6native12_GLOBAL__N_112gatherMedianIsmLin1EEEvNS_4cuda6detail10TensorInfoIT_T0_EENS5_IlS7_EENS5_IKS6_S7_EES7_S7_S7_b.uses_flat_scratch, 0
	.set _ZN2at6native12_GLOBAL__N_112gatherMedianIsmLin1EEEvNS_4cuda6detail10TensorInfoIT_T0_EENS5_IlS7_EENS5_IKS6_S7_EES7_S7_S7_b.has_dyn_sized_stack, 0
	.set _ZN2at6native12_GLOBAL__N_112gatherMedianIsmLin1EEEvNS_4cuda6detail10TensorInfoIT_T0_EENS5_IlS7_EENS5_IKS6_S7_EES7_S7_S7_b.has_recursion, 0
	.set _ZN2at6native12_GLOBAL__N_112gatherMedianIsmLin1EEEvNS_4cuda6detail10TensorInfoIT_T0_EENS5_IlS7_EENS5_IKS6_S7_EES7_S7_S7_b.has_indirect_call, 0
	.section	.AMDGPU.csdata,"",@progbits
; Kernel info:
; codeLenInByte = 20756
; TotalNumSgprs: 106
; NumVgprs: 62
; ScratchSize: 0
; MemoryBound: 0
; FloatMode: 240
; IeeeMode: 1
; LDSByteSize: 5152 bytes/workgroup (compile time only)
; SGPRBlocks: 0
; VGPRBlocks: 7
; NumSGPRsForWavesPerEU: 106
; NumVGPRsForWavesPerEU: 62
; Occupancy: 16
; WaveLimiterHint : 1
; COMPUTE_PGM_RSRC2:SCRATCH_EN: 0
; COMPUTE_PGM_RSRC2:USER_SGPR: 2
; COMPUTE_PGM_RSRC2:TRAP_HANDLER: 0
; COMPUTE_PGM_RSRC2:TGID_X_EN: 1
; COMPUTE_PGM_RSRC2:TGID_Y_EN: 1
; COMPUTE_PGM_RSRC2:TGID_Z_EN: 1
; COMPUTE_PGM_RSRC2:TIDIG_COMP_CNT: 0
	.section	.text._ZN2at6native12_GLOBAL__N_112gatherMedianIdjLi1EEEvNS_4cuda6detail10TensorInfoIT_T0_EENS5_IlS7_EENS5_IKS6_S7_EES7_S7_S7_b,"axG",@progbits,_ZN2at6native12_GLOBAL__N_112gatherMedianIdjLi1EEEvNS_4cuda6detail10TensorInfoIT_T0_EENS5_IlS7_EENS5_IKS6_S7_EES7_S7_S7_b,comdat
	.globl	_ZN2at6native12_GLOBAL__N_112gatherMedianIdjLi1EEEvNS_4cuda6detail10TensorInfoIT_T0_EENS5_IlS7_EENS5_IKS6_S7_EES7_S7_S7_b ; -- Begin function _ZN2at6native12_GLOBAL__N_112gatherMedianIdjLi1EEEvNS_4cuda6detail10TensorInfoIT_T0_EENS5_IlS7_EENS5_IKS6_S7_EES7_S7_S7_b
	.p2align	8
	.type	_ZN2at6native12_GLOBAL__N_112gatherMedianIdjLi1EEEvNS_4cuda6detail10TensorInfoIT_T0_EENS5_IlS7_EENS5_IKS6_S7_EES7_S7_S7_b,@function
_ZN2at6native12_GLOBAL__N_112gatherMedianIdjLi1EEEvNS_4cuda6detail10TensorInfoIT_T0_EENS5_IlS7_EENS5_IKS6_S7_EES7_S7_S7_b: ; @_ZN2at6native12_GLOBAL__N_112gatherMedianIdjLi1EEEvNS_4cuda6detail10TensorInfoIT_T0_EENS5_IlS7_EENS5_IKS6_S7_EES7_S7_S7_b
; %bb.0:
	s_clause 0x1
	s_load_b64 s[4:5], s[0:1], 0x298
	s_load_b128 s[28:31], s[0:1], 0x288
	s_lshr_b32 s2, ttmp7, 16
	s_and_b32 s3, ttmp7, 0xffff
	s_wait_kmcnt 0x0
	s_mul_i32 s2, s5, s2
	s_delay_alu instid0(SALU_CYCLE_1) | instskip(NEXT) | instid1(SALU_CYCLE_1)
	s_add_co_i32 s2, s2, s3
	s_mul_i32 s27, s2, s4
	s_delay_alu instid0(SALU_CYCLE_1) | instskip(NEXT) | instid1(SALU_CYCLE_1)
	s_add_co_i32 s27, s27, ttmp9
	s_cmp_ge_u32 s27, s29
	s_cbranch_scc1 .LBB112_252
; %bb.1:
	s_clause 0x1
	s_load_b32 s2, s[0:1], 0x21c
	s_load_b64 s[10:11], s[0:1], 0x1b0
	s_mov_b32 s7, 0
	v_mov_b32_e32 v3, 0
	s_add_nc_u64 s[8:9], s[0:1], 0x298
	s_wait_kmcnt 0x0
	s_mul_i32 s6, s2, s27
	v_cmp_gt_u32_e64 s2, s28, v0
	s_lshl_b64 s[12:13], s[6:7], 3
	s_delay_alu instid0(SALU_CYCLE_1)
	s_add_nc_u64 s[34:35], s[10:11], s[12:13]
	s_and_saveexec_b32 s5, s2
	s_cbranch_execz .LBB112_5
; %bb.2:
	s_load_b32 s3, s[8:9], 0xc
	v_mov_b32_e32 v2, 0
	v_mul_lo_u32 v1, v0, s30
	s_delay_alu instid0(VALU_DEP_2) | instskip(SKIP_2) | instid1(SALU_CYCLE_1)
	v_dual_mov_b32 v4, v0 :: v_dual_mov_b32 v3, v2
	s_wait_kmcnt 0x0
	s_and_b32 s6, s3, 0xffff
	s_mul_i32 s10, s30, s6
.LBB112_3:                              ; =>This Inner Loop Header: Depth=1
	s_delay_alu instid0(VALU_DEP_2) | instskip(SKIP_2) | instid1(VALU_DEP_3)
	v_lshlrev_b64_e32 v[5:6], 3, v[1:2]
	v_add_nc_u32_e32 v4, s6, v4
	v_add_nc_u32_e32 v1, s10, v1
	v_add_co_u32 v5, vcc_lo, s34, v5
	s_wait_alu 0xfffd
	s_delay_alu instid0(VALU_DEP_4)
	v_add_co_ci_u32_e64 v6, null, s35, v6, vcc_lo
	v_cmp_le_u32_e32 vcc_lo, s28, v4
	global_load_b64 v[5:6], v[5:6], off
	s_or_b32 s7, vcc_lo, s7
	s_wait_loadcnt 0x0
	v_cmp_u_f64_e64 s3, v[5:6], v[5:6]
	s_wait_alu 0xf1ff
	s_delay_alu instid0(VALU_DEP_1)
	v_add_co_ci_u32_e64 v3, null, 0, v3, s3
	s_wait_alu 0xfffe
	s_and_not1_b32 exec_lo, exec_lo, s7
	s_cbranch_execnz .LBB112_3
; %bb.4:
	s_or_b32 exec_lo, exec_lo, s7
.LBB112_5:
	s_delay_alu instid0(SALU_CYCLE_1)
	s_or_b32 exec_lo, exec_lo, s5
	s_clause 0x3
	s_load_b32 s33, s[0:1], 0x144
	s_load_b64 s[36:37], s[0:1], 0xd8
	s_load_b32 s48, s[0:1], 0x6c
	s_load_b64 s[38:39], s[0:1], 0x0
	v_cmp_eq_u32_e64 s0, 0, v0
	s_and_saveexec_b32 s1, s0
; %bb.6:
	v_mov_b32_e32 v1, 0
	s_delay_alu instid0(VALU_DEP_1)
	v_mov_b32_e32 v2, v1
	ds_store_b64 v1, v[1:2] offset:4096
; %bb.7:
	s_or_b32 exec_lo, exec_lo, s1
	s_delay_alu instid0(SALU_CYCLE_1)
	s_mov_b32 s1, exec_lo
	s_wait_dscnt 0x0
	s_barrier_signal -1
	s_barrier_wait -1
	global_inv scope:SCOPE_SE
	v_cmpx_ne_u32_e32 0, v3
	s_cbranch_execz .LBB112_12
; %bb.8:
	v_mov_b32_e32 v1, 0
	s_mov_b32 s3, exec_lo
	s_mov_b64 s[6:7], 0
.LBB112_9:                              ; =>This Inner Loop Header: Depth=1
	s_wait_alu 0xfffe
	s_ctz_i32_b32 s5, s3
	s_wait_alu 0xfffe
	v_readlane_b32 s11, v1, s5
	v_readlane_b32 s10, v3, s5
	s_lshl_b32 s5, 1, s5
	s_wait_alu 0xfffe
	s_and_not1_b32 s3, s3, s5
	s_wait_alu 0xfffe
	s_cmp_lg_u32 s3, 0
	s_add_nc_u64 s[6:7], s[6:7], s[10:11]
	s_cbranch_scc1 .LBB112_9
; %bb.10:
	v_mbcnt_lo_u32_b32 v1, exec_lo, 0
	s_mov_b32 s3, exec_lo
	s_delay_alu instid0(VALU_DEP_1)
	v_cmpx_eq_u32_e32 0, v1
	s_wait_alu 0xfffe
	s_xor_b32 s3, exec_lo, s3
; %bb.11:
	v_mov_b32_e32 v1, s6
	v_dual_mov_b32 v3, 0 :: v_dual_mov_b32 v2, s7
	ds_add_u64 v3, v[1:2] offset:4096
.LBB112_12:
	s_or_b32 exec_lo, exec_lo, s1
	v_mov_b32_e32 v1, 0
	s_wait_loadcnt_dscnt 0x0
	s_barrier_signal -1
	s_barrier_wait -1
	global_inv scope:SCOPE_SE
	ds_load_b64 v[1:2], v1 offset:4096
	s_bitcmp1_b32 s31, 0
	s_mov_b32 s10, s28
	s_cselect_b32 s3, -1, 0
	s_wait_dscnt 0x0
	v_readfirstlane_b32 s6, v1
	v_readfirstlane_b32 s7, v2
	s_wait_alu 0xf1ff
	s_delay_alu instid0(VALU_DEP_1) | instskip(SKIP_2) | instid1(SALU_CYCLE_1)
	v_cmp_lt_i64_e64 s1, s[6:7], 1
	s_wait_alu 0xfffe
	s_or_b32 s1, s3, s1
	s_and_not1_b32 vcc_lo, exec_lo, s1
	s_wait_alu 0xfffe
	s_cbranch_vccnz .LBB112_14
; %bb.13:
	s_not_b64 s[6:7], s[6:7]
	s_mov_b32 s29, 0
	s_wait_alu 0xfffe
	s_add_nc_u64 s[6:7], s[6:7], s[28:29]
	s_mov_b32 s11, s29
	s_wait_alu 0xfffe
	s_lshr_b32 s10, s7, 31
	s_wait_alu 0xfffe
	s_add_nc_u64 s[6:7], s[6:7], s[10:11]
	s_wait_alu 0xfffe
	s_lshr_b64 s[6:7], s[6:7], 1
	s_wait_alu 0xfffe
	s_add_co_i32 s10, s6, 1
.LBB112_14:
	s_and_saveexec_b32 s1, s0
	s_cbranch_execz .LBB112_16
; %bb.15:
	v_dual_mov_b32 v1, 0 :: v_dual_mov_b32 v2, s28
	ds_store_b32 v1, v1 offset:4112
	ds_store_b64 v1, v[1:2] offset:4104
.LBB112_16:
	s_or_b32 exec_lo, exec_lo, s1
	s_wait_loadcnt_dscnt 0x0
	s_barrier_signal -1
	s_barrier_wait -1
	global_inv scope:SCOPE_SE
	s_load_b32 s5, s[8:9], 0xc
	v_mbcnt_lo_u32_b32 v27, -1, 0
	v_cmp_gt_u32_e32 vcc_lo, 32, v0
	v_dual_mov_b32 v13, 0 :: v_dual_lshlrev_b32 v28, 2, v0
	v_mul_lo_u32 v11, s30, v0
	s_delay_alu instid0(VALU_DEP_4)
	v_cmp_gt_i32_e64 s3, 4, v27
	v_lshlrev_b32_e32 v29, 3, v0
	v_lshrrev_b32_e32 v3, 1, v0
	v_mov_b32_e32 v12, v13
	v_lshlrev_b32_e32 v38, 5, v0
	s_and_b32 s31, vcc_lo, s3
	v_mov_b32_e32 v18, 0
	s_wait_alu 0xfffe
	v_mad_co_u64_u32 v[20:21], null, s30, v28, s[30:31]
	v_mov_b32_e32 v21, 0
	v_cmp_gt_u32_e64 s1, 2, v0
	v_dual_mov_b32 v19, 0 :: v_dual_add_nc_u32 v30, 0xc00, v29
	v_dual_mov_b32 v41, s10 :: v_dual_lshlrev_b32 v36, 2, v11
	s_wait_kmcnt 0x0
	s_and_b32 s29, s5, 0xffff
	s_bfe_u32 s5, s5, 0xb0005
	s_wait_alu 0xfffe
	s_lshl_b32 s49, s29, 2
	s_add_co_i32 s50, s29, -1
	s_cvt_f32_u32 s3, s49
	s_add_co_i32 s6, s50, s28
	s_cmp_gt_u32 s28, 0x180
	s_cvt_f32_u32 s11, s29
	s_wait_alu 0xfffe
	v_rcp_iflag_f32_e32 v1, s3
	s_cselect_b32 s52, -1, 0
	s_cmp_gt_u32 s29, 31
	v_lshl_or_b32 v39, v27, 2, 0xc00
	s_cselect_b32 s53, -1, 0
	s_cmp_lt_u32 ttmp9, s4
	s_movk_i32 s4, 0x1f0
	s_cselect_b32 s40, 12, 18
	s_add_co_i32 s3, s5, -1
	s_bfe_u32 s54, s29, 0x30005
	v_readfirstlane_b32 s7, v1
	s_wait_alu 0xfffe
	s_and_b32 s3, s3, 0xffff
	v_rcp_iflag_f32_e32 v1, s11
	s_wait_alu 0xfffe
	s_cmp_gt_u32 s3, 6
	v_and_or_b32 v31, v3, s4, 0xc00
	s_mul_f32 s3, s7, 0x4f7ffffe
	s_cselect_b32 s55, -1, 0
	s_and_b32 s56, s5, 0x7f8
	s_cmp_lg_u32 s54, 0
	s_wait_alu 0xfffe
	s_cvt_u32_f32 s3, s3
	s_cselect_b32 s57, -1, 0
	s_sub_co_i32 s5, 0, s49
	v_readfirstlane_b32 s7, v1
	s_wait_alu 0xfffe
	s_mul_i32 s5, s5, s3
	v_lshlrev_b64_e64 v[1:2], v27, -1
	s_wait_alu 0xfffe
	s_mul_hi_u32 s5, s3, s5
	v_lshlrev_b64_e32 v[2:3], 3, v[11:12]
	s_wait_alu 0xfffe
	s_add_co_i32 s42, s3, s5
	s_mul_f32 s7, s7, 0x4f7ffffe
	s_mul_hi_u32 s5, s28, s42
	v_not_b32_e32 v33, v1
	s_wait_alu 0xfffe
	s_mul_i32 s5, s5, s49
	s_cvt_u32_f32 s7, s7
	s_wait_alu 0xfffe
	s_sub_co_i32 s5, s28, s5
	v_add_co_u32 v14, vcc_lo, s34, v2
	s_wait_alu 0xfffe
	s_sub_co_i32 s11, s5, s49
	s_cmp_ge_u32 s5, s49
	s_wait_alu 0xfffd
	v_add_co_ci_u32_e64 v15, null, s35, v3, vcc_lo
	s_wait_alu 0xfffe
	s_cselect_b32 s5, s11, s5
	v_add3_u32 v3, s29, s28, v0
	s_wait_alu 0xfffe
	s_sub_co_i32 s11, s5, s49
	s_cmp_ge_u32 s5, s49
	v_mov_b32_e32 v5, 0
	s_wait_alu 0xfffe
	s_cselect_b32 s11, s11, s5
	s_sub_co_i32 s5, 0, s29
	s_wait_alu 0xfffe
	s_sub_co_i32 s58, s28, s11
	s_mul_i32 s5, s5, s7
	v_add_nc_u32_e32 v32, s58, v0
	s_wait_alu 0xfffe
	s_mul_hi_u32 s4, s7, s5
	v_subrev_nc_u32_e32 v3, s11, v3
	s_wait_alu 0xfffe
	s_add_co_i32 s44, s7, s4
	v_cmp_eq_u32_e64 s3, 0, v27
	v_mul_lo_u32 v12, v32, s30
	s_mul_hi_u32 s4, s6, s44
	v_mul_lo_u32 v37, s30, v3
	s_wait_alu 0xfffe
	s_mul_i32 s4, s4, s29
	v_mov_b32_e32 v6, 0
	s_wait_alu 0xfffe
	s_sub_co_i32 s4, s6, s4
	v_mov_b32_e32 v22, 0
	s_wait_alu 0xfffe
	s_sub_co_i32 s5, s4, s29
	v_lshlrev_b64_e32 v[1:2], 3, v[12:13]
	s_cmp_ge_u32 s4, s29
	v_mov_b32_e32 v40, 0
	s_wait_alu 0xfffe
	s_cselect_b32 s5, s5, s4
	v_cmp_gt_u32_e64 s4, s58, v28
	s_wait_alu 0xfffe
	s_sub_co_i32 s7, s5, s29
	v_add_co_u32 v16, vcc_lo, s34, v1
	s_wait_alu 0xfffd
	v_add_co_ci_u32_e64 v17, null, s35, v2, vcc_lo
	v_or_b32_e32 v1, 2, v28
	v_or_b32_e32 v2, 3, v28
	s_cmp_ge_u32 s5, s29
	s_mov_b32 s41, 0
	s_wait_alu 0xfffe
	s_cselect_b32 s7, s7, s5
	v_mul_lo_u32 v34, s30, v1
	v_mul_lo_u32 v35, s30, v2
	s_wait_alu 0xfffe
	s_sub_co_i32 s59, s6, s7
	v_cmp_gt_u32_e64 s5, s28, v32
	s_wait_alu 0xfffe
	v_cmp_gt_u32_e64 s6, s59, v0
	v_mov_b32_e32 v2, 0x3ff00000
	s_mul_i32 s51, s30, s29
	s_mov_b32 s43, s41
	s_mov_b32 s45, s41
	s_lshl_b32 s60, s51, 2
	s_lshl_b32 s61, s29, 5
	;; [unrolled: 1-line block ×3, first 2 shown]
	s_mov_b32 s70, 62
	s_add_nc_u64 s[46:47], s[8:9], s[40:41]
	s_mov_b32 s63, 0
                                        ; implicit-def: $sgpr67
                                        ; implicit-def: $sgpr69
                                        ; implicit-def: $sgpr64
                                        ; implicit-def: $sgpr66
                                        ; implicit-def: $sgpr68
                                        ; implicit-def: $sgpr65
	s_branch .LBB112_20
.LBB112_17:                             ;   in Loop: Header=BB112_20 Depth=1
	s_wait_alu 0xfffe
	s_or_b32 exec_lo, exec_lo, s10
	s_delay_alu instid0(SALU_CYCLE_1)
	s_and_b32 s8, s8, exec_lo
	s_and_not1_b32 s16, s16, exec_lo
	s_and_not1_b32 s15, s15, exec_lo
	s_or_not1_b32 s13, s9, exec_lo
.LBB112_18:                             ;   in Loop: Header=BB112_20 Depth=1
	s_wait_alu 0xfffe
	s_or_b32 exec_lo, exec_lo, s7
	s_delay_alu instid0(SALU_CYCLE_1)
	s_and_not1_b32 s7, s65, exec_lo
	s_and_b32 s8, s8, exec_lo
	s_and_not1_b32 s9, s66, exec_lo
	s_wait_alu 0xfffe
	s_or_b32 s65, s7, s8
	s_and_not1_b32 s7, s68, exec_lo
	s_and_b32 s8, s16, exec_lo
	s_and_b32 s10, s15, exec_lo
	s_wait_alu 0xfffe
	s_or_b32 s68, s7, s8
	s_or_b32 s66, s9, s10
	s_or_not1_b32 s14, s13, exec_lo
.LBB112_19:                             ;   in Loop: Header=BB112_20 Depth=1
	s_wait_alu 0xfffe
	s_or_b32 exec_lo, exec_lo, s12
	s_delay_alu instid0(SALU_CYCLE_1)
	s_and_b32 s7, exec_lo, s14
	v_mov_b32_e32 v41, v8
	s_wait_alu 0xfffe
	s_or_b32 s63, s7, s63
	s_and_not1_b32 s7, s64, exec_lo
	s_and_b32 s8, s65, exec_lo
	s_and_not1_b32 s9, s69, exec_lo
	s_wait_alu 0xfffe
	s_or_b32 s64, s7, s8
	s_and_b32 s7, s68, exec_lo
	s_and_not1_b32 s8, s67, exec_lo
	s_and_b32 s10, s66, exec_lo
	s_wait_alu 0xfffe
	s_or_b32 s69, s9, s7
	s_or_b32 s67, s8, s10
	s_mov_b32 s70, s20
	s_and_not1_b32 exec_lo, exec_lo, s63
	s_cbranch_execz .LBB112_248
.LBB112_20:                             ; =>This Loop Header: Depth=1
                                        ;     Child Loop BB112_26 Depth 2
                                        ;     Child Loop BB112_39 Depth 2
	;; [unrolled: 1-line block ×16, first 2 shown]
	ds_load_b64 v[3:4], v13 offset:4104
	s_wait_dscnt 0x0
	v_readfirstlane_b32 s40, v3
	s_cmp_lg_u32 s40, 0
	s_cbranch_scc1 .LBB112_47
; %bb.21:                               ;   in Loop: Header=BB112_20 Depth=1
	s_and_b32 vcc_lo, exec_lo, s52
	s_wait_alu 0xfffe
	s_cbranch_vccz .LBB112_34
; %bb.22:                               ;   in Loop: Header=BB112_20 Depth=1
	v_cmp_gt_u32_e32 vcc_lo, 0x181, v4
	s_mov_b32 s9, 0
	s_mov_b32 s7, 0
	s_cbranch_vccz .LBB112_35
; %bb.23:                               ;   in Loop: Header=BB112_20 Depth=1
	s_and_saveexec_b32 s10, s2
	s_cbranch_execz .LBB112_133
; %bb.24:                               ;   in Loop: Header=BB112_20 Depth=1
	global_load_b64 v[3:4], v[14:15], off
	s_load_u16 s11, s[46:47], 0x0
	s_mov_b32 s13, 0
	s_wait_kmcnt 0x0
	v_add_nc_u32_e32 v1, s11, v0
	s_mul_i32 s12, s30, s11
	s_delay_alu instid0(VALU_DEP_1)
	v_mul_lo_u32 v12, s30, v1
	v_mov_b32_e32 v1, v0
	s_branch .LBB112_26
.LBB112_25:                             ;   in Loop: Header=BB112_26 Depth=2
	s_wait_alu 0xfffe
	s_or_b32 exec_lo, exec_lo, s8
	v_dual_mov_b32 v3, v7 :: v_dual_add_nc_u32 v12, s12, v12
	v_mov_b32_e32 v4, v8
	s_and_not1_b32 exec_lo, exec_lo, s13
	s_cbranch_execz .LBB112_133
.LBB112_26:                             ;   Parent Loop BB112_20 Depth=1
                                        ; =>  This Inner Loop Header: Depth=2
	v_mov_b32_e32 v7, 0
	s_delay_alu instid0(VALU_DEP_2) | instskip(SKIP_1) | instid1(VALU_DEP_1)
	v_dual_mov_b32 v8, 0 :: v_dual_add_nc_u32 v1, s11, v1
	s_mov_b32 s8, exec_lo
	v_cmp_le_u32_e32 vcc_lo, s28, v1
	v_cmpx_gt_u32_e64 s28, v1
	s_cbranch_execz .LBB112_28
; %bb.27:                               ;   in Loop: Header=BB112_26 Depth=2
	v_lshlrev_b64_e32 v[7:8], 3, v[12:13]
	s_delay_alu instid0(VALU_DEP_1) | instskip(SKIP_1) | instid1(VALU_DEP_2)
	v_add_co_u32 v7, s7, s34, v7
	s_wait_alu 0xf1ff
	v_add_co_ci_u32_e64 v8, null, s35, v8, s7
	global_load_b64 v[7:8], v[7:8], off
.LBB112_28:                             ;   in Loop: Header=BB112_26 Depth=2
	s_wait_alu 0xfffe
	s_or_b32 exec_lo, exec_lo, s8
	s_wait_loadcnt 0x0
	v_cmp_o_f64_e64 s7, v[3:4], v[3:4]
	s_wait_dscnt 0x0
	v_ashrrev_i32_e32 v9, 31, v4
	s_delay_alu instid0(VALU_DEP_1) | instskip(SKIP_1) | instid1(VALU_DEP_2)
	v_or_b32_e32 v10, 0x80000000, v9
	v_xor_b32_e32 v9, v9, v3
	v_xor_b32_e32 v10, v10, v4
	s_wait_alu 0xf1ff
	s_delay_alu instid0(VALU_DEP_1) | instskip(NEXT) | instid1(VALU_DEP_3)
	v_cndmask_b32_e64 v10, -1, v10, s7
	v_cndmask_b32_e64 v9, -1, v9, s7
	s_delay_alu instid0(VALU_DEP_2) | instskip(NEXT) | instid1(VALU_DEP_2)
	v_and_b32_e32 v10, v10, v22
	v_and_b32_e32 v9, v9, v21
	s_delay_alu instid0(VALU_DEP_1)
	v_cmp_eq_u64_e64 s7, v[9:10], v[18:19]
	v_mov_b32_e32 v9, 0
	s_cmp_lg_u32 s7, 0
	s_cselect_b32 s8, -1, 0
	s_wait_alu 0xfffe
	s_and_b32 s8, s3, s8
	s_wait_alu 0xfffe
	s_and_saveexec_b32 s14, s8
	s_cbranch_execz .LBB112_32
; %bb.29:                               ;   in Loop: Header=BB112_26 Depth=2
	s_mov_b32 s17, exec_lo
	s_bcnt1_i32_b32 s15, s7
	s_wait_alu 0xfffe
	v_mbcnt_lo_u32_b32 v9, s17, 0
	s_mov_b32 s16, exec_lo
                                        ; implicit-def: $vgpr10
	s_delay_alu instid0(VALU_DEP_1)
	v_cmpx_eq_u32_e32 0, v9
; %bb.30:                               ;   in Loop: Header=BB112_26 Depth=2
	s_bcnt1_i32_b32 s8, s17
	s_wait_alu 0xfffe
	s_mul_i32 s8, s15, s8
	s_wait_alu 0xfffe
	v_mov_b32_e32 v10, s8
	ds_add_rtn_u32 v10, v13, v10 offset:4112
; %bb.31:                               ;   in Loop: Header=BB112_26 Depth=2
	s_or_b32 exec_lo, exec_lo, s16
	s_wait_dscnt 0x0
	v_readfirstlane_b32 s8, v10
	s_wait_alu 0xf1ff
	s_delay_alu instid0(VALU_DEP_1)
	v_mad_u32_u24 v9, s15, v9, s8
.LBB112_32:                             ;   in Loop: Header=BB112_26 Depth=2
	s_wait_alu 0xfffe
	s_or_b32 exec_lo, exec_lo, s14
	ds_bpermute_b32 v9, v13, v9
	s_and_b32 s8, exec_lo, vcc_lo
	s_wait_alu 0xfffe
	s_or_b32 s13, s8, s13
	s_and_saveexec_b32 s8, s7
	s_cbranch_execz .LBB112_25
; %bb.33:                               ;   in Loop: Header=BB112_26 Depth=2
	v_and_b32_e32 v10, s7, v33
	s_delay_alu instid0(VALU_DEP_1) | instskip(NEXT) | instid1(VALU_DEP_1)
	v_bcnt_u32_b32 v10, v10, 0
	v_lshlrev_b32_e32 v10, 3, v10
	s_wait_dscnt 0x0
	s_delay_alu instid0(VALU_DEP_1)
	v_lshl_add_u32 v9, v9, 3, v10
	ds_store_b64 v9, v[3:4]
	s_branch .LBB112_25
.LBB112_34:                             ;   in Loop: Header=BB112_20 Depth=1
	s_mov_b32 s9, -1
	s_mov_b32 s7, 0
.LBB112_35:                             ;   in Loop: Header=BB112_20 Depth=1
	s_wait_alu 0xfffe
	s_and_b32 vcc_lo, exec_lo, s9
	s_wait_alu 0xfffe
	s_cbranch_vccz .LBB112_45
.LBB112_36:                             ;   in Loop: Header=BB112_20 Depth=1
	s_and_saveexec_b32 s7, s2
	s_cbranch_execz .LBB112_42
; %bb.37:                               ;   in Loop: Header=BB112_20 Depth=1
	global_load_b64 v[3:4], v[14:15], off
	s_load_u16 s9, s[46:47], 0x0
	v_mov_b32_e32 v1, v0
	s_mov_b32 s8, exec_lo
	s_wait_kmcnt 0x0
	v_add_nc_u32_e32 v7, s9, v0
	s_delay_alu instid0(VALU_DEP_1)
	v_cmpx_gt_u32_e64 s28, v7
	s_cbranch_execz .LBB112_41
; %bb.38:                               ;   in Loop: Header=BB112_20 Depth=1
	v_mul_lo_u32 v12, s30, v7
	v_mov_b32_e32 v9, v29
	v_mov_b32_e32 v1, v0
	s_lshl_b32 s10, s9, 3
	s_mul_i32 s12, s30, s9
	s_mov_b32 s11, 0
.LBB112_39:                             ;   Parent Loop BB112_20 Depth=1
                                        ; =>  This Inner Loop Header: Depth=2
	s_delay_alu instid0(VALU_DEP_3)
	v_lshlrev_b64_e32 v[7:8], 3, v[12:13]
	s_wait_loadcnt 0x0
	ds_store_b64 v9, v[3:4]
	s_wait_alu 0xfffe
	v_add_nc_u32_e32 v9, s10, v9
	v_add_co_u32 v7, vcc_lo, s34, v7
	s_wait_alu 0xfffd
	v_add_co_ci_u32_e64 v8, null, s35, v8, vcc_lo
	global_load_b64 v[7:8], v[7:8], off
	v_add_nc_u32_e32 v1, s9, v1
	s_wait_loadcnt 0x0
	v_dual_mov_b32 v3, v7 :: v_dual_add_nc_u32 v12, s12, v12
	v_mov_b32_e32 v4, v8
	s_delay_alu instid0(VALU_DEP_3) | instskip(NEXT) | instid1(VALU_DEP_1)
	v_add_nc_u32_e32 v10, s9, v1
	v_cmp_le_u32_e32 vcc_lo, s28, v10
	s_or_b32 s11, vcc_lo, s11
	s_wait_alu 0xfffe
	s_and_not1_b32 exec_lo, exec_lo, s11
	s_cbranch_execnz .LBB112_39
; %bb.40:                               ;   in Loop: Header=BB112_20 Depth=1
	s_or_b32 exec_lo, exec_lo, s11
	v_dual_mov_b32 v3, v7 :: v_dual_mov_b32 v4, v8
.LBB112_41:                             ;   in Loop: Header=BB112_20 Depth=1
	s_wait_alu 0xfffe
	s_or_b32 exec_lo, exec_lo, s8
	v_lshlrev_b32_e32 v1, 3, v1
	s_wait_loadcnt 0x0
	ds_store_b64 v1, v[3:4]
.LBB112_42:                             ;   in Loop: Header=BB112_20 Depth=1
	s_wait_alu 0xfffe
	s_or_b32 exec_lo, exec_lo, s7
	s_wait_loadcnt_dscnt 0x0
	s_barrier_signal -1
	s_barrier_wait -1
	global_inv scope:SCOPE_SE
	s_and_saveexec_b32 s7, s0
; %bb.43:                               ;   in Loop: Header=BB112_20 Depth=1
	v_mov_b32_e32 v1, s28
	ds_store_b32 v13, v1 offset:4104
; %bb.44:                               ;   in Loop: Header=BB112_20 Depth=1
	s_wait_alu 0xfffe
	s_or_b32 exec_lo, exec_lo, s7
	s_mov_b32 s7, -1
	s_wait_loadcnt_dscnt 0x0
	s_barrier_signal -1
	s_barrier_wait -1
.LBB112_45:                             ;   in Loop: Header=BB112_20 Depth=1
	s_wait_alu 0xfffe
	s_and_b32 vcc_lo, exec_lo, s7
	s_mov_b32 s40, 0
	s_wait_alu 0xfffe
	s_cbranch_vccz .LBB112_47
; %bb.46:                               ;   in Loop: Header=BB112_20 Depth=1
	s_wait_loadcnt 0x0
	global_inv scope:SCOPE_SE
	ds_load_b32 v1, v13 offset:4104
	s_wait_dscnt 0x0
	v_readfirstlane_b32 s40, v1
.LBB112_47:                             ;   in Loop: Header=BB112_20 Depth=1
	s_delay_alu instid0(VALU_DEP_1)
	s_cmp_lt_i32 s40, 1
	s_mov_b32 s7, -1
                                        ; implicit-def: $vgpr7
	s_cbranch_scc1 .LBB112_57
; %bb.48:                               ;   in Loop: Header=BB112_20 Depth=1
	s_wait_alu 0xfffe
	s_and_b32 vcc_lo, exec_lo, s7
	s_wait_alu 0xfffe
	s_cbranch_vccnz .LBB112_68
.LBB112_49:                             ;   in Loop: Header=BB112_20 Depth=1
	v_lshlrev_b32_e32 v1, 7, v40
	s_and_saveexec_b32 s7, s3
.LBB112_50:                             ;   in Loop: Header=BB112_20 Depth=1
	s_delay_alu instid0(VALU_DEP_1)
	v_lshl_add_u32 v3, v1, 2, v31
	ds_store_b128 v3, v[7:10]
.LBB112_51:                             ;   in Loop: Header=BB112_20 Depth=1
	s_wait_alu 0xfffe
	s_or_b32 exec_lo, exec_lo, s7
	s_wait_loadcnt_dscnt 0x0
	s_barrier_signal -1
	s_barrier_wait -1
	global_inv scope:SCOPE_SE
	s_and_saveexec_b32 s7, s31
	s_cbranch_execz .LBB112_81
; %bb.52:                               ;   in Loop: Header=BB112_20 Depth=1
	v_mov_b32_e32 v3, 0
	s_and_not1_b32 vcc_lo, exec_lo, s53
	s_wait_alu 0xfffe
	s_cbranch_vccnz .LBB112_80
; %bb.53:                               ;   in Loop: Header=BB112_20 Depth=1
	s_and_not1_b32 vcc_lo, exec_lo, s55
	s_wait_alu 0xfffe
	s_cbranch_vccnz .LBB112_77
; %bb.54:                               ;   in Loop: Header=BB112_20 Depth=1
	v_lshl_add_u32 v4, v40, 9, v39
	v_mov_b32_e32 v3, 0
	s_mov_b32 s8, 0
.LBB112_55:                             ;   Parent Loop BB112_20 Depth=1
                                        ; =>  This Inner Loop Header: Depth=2
	ds_load_2addr_b32 v[7:8], v4 offset1:4
	ds_load_2addr_b32 v[9:10], v4 offset0:8 offset1:12
	ds_load_2addr_b32 v[23:24], v4 offset0:16 offset1:20
	;; [unrolled: 1-line block ×3, first 2 shown]
	v_add_nc_u32_e32 v4, 0x80, v4
	s_wait_alu 0xfffe
	s_add_co_i32 s8, s8, 8
	s_wait_alu 0xfffe
	s_cmp_eq_u32 s56, s8
	s_wait_dscnt 0x3
	v_add3_u32 v3, v7, v3, v8
	s_wait_dscnt 0x2
	s_delay_alu instid0(VALU_DEP_1) | instskip(SKIP_1) | instid1(VALU_DEP_1)
	v_add3_u32 v3, v9, v3, v10
	s_wait_dscnt 0x1
	v_add3_u32 v3, v23, v3, v24
	s_wait_dscnt 0x0
	s_delay_alu instid0(VALU_DEP_1)
	v_add3_u32 v3, v25, v3, v26
	s_cbranch_scc0 .LBB112_55
; %bb.56:                               ;   in Loop: Header=BB112_20 Depth=1
	s_mov_b32 s8, s56
	s_and_not1_b32 vcc_lo, exec_lo, s57
	s_wait_alu 0xfffe
	s_cbranch_vccz .LBB112_78
	s_branch .LBB112_80
.LBB112_57:                             ;   in Loop: Header=BB112_20 Depth=1
	v_dual_mov_b32 v7, 0 :: v_dual_mov_b32 v8, 0
	v_dual_mov_b32 v9, 0 :: v_dual_mov_b32 v10, 0
	s_and_saveexec_b32 s21, s4
	s_cbranch_execz .LBB112_61
; %bb.58:                               ;   in Loop: Header=BB112_20 Depth=1
	v_mov_b32_e32 v1, v28
	s_mov_b32 s22, 0
	s_mov_b32 s23, 0
	;; [unrolled: 1-line block ×6, first 2 shown]
.LBB112_59:                             ;   Parent Loop BB112_20 Depth=1
                                        ; =>  This Inner Loop Header: Depth=2
	s_wait_alu 0xfffe
	v_dual_mov_b32 v25, v13 :: v_dual_add_nc_u32 v12, s23, v36
	v_dual_mov_b32 v26, v13 :: v_dual_add_nc_u32 v1, s49, v1
	v_mov_b32_e32 v43, v13
	s_delay_alu instid0(VALU_DEP_3) | instskip(SKIP_1) | instid1(VALU_DEP_1)
	v_lshlrev_b64_e32 v[3:4], 3, v[12:13]
	v_add_nc_u32_e32 v12, s23, v20
	v_lshlrev_b64_e32 v[7:8], 3, v[12:13]
	v_add_nc_u32_e32 v12, s23, v34
	s_delay_alu instid0(VALU_DEP_4) | instskip(SKIP_2) | instid1(VALU_DEP_3)
	v_add_co_u32 v3, vcc_lo, s34, v3
	s_wait_alu 0xfffd
	v_add_co_ci_u32_e64 v4, null, s35, v4, vcc_lo
	v_lshlrev_b64_e32 v[9:10], 3, v[12:13]
	v_add_nc_u32_e32 v12, s23, v35
	v_add_co_u32 v7, vcc_lo, s34, v7
	global_load_b64 v[3:4], v[3:4], off
	s_wait_alu 0xfffd
	v_add_co_ci_u32_e64 v8, null, s35, v8, vcc_lo
	v_lshlrev_b64_e32 v[23:24], 3, v[12:13]
	v_add_co_u32 v9, vcc_lo, s34, v9
	s_wait_alu 0xfffd
	v_add_co_ci_u32_e64 v10, null, s35, v10, vcc_lo
	s_clause 0x1
	global_load_b64 v[7:8], v[7:8], off
	global_load_b64 v[9:10], v[9:10], off
	v_add_co_u32 v23, vcc_lo, s34, v23
	s_wait_alu 0xfffd
	v_add_co_ci_u32_e64 v24, null, s35, v24, vcc_lo
	v_cmp_le_u32_e32 vcc_lo, s58, v1
	s_add_co_i32 s23, s23, s60
	global_load_b64 v[23:24], v[23:24], off
	s_wait_loadcnt 0x3
	v_cmp_o_f64_e64 s7, v[3:4], v[3:4]
	v_ashrrev_i32_e32 v12, 31, v4
	s_delay_alu instid0(VALU_DEP_1)
	v_or_b32_e32 v42, 0x80000000, v12
	v_xor_b32_e32 v12, v12, v3
	s_wait_loadcnt 0x2
	v_cmp_o_f64_e64 s8, v[7:8], v[7:8]
	s_wait_loadcnt 0x1
	v_cmp_o_f64_e64 s9, v[9:10], v[9:10]
	v_xor_b32_e32 v42, v42, v4
	v_ashrrev_i32_e32 v45, 31, v10
	v_ashrrev_i32_e32 v44, 31, v8
	s_delay_alu instid0(VALU_DEP_2) | instskip(SKIP_2) | instid1(VALU_DEP_3)
	v_or_b32_e32 v3, 0x80000000, v45
	s_wait_loadcnt 0x0
	v_cmp_o_f64_e64 s10, v[23:24], v[23:24]
	v_or_b32_e32 v46, 0x80000000, v44
	v_xor_b32_e32 v44, v44, v7
	v_xor_b32_e32 v48, v45, v9
	;; [unrolled: 1-line block ×3, first 2 shown]
	s_delay_alu instid0(VALU_DEP_4) | instskip(SKIP_3) | instid1(VALU_DEP_2)
	v_xor_b32_e32 v46, v46, v8
	s_wait_alu 0xf1ff
	v_cndmask_b32_e64 v4, -1, v42, s7
	v_ashrrev_i32_e32 v42, 31, v24
	v_and_b32_e32 v10, v4, v22
	s_delay_alu instid0(VALU_DEP_2) | instskip(SKIP_3) | instid1(VALU_DEP_4)
	v_or_b32_e32 v7, 0x80000000, v42
	v_xor_b32_e32 v42, v42, v23
	v_cndmask_b32_e64 v8, -1, v46, s8
	v_cndmask_b32_e64 v23, -1, v48, s9
	v_xor_b32_e32 v7, v7, v24
	v_cndmask_b32_e64 v24, -1, v3, s9
	v_cndmask_b32_e64 v3, -1, v12, s7
	v_and_b32_e32 v45, v8, v22
	v_and_b32_e32 v48, v23, v21
	s_delay_alu instid0(VALU_DEP_4) | instskip(NEXT) | instid1(VALU_DEP_4)
	v_and_b32_e32 v49, v24, v22
	v_and_b32_e32 v9, v3, v21
	v_lshrrev_b64 v[3:4], s70, v[3:4]
	v_cndmask_b32_e64 v47, -1, v7, s10
	v_cndmask_b32_e64 v7, -1, v44, s8
	;; [unrolled: 1-line block ×3, first 2 shown]
	v_cmp_eq_u64_e64 s7, v[9:10], v[18:19]
	v_cmp_eq_u64_e64 s13, v[48:49], v[18:19]
	v_and_b32_e32 v12, 3, v3
	v_and_b32_e32 v44, v7, v21
	v_lshrrev_b64 v[7:8], s70, v[7:8]
	v_lshrrev_b64 v[3:4], s70, v[23:24]
	v_and_b32_e32 v50, v47, v22
	v_cmp_eq_u64_e64 s9, 0, v[12:13]
	v_cmp_eq_u64_e64 s10, 1, v[12:13]
	;; [unrolled: 1-line block ×3, first 2 shown]
	v_and_b32_e32 v24, 3, v7
	v_cmp_eq_u64_e64 s12, 3, v[12:13]
	v_cmp_eq_u64_e64 s8, v[44:45], v[18:19]
	s_and_b32 s9, s7, s9
	v_and_b32_e32 v42, 3, v3
	v_cmp_eq_u64_e64 s14, 0, v[24:25]
	v_cmp_eq_u64_e64 s15, 1, v[24:25]
	;; [unrolled: 1-line block ×3, first 2 shown]
	v_lshrrev_b64 v[7:8], s70, v[46:47]
	s_wait_alu 0xfffe
	v_cndmask_b32_e64 v3, 0, 1, s9
	s_and_b32 s9, s7, s10
	v_cmp_eq_u64_e64 s17, 3, v[24:25]
	s_wait_alu 0xfffe
	v_cndmask_b32_e64 v4, 0, 1, s9
	s_and_b32 s9, s7, s11
	s_and_b32 s7, s7, s12
	s_wait_alu 0xfffe
	v_cndmask_b32_e64 v8, 0, 1, s9
	v_cmp_eq_u64_e64 s9, 0, v[42:43]
	v_cmp_eq_u64_e64 s10, 1, v[42:43]
	v_cndmask_b32_e64 v9, 0, 1, s7
	s_and_b32 s14, s8, s14
	s_and_b32 s15, s8, s15
	;; [unrolled: 1-line block ×3, first 2 shown]
	v_and_b32_e32 v49, v46, v21
	v_and_b32_e32 v25, 3, v7
	v_cmp_eq_u64_e64 s11, 2, v[42:43]
	v_cmp_eq_u64_e64 s12, 3, v[42:43]
	v_cmp_ne_u32_e64 s18, 0, v3
	s_wait_alu 0xfffe
	v_cndmask_b32_e64 v3, 0, 1, s14
	v_cmp_ne_u32_e64 s14, 0, v4
	v_cndmask_b32_e64 v4, 0, 1, s15
	v_cndmask_b32_e64 v7, 0, 1, s16
	s_and_b32 s8, s8, s17
	v_cmp_ne_u32_e64 s15, 0, v8
	s_wait_alu 0xfffe
	v_cndmask_b32_e64 v8, 0, 1, s8
	v_cmp_ne_u32_e64 s16, 0, v9
	s_and_b32 s9, s13, s9
	s_and_b32 s10, s13, s10
	v_cmp_eq_u64_e64 s7, v[49:50], v[18:19]
	v_cmp_eq_u64_e64 s8, 0, v[25:26]
	;; [unrolled: 1-line block ×5, first 2 shown]
	s_bcnt1_i32_b32 s72, s18
	v_cmp_ne_u32_e64 s18, 0, v3
	s_wait_alu 0xfffe
	v_cndmask_b32_e64 v3, 0, 1, s9
	v_cmp_ne_u32_e64 s9, 0, v4
	v_cndmask_b32_e64 v4, 0, 1, s10
	v_cmp_ne_u32_e64 s10, 0, v7
	s_and_b32 s11, s13, s11
	s_and_b32 s12, s13, s12
	s_wait_alu 0xfffe
	v_cndmask_b32_e64 v7, 0, 1, s11
	v_cmp_ne_u32_e64 s11, 0, v8
	v_cndmask_b32_e64 v8, 0, 1, s12
	s_bcnt1_i32_b32 s16, s16
	s_and_b32 s8, s7, s8
	s_wait_alu 0xfffe
	s_add_co_i32 s16, s16, s24
	s_bcnt1_i32_b32 s24, s9
	s_and_b32 s9, s7, s17
	s_bcnt1_i32_b32 s17, s10
	s_and_b32 s10, s7, s19
	s_and_b32 s7, s7, s20
	v_cmp_ne_u32_e64 s12, 0, v3
	v_cndmask_b32_e64 v3, 0, 1, s8
	v_cmp_ne_u32_e64 s8, 0, v4
	s_wait_alu 0xfffe
	v_cndmask_b32_e64 v4, 0, 1, s9
	v_cmp_ne_u32_e64 s9, 0, v7
	v_cndmask_b32_e64 v7, 0, 1, s10
	v_cmp_ne_u32_e64 s10, 0, v8
	v_cndmask_b32_e64 v8, 0, 1, s7
	s_bcnt1_i32_b32 s15, s15
	s_add_co_i32 s13, s72, s71
	s_wait_alu 0xfffe
	s_add_co_i32 s15, s15, s25
	s_bcnt1_i32_b32 s18, s18
	s_bcnt1_i32_b32 s11, s11
	;; [unrolled: 1-line block ×3, first 2 shown]
	s_wait_alu 0xfffe
	s_add_co_i32 s13, s13, s18
	s_add_co_i32 s15, s15, s17
	;; [unrolled: 1-line block ×3, first 2 shown]
	v_cmp_ne_u32_e64 s7, 0, v3
	s_bcnt1_i32_b32 s16, s8
	v_cmp_ne_u32_e64 s8, 0, v4
	s_bcnt1_i32_b32 s17, s9
	;; [unrolled: 2-line block ×3, first 2 shown]
	v_cmp_ne_u32_e64 s10, 0, v8
	s_add_co_i32 s14, s14, s26
	s_bcnt1_i32_b32 s12, s12
	s_wait_alu 0xfffe
	s_add_co_i32 s14, s14, s24
	s_add_co_i32 s12, s13, s12
	s_wait_alu 0xfffe
	s_add_co_i32 s13, s14, s16
	s_add_co_i32 s14, s15, s17
	;; [unrolled: 1-line block ×3, first 2 shown]
	s_bcnt1_i32_b32 s7, s7
	s_bcnt1_i32_b32 s8, s8
	s_bcnt1_i32_b32 s9, s9
	s_bcnt1_i32_b32 s10, s10
	s_wait_alu 0xfffe
	s_add_co_i32 s71, s12, s7
	s_add_co_i32 s26, s13, s8
	;; [unrolled: 1-line block ×4, first 2 shown]
	s_wait_alu 0xfffe
	v_dual_mov_b32 v7, s71 :: v_dual_mov_b32 v8, s26
	v_dual_mov_b32 v9, s25 :: v_dual_mov_b32 v10, s24
	s_or_b32 s22, vcc_lo, s22
	s_wait_alu 0xfffe
	s_and_not1_b32 exec_lo, exec_lo, s22
	s_cbranch_execnz .LBB112_59
; %bb.60:                               ;   in Loop: Header=BB112_20 Depth=1
	s_or_b32 exec_lo, exec_lo, s22
.LBB112_61:                             ;   in Loop: Header=BB112_20 Depth=1
	s_wait_alu 0xfffe
	s_or_b32 exec_lo, exec_lo, s21
	s_and_saveexec_b32 s11, s5
	s_cbranch_execz .LBB112_67
; %bb.62:                               ;   in Loop: Header=BB112_20 Depth=1
	global_load_b64 v[25:26], v[16:17], off
	v_mov_b32_e32 v3, v37
	v_mov_b32_e32 v1, v32
	s_mov_b32 s12, 0
	s_branch .LBB112_64
.LBB112_63:                             ;   in Loop: Header=BB112_64 Depth=2
	s_wait_alu 0xfffe
	s_or_b32 exec_lo, exec_lo, s8
	s_wait_loadcnt 0x0
	v_cmp_o_f64_e64 s7, v[25:26], v[25:26]
	v_ashrrev_i32_e32 v4, 31, v26
	s_and_b32 s9, exec_lo, vcc_lo
	v_add_nc_u32_e32 v3, s51, v3
	s_wait_alu 0xfffe
	s_or_b32 s12, s9, s12
	v_or_b32_e32 v12, 0x80000000, v4
	v_xor_b32_e32 v4, v4, v25
	s_delay_alu instid0(VALU_DEP_2) | instskip(NEXT) | instid1(VALU_DEP_1)
	v_xor_b32_e32 v12, v12, v26
	v_cndmask_b32_e64 v26, -1, v12, s7
	s_delay_alu instid0(VALU_DEP_3) | instskip(NEXT) | instid1(VALU_DEP_1)
	v_cndmask_b32_e64 v25, -1, v4, s7
	v_lshrrev_b64 v[42:43], s70, v[25:26]
	v_and_b32_e32 v26, v26, v22
	v_and_b32_e32 v25, v25, v21
	s_delay_alu instid0(VALU_DEP_3) | instskip(NEXT) | instid1(VALU_DEP_2)
	v_and_b32_e32 v12, 3, v42
	v_cmp_eq_u64_e64 s7, v[25:26], v[18:19]
	s_delay_alu instid0(VALU_DEP_2)
	v_cmp_eq_u64_e64 s8, 0, v[12:13]
	v_cmp_eq_u64_e32 vcc_lo, 1, v[12:13]
	v_cmp_eq_u64_e64 s9, 2, v[12:13]
	v_cmp_eq_u64_e64 s10, 3, v[12:13]
	s_and_b32 s8, s7, s8
	s_wait_alu 0xfffe
	v_cndmask_b32_e64 v4, 0, 1, s8
	s_and_b32 s8, s7, vcc_lo
	s_wait_alu 0xfffe
	v_cndmask_b32_e64 v12, 0, 1, s8
	s_and_b32 s8, s7, s9
	s_and_b32 s7, s7, s10
	s_wait_alu 0xfffe
	v_cndmask_b32_e64 v25, 0, 1, s8
	v_cndmask_b32_e64 v26, 0, 1, s7
	v_cmp_ne_u32_e32 vcc_lo, 0, v4
	v_cmp_ne_u32_e64 s7, 0, v12
	s_delay_alu instid0(VALU_DEP_4) | instskip(NEXT) | instid1(VALU_DEP_4)
	v_cmp_ne_u32_e64 s8, 0, v25
	v_cmp_ne_u32_e64 s9, 0, v26
	s_bcnt1_i32_b32 s10, vcc_lo
	s_bcnt1_i32_b32 s7, s7
	v_mov_b32_e32 v26, v24
	s_bcnt1_i32_b32 s8, s8
	s_bcnt1_i32_b32 s9, s9
	s_wait_alu 0xfffe
	v_add_nc_u32_e32 v7, s10, v7
	v_add_nc_u32_e32 v8, s7, v8
	;; [unrolled: 1-line block ×3, first 2 shown]
	v_dual_mov_b32 v25, v23 :: v_dual_add_nc_u32 v10, s9, v10
	s_and_not1_b32 exec_lo, exec_lo, s12
	s_cbranch_execz .LBB112_66
.LBB112_64:                             ;   Parent Loop BB112_20 Depth=1
                                        ; =>  This Inner Loop Header: Depth=2
	v_mov_b32_e32 v23, 0
	s_delay_alu instid0(VALU_DEP_2) | instskip(SKIP_1) | instid1(VALU_DEP_1)
	v_dual_mov_b32 v24, 0 :: v_dual_add_nc_u32 v1, s29, v1
	s_mov_b32 s8, exec_lo
	v_cmp_le_u32_e32 vcc_lo, s28, v1
	v_cmpx_gt_u32_e64 s28, v1
	s_cbranch_execz .LBB112_63
; %bb.65:                               ;   in Loop: Header=BB112_64 Depth=2
	v_mov_b32_e32 v4, v13
	s_delay_alu instid0(VALU_DEP_1) | instskip(NEXT) | instid1(VALU_DEP_1)
	v_lshlrev_b64_e32 v[23:24], 3, v[3:4]
	v_add_co_u32 v23, s7, s34, v23
	s_wait_alu 0xf1fe
	s_delay_alu instid0(VALU_DEP_2)
	v_add_co_ci_u32_e64 v24, null, s35, v24, s7
	global_load_b64 v[23:24], v[23:24], off
	s_branch .LBB112_63
.LBB112_66:                             ;   in Loop: Header=BB112_20 Depth=1
	s_or_b32 exec_lo, exec_lo, s12
.LBB112_67:                             ;   in Loop: Header=BB112_20 Depth=1
	s_wait_alu 0xfffe
	s_or_b32 exec_lo, exec_lo, s11
	s_branch .LBB112_49
.LBB112_68:                             ;   in Loop: Header=BB112_20 Depth=1
	s_mul_u64 s[8:9], s[40:41], s[42:43]
	v_dual_mov_b32 v7, 0 :: v_dual_mov_b32 v8, 0
	s_wait_alu 0xfffe
	s_mul_i32 s7, s9, s49
	v_dual_mov_b32 v9, 0 :: v_dual_mov_b32 v10, 0
	s_wait_alu 0xfffe
	s_sub_co_i32 s7, s40, s7
	s_mov_b32 s72, exec_lo
	s_wait_alu 0xfffe
	s_sub_co_i32 s8, s7, s49
	s_cmp_ge_u32 s7, s49
	s_wait_alu 0xfffe
	s_cselect_b32 s7, s8, s7
	s_wait_alu 0xfffe
	s_sub_co_i32 s8, s7, s49
	s_cmp_ge_u32 s7, s49
	s_wait_alu 0xfffe
	s_cselect_b32 s7, s8, s7
	s_wait_alu 0xfffe
	s_sub_co_i32 s71, s40, s7
	s_wait_alu 0xfffe
	v_cmpx_gt_u32_e64 s71, v28
	s_cbranch_execz .LBB112_72
; %bb.69:                               ;   in Loop: Header=BB112_20 Depth=1
	v_mov_b32_e32 v1, v38
	v_mov_b32_e32 v3, v28
	s_mov_b32 s73, 0
	s_mov_b32 s74, 0
	;; [unrolled: 1-line block ×5, first 2 shown]
.LBB112_70:                             ;   Parent Loop BB112_20 Depth=1
                                        ; =>  This Inner Loop Header: Depth=2
	ds_load_b128 v[7:10], v1
	ds_load_b128 v[23:26], v1 offset:16
	s_wait_dscnt 0x1
	v_cmp_o_f64_e64 s7, v[7:8], v[7:8]
	v_cmp_o_f64_e64 s8, v[9:10], v[9:10]
	s_wait_dscnt 0x0
	v_cmp_o_f64_e64 s9, v[23:24], v[23:24]
	v_cmp_o_f64_e64 s10, v[25:26], v[25:26]
	v_ashrrev_i32_e32 v4, 31, v8
	v_ashrrev_i32_e32 v12, 31, v10
	;; [unrolled: 1-line block ×4, first 2 shown]
	s_delay_alu instid0(VALU_DEP_4) | instskip(NEXT) | instid1(VALU_DEP_4)
	v_or_b32_e32 v46, 0x80000000, v4
	v_or_b32_e32 v48, 0x80000000, v12
	s_delay_alu instid0(VALU_DEP_4) | instskip(NEXT) | instid1(VALU_DEP_4)
	v_or_b32_e32 v49, 0x80000000, v42
	v_or_b32_e32 v50, 0x80000000, v44
	v_xor_b32_e32 v4, v4, v7
	v_xor_b32_e32 v46, v46, v8
	v_xor_b32_e32 v7, v48, v10
	v_xor_b32_e32 v12, v12, v9
	v_xor_b32_e32 v9, v49, v24
	v_xor_b32_e32 v42, v42, v23
	v_xor_b32_e32 v23, v50, v26
	v_xor_b32_e32 v44, v44, v25
	s_wait_alu 0xf1ff
	v_cndmask_b32_e64 v8, -1, v46, s7
	v_cndmask_b32_e64 v10, -1, v7, s8
	v_cndmask_b32_e64 v7, -1, v4, s7
	v_cndmask_b32_e64 v24, -1, v9, s9
	v_cndmask_b32_e64 v9, -1, v12, s8
	v_cndmask_b32_e64 v26, -1, v23, s10
	v_cndmask_b32_e64 v23, -1, v42, s9
	v_dual_mov_b32 v43, v13 :: v_dual_and_b32 v48, v7, v21
	v_and_b32_e32 v49, v8, v22
	v_lshrrev_b64 v[7:8], s70, v[7:8]
	v_cndmask_b32_e64 v25, -1, v44, s10
	v_and_b32_e32 v50, v9, v21
	v_lshrrev_b64 v[8:9], s70, v[9:10]
	v_and_b32_e32 v51, v10, v22
	v_lshrrev_b64 v[9:10], s70, v[23:24]
	v_dual_mov_b32 v45, v13 :: v_dual_and_b32 v52, v23, v21
	v_dual_mov_b32 v47, v13 :: v_dual_and_b32 v12, 3, v7
	v_and_b32_e32 v53, v24, v22
	v_lshrrev_b64 v[23:24], s70, v[25:26]
	v_and_b32_e32 v42, 3, v8
	v_and_b32_e32 v44, 3, v9
	v_cmp_eq_u64_e64 s7, v[48:49], v[18:19]
	v_cmp_eq_u64_e64 s11, 0, v[12:13]
	v_and_b32_e32 v55, v26, v22
	v_and_b32_e32 v54, v25, v21
	;; [unrolled: 1-line block ×3, first 2 shown]
	v_cmp_eq_u64_e64 s8, v[50:51], v[18:19]
	v_cmp_eq_u64_e64 s12, 0, v[42:43]
	;; [unrolled: 1-line block ×6, first 2 shown]
	s_and_b32 s11, s7, s11
	v_cmp_eq_u64_e64 s15, 1, v[12:13]
	s_wait_alu 0xfffe
	v_cndmask_b32_e64 v4, 0, 1, s11
	s_and_b32 s11, s8, s12
	v_cmp_eq_u64_e64 s16, 1, v[42:43]
	s_wait_alu 0xfffe
	v_cndmask_b32_e64 v7, 0, 1, s11
	;; [unrolled: 4-line block ×4, first 2 shown]
	s_and_b32 s11, s7, s15
	v_cmp_eq_u64_e64 s19, 2, v[12:13]
	v_cmp_eq_u64_e64 s23, 3, v[12:13]
	s_wait_alu 0xfffe
	v_cndmask_b32_e64 v10, 0, 1, s11
	s_and_b32 s11, s8, s16
	v_cmp_eq_u64_e64 s20, 2, v[42:43]
	v_cmp_eq_u64_e64 s24, 3, v[42:43]
	s_wait_alu 0xfffe
	v_cndmask_b32_e64 v12, 0, 1, s11
	;; [unrolled: 5-line block ×4, first 2 shown]
	s_and_b32 s11, s7, s19
	s_and_b32 s7, s7, s23
	s_wait_alu 0xfffe
	v_cndmask_b32_e64 v25, 0, 1, s11
	s_and_b32 s11, s8, s20
	v_cndmask_b32_e64 v44, 0, 1, s7
	s_and_b32 s7, s8, s24
	s_wait_alu 0xfffe
	v_cndmask_b32_e64 v26, 0, 1, s11
	s_and_b32 s11, s9, s21
	v_cndmask_b32_e64 v45, 0, 1, s7
	;; [unrolled: 5-line block ×3, first 2 shown]
	s_and_b32 s7, s10, s26
	s_wait_alu 0xfffe
	v_cndmask_b32_e64 v43, 0, 1, s11
	v_cndmask_b32_e64 v47, 0, 1, s7
	v_cmp_ne_u32_e64 s7, 0, v4
	v_cmp_ne_u32_e64 s11, 0, v10
	;; [unrolled: 1-line block ×7, first 2 shown]
	s_bcnt1_i32_b32 s7, s7
	s_bcnt1_i32_b32 s11, s11
	v_cmp_ne_u32_e64 s14, 0, v24
	v_cmp_ne_u32_e64 s16, 0, v26
	;; [unrolled: 1-line block ×3, first 2 shown]
	s_bcnt1_i32_b32 s8, s8
	s_bcnt1_i32_b32 s12, s12
	s_wait_alu 0xfffe
	s_add_co_i32 s7, s7, s77
	s_add_co_i32 s11, s11, s76
	v_cmp_ne_u32_e64 s9, 0, v8
	v_cmp_ne_u32_e64 s17, 0, v42
	;; [unrolled: 1-line block ×3, first 2 shown]
	s_bcnt1_i32_b32 s13, s13
	s_wait_alu 0xfffe
	s_add_co_i32 s7, s7, s8
	s_add_co_i32 s8, s11, s12
	s_bcnt1_i32_b32 s15, s15
	s_bcnt1_i32_b32 s19, s19
	v_cmp_ne_u32_e64 s10, 0, v9
	v_cmp_ne_u32_e64 s18, 0, v43
	;; [unrolled: 1-line block ×3, first 2 shown]
	s_bcnt1_i32_b32 s14, s14
	s_wait_alu 0xfffe
	s_add_co_i32 s8, s8, s13
	s_bcnt1_i32_b32 s16, s16
	s_bcnt1_i32_b32 s20, s20
	s_add_co_i32 s15, s15, s75
	s_add_co_i32 s19, s19, s74
	s_wait_alu 0xfffe
	s_add_co_i32 s76, s8, s14
	s_wait_alu 0xfffe
	v_dual_mov_b32 v8, s76 :: v_dual_add_nc_u32 v3, s49, v3
	s_bcnt1_i32_b32 s9, s9
	s_bcnt1_i32_b32 s17, s17
	;; [unrolled: 1-line block ×3, first 2 shown]
	s_add_co_i32 s11, s15, s16
	s_add_co_i32 s12, s19, s20
	s_bcnt1_i32_b32 s10, s10
	s_bcnt1_i32_b32 s18, s18
	;; [unrolled: 1-line block ×3, first 2 shown]
	s_wait_alu 0xfffe
	s_add_co_i32 s7, s7, s9
	s_add_co_i32 s9, s11, s17
	;; [unrolled: 1-line block ×3, first 2 shown]
	v_cmp_le_u32_e32 vcc_lo, s71, v3
	s_wait_alu 0xfffe
	s_add_co_i32 s77, s7, s10
	s_add_co_i32 s75, s9, s18
	;; [unrolled: 1-line block ×3, first 2 shown]
	s_wait_alu 0xfffe
	v_dual_mov_b32 v10, s74 :: v_dual_add_nc_u32 v1, s61, v1
	v_mov_b32_e32 v7, s77
	v_mov_b32_e32 v9, s75
	s_or_b32 s73, vcc_lo, s73
	s_wait_alu 0xfffe
	s_and_not1_b32 exec_lo, exec_lo, s73
	s_cbranch_execnz .LBB112_70
; %bb.71:                               ;   in Loop: Header=BB112_20 Depth=1
	s_or_b32 exec_lo, exec_lo, s73
.LBB112_72:                             ;   in Loop: Header=BB112_20 Depth=1
	s_delay_alu instid0(SALU_CYCLE_1) | instskip(SKIP_2) | instid1(VALU_DEP_1)
	s_or_b32 exec_lo, exec_lo, s72
	v_add_nc_u32_e32 v1, s71, v0
	s_mov_b32 s12, exec_lo
	v_cmpx_gt_u32_e64 s40, v1
	s_cbranch_execz .LBB112_76
; %bb.73:                               ;   in Loop: Header=BB112_20 Depth=1
	v_lshlrev_b32_e32 v3, 3, v1
	s_mov_b32 s13, 0
.LBB112_74:                             ;   Parent Loop BB112_20 Depth=1
                                        ; =>  This Inner Loop Header: Depth=2
	ds_load_b64 v[23:24], v3
	v_add_nc_u32_e32 v3, s62, v3
	s_wait_dscnt 0x0
	v_cmp_o_f64_e32 vcc_lo, v[23:24], v[23:24]
	v_ashrrev_i32_e32 v4, 31, v24
	s_delay_alu instid0(VALU_DEP_1) | instskip(SKIP_1) | instid1(VALU_DEP_2)
	v_or_b32_e32 v12, 0x80000000, v4
	v_xor_b32_e32 v4, v4, v23
	v_xor_b32_e32 v12, v12, v24
	s_wait_alu 0xfffd
	s_delay_alu instid0(VALU_DEP_1) | instskip(NEXT) | instid1(VALU_DEP_1)
	v_dual_cndmask_b32 v24, -1, v12 :: v_dual_add_nc_u32 v1, s29, v1
	v_cmp_le_u32_e64 s7, s40, v1
	s_delay_alu instid0(VALU_DEP_2) | instskip(NEXT) | instid1(VALU_DEP_1)
	v_dual_cndmask_b32 v23, -1, v4 :: v_dual_and_b32 v26, v24, v22
	v_and_b32_e32 v25, v23, v21
	v_lshrrev_b64 v[23:24], s70, v[23:24]
	s_delay_alu instid0(VALU_DEP_2) | instskip(NEXT) | instid1(VALU_DEP_2)
	v_cmp_eq_u64_e32 vcc_lo, v[25:26], v[18:19]
	v_and_b32_e32 v12, 3, v23
	s_delay_alu instid0(VALU_DEP_1)
	v_cmp_eq_u64_e64 s8, 0, v[12:13]
	v_cmp_eq_u64_e64 s9, 1, v[12:13]
	;; [unrolled: 1-line block ×4, first 2 shown]
	s_and_b32 s8, vcc_lo, s8
	s_wait_alu 0xfffe
	v_cndmask_b32_e64 v4, 0, 1, s8
	s_and_b32 s8, vcc_lo, s9
	s_wait_alu 0xfffe
	v_cndmask_b32_e64 v12, 0, 1, s8
	;; [unrolled: 3-line block ×3, first 2 shown]
	s_and_b32 s8, vcc_lo, s11
	v_cmp_ne_u32_e32 vcc_lo, 0, v4
	s_wait_alu 0xfffe
	v_cndmask_b32_e64 v24, 0, 1, s8
	v_cmp_ne_u32_e64 s8, 0, v12
	v_cmp_ne_u32_e64 s9, 0, v23
	s_bcnt1_i32_b32 s11, vcc_lo
	v_cmp_ne_u32_e64 s10, 0, v24
	s_bcnt1_i32_b32 s8, s8
	s_bcnt1_i32_b32 s9, s9
	s_wait_alu 0xfffe
	v_add_nc_u32_e32 v7, s11, v7
	v_add_nc_u32_e32 v8, s8, v8
	s_bcnt1_i32_b32 s10, s10
	v_add_nc_u32_e32 v9, s9, v9
	s_wait_alu 0xfffe
	v_add_nc_u32_e32 v10, s10, v10
	s_or_b32 s13, s7, s13
	s_wait_alu 0xfffe
	s_and_not1_b32 exec_lo, exec_lo, s13
	s_cbranch_execnz .LBB112_74
; %bb.75:                               ;   in Loop: Header=BB112_20 Depth=1
	s_or_b32 exec_lo, exec_lo, s13
.LBB112_76:                             ;   in Loop: Header=BB112_20 Depth=1
	s_wait_alu 0xfffe
	s_or_b32 exec_lo, exec_lo, s12
	v_lshlrev_b32_e32 v1, 7, v40
	s_and_saveexec_b32 s7, s3
	s_cbranch_execnz .LBB112_50
	s_branch .LBB112_51
.LBB112_77:                             ;   in Loop: Header=BB112_20 Depth=1
	v_mov_b32_e32 v3, 0
	s_mov_b32 s8, 0
	s_and_not1_b32 vcc_lo, exec_lo, s57
	s_wait_alu 0xfffe
	s_cbranch_vccnz .LBB112_80
.LBB112_78:                             ;   in Loop: Header=BB112_20 Depth=1
	v_lshlrev_b32_e32 v4, 9, v40
	s_lshl_b32 s8, s8, 4
	s_wait_alu 0xfffe
	s_delay_alu instid0(VALU_DEP_1)
	v_add3_u32 v4, v4, s8, v39
	s_mov_b32 s8, s54
.LBB112_79:                             ;   Parent Loop BB112_20 Depth=1
                                        ; =>  This Inner Loop Header: Depth=2
	ds_load_b32 v7, v4
	v_add_nc_u32_e32 v4, 16, v4
	s_wait_alu 0xfffe
	s_add_co_i32 s8, s8, -1
	s_wait_alu 0xfffe
	s_cmp_lg_u32 s8, 0
	s_wait_dscnt 0x0
	v_add_nc_u32_e32 v3, v7, v3
	s_cbranch_scc1 .LBB112_79
.LBB112_80:                             ;   in Loop: Header=BB112_20 Depth=1
	v_add_lshl_u32 v4, v1, v27, 2
	ds_store_b32 v4, v3 offset:3072
.LBB112_81:                             ;   in Loop: Header=BB112_20 Depth=1
	s_wait_alu 0xfffe
	s_or_b32 exec_lo, exec_lo, s7
	v_lshlrev_b32_e32 v1, 2, v1
	s_wait_loadcnt_dscnt 0x0
	s_barrier_signal -1
	s_barrier_wait -1
	global_inv scope:SCOPE_SE
	ds_load_b128 v[7:10], v1 offset:3072
	s_lshl_b64 s[8:9], 3, s70
	v_cmp_eq_u32_e32 vcc_lo, 1, v41
	s_wait_alu 0xfffe
	s_not_b64 s[10:11], s[8:9]
	s_mov_b32 s14, -1
	s_mov_b32 s21, -1
                                        ; implicit-def: $sgpr18
                                        ; implicit-def: $sgpr16
	s_wait_dscnt 0x0
	v_readfirstlane_b32 s13, v7
	v_readfirstlane_b32 s19, v8
	;; [unrolled: 1-line block ×4, first 2 shown]
	s_cmp_eq_u32 s13, 1
	s_cselect_b32 s12, -1, 0
	s_wait_alu 0xfffe
	s_and_b32 s15, s12, vcc_lo
	s_wait_alu 0xfffe
	s_and_saveexec_b32 s12, s15
	s_cbranch_execz .LBB112_109
; %bb.82:                               ;   in Loop: Header=BB112_20 Depth=1
	ds_load_b32 v1, v13 offset:4104
	s_wait_loadcnt_dscnt 0x0
	s_barrier_signal -1
	s_barrier_wait -1
	global_inv scope:SCOPE_SE
	v_readfirstlane_b32 s21, v1
	s_and_saveexec_b32 s16, s1
; %bb.83:                               ;   in Loop: Header=BB112_20 Depth=1
	v_mov_b32_e32 v12, v13
	ds_store_b64 v30, v[12:13]
; %bb.84:                               ;   in Loop: Header=BB112_20 Depth=1
	s_wait_alu 0xfffe
	s_or_b32 exec_lo, exec_lo, s16
	v_and_b32_e32 v19, s11, v19
	v_and_b32_e32 v18, s10, v18
	v_or_b32_e32 v22, s9, v22
	v_or_b32_e32 v21, s8, v21
	s_mov_b32 s16, -1
	s_mov_b32 s18, 0
	s_cmp_eq_u32 s21, 0
	s_mov_b32 s20, 0
	s_mov_b32 s22, -1
	s_wait_loadcnt_dscnt 0x0
	s_barrier_signal -1
	s_barrier_wait -1
	global_inv scope:SCOPE_SE
                                        ; implicit-def: $vgpr5_vgpr6
	s_cbranch_scc1 .LBB112_96
; %bb.85:                               ;   in Loop: Header=BB112_20 Depth=1
	s_add_co_i32 s40, s21, s50
                                        ; implicit-def: $vgpr5_vgpr6
	s_wait_alu 0xfffe
	s_mul_u64 s[22:23], s[40:41], s[44:45]
	s_wait_alu 0xfffe
	s_mul_i32 s20, s23, s29
	s_mov_b32 s23, exec_lo
	s_wait_alu 0xfffe
	s_sub_co_i32 s20, s40, s20
	s_wait_alu 0xfffe
	s_sub_co_i32 s22, s20, s29
	s_cmp_ge_u32 s20, s29
	s_wait_alu 0xfffe
	s_cselect_b32 s20, s22, s20
	s_wait_alu 0xfffe
	s_sub_co_i32 s22, s20, s29
	s_cmp_ge_u32 s20, s29
	s_wait_alu 0xfffe
	s_cselect_b32 s20, s22, s20
	s_mov_b32 s22, 0
	s_wait_alu 0xfffe
	s_sub_co_i32 s24, s40, s20
	s_mov_b32 s20, 0
	s_wait_alu 0xfffe
	v_cmpx_gt_u32_e64 s24, v0
	s_cbranch_execz .LBB112_95
; %bb.86:                               ;   in Loop: Header=BB112_20 Depth=1
	v_dual_mov_b32 v7, v29 :: v_dual_mov_b32 v8, v0
                                        ; implicit-def: $sgpr25
	s_branch .LBB112_90
.LBB112_87:                             ;   in Loop: Header=BB112_90 Depth=2
	s_wait_alu 0xfffe
	s_or_b32 exec_lo, exec_lo, s26
	s_wait_loadcnt_dscnt 0x0
	s_barrier_signal -1
	s_barrier_wait -1
	global_inv scope:SCOPE_SE
	ds_load_b128 v[3:6], v13 offset:3072
	s_wait_loadcnt_dscnt 0x0
	s_barrier_signal -1
	s_barrier_wait -1
	global_inv scope:SCOPE_SE
	v_cmp_neq_f64_e32 vcc_lo, 0, v[3:4]
	s_cbranch_vccnz .LBB112_93
; %bb.88:                               ;   in Loop: Header=BB112_90 Depth=2
	v_add_nc_u32_e32 v8, s29, v8
	v_add_nc_u32_e32 v7, s62, v7
	s_mov_b32 s26, 0
	s_delay_alu instid0(VALU_DEP_2)
	v_cmp_le_u32_e32 vcc_lo, s24, v8
	s_or_not1_b32 s40, vcc_lo, exec_lo
.LBB112_89:                             ;   in Loop: Header=BB112_90 Depth=2
	s_wait_alu 0xfffe
	s_and_b32 s40, exec_lo, s40
	s_wait_alu 0xfffe
	s_or_b32 s20, s40, s20
	s_and_not1_b32 s25, s25, exec_lo
	s_and_b32 s26, s26, exec_lo
	s_wait_alu 0xfffe
	s_or_b32 s25, s25, s26
	s_and_not1_b32 exec_lo, exec_lo, s20
	s_cbranch_execz .LBB112_94
.LBB112_90:                             ;   Parent Loop BB112_20 Depth=1
                                        ; =>  This Inner Loop Header: Depth=2
	s_mov_b32 s26, exec_lo
	s_delay_alu instid0(VALU_DEP_1)
	v_cmpx_gt_u32_e64 s21, v8
	s_cbranch_execz .LBB112_87
; %bb.91:                               ;   in Loop: Header=BB112_90 Depth=2
	ds_load_b64 v[3:4], v7
	s_wait_dscnt 0x0
	v_cmp_o_f64_e32 vcc_lo, v[3:4], v[3:4]
	v_ashrrev_i32_e32 v1, 31, v4
	s_delay_alu instid0(VALU_DEP_1) | instskip(SKIP_1) | instid1(VALU_DEP_2)
	v_or_b32_e32 v5, 0x80000000, v1
	v_xor_b32_e32 v1, v1, v3
	v_xor_b32_e32 v5, v5, v4
	s_wait_alu 0xfffd
	s_delay_alu instid0(VALU_DEP_1) | instskip(NEXT) | instid1(VALU_DEP_1)
	v_cndmask_b32_e32 v5, -1, v5, vcc_lo
	v_dual_cndmask_b32 v1, -1, v1 :: v_dual_and_b32 v6, v5, v22
	s_delay_alu instid0(VALU_DEP_1) | instskip(NEXT) | instid1(VALU_DEP_1)
	v_and_b32_e32 v5, v1, v21
	v_cmp_eq_u64_e32 vcc_lo, v[5:6], v[18:19]
	s_and_b32 exec_lo, exec_lo, vcc_lo
	s_cbranch_execz .LBB112_87
; %bb.92:                               ;   in Loop: Header=BB112_90 Depth=2
	v_mov_b32_e32 v1, v13
	ds_store_b128 v13, v[1:4] offset:3072
	s_branch .LBB112_87
.LBB112_93:                             ;   in Loop: Header=BB112_90 Depth=2
	s_mov_b32 s40, -1
	s_mov_b32 s26, -1
                                        ; implicit-def: $vgpr8
                                        ; implicit-def: $vgpr7
	s_branch .LBB112_89
.LBB112_94:                             ;   in Loop: Header=BB112_20 Depth=1
	s_or_b32 exec_lo, exec_lo, s20
	s_wait_alu 0xfffe
	s_and_b32 s20, s25, exec_lo
.LBB112_95:                             ;   in Loop: Header=BB112_20 Depth=1
	s_or_b32 exec_lo, exec_lo, s23
.LBB112_96:                             ;   in Loop: Header=BB112_20 Depth=1
	s_wait_alu 0xfffe
	s_and_b32 vcc_lo, exec_lo, s22
	s_wait_alu 0xfffe
	s_cbranch_vccz .LBB112_108
; %bb.97:                               ;   in Loop: Header=BB112_20 Depth=1
                                        ; implicit-def: $vgpr5_vgpr6
	s_and_saveexec_b32 s16, s6
	s_cbranch_execz .LBB112_107
; %bb.98:                               ;   in Loop: Header=BB112_20 Depth=1
	v_dual_mov_b32 v12, v11 :: v_dual_mov_b32 v7, v0
	s_mov_b32 s21, 0
                                        ; implicit-def: $sgpr18
	s_branch .LBB112_102
.LBB112_99:                             ;   in Loop: Header=BB112_102 Depth=2
	s_wait_alu 0xfffe
	s_or_b32 exec_lo, exec_lo, s22
	s_wait_loadcnt_dscnt 0x0
	s_barrier_signal -1
	s_barrier_wait -1
	global_inv scope:SCOPE_SE
	ds_load_b128 v[3:6], v13 offset:3072
	s_wait_loadcnt_dscnt 0x0
	s_barrier_signal -1
	s_barrier_wait -1
	global_inv scope:SCOPE_SE
	v_cmp_neq_f64_e32 vcc_lo, 0, v[3:4]
	s_cbranch_vccnz .LBB112_105
; %bb.100:                              ;   in Loop: Header=BB112_102 Depth=2
	v_add_nc_u32_e32 v7, s29, v7
	v_add_nc_u32_e32 v12, s51, v12
	s_mov_b32 s22, 0
	s_delay_alu instid0(VALU_DEP_2)
	v_cmp_le_u32_e32 vcc_lo, s59, v7
	s_or_not1_b32 s23, vcc_lo, exec_lo
.LBB112_101:                            ;   in Loop: Header=BB112_102 Depth=2
	s_wait_alu 0xfffe
	s_and_b32 s23, exec_lo, s23
	s_wait_alu 0xfffe
	s_or_b32 s21, s23, s21
	s_and_not1_b32 s18, s18, exec_lo
	s_and_b32 s22, s22, exec_lo
	s_wait_alu 0xfffe
	s_or_b32 s18, s18, s22
	s_and_not1_b32 exec_lo, exec_lo, s21
	s_cbranch_execz .LBB112_106
.LBB112_102:                            ;   Parent Loop BB112_20 Depth=1
                                        ; =>  This Inner Loop Header: Depth=2
	s_mov_b32 s22, exec_lo
	s_delay_alu instid0(VALU_DEP_1)
	v_cmpx_gt_u32_e64 s28, v7
	s_cbranch_execz .LBB112_99
; %bb.103:                              ;   in Loop: Header=BB112_102 Depth=2
	v_lshlrev_b64_e32 v[3:4], 3, v[12:13]
	s_delay_alu instid0(VALU_DEP_1) | instskip(SKIP_1) | instid1(VALU_DEP_2)
	v_add_co_u32 v3, vcc_lo, s34, v3
	s_wait_alu 0xfffd
	v_add_co_ci_u32_e64 v4, null, s35, v4, vcc_lo
	global_load_b64 v[3:4], v[3:4], off
	s_wait_loadcnt 0x0
	v_cmp_o_f64_e32 vcc_lo, v[3:4], v[3:4]
	v_ashrrev_i32_e32 v1, 31, v4
	s_delay_alu instid0(VALU_DEP_1) | instskip(SKIP_1) | instid1(VALU_DEP_2)
	v_or_b32_e32 v5, 0x80000000, v1
	v_xor_b32_e32 v1, v1, v3
	v_xor_b32_e32 v5, v5, v4
	s_wait_alu 0xfffd
	s_delay_alu instid0(VALU_DEP_1) | instskip(NEXT) | instid1(VALU_DEP_1)
	v_cndmask_b32_e32 v5, -1, v5, vcc_lo
	v_dual_cndmask_b32 v1, -1, v1 :: v_dual_and_b32 v6, v5, v22
	s_delay_alu instid0(VALU_DEP_1) | instskip(NEXT) | instid1(VALU_DEP_1)
	v_and_b32_e32 v5, v1, v21
	v_cmp_eq_u64_e32 vcc_lo, v[5:6], v[18:19]
	s_and_b32 exec_lo, exec_lo, vcc_lo
	s_cbranch_execz .LBB112_99
; %bb.104:                              ;   in Loop: Header=BB112_102 Depth=2
	v_mov_b32_e32 v1, v13
	ds_store_b128 v13, v[1:4] offset:3072
	s_branch .LBB112_99
.LBB112_105:                            ;   in Loop: Header=BB112_102 Depth=2
	s_mov_b32 s23, -1
	s_mov_b32 s22, -1
                                        ; implicit-def: $vgpr7
	s_branch .LBB112_101
.LBB112_106:                            ;   in Loop: Header=BB112_20 Depth=1
	s_or_b32 exec_lo, exec_lo, s21
	s_delay_alu instid0(SALU_CYCLE_1)
	s_and_not1_b32 s20, s20, exec_lo
	s_wait_alu 0xfffe
	s_and_b32 s18, s18, exec_lo
	s_wait_alu 0xfffe
	s_or_b32 s20, s20, s18
.LBB112_107:                            ;   in Loop: Header=BB112_20 Depth=1
	s_wait_alu 0xfffe
	s_or_b32 exec_lo, exec_lo, s16
	s_mov_b32 s16, 0
	s_mov_b32 s18, -1
.LBB112_108:                            ;   in Loop: Header=BB112_20 Depth=1
	s_or_not1_b32 s21, s20, exec_lo
.LBB112_109:                            ;   in Loop: Header=BB112_20 Depth=1
	s_wait_alu 0xfffe
	s_or_b32 exec_lo, exec_lo, s12
	v_readfirstlane_b32 s20, v0
	s_and_not1_b32 s12, s68, exec_lo
	s_and_b32 s18, s18, exec_lo
	s_and_not1_b32 s22, s66, exec_lo
	s_and_b32 s16, s16, exec_lo
	s_and_not1_b32 s65, s65, exec_lo
	s_wait_alu 0xfffe
	s_or_b32 s68, s12, s18
	s_or_b32 s66, s22, s16
                                        ; implicit-def: $vgpr8
	s_and_saveexec_b32 s12, s21
	s_cbranch_execz .LBB112_19
; %bb.110:                              ;   in Loop: Header=BB112_20 Depth=1
	v_dual_mov_b32 v8, 1 :: v_dual_mov_b32 v7, 1
	s_xor_b32 s15, s15, -1
	s_mov_b32 s20, 0
	s_wait_alu 0xfffe
	s_and_saveexec_b32 s14, s15
	s_cbranch_execz .LBB112_119
; %bb.111:                              ;   in Loop: Header=BB112_20 Depth=1
	s_mov_b32 s15, exec_lo
	v_cmpx_ge_u32_e64 s13, v41
	s_wait_alu 0xfffe
	s_xor_b32 s15, exec_lo, s15
	s_cbranch_execz .LBB112_116
; %bb.112:                              ;   in Loop: Header=BB112_20 Depth=1
	ds_load_b32 v1, v13 offset:4104
	v_and_b32_e32 v19, s11, v19
	v_and_b32_e32 v18, s10, v18
	v_or_b32_e32 v22, s9, v22
	v_or_b32_e32 v21, s8, v21
	s_wait_dscnt 0x0
	v_cmp_ne_u32_e32 vcc_lo, 0, v1
	s_cbranch_vccnz .LBB112_116
; %bb.113:                              ;   in Loop: Header=BB112_20 Depth=1
	s_and_saveexec_b32 s16, s0
; %bb.114:                              ;   in Loop: Header=BB112_20 Depth=1
	v_mov_b32_e32 v1, s13
	ds_store_b32 v13, v1 offset:4108
; %bb.115:                              ;   in Loop: Header=BB112_20 Depth=1
	s_wait_alu 0xfffe
	s_or_b32 exec_lo, exec_lo, s16
	s_wait_loadcnt_dscnt 0x0
	s_barrier_signal -1
	s_barrier_wait -1
	global_inv scope:SCOPE_SE
.LBB112_116:                            ;   in Loop: Header=BB112_20 Depth=1
	s_wait_alu 0xfffe
	s_or_saveexec_b32 s15, s15
	v_mov_b32_e32 v7, 8
	s_mov_b32 s16, 0
	s_wait_alu 0xfffe
	s_xor_b32 exec_lo, exec_lo, s15
; %bb.117:                              ;   in Loop: Header=BB112_20 Depth=1
	v_subrev_nc_u32_e32 v41, s13, v41
	v_mov_b32_e32 v7, 0
	s_mov_b32 s16, exec_lo
; %bb.118:                              ;   in Loop: Header=BB112_20 Depth=1
	s_or_b32 exec_lo, exec_lo, s15
	s_delay_alu instid0(VALU_DEP_2)
	v_mov_b32_e32 v8, v41
	s_wait_alu 0xfffe
	s_and_b32 s20, s16, exec_lo
.LBB112_119:                            ;   in Loop: Header=BB112_20 Depth=1
	s_wait_alu 0xfffe
	s_or_b32 exec_lo, exec_lo, s14
	s_mov_b32 s13, -1
	s_mov_b32 s18, -1
                                        ; implicit-def: $sgpr15
                                        ; implicit-def: $sgpr16
	s_and_saveexec_b32 s14, s20
	s_wait_alu 0xfffe
	s_xor_b32 s14, exec_lo, s14
	s_cbranch_execz .LBB112_245
; %bb.120:                              ;   in Loop: Header=BB112_20 Depth=1
	v_cmp_eq_u32_e32 vcc_lo, 1, v8
	s_cmp_eq_u32 s19, 1
	s_mov_b32 s21, -1
	s_cselect_b32 s15, -1, 0
                                        ; implicit-def: $sgpr16
	s_wait_alu 0xfffe
	s_and_b32 s20, s15, vcc_lo
                                        ; implicit-def: $sgpr15
	s_wait_alu 0xfffe
	s_and_saveexec_b32 s18, s20
	s_cbranch_execz .LBB112_151
; %bb.121:                              ;   in Loop: Header=BB112_20 Depth=1
	ds_load_b32 v1, v13 offset:4104
	s_wait_loadcnt_dscnt 0x0
	s_barrier_signal -1
	s_barrier_wait -1
	global_inv scope:SCOPE_SE
	v_readfirstlane_b32 s22, v1
	s_and_saveexec_b32 s15, s1
; %bb.122:                              ;   in Loop: Header=BB112_20 Depth=1
	v_mov_b32_e32 v12, v13
	ds_store_b64 v30, v[12:13]
; %bb.123:                              ;   in Loop: Header=BB112_20 Depth=1
	s_wait_alu 0xfffe
	s_or_b32 exec_lo, exec_lo, s15
	v_and_b32_e32 v1, s11, v19
	v_and_b32_e32 v3, s10, v18
	s_lshl_b64 s[24:25], 1, s70
	v_or_b32_e32 v22, s9, v22
	v_or_b32_e32 v21, s8, v21
	s_wait_alu 0xfffe
	v_or_b32_e32 v19, s25, v1
	v_or_b32_e32 v18, s24, v3
	s_mov_b32 s15, -1
	s_mov_b32 s16, 0
	s_cmp_eq_u32 s22, 0
	s_mov_b32 s21, 0
	s_mov_b32 s23, -1
	s_wait_loadcnt_dscnt 0x0
	s_barrier_signal -1
	s_barrier_wait -1
	global_inv scope:SCOPE_SE
                                        ; implicit-def: $vgpr5_vgpr6
	s_cbranch_scc1 .LBB112_138
; %bb.124:                              ;   in Loop: Header=BB112_20 Depth=1
	s_add_co_i32 s40, s22, s50
                                        ; implicit-def: $vgpr5_vgpr6
	s_wait_alu 0xfffe
	s_mul_u64 s[24:25], s[40:41], s[44:45]
	s_mov_b32 s24, exec_lo
	s_wait_alu 0xfffe
	s_mul_i32 s21, s25, s29
	s_wait_alu 0xfffe
	s_sub_co_i32 s21, s40, s21
	s_wait_alu 0xfffe
	s_sub_co_i32 s23, s21, s29
	s_cmp_ge_u32 s21, s29
	s_wait_alu 0xfffe
	s_cselect_b32 s21, s23, s21
	s_wait_alu 0xfffe
	s_sub_co_i32 s23, s21, s29
	s_cmp_ge_u32 s21, s29
	s_wait_alu 0xfffe
	s_cselect_b32 s21, s23, s21
	s_mov_b32 s23, 0
	s_wait_alu 0xfffe
	s_sub_co_i32 s25, s40, s21
	s_mov_b32 s21, 0
	s_wait_alu 0xfffe
	v_cmpx_gt_u32_e64 s25, v0
	s_cbranch_execz .LBB112_137
; %bb.125:                              ;   in Loop: Header=BB112_20 Depth=1
	v_dual_mov_b32 v9, v29 :: v_dual_mov_b32 v10, v0
                                        ; implicit-def: $sgpr26
	s_branch .LBB112_129
.LBB112_126:                            ;   in Loop: Header=BB112_129 Depth=2
	s_wait_alu 0xfffe
	s_or_b32 exec_lo, exec_lo, s40
	s_wait_loadcnt_dscnt 0x0
	s_barrier_signal -1
	s_barrier_wait -1
	global_inv scope:SCOPE_SE
	ds_load_b128 v[3:6], v13 offset:3072
	s_wait_loadcnt_dscnt 0x0
	s_barrier_signal -1
	s_barrier_wait -1
	global_inv scope:SCOPE_SE
	v_cmp_neq_f64_e32 vcc_lo, 0, v[3:4]
	s_cbranch_vccnz .LBB112_132
; %bb.127:                              ;   in Loop: Header=BB112_129 Depth=2
	v_add_nc_u32_e32 v10, s29, v10
	v_add_nc_u32_e32 v9, s62, v9
	s_mov_b32 s40, 0
	s_delay_alu instid0(VALU_DEP_2)
	v_cmp_le_u32_e32 vcc_lo, s25, v10
	s_or_not1_b32 s71, vcc_lo, exec_lo
.LBB112_128:                            ;   in Loop: Header=BB112_129 Depth=2
	s_wait_alu 0xfffe
	s_and_b32 s71, exec_lo, s71
	s_wait_alu 0xfffe
	s_or_b32 s21, s71, s21
	s_and_not1_b32 s26, s26, exec_lo
	s_and_b32 s40, s40, exec_lo
	s_wait_alu 0xfffe
	s_or_b32 s26, s26, s40
	s_and_not1_b32 exec_lo, exec_lo, s21
	s_cbranch_execz .LBB112_136
.LBB112_129:                            ;   Parent Loop BB112_20 Depth=1
                                        ; =>  This Inner Loop Header: Depth=2
	s_mov_b32 s40, exec_lo
	s_delay_alu instid0(VALU_DEP_1)
	v_cmpx_gt_u32_e64 s22, v10
	s_cbranch_execz .LBB112_126
; %bb.130:                              ;   in Loop: Header=BB112_129 Depth=2
	ds_load_b64 v[3:4], v9
	s_wait_dscnt 0x0
	v_cmp_o_f64_e32 vcc_lo, v[3:4], v[3:4]
	v_ashrrev_i32_e32 v1, 31, v4
	s_delay_alu instid0(VALU_DEP_1) | instskip(SKIP_1) | instid1(VALU_DEP_2)
	v_or_b32_e32 v5, 0x80000000, v1
	v_xor_b32_e32 v1, v1, v3
	v_xor_b32_e32 v5, v5, v4
	s_wait_alu 0xfffd
	s_delay_alu instid0(VALU_DEP_1) | instskip(NEXT) | instid1(VALU_DEP_1)
	v_cndmask_b32_e32 v5, -1, v5, vcc_lo
	v_dual_cndmask_b32 v1, -1, v1 :: v_dual_and_b32 v6, v5, v22
	s_delay_alu instid0(VALU_DEP_1) | instskip(NEXT) | instid1(VALU_DEP_1)
	v_and_b32_e32 v5, v1, v21
	v_cmp_eq_u64_e32 vcc_lo, v[5:6], v[18:19]
	s_and_b32 exec_lo, exec_lo, vcc_lo
	s_cbranch_execz .LBB112_126
; %bb.131:                              ;   in Loop: Header=BB112_129 Depth=2
	v_mov_b32_e32 v1, v13
	ds_store_b128 v13, v[1:4] offset:3072
	s_branch .LBB112_126
.LBB112_132:                            ;   in Loop: Header=BB112_129 Depth=2
	s_mov_b32 s71, -1
	s_mov_b32 s40, -1
                                        ; implicit-def: $vgpr10
                                        ; implicit-def: $vgpr9
	s_branch .LBB112_128
.LBB112_133:                            ;   in Loop: Header=BB112_20 Depth=1
	s_wait_alu 0xfffe
	s_or_b32 exec_lo, exec_lo, s10
	s_wait_loadcnt_dscnt 0x0
	s_barrier_signal -1
	s_barrier_wait -1
	global_inv scope:SCOPE_SE
	s_and_saveexec_b32 s7, s0
	s_cbranch_execz .LBB112_135
; %bb.134:                              ;   in Loop: Header=BB112_20 Depth=1
	ds_load_b32 v1, v13 offset:4112
	s_wait_dscnt 0x0
	ds_store_b32 v13, v1 offset:4104
.LBB112_135:                            ;   in Loop: Header=BB112_20 Depth=1
	s_wait_alu 0xfffe
	s_or_b32 exec_lo, exec_lo, s7
	s_wait_loadcnt_dscnt 0x0
	s_barrier_signal -1
	s_mov_b32 s7, -1
	s_barrier_wait -1
	s_and_b32 vcc_lo, exec_lo, s9
	s_wait_alu 0xfffe
	s_cbranch_vccnz .LBB112_36
	s_branch .LBB112_45
.LBB112_136:                            ;   in Loop: Header=BB112_20 Depth=1
	s_or_b32 exec_lo, exec_lo, s21
	s_wait_alu 0xfffe
	s_and_b32 s21, s26, exec_lo
.LBB112_137:                            ;   in Loop: Header=BB112_20 Depth=1
	s_or_b32 exec_lo, exec_lo, s24
.LBB112_138:                            ;   in Loop: Header=BB112_20 Depth=1
	s_wait_alu 0xfffe
	s_and_b32 vcc_lo, exec_lo, s23
	s_wait_alu 0xfffe
	s_cbranch_vccz .LBB112_150
; %bb.139:                              ;   in Loop: Header=BB112_20 Depth=1
                                        ; implicit-def: $vgpr5_vgpr6
	s_and_saveexec_b32 s15, s6
	s_cbranch_execz .LBB112_149
; %bb.140:                              ;   in Loop: Header=BB112_20 Depth=1
	v_dual_mov_b32 v12, v11 :: v_dual_mov_b32 v9, v0
	s_mov_b32 s16, 0
                                        ; implicit-def: $sgpr22
	s_branch .LBB112_144
.LBB112_141:                            ;   in Loop: Header=BB112_144 Depth=2
	s_wait_alu 0xfffe
	s_or_b32 exec_lo, exec_lo, s23
	s_wait_loadcnt_dscnt 0x0
	s_barrier_signal -1
	s_barrier_wait -1
	global_inv scope:SCOPE_SE
	ds_load_b128 v[3:6], v13 offset:3072
	s_wait_loadcnt_dscnt 0x0
	s_barrier_signal -1
	s_barrier_wait -1
	global_inv scope:SCOPE_SE
	v_cmp_eq_f64_e32 vcc_lo, 0, v[3:4]
	s_cbranch_vccz .LBB112_147
; %bb.142:                              ;   in Loop: Header=BB112_144 Depth=2
	v_add_nc_u32_e32 v9, s29, v9
	v_add_nc_u32_e32 v12, s51, v12
	s_mov_b32 s23, 0
	s_delay_alu instid0(VALU_DEP_2)
	v_cmp_le_u32_e32 vcc_lo, s59, v9
	s_or_not1_b32 s24, vcc_lo, exec_lo
.LBB112_143:                            ;   in Loop: Header=BB112_144 Depth=2
	s_wait_alu 0xfffe
	s_and_b32 s24, exec_lo, s24
	s_wait_alu 0xfffe
	s_or_b32 s16, s24, s16
	s_and_not1_b32 s22, s22, exec_lo
	s_and_b32 s23, s23, exec_lo
	s_wait_alu 0xfffe
	s_or_b32 s22, s22, s23
	s_and_not1_b32 exec_lo, exec_lo, s16
	s_cbranch_execz .LBB112_148
.LBB112_144:                            ;   Parent Loop BB112_20 Depth=1
                                        ; =>  This Inner Loop Header: Depth=2
	s_mov_b32 s23, exec_lo
	s_delay_alu instid0(VALU_DEP_1)
	v_cmpx_gt_u32_e64 s28, v9
	s_cbranch_execz .LBB112_141
; %bb.145:                              ;   in Loop: Header=BB112_144 Depth=2
	v_lshlrev_b64_e32 v[3:4], 3, v[12:13]
	s_delay_alu instid0(VALU_DEP_1) | instskip(SKIP_1) | instid1(VALU_DEP_2)
	v_add_co_u32 v3, vcc_lo, s34, v3
	s_wait_alu 0xfffd
	v_add_co_ci_u32_e64 v4, null, s35, v4, vcc_lo
	global_load_b64 v[3:4], v[3:4], off
	s_wait_loadcnt 0x0
	v_cmp_o_f64_e32 vcc_lo, v[3:4], v[3:4]
	v_ashrrev_i32_e32 v1, 31, v4
	s_delay_alu instid0(VALU_DEP_1) | instskip(SKIP_1) | instid1(VALU_DEP_2)
	v_or_b32_e32 v5, 0x80000000, v1
	v_xor_b32_e32 v1, v1, v3
	v_xor_b32_e32 v5, v5, v4
	s_wait_alu 0xfffd
	s_delay_alu instid0(VALU_DEP_1) | instskip(NEXT) | instid1(VALU_DEP_1)
	v_cndmask_b32_e32 v5, -1, v5, vcc_lo
	v_dual_cndmask_b32 v1, -1, v1 :: v_dual_and_b32 v6, v5, v22
	s_delay_alu instid0(VALU_DEP_1) | instskip(NEXT) | instid1(VALU_DEP_1)
	v_and_b32_e32 v5, v1, v21
	v_cmp_eq_u64_e32 vcc_lo, v[5:6], v[18:19]
	s_and_b32 exec_lo, exec_lo, vcc_lo
	s_cbranch_execz .LBB112_141
; %bb.146:                              ;   in Loop: Header=BB112_144 Depth=2
	v_mov_b32_e32 v1, v13
	ds_store_b128 v13, v[1:4] offset:3072
	s_branch .LBB112_141
.LBB112_147:                            ;   in Loop: Header=BB112_144 Depth=2
	s_mov_b32 s24, -1
	s_mov_b32 s23, -1
                                        ; implicit-def: $vgpr9
	s_branch .LBB112_143
.LBB112_148:                            ;   in Loop: Header=BB112_20 Depth=1
	s_or_b32 exec_lo, exec_lo, s16
	s_delay_alu instid0(SALU_CYCLE_1)
	s_and_not1_b32 s16, s21, exec_lo
	s_wait_alu 0xfffe
	s_and_b32 s21, s22, exec_lo
	s_wait_alu 0xfffe
	s_or_b32 s21, s16, s21
.LBB112_149:                            ;   in Loop: Header=BB112_20 Depth=1
	s_wait_alu 0xfffe
	s_or_b32 exec_lo, exec_lo, s15
	s_mov_b32 s15, 0
	s_mov_b32 s16, -1
.LBB112_150:                            ;   in Loop: Header=BB112_20 Depth=1
	s_or_not1_b32 s21, s21, exec_lo
.LBB112_151:                            ;   in Loop: Header=BB112_20 Depth=1
	s_wait_alu 0xfffe
	s_or_b32 exec_lo, exec_lo, s18
	s_mov_b32 s22, 0
	s_and_saveexec_b32 s18, s21
	s_cbranch_execz .LBB112_244
; %bb.152:                              ;   in Loop: Header=BB112_20 Depth=1
	v_mov_b32_e32 v9, 1
	v_mov_b32_e32 v7, 1
	s_xor_b32 s21, s20, -1
	s_mov_b32 s23, 0
	s_wait_alu 0xfffe
	s_and_saveexec_b32 s20, s21
	s_cbranch_execz .LBB112_161
; %bb.153:                              ;   in Loop: Header=BB112_20 Depth=1
	s_mov_b32 s21, exec_lo
	v_cmpx_ge_u32_e64 s19, v8
	s_wait_alu 0xfffe
	s_xor_b32 s21, exec_lo, s21
	s_cbranch_execz .LBB112_158
; %bb.154:                              ;   in Loop: Header=BB112_20 Depth=1
	ds_load_b32 v1, v13 offset:4104
	v_and_b32_e32 v3, s11, v19
	v_and_b32_e32 v4, s10, v18
	s_lshl_b64 s[22:23], 1, s70
	v_or_b32_e32 v22, s9, v22
	v_or_b32_e32 v21, s8, v21
	s_wait_alu 0xfffe
	v_or_b32_e32 v19, s23, v3
	v_or_b32_e32 v18, s22, v4
	s_wait_dscnt 0x0
	v_cmp_ne_u32_e32 vcc_lo, 0, v1
	s_cbranch_vccnz .LBB112_158
; %bb.155:                              ;   in Loop: Header=BB112_20 Depth=1
	s_and_saveexec_b32 s22, s0
; %bb.156:                              ;   in Loop: Header=BB112_20 Depth=1
	v_mov_b32_e32 v1, s19
	ds_store_b32 v13, v1 offset:4108
; %bb.157:                              ;   in Loop: Header=BB112_20 Depth=1
	s_wait_alu 0xfffe
	s_or_b32 exec_lo, exec_lo, s22
	s_wait_loadcnt_dscnt 0x0
	s_barrier_signal -1
	s_barrier_wait -1
	global_inv scope:SCOPE_SE
.LBB112_158:                            ;   in Loop: Header=BB112_20 Depth=1
	s_wait_alu 0xfffe
	s_or_saveexec_b32 s21, s21
	v_mov_b32_e32 v7, 8
	s_mov_b32 s22, 0
	s_wait_alu 0xfffe
	s_xor_b32 exec_lo, exec_lo, s21
; %bb.159:                              ;   in Loop: Header=BB112_20 Depth=1
	v_subrev_nc_u32_e32 v8, s19, v8
	v_mov_b32_e32 v7, 0
	s_mov_b32 s22, exec_lo
; %bb.160:                              ;   in Loop: Header=BB112_20 Depth=1
	s_or_b32 exec_lo, exec_lo, s21
	s_delay_alu instid0(VALU_DEP_2)
	v_mov_b32_e32 v9, v8
	s_wait_alu 0xfffe
	s_and_b32 s23, s22, exec_lo
.LBB112_161:                            ;   in Loop: Header=BB112_20 Depth=1
	s_wait_alu 0xfffe
	s_or_b32 exec_lo, exec_lo, s20
	s_mov_b32 s22, -1
                                        ; implicit-def: $sgpr20
                                        ; implicit-def: $sgpr21
	s_and_saveexec_b32 s19, s23
	s_cbranch_execz .LBB112_243
; %bb.162:                              ;   in Loop: Header=BB112_20 Depth=1
	v_cmp_eq_u32_e32 vcc_lo, 1, v9
	s_cmp_eq_u32 s17, 1
	s_mov_b32 s24, -1
	s_cselect_b32 s20, -1, 0
                                        ; implicit-def: $sgpr21
	s_wait_alu 0xfffe
	s_and_b32 s23, s20, vcc_lo
                                        ; implicit-def: $sgpr20
	s_wait_alu 0xfffe
	s_and_saveexec_b32 s22, s23
	s_cbranch_execz .LBB112_190
; %bb.163:                              ;   in Loop: Header=BB112_20 Depth=1
	ds_load_b32 v1, v13 offset:4104
	s_wait_loadcnt_dscnt 0x0
	s_barrier_signal -1
	s_barrier_wait -1
	global_inv scope:SCOPE_SE
	v_readfirstlane_b32 s25, v1
	s_and_saveexec_b32 s20, s1
; %bb.164:                              ;   in Loop: Header=BB112_20 Depth=1
	v_mov_b32_e32 v12, v13
	ds_store_b64 v30, v[12:13]
; %bb.165:                              ;   in Loop: Header=BB112_20 Depth=1
	s_wait_alu 0xfffe
	s_or_b32 exec_lo, exec_lo, s20
	v_and_b32_e32 v1, s11, v19
	v_and_b32_e32 v3, s10, v18
	s_lshl_b64 s[20:21], 2, s70
	v_or_b32_e32 v22, s9, v22
	v_or_b32_e32 v21, s8, v21
	s_wait_alu 0xfffe
	v_or_b32_e32 v19, s21, v1
	v_or_b32_e32 v18, s20, v3
	s_mov_b32 s20, -1
	s_mov_b32 s21, 0
	s_cmp_eq_u32 s25, 0
	s_mov_b32 s24, 0
	s_mov_b32 s26, -1
	s_wait_loadcnt_dscnt 0x0
	s_barrier_signal -1
	s_barrier_wait -1
	global_inv scope:SCOPE_SE
                                        ; implicit-def: $vgpr5_vgpr6
	s_cbranch_scc1 .LBB112_177
; %bb.166:                              ;   in Loop: Header=BB112_20 Depth=1
	s_add_co_i32 s40, s25, s50
                                        ; implicit-def: $vgpr5_vgpr6
	s_wait_alu 0xfffe
	s_mul_u64 s[72:73], s[40:41], s[44:45]
	s_wait_alu 0xfffe
	s_mul_i32 s24, s73, s29
	s_wait_alu 0xfffe
	s_sub_co_i32 s24, s40, s24
	s_wait_alu 0xfffe
	s_sub_co_i32 s26, s24, s29
	s_cmp_ge_u32 s24, s29
	s_wait_alu 0xfffe
	s_cselect_b32 s24, s26, s24
	s_wait_alu 0xfffe
	s_sub_co_i32 s26, s24, s29
	s_cmp_ge_u32 s24, s29
	s_wait_alu 0xfffe
	s_cselect_b32 s24, s26, s24
	s_mov_b32 s26, 0
	s_wait_alu 0xfffe
	s_sub_co_i32 s71, s40, s24
	s_mov_b32 s24, 0
	s_mov_b32 s40, exec_lo
	s_wait_alu 0xfffe
	v_cmpx_gt_u32_e64 s71, v0
	s_cbranch_execz .LBB112_176
; %bb.167:                              ;   in Loop: Header=BB112_20 Depth=1
	v_mov_b32_e32 v8, v29
	v_mov_b32_e32 v10, v0
                                        ; implicit-def: $sgpr72
	s_branch .LBB112_171
.LBB112_168:                            ;   in Loop: Header=BB112_171 Depth=2
	s_wait_alu 0xfffe
	s_or_b32 exec_lo, exec_lo, s73
	s_wait_loadcnt_dscnt 0x0
	s_barrier_signal -1
	s_barrier_wait -1
	global_inv scope:SCOPE_SE
	ds_load_b128 v[3:6], v13 offset:3072
	s_wait_loadcnt_dscnt 0x0
	s_barrier_signal -1
	s_barrier_wait -1
	global_inv scope:SCOPE_SE
	v_cmp_neq_f64_e32 vcc_lo, 0, v[3:4]
	s_cbranch_vccnz .LBB112_174
; %bb.169:                              ;   in Loop: Header=BB112_171 Depth=2
	v_add_nc_u32_e32 v10, s29, v10
	v_add_nc_u32_e32 v8, s62, v8
	s_mov_b32 s73, 0
	s_delay_alu instid0(VALU_DEP_2)
	v_cmp_le_u32_e32 vcc_lo, s71, v10
	s_or_not1_b32 s74, vcc_lo, exec_lo
.LBB112_170:                            ;   in Loop: Header=BB112_171 Depth=2
	s_wait_alu 0xfffe
	s_and_b32 s74, exec_lo, s74
	s_wait_alu 0xfffe
	s_or_b32 s24, s74, s24
	s_and_not1_b32 s72, s72, exec_lo
	s_and_b32 s73, s73, exec_lo
	s_wait_alu 0xfffe
	s_or_b32 s72, s72, s73
	s_and_not1_b32 exec_lo, exec_lo, s24
	s_cbranch_execz .LBB112_175
.LBB112_171:                            ;   Parent Loop BB112_20 Depth=1
                                        ; =>  This Inner Loop Header: Depth=2
	s_mov_b32 s73, exec_lo
	s_delay_alu instid0(VALU_DEP_1)
	v_cmpx_gt_u32_e64 s25, v10
	s_cbranch_execz .LBB112_168
; %bb.172:                              ;   in Loop: Header=BB112_171 Depth=2
	ds_load_b64 v[3:4], v8
	s_wait_dscnt 0x0
	v_cmp_o_f64_e32 vcc_lo, v[3:4], v[3:4]
	v_ashrrev_i32_e32 v1, 31, v4
	s_delay_alu instid0(VALU_DEP_1) | instskip(SKIP_1) | instid1(VALU_DEP_2)
	v_or_b32_e32 v5, 0x80000000, v1
	v_xor_b32_e32 v1, v1, v3
	v_xor_b32_e32 v5, v5, v4
	s_wait_alu 0xfffd
	s_delay_alu instid0(VALU_DEP_1) | instskip(NEXT) | instid1(VALU_DEP_1)
	v_cndmask_b32_e32 v5, -1, v5, vcc_lo
	v_dual_cndmask_b32 v1, -1, v1 :: v_dual_and_b32 v6, v5, v22
	s_delay_alu instid0(VALU_DEP_1) | instskip(NEXT) | instid1(VALU_DEP_1)
	v_and_b32_e32 v5, v1, v21
	v_cmp_eq_u64_e32 vcc_lo, v[5:6], v[18:19]
	s_and_b32 exec_lo, exec_lo, vcc_lo
	s_cbranch_execz .LBB112_168
; %bb.173:                              ;   in Loop: Header=BB112_171 Depth=2
	v_mov_b32_e32 v1, v13
	ds_store_b128 v13, v[1:4] offset:3072
	s_branch .LBB112_168
.LBB112_174:                            ;   in Loop: Header=BB112_171 Depth=2
	s_mov_b32 s74, -1
	s_mov_b32 s73, -1
                                        ; implicit-def: $vgpr10
                                        ; implicit-def: $vgpr8
	s_branch .LBB112_170
.LBB112_175:                            ;   in Loop: Header=BB112_20 Depth=1
	s_or_b32 exec_lo, exec_lo, s24
	s_wait_alu 0xfffe
	s_and_b32 s24, s72, exec_lo
.LBB112_176:                            ;   in Loop: Header=BB112_20 Depth=1
	s_or_b32 exec_lo, exec_lo, s40
.LBB112_177:                            ;   in Loop: Header=BB112_20 Depth=1
	s_wait_alu 0xfffe
	s_and_b32 vcc_lo, exec_lo, s26
	s_wait_alu 0xfffe
	s_cbranch_vccz .LBB112_189
; %bb.178:                              ;   in Loop: Header=BB112_20 Depth=1
                                        ; implicit-def: $vgpr5_vgpr6
	s_and_saveexec_b32 s20, s6
	s_cbranch_execz .LBB112_188
; %bb.179:                              ;   in Loop: Header=BB112_20 Depth=1
	v_mov_b32_e32 v12, v11
	v_mov_b32_e32 v8, v0
	s_mov_b32 s21, 0
                                        ; implicit-def: $sgpr25
	s_branch .LBB112_183
.LBB112_180:                            ;   in Loop: Header=BB112_183 Depth=2
	s_wait_alu 0xfffe
	s_or_b32 exec_lo, exec_lo, s26
	s_wait_loadcnt_dscnt 0x0
	s_barrier_signal -1
	s_barrier_wait -1
	global_inv scope:SCOPE_SE
	ds_load_b128 v[3:6], v13 offset:3072
	s_wait_loadcnt_dscnt 0x0
	s_barrier_signal -1
	s_barrier_wait -1
	global_inv scope:SCOPE_SE
	v_cmp_eq_f64_e32 vcc_lo, 0, v[3:4]
	s_cbranch_vccz .LBB112_186
; %bb.181:                              ;   in Loop: Header=BB112_183 Depth=2
	v_add_nc_u32_e32 v8, s29, v8
	v_add_nc_u32_e32 v12, s51, v12
	s_mov_b32 s26, 0
	s_delay_alu instid0(VALU_DEP_2)
	v_cmp_le_u32_e32 vcc_lo, s59, v8
	s_or_not1_b32 s40, vcc_lo, exec_lo
.LBB112_182:                            ;   in Loop: Header=BB112_183 Depth=2
	s_wait_alu 0xfffe
	s_and_b32 s40, exec_lo, s40
	s_wait_alu 0xfffe
	s_or_b32 s21, s40, s21
	s_and_not1_b32 s25, s25, exec_lo
	s_and_b32 s26, s26, exec_lo
	s_wait_alu 0xfffe
	s_or_b32 s25, s25, s26
	s_and_not1_b32 exec_lo, exec_lo, s21
	s_cbranch_execz .LBB112_187
.LBB112_183:                            ;   Parent Loop BB112_20 Depth=1
                                        ; =>  This Inner Loop Header: Depth=2
	s_mov_b32 s26, exec_lo
	s_delay_alu instid0(VALU_DEP_1)
	v_cmpx_gt_u32_e64 s28, v8
	s_cbranch_execz .LBB112_180
; %bb.184:                              ;   in Loop: Header=BB112_183 Depth=2
	v_lshlrev_b64_e32 v[3:4], 3, v[12:13]
	s_delay_alu instid0(VALU_DEP_1) | instskip(SKIP_1) | instid1(VALU_DEP_2)
	v_add_co_u32 v3, vcc_lo, s34, v3
	s_wait_alu 0xfffd
	v_add_co_ci_u32_e64 v4, null, s35, v4, vcc_lo
	global_load_b64 v[3:4], v[3:4], off
	s_wait_loadcnt 0x0
	v_cmp_o_f64_e32 vcc_lo, v[3:4], v[3:4]
	v_ashrrev_i32_e32 v1, 31, v4
	s_delay_alu instid0(VALU_DEP_1) | instskip(SKIP_1) | instid1(VALU_DEP_2)
	v_or_b32_e32 v5, 0x80000000, v1
	v_xor_b32_e32 v1, v1, v3
	v_xor_b32_e32 v5, v5, v4
	s_wait_alu 0xfffd
	s_delay_alu instid0(VALU_DEP_1) | instskip(NEXT) | instid1(VALU_DEP_1)
	v_cndmask_b32_e32 v5, -1, v5, vcc_lo
	v_dual_cndmask_b32 v1, -1, v1 :: v_dual_and_b32 v6, v5, v22
	s_delay_alu instid0(VALU_DEP_1) | instskip(NEXT) | instid1(VALU_DEP_1)
	v_and_b32_e32 v5, v1, v21
	v_cmp_eq_u64_e32 vcc_lo, v[5:6], v[18:19]
	s_and_b32 exec_lo, exec_lo, vcc_lo
	s_cbranch_execz .LBB112_180
; %bb.185:                              ;   in Loop: Header=BB112_183 Depth=2
	v_mov_b32_e32 v1, v13
	ds_store_b128 v13, v[1:4] offset:3072
	s_branch .LBB112_180
.LBB112_186:                            ;   in Loop: Header=BB112_183 Depth=2
	s_mov_b32 s40, -1
	s_mov_b32 s26, -1
                                        ; implicit-def: $vgpr8
	s_branch .LBB112_182
.LBB112_187:                            ;   in Loop: Header=BB112_20 Depth=1
	s_or_b32 exec_lo, exec_lo, s21
	s_delay_alu instid0(SALU_CYCLE_1)
	s_and_not1_b32 s21, s24, exec_lo
	s_wait_alu 0xfffe
	s_and_b32 s24, s25, exec_lo
	s_wait_alu 0xfffe
	s_or_b32 s24, s21, s24
.LBB112_188:                            ;   in Loop: Header=BB112_20 Depth=1
	s_wait_alu 0xfffe
	s_or_b32 exec_lo, exec_lo, s20
	s_mov_b32 s20, 0
	s_mov_b32 s21, -1
.LBB112_189:                            ;   in Loop: Header=BB112_20 Depth=1
	s_or_not1_b32 s24, s24, exec_lo
.LBB112_190:                            ;   in Loop: Header=BB112_20 Depth=1
	s_wait_alu 0xfffe
	s_or_b32 exec_lo, exec_lo, s22
	s_mov_b32 s25, 0
	s_and_saveexec_b32 s22, s24
	s_cbranch_execz .LBB112_242
; %bb.191:                              ;   in Loop: Header=BB112_20 Depth=1
	v_dual_mov_b32 v8, 1 :: v_dual_mov_b32 v7, 1
	s_xor_b32 s25, s23, -1
	s_mov_b32 s24, 0
	s_wait_alu 0xfffe
	s_and_saveexec_b32 s23, s25
	s_cbranch_execz .LBB112_200
; %bb.192:                              ;   in Loop: Header=BB112_20 Depth=1
	s_mov_b32 s24, exec_lo
	v_cmpx_ge_u32_e64 s17, v9
	s_wait_alu 0xfffe
	s_xor_b32 s24, exec_lo, s24
	s_cbranch_execz .LBB112_197
; %bb.193:                              ;   in Loop: Header=BB112_20 Depth=1
	ds_load_b32 v1, v13 offset:4104
	v_and_b32_e32 v3, s11, v19
	v_and_b32_e32 v4, s10, v18
	s_lshl_b64 s[10:11], 2, s70
	v_or_b32_e32 v22, s9, v22
	v_or_b32_e32 v21, s8, v21
	s_wait_alu 0xfffe
	v_or_b32_e32 v19, s11, v3
	v_or_b32_e32 v18, s10, v4
	s_wait_dscnt 0x0
	v_cmp_ne_u32_e32 vcc_lo, 0, v1
	s_cbranch_vccnz .LBB112_197
; %bb.194:                              ;   in Loop: Header=BB112_20 Depth=1
	s_and_saveexec_b32 s10, s0
; %bb.195:                              ;   in Loop: Header=BB112_20 Depth=1
	v_mov_b32_e32 v1, s17
	ds_store_b32 v13, v1 offset:4108
; %bb.196:                              ;   in Loop: Header=BB112_20 Depth=1
	s_wait_alu 0xfffe
	s_or_b32 exec_lo, exec_lo, s10
	s_wait_loadcnt_dscnt 0x0
	s_barrier_signal -1
	s_barrier_wait -1
	global_inv scope:SCOPE_SE
.LBB112_197:                            ;   in Loop: Header=BB112_20 Depth=1
	s_wait_alu 0xfffe
	s_or_saveexec_b32 s10, s24
	v_mov_b32_e32 v7, 8
	s_mov_b32 s11, 0
	s_wait_alu 0xfffe
	s_xor_b32 exec_lo, exec_lo, s10
; %bb.198:                              ;   in Loop: Header=BB112_20 Depth=1
	v_subrev_nc_u32_e32 v9, s17, v9
	v_mov_b32_e32 v7, 0
	s_mov_b32 s11, exec_lo
; %bb.199:                              ;   in Loop: Header=BB112_20 Depth=1
	s_or_b32 exec_lo, exec_lo, s10
	s_delay_alu instid0(VALU_DEP_2)
	v_mov_b32_e32 v8, v9
	s_wait_alu 0xfffe
	s_and_b32 s24, s11, exec_lo
.LBB112_200:                            ;   in Loop: Header=BB112_20 Depth=1
	s_wait_alu 0xfffe
	s_or_b32 exec_lo, exec_lo, s23
	s_mov_b32 s11, -1
                                        ; implicit-def: $sgpr23
                                        ; implicit-def: $sgpr17
	s_and_saveexec_b32 s10, s24
	s_cbranch_execz .LBB112_241
; %bb.201:                              ;   in Loop: Header=BB112_20 Depth=1
	v_cmp_eq_u32_e32 vcc_lo, 1, v8
	s_cmp_eq_u32 s7, 1
	s_mov_b32 s25, -1
	s_cselect_b32 s11, -1, 0
                                        ; implicit-def: $sgpr23
                                        ; implicit-def: $sgpr17
	s_wait_alu 0xfffe
	s_and_b32 s11, s11, vcc_lo
	s_wait_alu 0xfffe
	s_and_saveexec_b32 s24, s11
	s_cbranch_execz .LBB112_229
; %bb.202:                              ;   in Loop: Header=BB112_20 Depth=1
	ds_load_b32 v1, v13 offset:4104
	s_wait_loadcnt_dscnt 0x0
	s_barrier_signal -1
	s_barrier_wait -1
	global_inv scope:SCOPE_SE
	v_readfirstlane_b32 s26, v1
	s_and_saveexec_b32 s17, s1
; %bb.203:                              ;   in Loop: Header=BB112_20 Depth=1
	v_mov_b32_e32 v12, v13
	ds_store_b64 v30, v[12:13]
; %bb.204:                              ;   in Loop: Header=BB112_20 Depth=1
	s_wait_alu 0xfffe
	s_or_b32 exec_lo, exec_lo, s17
	v_or_b32_e32 v19, s9, v19
	v_or_b32_e32 v18, s8, v18
	;; [unrolled: 1-line block ×4, first 2 shown]
	s_mov_b32 s17, -1
	s_mov_b32 s23, 0
	s_cmp_eq_u32 s26, 0
	s_mov_b32 s25, 0
	s_mov_b32 s40, -1
	s_wait_loadcnt_dscnt 0x0
	s_barrier_signal -1
	s_barrier_wait -1
	global_inv scope:SCOPE_SE
                                        ; implicit-def: $vgpr5_vgpr6
	s_cbranch_scc1 .LBB112_216
; %bb.205:                              ;   in Loop: Header=BB112_20 Depth=1
	s_add_co_i32 s40, s26, s50
                                        ; implicit-def: $vgpr5_vgpr6
	s_wait_alu 0xfffe
	s_mul_u64 s[72:73], s[40:41], s[44:45]
	s_wait_alu 0xfffe
	s_mul_i32 s25, s73, s29
	s_wait_alu 0xfffe
	s_sub_co_i32 s25, s40, s25
	s_wait_alu 0xfffe
	s_sub_co_i32 s71, s25, s29
	s_cmp_ge_u32 s25, s29
	s_wait_alu 0xfffe
	s_cselect_b32 s25, s71, s25
	s_wait_alu 0xfffe
	s_sub_co_i32 s71, s25, s29
	s_cmp_ge_u32 s25, s29
	s_wait_alu 0xfffe
	s_cselect_b32 s25, s71, s25
	s_mov_b32 s71, exec_lo
	s_wait_alu 0xfffe
	s_sub_co_i32 s72, s40, s25
	s_mov_b32 s40, 0
	s_mov_b32 s25, 0
	s_wait_alu 0xfffe
	v_cmpx_gt_u32_e64 s72, v0
	s_cbranch_execz .LBB112_215
; %bb.206:                              ;   in Loop: Header=BB112_20 Depth=1
	v_dual_mov_b32 v9, v29 :: v_dual_mov_b32 v10, v0
                                        ; implicit-def: $sgpr73
	s_branch .LBB112_210
.LBB112_207:                            ;   in Loop: Header=BB112_210 Depth=2
	s_wait_alu 0xfffe
	s_or_b32 exec_lo, exec_lo, s74
	s_wait_loadcnt_dscnt 0x0
	s_barrier_signal -1
	s_barrier_wait -1
	global_inv scope:SCOPE_SE
	ds_load_b128 v[3:6], v13 offset:3072
	s_wait_loadcnt_dscnt 0x0
	s_barrier_signal -1
	s_barrier_wait -1
	global_inv scope:SCOPE_SE
	v_cmp_neq_f64_e32 vcc_lo, 0, v[3:4]
	s_cbranch_vccnz .LBB112_213
; %bb.208:                              ;   in Loop: Header=BB112_210 Depth=2
	v_add_nc_u32_e32 v10, s29, v10
	v_add_nc_u32_e32 v9, s62, v9
	s_mov_b32 s74, 0
	s_delay_alu instid0(VALU_DEP_2)
	v_cmp_le_u32_e32 vcc_lo, s72, v10
	s_or_not1_b32 s75, vcc_lo, exec_lo
.LBB112_209:                            ;   in Loop: Header=BB112_210 Depth=2
	s_wait_alu 0xfffe
	s_and_b32 s75, exec_lo, s75
	s_wait_alu 0xfffe
	s_or_b32 s25, s75, s25
	s_and_not1_b32 s73, s73, exec_lo
	s_and_b32 s74, s74, exec_lo
	s_wait_alu 0xfffe
	s_or_b32 s73, s73, s74
	s_and_not1_b32 exec_lo, exec_lo, s25
	s_cbranch_execz .LBB112_214
.LBB112_210:                            ;   Parent Loop BB112_20 Depth=1
                                        ; =>  This Inner Loop Header: Depth=2
	s_mov_b32 s74, exec_lo
	s_delay_alu instid0(VALU_DEP_1)
	v_cmpx_gt_u32_e64 s26, v10
	s_cbranch_execz .LBB112_207
; %bb.211:                              ;   in Loop: Header=BB112_210 Depth=2
	ds_load_b64 v[3:4], v9
	s_wait_dscnt 0x0
	v_cmp_o_f64_e32 vcc_lo, v[3:4], v[3:4]
	v_ashrrev_i32_e32 v1, 31, v4
	s_delay_alu instid0(VALU_DEP_1) | instskip(SKIP_1) | instid1(VALU_DEP_2)
	v_or_b32_e32 v5, 0x80000000, v1
	v_xor_b32_e32 v1, v1, v3
	v_xor_b32_e32 v5, v5, v4
	s_wait_alu 0xfffd
	s_delay_alu instid0(VALU_DEP_1) | instskip(NEXT) | instid1(VALU_DEP_1)
	v_cndmask_b32_e32 v5, -1, v5, vcc_lo
	v_dual_cndmask_b32 v1, -1, v1 :: v_dual_and_b32 v6, v5, v22
	s_delay_alu instid0(VALU_DEP_1) | instskip(NEXT) | instid1(VALU_DEP_1)
	v_and_b32_e32 v5, v1, v21
	v_cmp_eq_u64_e32 vcc_lo, v[5:6], v[18:19]
	s_and_b32 exec_lo, exec_lo, vcc_lo
	s_cbranch_execz .LBB112_207
; %bb.212:                              ;   in Loop: Header=BB112_210 Depth=2
	v_mov_b32_e32 v1, v13
	ds_store_b128 v13, v[1:4] offset:3072
	s_branch .LBB112_207
.LBB112_213:                            ;   in Loop: Header=BB112_210 Depth=2
	s_mov_b32 s75, -1
	s_mov_b32 s74, -1
                                        ; implicit-def: $vgpr10
                                        ; implicit-def: $vgpr9
	s_branch .LBB112_209
.LBB112_214:                            ;   in Loop: Header=BB112_20 Depth=1
	s_or_b32 exec_lo, exec_lo, s25
	s_wait_alu 0xfffe
	s_and_b32 s25, s73, exec_lo
.LBB112_215:                            ;   in Loop: Header=BB112_20 Depth=1
	s_or_b32 exec_lo, exec_lo, s71
.LBB112_216:                            ;   in Loop: Header=BB112_20 Depth=1
	s_wait_alu 0xfffe
	s_and_b32 vcc_lo, exec_lo, s40
	s_wait_alu 0xfffe
	s_cbranch_vccz .LBB112_228
; %bb.217:                              ;   in Loop: Header=BB112_20 Depth=1
                                        ; implicit-def: $vgpr5_vgpr6
	s_and_saveexec_b32 s17, s6
	s_cbranch_execz .LBB112_227
; %bb.218:                              ;   in Loop: Header=BB112_20 Depth=1
	v_dual_mov_b32 v12, v11 :: v_dual_mov_b32 v9, v0
	s_mov_b32 s23, 0
                                        ; implicit-def: $sgpr26
	s_branch .LBB112_222
.LBB112_219:                            ;   in Loop: Header=BB112_222 Depth=2
	s_wait_alu 0xfffe
	s_or_b32 exec_lo, exec_lo, s40
	s_wait_loadcnt_dscnt 0x0
	s_barrier_signal -1
	s_barrier_wait -1
	global_inv scope:SCOPE_SE
	ds_load_b128 v[3:6], v13 offset:3072
	s_wait_loadcnt_dscnt 0x0
	s_barrier_signal -1
	s_barrier_wait -1
	global_inv scope:SCOPE_SE
	v_cmp_eq_f64_e32 vcc_lo, 0, v[3:4]
	s_cbranch_vccz .LBB112_225
; %bb.220:                              ;   in Loop: Header=BB112_222 Depth=2
	v_add_nc_u32_e32 v9, s29, v9
	v_add_nc_u32_e32 v12, s51, v12
	s_mov_b32 s40, 0
	s_delay_alu instid0(VALU_DEP_2)
	v_cmp_le_u32_e32 vcc_lo, s59, v9
	s_or_not1_b32 s71, vcc_lo, exec_lo
.LBB112_221:                            ;   in Loop: Header=BB112_222 Depth=2
	s_wait_alu 0xfffe
	s_and_b32 s71, exec_lo, s71
	s_wait_alu 0xfffe
	s_or_b32 s23, s71, s23
	s_and_not1_b32 s26, s26, exec_lo
	s_and_b32 s40, s40, exec_lo
	s_wait_alu 0xfffe
	s_or_b32 s26, s26, s40
	s_and_not1_b32 exec_lo, exec_lo, s23
	s_cbranch_execz .LBB112_226
.LBB112_222:                            ;   Parent Loop BB112_20 Depth=1
                                        ; =>  This Inner Loop Header: Depth=2
	s_mov_b32 s40, exec_lo
	s_delay_alu instid0(VALU_DEP_1)
	v_cmpx_gt_u32_e64 s28, v9
	s_cbranch_execz .LBB112_219
; %bb.223:                              ;   in Loop: Header=BB112_222 Depth=2
	v_lshlrev_b64_e32 v[3:4], 3, v[12:13]
	s_delay_alu instid0(VALU_DEP_1) | instskip(SKIP_1) | instid1(VALU_DEP_2)
	v_add_co_u32 v3, vcc_lo, s34, v3
	s_wait_alu 0xfffd
	v_add_co_ci_u32_e64 v4, null, s35, v4, vcc_lo
	global_load_b64 v[3:4], v[3:4], off
	s_wait_loadcnt 0x0
	v_cmp_o_f64_e32 vcc_lo, v[3:4], v[3:4]
	v_ashrrev_i32_e32 v1, 31, v4
	s_delay_alu instid0(VALU_DEP_1) | instskip(SKIP_1) | instid1(VALU_DEP_2)
	v_or_b32_e32 v5, 0x80000000, v1
	v_xor_b32_e32 v1, v1, v3
	v_xor_b32_e32 v5, v5, v4
	s_wait_alu 0xfffd
	s_delay_alu instid0(VALU_DEP_1) | instskip(NEXT) | instid1(VALU_DEP_1)
	v_cndmask_b32_e32 v5, -1, v5, vcc_lo
	v_dual_cndmask_b32 v1, -1, v1 :: v_dual_and_b32 v6, v5, v22
	s_delay_alu instid0(VALU_DEP_1) | instskip(NEXT) | instid1(VALU_DEP_1)
	v_and_b32_e32 v5, v1, v21
	v_cmp_eq_u64_e32 vcc_lo, v[5:6], v[18:19]
	s_and_b32 exec_lo, exec_lo, vcc_lo
	s_cbranch_execz .LBB112_219
; %bb.224:                              ;   in Loop: Header=BB112_222 Depth=2
	v_mov_b32_e32 v1, v13
	ds_store_b128 v13, v[1:4] offset:3072
	s_branch .LBB112_219
.LBB112_225:                            ;   in Loop: Header=BB112_222 Depth=2
	s_mov_b32 s71, -1
	s_mov_b32 s40, -1
                                        ; implicit-def: $vgpr9
	s_branch .LBB112_221
.LBB112_226:                            ;   in Loop: Header=BB112_20 Depth=1
	s_or_b32 exec_lo, exec_lo, s23
	s_delay_alu instid0(SALU_CYCLE_1)
	s_and_not1_b32 s23, s25, exec_lo
	s_wait_alu 0xfffe
	s_and_b32 s25, s26, exec_lo
	s_wait_alu 0xfffe
	s_or_b32 s25, s23, s25
.LBB112_227:                            ;   in Loop: Header=BB112_20 Depth=1
	s_wait_alu 0xfffe
	s_or_b32 exec_lo, exec_lo, s17
	s_mov_b32 s17, 0
	s_mov_b32 s23, -1
.LBB112_228:                            ;   in Loop: Header=BB112_20 Depth=1
	s_or_not1_b32 s25, s25, exec_lo
.LBB112_229:                            ;   in Loop: Header=BB112_20 Depth=1
	s_wait_alu 0xfffe
	s_or_b32 exec_lo, exec_lo, s24
	s_mov_b32 s26, 0
	s_and_saveexec_b32 s24, s25
	s_cbranch_execz .LBB112_240
; %bb.230:                              ;   in Loop: Header=BB112_20 Depth=1
	v_mov_b32_e32 v7, 1
	v_mov_b32_e32 v1, 1
	s_xor_b32 s25, s11, -1
	s_wait_alu 0xfffe
	s_and_saveexec_b32 s11, s25
	s_cbranch_execz .LBB112_239
; %bb.231:                              ;   in Loop: Header=BB112_20 Depth=1
	s_mov_b32 s25, exec_lo
	v_cmpx_ge_u32_e64 s7, v8
	s_wait_alu 0xfffe
	s_xor_b32 s25, exec_lo, s25
	s_cbranch_execz .LBB112_236
; %bb.232:                              ;   in Loop: Header=BB112_20 Depth=1
	ds_load_b32 v1, v13 offset:4104
	v_or_b32_e32 v19, s9, v19
	v_or_b32_e32 v18, s8, v18
	;; [unrolled: 1-line block ×4, first 2 shown]
	s_wait_dscnt 0x0
	v_cmp_ne_u32_e32 vcc_lo, 0, v1
	s_cbranch_vccnz .LBB112_236
; %bb.233:                              ;   in Loop: Header=BB112_20 Depth=1
	s_and_saveexec_b32 s8, s0
; %bb.234:                              ;   in Loop: Header=BB112_20 Depth=1
	v_mov_b32_e32 v1, s7
	ds_store_b32 v13, v1 offset:4108
; %bb.235:                              ;   in Loop: Header=BB112_20 Depth=1
	s_wait_alu 0xfffe
	s_or_b32 exec_lo, exec_lo, s8
	s_wait_loadcnt_dscnt 0x0
	s_barrier_signal -1
	s_barrier_wait -1
	global_inv scope:SCOPE_SE
.LBB112_236:                            ;   in Loop: Header=BB112_20 Depth=1
	s_wait_alu 0xfffe
	s_and_not1_saveexec_b32 s8, s25
; %bb.237:                              ;   in Loop: Header=BB112_20 Depth=1
	v_subrev_nc_u32_e32 v8, s7, v8
; %bb.238:                              ;   in Loop: Header=BB112_20 Depth=1
	s_wait_alu 0xfffe
	s_or_b32 exec_lo, exec_lo, s8
	v_mov_b32_e32 v7, 8
	s_delay_alu instid0(VALU_DEP_2)
	v_mov_b32_e32 v1, v8
.LBB112_239:                            ;   in Loop: Header=BB112_20 Depth=1
	s_wait_alu 0xfffe
	s_or_b32 exec_lo, exec_lo, s11
	s_delay_alu instid0(VALU_DEP_1)
	v_mov_b32_e32 v8, v1
	s_mov_b32 s26, exec_lo
.LBB112_240:                            ;   in Loop: Header=BB112_20 Depth=1
	s_wait_alu 0xfffe
	s_or_b32 exec_lo, exec_lo, s24
	s_delay_alu instid0(SALU_CYCLE_1)
	s_or_not1_b32 s11, s26, exec_lo
.LBB112_241:                            ;   in Loop: Header=BB112_20 Depth=1
	s_wait_alu 0xfffe
	s_or_b32 exec_lo, exec_lo, s10
	v_mov_b32_e32 v9, v8
	s_and_not1_b32 s7, s21, exec_lo
	s_and_b32 s8, s23, exec_lo
	s_and_not1_b32 s9, s20, exec_lo
	s_and_b32 s10, s17, exec_lo
	s_wait_alu 0xfffe
	s_or_b32 s21, s7, s8
	s_or_b32 s20, s9, s10
	s_and_b32 s25, s11, exec_lo
.LBB112_242:                            ;   in Loop: Header=BB112_20 Depth=1
	s_wait_alu 0xfffe
	s_or_b32 exec_lo, exec_lo, s22
	s_delay_alu instid0(SALU_CYCLE_1)
	s_or_not1_b32 s22, s25, exec_lo
.LBB112_243:                            ;   in Loop: Header=BB112_20 Depth=1
	s_wait_alu 0xfffe
	s_or_b32 exec_lo, exec_lo, s19
	v_mov_b32_e32 v8, v9
	s_and_not1_b32 s7, s16, exec_lo
	s_and_b32 s8, s21, exec_lo
	s_and_not1_b32 s9, s15, exec_lo
	s_and_b32 s10, s20, exec_lo
	s_wait_alu 0xfffe
	s_or_b32 s16, s7, s8
	s_or_b32 s15, s9, s10
	s_and_b32 s22, s22, exec_lo
.LBB112_244:                            ;   in Loop: Header=BB112_20 Depth=1
	s_wait_alu 0xfffe
	s_or_b32 exec_lo, exec_lo, s18
	s_delay_alu instid0(SALU_CYCLE_1)
	s_or_not1_b32 s18, s22, exec_lo
.LBB112_245:                            ;   in Loop: Header=BB112_20 Depth=1
	s_wait_alu 0xfffe
	s_or_b32 exec_lo, exec_lo, s14
	s_mov_b32 s8, 0
                                        ; implicit-def: $sgpr20
	s_and_saveexec_b32 s7, s18
	s_wait_alu 0xfffe
	s_xor_b32 s7, exec_lo, s7
	s_cbranch_execz .LBB112_18
; %bb.246:                              ;   in Loop: Header=BB112_20 Depth=1
	v_and_b32_e32 v1, 7, v7
	s_mov_b32 s9, -1
	s_mov_b32 s8, -1
	s_mov_b32 s10, exec_lo
                                        ; implicit-def: $sgpr20
	s_delay_alu instid0(VALU_DEP_1)
	v_cmpx_eq_u32_e32 0, v1
	s_cbranch_execz .LBB112_17
; %bb.247:                              ;   in Loop: Header=BB112_20 Depth=1
	s_add_co_i32 s20, s70, -2
	s_cmp_eq_u32 s70, 0
	v_xor_b32_e32 v40, 1, v40
	s_cselect_b32 s9, -1, 0
	s_xor_b32 s8, exec_lo, -1
	s_wait_alu 0xfffe
	s_or_not1_b32 s9, s9, exec_lo
	s_branch .LBB112_17
.LBB112_248:
	s_or_b32 exec_lo, exec_lo, s63
	s_xor_b32 s4, s69, -1
	s_xor_b32 s3, s67, -1
	;; [unrolled: 1-line block ×3, first 2 shown]
	s_mov_b32 s0, 0
	s_wait_alu 0xfffe
	s_and_saveexec_b32 s5, s3
	s_wait_alu 0xfffe
	s_xor_b32 s3, exec_lo, s5
	s_cbranch_execnz .LBB112_253
; %bb.249:
	s_wait_alu 0xfffe
	s_and_not1_saveexec_b32 s1, s3
	s_cbranch_execnz .LBB112_266
.LBB112_250:
	s_wait_alu 0xfffe
	s_or_b32 exec_lo, exec_lo, s1
	s_and_saveexec_b32 s1, s0
.LBB112_251:
	; divergent unreachable
.LBB112_252:
	s_endpgm
.LBB112_253:
	s_and_saveexec_b32 s0, s4
	s_delay_alu instid0(SALU_CYCLE_1)
	s_xor_b32 s4, exec_lo, s0
	s_cbranch_execz .LBB112_264
; %bb.254:
	s_and_saveexec_b32 s0, s1
	s_delay_alu instid0(SALU_CYCLE_1)
	s_xor_b32 s0, exec_lo, s0
; %bb.255:
	v_lshrrev_b32_e32 v1, 31, v19
	s_delay_alu instid0(VALU_DEP_1) | instskip(NEXT) | instid1(VALU_DEP_1)
	v_add_co_u32 v1, s1, v1, -1
	v_add_co_ci_u32_e64 v2, null, 0, -1, s1
	s_delay_alu instid0(VALU_DEP_2) | instskip(NEXT) | instid1(VALU_DEP_2)
	v_xor_b32_e32 v5, v1, v18
	v_or_b32_e32 v2, 0x80000000, v2
	s_delay_alu instid0(VALU_DEP_1)
	v_xor_b32_e32 v6, v2, v19
; %bb.256:
	s_or_b32 exec_lo, exec_lo, s0
	s_mul_i32 s0, s48, s27
	s_mov_b32 s1, 0
	v_mov_b32_e32 v12, 0
	s_wait_alu 0xfffe
	s_lshl_b64 s[6:7], s[0:1], 3
	s_wait_alu 0xfffe
	s_add_nc_u64 s[6:7], s[38:39], s[6:7]
	global_store_b64 v12, v[5:6], s[6:7]
	s_and_saveexec_b32 s5, s2
	s_cbranch_execz .LBB112_263
; %bb.257:
	v_cmp_u_f64_e32 vcc_lo, v[5:6], v[5:6]
                                        ; implicit-def: $sgpr2
                                        ; implicit-def: $sgpr8
                                        ; implicit-def: $sgpr7
	s_xor_b32 s6, vcc_lo, -1
	s_branch .LBB112_259
.LBB112_258:                            ;   in Loop: Header=BB112_259 Depth=1
	s_wait_alu 0xfffe
	s_or_b32 exec_lo, exec_lo, s0
	s_delay_alu instid0(SALU_CYCLE_1)
	s_and_b32 s0, exec_lo, s8
	s_wait_alu 0xfffe
	s_or_b32 s1, s0, s1
	s_and_not1_b32 s0, s2, exec_lo
	s_and_b32 s2, s7, exec_lo
	s_wait_alu 0xfffe
	s_or_b32 s2, s0, s2
	s_and_not1_b32 exec_lo, exec_lo, s1
	s_cbranch_execz .LBB112_261
.LBB112_259:                            ; =>This Inner Loop Header: Depth=1
	v_lshlrev_b64_e32 v[1:2], 3, v[11:12]
	s_wait_alu 0xfffe
	s_or_b32 s7, s7, exec_lo
	s_or_b32 s8, s8, exec_lo
	s_delay_alu instid0(VALU_DEP_1)
	v_add_co_u32 v1, vcc_lo, s34, v1
	s_wait_alu 0xfffd
	v_add_co_ci_u32_e64 v2, null, s35, v2, vcc_lo
	global_load_b64 v[1:2], v[1:2], off
	s_wait_loadcnt 0x0
	v_cmp_o_f64_e32 vcc_lo, v[1:2], v[1:2]
	v_cmp_neq_f64_e64 s0, v[1:2], v[5:6]
	v_mov_b32_e32 v1, v0
                                        ; implicit-def: $vgpr0
	s_or_b32 s9, vcc_lo, s6
	s_wait_alu 0xfffe
	s_and_b32 s9, s0, s9
	s_wait_alu 0xfffe
	s_and_saveexec_b32 s0, s9
	s_cbranch_execz .LBB112_258
; %bb.260:                              ;   in Loop: Header=BB112_259 Depth=1
	v_add_nc_u32_e32 v0, s29, v1
	v_add_nc_u32_e32 v11, s51, v11
	s_and_not1_b32 s8, s8, exec_lo
	s_and_not1_b32 s7, s7, exec_lo
	s_delay_alu instid0(VALU_DEP_2)
	v_cmp_le_u32_e32 vcc_lo, s28, v0
	s_and_b32 s9, vcc_lo, exec_lo
	s_wait_alu 0xfffe
	s_or_b32 s8, s8, s9
	s_branch .LBB112_258
.LBB112_261:
	s_or_b32 exec_lo, exec_lo, s1
	s_wait_alu 0xfffe
	s_and_saveexec_b32 s0, s2
	s_wait_alu 0xfffe
	s_xor_b32 s0, exec_lo, s0
	s_cbranch_execz .LBB112_263
; %bb.262:
	s_mul_i32 s0, s33, s27
	s_mov_b32 s1, 0
	v_mov_b32_e32 v2, 0
	s_wait_alu 0xfffe
	s_lshl_b64 s[0:1], s[0:1], 3
	s_wait_alu 0xfffe
	s_add_nc_u64 s[0:1], s[36:37], s[0:1]
	global_store_b64 v2, v[1:2], s[0:1]
.LBB112_263:
	s_wait_alu 0xfffe
	s_or_b32 exec_lo, exec_lo, s5
.LBB112_264:
	s_wait_alu 0xfffe
	s_or_saveexec_b32 s0, s4
	s_mov_b32 s1, 0
	s_wait_alu 0xfffe
	s_xor_b32 exec_lo, exec_lo, s0
	s_cbranch_execnz .LBB112_267
.LBB112_265:
	s_or_b32 exec_lo, exec_lo, s0
	s_wait_alu 0xfffe
	s_and_b32 s0, s1, exec_lo
	s_and_not1_saveexec_b32 s1, s3
	s_cbranch_execz .LBB112_250
.LBB112_266:
	s_wait_alu 0xfffe
	s_or_b32 s0, s0, exec_lo
	s_trap 2
	s_or_b32 exec_lo, exec_lo, s1
	s_wait_alu 0xfffe
	s_and_saveexec_b32 s1, s0
	s_cbranch_execnz .LBB112_251
	s_branch .LBB112_252
.LBB112_267:
	s_mov_b32 s1, exec_lo
	s_trap 2
	s_branch .LBB112_265
	.section	.rodata,"a",@progbits
	.p2align	6, 0x0
	.amdhsa_kernel _ZN2at6native12_GLOBAL__N_112gatherMedianIdjLi1EEEvNS_4cuda6detail10TensorInfoIT_T0_EENS5_IlS7_EENS5_IKS6_S7_EES7_S7_S7_b
		.amdhsa_group_segment_fixed_size 4120
		.amdhsa_private_segment_fixed_size 0
		.amdhsa_kernarg_size 920
		.amdhsa_user_sgpr_count 2
		.amdhsa_user_sgpr_dispatch_ptr 0
		.amdhsa_user_sgpr_queue_ptr 0
		.amdhsa_user_sgpr_kernarg_segment_ptr 1
		.amdhsa_user_sgpr_dispatch_id 0
		.amdhsa_user_sgpr_private_segment_size 0
		.amdhsa_wavefront_size32 1
		.amdhsa_uses_dynamic_stack 0
		.amdhsa_enable_private_segment 0
		.amdhsa_system_sgpr_workgroup_id_x 1
		.amdhsa_system_sgpr_workgroup_id_y 1
		.amdhsa_system_sgpr_workgroup_id_z 1
		.amdhsa_system_sgpr_workgroup_info 0
		.amdhsa_system_vgpr_workitem_id 0
		.amdhsa_next_free_vgpr 56
		.amdhsa_next_free_sgpr 78
		.amdhsa_reserve_vcc 1
		.amdhsa_float_round_mode_32 0
		.amdhsa_float_round_mode_16_64 0
		.amdhsa_float_denorm_mode_32 3
		.amdhsa_float_denorm_mode_16_64 3
		.amdhsa_fp16_overflow 0
		.amdhsa_workgroup_processor_mode 1
		.amdhsa_memory_ordered 1
		.amdhsa_forward_progress 1
		.amdhsa_inst_pref_size 93
		.amdhsa_round_robin_scheduling 0
		.amdhsa_exception_fp_ieee_invalid_op 0
		.amdhsa_exception_fp_denorm_src 0
		.amdhsa_exception_fp_ieee_div_zero 0
		.amdhsa_exception_fp_ieee_overflow 0
		.amdhsa_exception_fp_ieee_underflow 0
		.amdhsa_exception_fp_ieee_inexact 0
		.amdhsa_exception_int_div_zero 0
	.end_amdhsa_kernel
	.section	.text._ZN2at6native12_GLOBAL__N_112gatherMedianIdjLi1EEEvNS_4cuda6detail10TensorInfoIT_T0_EENS5_IlS7_EENS5_IKS6_S7_EES7_S7_S7_b,"axG",@progbits,_ZN2at6native12_GLOBAL__N_112gatherMedianIdjLi1EEEvNS_4cuda6detail10TensorInfoIT_T0_EENS5_IlS7_EENS5_IKS6_S7_EES7_S7_S7_b,comdat
.Lfunc_end112:
	.size	_ZN2at6native12_GLOBAL__N_112gatherMedianIdjLi1EEEvNS_4cuda6detail10TensorInfoIT_T0_EENS5_IlS7_EENS5_IKS6_S7_EES7_S7_S7_b, .Lfunc_end112-_ZN2at6native12_GLOBAL__N_112gatherMedianIdjLi1EEEvNS_4cuda6detail10TensorInfoIT_T0_EENS5_IlS7_EENS5_IKS6_S7_EES7_S7_S7_b
                                        ; -- End function
	.set _ZN2at6native12_GLOBAL__N_112gatherMedianIdjLi1EEEvNS_4cuda6detail10TensorInfoIT_T0_EENS5_IlS7_EENS5_IKS6_S7_EES7_S7_S7_b.num_vgpr, 56
	.set _ZN2at6native12_GLOBAL__N_112gatherMedianIdjLi1EEEvNS_4cuda6detail10TensorInfoIT_T0_EENS5_IlS7_EENS5_IKS6_S7_EES7_S7_S7_b.num_agpr, 0
	.set _ZN2at6native12_GLOBAL__N_112gatherMedianIdjLi1EEEvNS_4cuda6detail10TensorInfoIT_T0_EENS5_IlS7_EENS5_IKS6_S7_EES7_S7_S7_b.numbered_sgpr, 78
	.set _ZN2at6native12_GLOBAL__N_112gatherMedianIdjLi1EEEvNS_4cuda6detail10TensorInfoIT_T0_EENS5_IlS7_EENS5_IKS6_S7_EES7_S7_S7_b.num_named_barrier, 0
	.set _ZN2at6native12_GLOBAL__N_112gatherMedianIdjLi1EEEvNS_4cuda6detail10TensorInfoIT_T0_EENS5_IlS7_EENS5_IKS6_S7_EES7_S7_S7_b.private_seg_size, 0
	.set _ZN2at6native12_GLOBAL__N_112gatherMedianIdjLi1EEEvNS_4cuda6detail10TensorInfoIT_T0_EENS5_IlS7_EENS5_IKS6_S7_EES7_S7_S7_b.uses_vcc, 1
	.set _ZN2at6native12_GLOBAL__N_112gatherMedianIdjLi1EEEvNS_4cuda6detail10TensorInfoIT_T0_EENS5_IlS7_EENS5_IKS6_S7_EES7_S7_S7_b.uses_flat_scratch, 0
	.set _ZN2at6native12_GLOBAL__N_112gatherMedianIdjLi1EEEvNS_4cuda6detail10TensorInfoIT_T0_EENS5_IlS7_EENS5_IKS6_S7_EES7_S7_S7_b.has_dyn_sized_stack, 0
	.set _ZN2at6native12_GLOBAL__N_112gatherMedianIdjLi1EEEvNS_4cuda6detail10TensorInfoIT_T0_EENS5_IlS7_EENS5_IKS6_S7_EES7_S7_S7_b.has_recursion, 0
	.set _ZN2at6native12_GLOBAL__N_112gatherMedianIdjLi1EEEvNS_4cuda6detail10TensorInfoIT_T0_EENS5_IlS7_EENS5_IKS6_S7_EES7_S7_S7_b.has_indirect_call, 0
	.section	.AMDGPU.csdata,"",@progbits
; Kernel info:
; codeLenInByte = 11860
; TotalNumSgprs: 80
; NumVgprs: 56
; ScratchSize: 0
; MemoryBound: 0
; FloatMode: 240
; IeeeMode: 1
; LDSByteSize: 4120 bytes/workgroup (compile time only)
; SGPRBlocks: 0
; VGPRBlocks: 6
; NumSGPRsForWavesPerEU: 80
; NumVGPRsForWavesPerEU: 56
; Occupancy: 16
; WaveLimiterHint : 1
; COMPUTE_PGM_RSRC2:SCRATCH_EN: 0
; COMPUTE_PGM_RSRC2:USER_SGPR: 2
; COMPUTE_PGM_RSRC2:TRAP_HANDLER: 0
; COMPUTE_PGM_RSRC2:TGID_X_EN: 1
; COMPUTE_PGM_RSRC2:TGID_Y_EN: 1
; COMPUTE_PGM_RSRC2:TGID_Z_EN: 1
; COMPUTE_PGM_RSRC2:TIDIG_COMP_CNT: 0
	.section	.text._ZN2at6native12_GLOBAL__N_112gatherMedianIdjLi2EEEvNS_4cuda6detail10TensorInfoIT_T0_EENS5_IlS7_EENS5_IKS6_S7_EES7_S7_S7_b,"axG",@progbits,_ZN2at6native12_GLOBAL__N_112gatherMedianIdjLi2EEEvNS_4cuda6detail10TensorInfoIT_T0_EENS5_IlS7_EENS5_IKS6_S7_EES7_S7_S7_b,comdat
	.globl	_ZN2at6native12_GLOBAL__N_112gatherMedianIdjLi2EEEvNS_4cuda6detail10TensorInfoIT_T0_EENS5_IlS7_EENS5_IKS6_S7_EES7_S7_S7_b ; -- Begin function _ZN2at6native12_GLOBAL__N_112gatherMedianIdjLi2EEEvNS_4cuda6detail10TensorInfoIT_T0_EENS5_IlS7_EENS5_IKS6_S7_EES7_S7_S7_b
	.p2align	8
	.type	_ZN2at6native12_GLOBAL__N_112gatherMedianIdjLi2EEEvNS_4cuda6detail10TensorInfoIT_T0_EENS5_IlS7_EENS5_IKS6_S7_EES7_S7_S7_b,@function
_ZN2at6native12_GLOBAL__N_112gatherMedianIdjLi2EEEvNS_4cuda6detail10TensorInfoIT_T0_EENS5_IlS7_EENS5_IKS6_S7_EES7_S7_S7_b: ; @_ZN2at6native12_GLOBAL__N_112gatherMedianIdjLi2EEEvNS_4cuda6detail10TensorInfoIT_T0_EENS5_IlS7_EENS5_IKS6_S7_EES7_S7_S7_b
; %bb.0:
	s_clause 0x1
	s_load_b64 s[4:5], s[0:1], 0x298
	s_load_b128 s[28:31], s[0:1], 0x288
	s_lshr_b32 s2, ttmp7, 16
	s_and_b32 s3, ttmp7, 0xffff
	s_wait_kmcnt 0x0
	s_mul_i32 s2, s5, s2
	s_delay_alu instid0(SALU_CYCLE_1) | instskip(NEXT) | instid1(SALU_CYCLE_1)
	s_add_co_i32 s2, s2, s3
	s_mul_i32 s2, s2, s4
	s_delay_alu instid0(SALU_CYCLE_1) | instskip(NEXT) | instid1(SALU_CYCLE_1)
	s_add_co_i32 s34, s2, ttmp9
	s_cmp_ge_u32 s34, s29
	s_cbranch_scc1 .LBB113_252
; %bb.1:
	s_clause 0x4
	s_load_b32 s56, s[0:1], 0xc
	s_load_b32 s5, s[0:1], 0x1bc
	;; [unrolled: 1-line block ×3, first 2 shown]
	s_load_b64 s[40:41], s[0:1], 0x6c
	s_load_b64 s[12:13], s[0:1], 0x1b0
	s_mov_b32 s35, 0
	s_load_b64 s[36:37], s[0:1], 0x144
	s_mov_b32 s15, s35
	s_wait_kmcnt 0x0
	s_cvt_f32_u32 s2, s56
	s_cvt_f32_u32 s3, s5
	;; [unrolled: 1-line block ×3, first 2 shown]
	s_sub_co_i32 s11, 0, s5
	v_rcp_iflag_f32_e32 v1, s2
	v_rcp_iflag_f32_e32 v2, s3
	;; [unrolled: 1-line block ×3, first 2 shown]
	s_sub_co_i32 s9, 0, s56
	s_sub_co_i32 s10, 0, s33
	s_load_b64 s[2:3], s[0:1], 0x21c
	s_delay_alu instid0(TRANS32_DEP_3) | instskip(NEXT) | instid1(TRANS32_DEP_2)
	v_readfirstlane_b32 s6, v1
	v_readfirstlane_b32 s7, v2
	s_delay_alu instid0(TRANS32_DEP_1)
	v_readfirstlane_b32 s8, v3
	v_mov_b32_e32 v3, 0
	s_mul_f32 s6, s6, 0x4f7ffffe
	s_mul_f32 s7, s7, 0x4f7ffffe
	s_mul_f32 s8, s8, 0x4f7ffffe
	s_wait_alu 0xfffe
	s_cvt_u32_f32 s6, s6
	s_cvt_u32_f32 s7, s7
	;; [unrolled: 1-line block ×3, first 2 shown]
	s_wait_alu 0xfffe
	s_mul_i32 s9, s9, s6
	s_mul_i32 s11, s11, s7
	;; [unrolled: 1-line block ×3, first 2 shown]
	s_mul_hi_u32 s11, s7, s11
	s_mul_hi_u32 s9, s6, s9
	s_add_co_i32 s7, s7, s11
	s_mul_hi_u32 s10, s8, s10
	s_wait_alu 0xfffe
	s_mul_hi_u32 s7, s34, s7
	s_add_co_i32 s6, s6, s9
	s_wait_alu 0xfffe
	s_mul_i32 s9, s7, s5
	s_add_co_i32 s10, s8, s10
	s_sub_co_i32 s8, s34, s9
	s_add_co_i32 s9, s7, 1
	s_sub_co_i32 s11, s8, s5
	s_cmp_ge_u32 s8, s5
	s_cselect_b32 s7, s9, s7
	s_cselect_b32 s8, s11, s8
	s_wait_alu 0xfffe
	s_add_co_i32 s11, s7, 1
	s_cmp_ge_u32 s8, s5
	s_add_nc_u64 s[8:9], s[0:1], 0x298
	s_cselect_b32 s11, s11, s7
	s_mov_b32 s7, s35
	s_mul_i32 s5, s11, s5
	s_wait_kmcnt 0x0
	s_mul_i32 s2, s11, s2
	s_sub_co_i32 s5, s34, s5
	s_mov_b32 s11, s35
	s_mul_i32 s5, s5, s3
	s_wait_alu 0xfffe
	s_add_co_i32 s14, s2, s5
	v_cmp_gt_u32_e64 s2, s28, v0
	s_lshl_b64 s[14:15], s[14:15], 3
	s_delay_alu instid0(SALU_CYCLE_1)
	s_add_nc_u64 s[38:39], s[12:13], s[14:15]
	s_and_saveexec_b32 s5, s2
	s_cbranch_execz .LBB113_5
; %bb.2:
	s_load_b32 s3, s[8:9], 0xc
	v_mov_b32_e32 v2, 0
	v_mul_lo_u32 v1, v0, s30
	v_mov_b32_e32 v4, v0
	s_mov_b32 s13, s35
	s_delay_alu instid0(VALU_DEP_3) | instskip(SKIP_2) | instid1(SALU_CYCLE_1)
	v_mov_b32_e32 v3, v2
	s_wait_kmcnt 0x0
	s_and_b32 s12, s3, 0xffff
	s_mul_i32 s14, s30, s12
.LBB113_3:                              ; =>This Inner Loop Header: Depth=1
	s_delay_alu instid0(VALU_DEP_3) | instskip(SKIP_2) | instid1(VALU_DEP_3)
	v_lshlrev_b64_e32 v[5:6], 3, v[1:2]
	v_add_nc_u32_e32 v4, s12, v4
	v_add_nc_u32_e32 v1, s14, v1
	v_add_co_u32 v5, vcc_lo, s38, v5
	s_wait_alu 0xfffd
	s_delay_alu instid0(VALU_DEP_4)
	v_add_co_ci_u32_e64 v6, null, s39, v6, vcc_lo
	v_cmp_le_u32_e32 vcc_lo, s28, v4
	global_load_b64 v[5:6], v[5:6], off
	s_or_b32 s13, vcc_lo, s13
	s_wait_loadcnt 0x0
	v_cmp_u_f64_e64 s3, v[5:6], v[5:6]
	s_wait_alu 0xf1ff
	s_delay_alu instid0(VALU_DEP_1)
	v_add_co_ci_u32_e64 v3, null, 0, v3, s3
	s_wait_alu 0xfffe
	s_and_not1_b32 exec_lo, exec_lo, s13
	s_cbranch_execnz .LBB113_3
; %bb.4:
	s_or_b32 exec_lo, exec_lo, s13
.LBB113_5:
	s_delay_alu instid0(SALU_CYCLE_1)
	s_or_b32 exec_lo, exec_lo, s5
	s_clause 0x1
	s_load_b64 s[42:43], s[0:1], 0xd8
	s_load_b64 s[44:45], s[0:1], 0x0
	v_cmp_eq_u32_e64 s0, 0, v0
	s_mul_u64 s[46:47], s[34:35], s[6:7]
	s_mul_u64 s[26:27], s[34:35], s[10:11]
	s_and_saveexec_b32 s1, s0
; %bb.6:
	v_mov_b32_e32 v1, 0
	s_delay_alu instid0(VALU_DEP_1)
	v_mov_b32_e32 v2, v1
	ds_store_b64 v1, v[1:2] offset:4096
; %bb.7:
	s_or_b32 exec_lo, exec_lo, s1
	s_delay_alu instid0(SALU_CYCLE_1)
	s_mov_b32 s1, exec_lo
	s_wait_dscnt 0x0
	s_barrier_signal -1
	s_barrier_wait -1
	global_inv scope:SCOPE_SE
	v_cmpx_ne_u32_e32 0, v3
	s_cbranch_execz .LBB113_12
; %bb.8:
	v_mov_b32_e32 v1, 0
	s_mov_b32 s3, exec_lo
	s_mov_b64 s[6:7], 0
.LBB113_9:                              ; =>This Inner Loop Header: Depth=1
	s_wait_alu 0xfffe
	s_ctz_i32_b32 s5, s3
	s_wait_alu 0xfffe
	v_readlane_b32 s11, v1, s5
	v_readlane_b32 s10, v3, s5
	s_lshl_b32 s5, 1, s5
	s_wait_alu 0xfffe
	s_and_not1_b32 s3, s3, s5
	s_wait_alu 0xfffe
	s_cmp_lg_u32 s3, 0
	s_add_nc_u64 s[6:7], s[6:7], s[10:11]
	s_cbranch_scc1 .LBB113_9
; %bb.10:
	v_mbcnt_lo_u32_b32 v1, exec_lo, 0
	s_mov_b32 s3, exec_lo
	s_delay_alu instid0(VALU_DEP_1)
	v_cmpx_eq_u32_e32 0, v1
	s_wait_alu 0xfffe
	s_xor_b32 s3, exec_lo, s3
; %bb.11:
	v_mov_b32_e32 v1, s6
	v_dual_mov_b32 v3, 0 :: v_dual_mov_b32 v2, s7
	ds_add_u64 v3, v[1:2] offset:4096
.LBB113_12:
	s_or_b32 exec_lo, exec_lo, s1
	v_mov_b32_e32 v1, 0
	s_wait_loadcnt_dscnt 0x0
	s_barrier_signal -1
	s_barrier_wait -1
	global_inv scope:SCOPE_SE
	ds_load_b64 v[1:2], v1 offset:4096
	s_bitcmp1_b32 s31, 0
	s_mov_b32 s10, s28
	s_cselect_b32 s3, -1, 0
	s_wait_dscnt 0x0
	v_readfirstlane_b32 s6, v1
	v_readfirstlane_b32 s7, v2
	s_wait_alu 0xf1ff
	s_delay_alu instid0(VALU_DEP_1) | instskip(SKIP_2) | instid1(SALU_CYCLE_1)
	v_cmp_lt_i64_e64 s1, s[6:7], 1
	s_wait_alu 0xfffe
	s_or_b32 s1, s3, s1
	s_and_not1_b32 vcc_lo, exec_lo, s1
	s_wait_alu 0xfffe
	s_cbranch_vccnz .LBB113_14
; %bb.13:
	s_not_b64 s[6:7], s[6:7]
	s_mov_b32 s29, 0
	s_wait_alu 0xfffe
	s_add_nc_u64 s[6:7], s[6:7], s[28:29]
	s_mov_b32 s11, s29
	s_wait_alu 0xfffe
	s_lshr_b32 s10, s7, 31
	s_delay_alu instid0(SALU_CYCLE_1)
	s_add_nc_u64 s[6:7], s[6:7], s[10:11]
	s_wait_alu 0xfffe
	s_lshr_b64 s[6:7], s[6:7], 1
	s_wait_alu 0xfffe
	s_add_co_i32 s10, s6, 1
.LBB113_14:
	s_and_saveexec_b32 s1, s0
	s_cbranch_execz .LBB113_16
; %bb.15:
	v_dual_mov_b32 v1, 0 :: v_dual_mov_b32 v2, s28
	ds_store_b32 v1, v1 offset:4112
	ds_store_b64 v1, v[1:2] offset:4104
.LBB113_16:
	s_or_b32 exec_lo, exec_lo, s1
	s_wait_loadcnt_dscnt 0x0
	s_barrier_signal -1
	s_barrier_wait -1
	global_inv scope:SCOPE_SE
	s_load_b32 s5, s[8:9], 0xc
	v_mbcnt_lo_u32_b32 v27, -1, 0
	v_cmp_gt_u32_e32 vcc_lo, 32, v0
	v_dual_mov_b32 v13, 0 :: v_dual_lshlrev_b32 v28, 2, v0
	v_mul_lo_u32 v11, s30, v0
	s_delay_alu instid0(VALU_DEP_4)
	v_cmp_gt_i32_e64 s3, 4, v27
	v_lshlrev_b32_e32 v29, 3, v0
	v_lshrrev_b32_e32 v3, 1, v0
	v_mov_b32_e32 v12, v13
	v_lshlrev_b32_e32 v38, 5, v0
	s_and_b32 s31, vcc_lo, s3
	v_mov_b32_e32 v18, 0
	s_wait_alu 0xfffe
	v_mad_co_u64_u32 v[20:21], null, s30, v28, s[30:31]
	v_mov_b32_e32 v21, 0
	v_cmp_gt_u32_e64 s1, 2, v0
	v_dual_mov_b32 v19, 0 :: v_dual_add_nc_u32 v30, 0xc00, v29
	v_dual_mov_b32 v41, s10 :: v_dual_lshlrev_b32 v36, 2, v11
	s_wait_kmcnt 0x0
	s_and_b32 s29, s5, 0xffff
	s_bfe_u32 s5, s5, 0xb0005
	s_wait_alu 0xfffe
	s_lshl_b32 s35, s29, 2
	s_add_co_i32 s46, s29, -1
	s_cvt_f32_u32 s3, s35
	s_add_co_i32 s6, s46, s28
	s_cmp_gt_u32 s28, 0x180
	s_cvt_f32_u32 s11, s29
	s_wait_alu 0xfffe
	v_rcp_iflag_f32_e32 v1, s3
	s_cselect_b32 s58, -1, 0
	s_cmp_gt_u32 s29, 31
	v_lshl_or_b32 v39, v27, 2, 0xc00
	s_cselect_b32 s59, -1, 0
	s_cmp_lt_u32 ttmp9, s4
	s_movk_i32 s4, 0x1f0
	s_cselect_b32 s48, 12, 18
	s_add_co_i32 s3, s5, -1
	s_bfe_u32 s60, s29, 0x30005
	v_readfirstlane_b32 s7, v1
	s_wait_alu 0xfffe
	s_and_b32 s3, s3, 0xffff
	v_rcp_iflag_f32_e32 v1, s11
	s_wait_alu 0xfffe
	s_cmp_gt_u32 s3, 6
	v_and_or_b32 v31, v3, s4, 0xc00
	s_mul_f32 s3, s7, 0x4f7ffffe
	s_cselect_b32 s61, -1, 0
	s_and_b32 s62, s5, 0x7f8
	s_cmp_lg_u32 s60, 0
	s_wait_alu 0xfffe
	s_cvt_u32_f32 s3, s3
	s_cselect_b32 s63, -1, 0
	s_sub_co_i32 s5, 0, s35
	v_readfirstlane_b32 s7, v1
	s_wait_alu 0xfffe
	s_mul_i32 s5, s5, s3
	v_lshlrev_b64_e64 v[1:2], v27, -1
	s_wait_alu 0xfffe
	s_mul_hi_u32 s5, s3, s5
	v_lshlrev_b64_e32 v[2:3], 3, v[11:12]
	s_wait_alu 0xfffe
	s_add_co_i32 s50, s3, s5
	s_mul_f32 s7, s7, 0x4f7ffffe
	s_mul_hi_u32 s5, s28, s50
	v_not_b32_e32 v33, v1
	s_wait_alu 0xfffe
	s_mul_i32 s5, s5, s35
	s_cvt_u32_f32 s7, s7
	s_wait_alu 0xfffe
	s_sub_co_i32 s5, s28, s5
	v_add_co_u32 v14, vcc_lo, s38, v2
	s_wait_alu 0xfffe
	s_sub_co_i32 s11, s5, s35
	s_cmp_ge_u32 s5, s35
	s_wait_alu 0xfffd
	v_add_co_ci_u32_e64 v15, null, s39, v3, vcc_lo
	s_wait_alu 0xfffe
	s_cselect_b32 s5, s11, s5
	v_add3_u32 v3, s29, s28, v0
	s_wait_alu 0xfffe
	s_sub_co_i32 s11, s5, s35
	s_cmp_ge_u32 s5, s35
	v_mov_b32_e32 v5, 0
	s_wait_alu 0xfffe
	s_cselect_b32 s11, s11, s5
	s_sub_co_i32 s5, 0, s29
	s_wait_alu 0xfffe
	s_sub_co_i32 s64, s28, s11
	s_mul_i32 s5, s5, s7
	v_add_nc_u32_e32 v32, s64, v0
	s_wait_alu 0xfffe
	s_mul_hi_u32 s4, s7, s5
	v_subrev_nc_u32_e32 v3, s11, v3
	s_wait_alu 0xfffe
	s_add_co_i32 s52, s7, s4
	v_cmp_eq_u32_e64 s3, 0, v27
	v_mul_lo_u32 v12, v32, s30
	s_mul_hi_u32 s4, s6, s52
	v_mul_lo_u32 v37, s30, v3
	s_wait_alu 0xfffe
	s_mul_i32 s4, s4, s29
	v_mov_b32_e32 v6, 0
	s_wait_alu 0xfffe
	s_sub_co_i32 s4, s6, s4
	v_mov_b32_e32 v22, 0
	s_wait_alu 0xfffe
	s_sub_co_i32 s5, s4, s29
	v_lshlrev_b64_e32 v[1:2], 3, v[12:13]
	s_cmp_ge_u32 s4, s29
	v_mov_b32_e32 v40, 0
	s_wait_alu 0xfffe
	s_cselect_b32 s5, s5, s4
	v_cmp_gt_u32_e64 s4, s64, v28
	s_wait_alu 0xfffe
	s_sub_co_i32 s7, s5, s29
	v_add_co_u32 v16, vcc_lo, s38, v1
	s_wait_alu 0xfffd
	v_add_co_ci_u32_e64 v17, null, s39, v2, vcc_lo
	v_or_b32_e32 v1, 2, v28
	v_or_b32_e32 v2, 3, v28
	s_cmp_ge_u32 s5, s29
	s_mov_b32 s49, 0
	s_wait_alu 0xfffe
	s_cselect_b32 s7, s7, s5
	v_mul_lo_u32 v34, s30, v1
	v_mul_lo_u32 v35, s30, v2
	s_wait_alu 0xfffe
	s_sub_co_i32 s65, s6, s7
	v_cmp_gt_u32_e64 s5, s28, v32
	s_wait_alu 0xfffe
	v_cmp_gt_u32_e64 s6, s65, v0
	v_mov_b32_e32 v2, 0x3ff00000
	s_mul_i32 s57, s30, s29
	s_mov_b32 s51, s49
	s_mov_b32 s53, s49
	s_lshl_b32 s66, s57, 2
	s_lshl_b32 s67, s29, 5
	;; [unrolled: 1-line block ×3, first 2 shown]
	s_mov_b32 s76, 62
	s_add_nc_u64 s[54:55], s[8:9], s[48:49]
	s_mov_b32 s69, 0
                                        ; implicit-def: $sgpr73
                                        ; implicit-def: $sgpr75
                                        ; implicit-def: $sgpr70
                                        ; implicit-def: $sgpr72
                                        ; implicit-def: $sgpr74
                                        ; implicit-def: $sgpr71
	s_branch .LBB113_20
.LBB113_17:                             ;   in Loop: Header=BB113_20 Depth=1
	s_wait_alu 0xfffe
	s_or_b32 exec_lo, exec_lo, s10
	s_delay_alu instid0(SALU_CYCLE_1)
	s_and_b32 s8, s8, exec_lo
	s_and_not1_b32 s16, s16, exec_lo
	s_and_not1_b32 s15, s15, exec_lo
	s_or_not1_b32 s13, s9, exec_lo
.LBB113_18:                             ;   in Loop: Header=BB113_20 Depth=1
	s_wait_alu 0xfffe
	s_or_b32 exec_lo, exec_lo, s7
	s_delay_alu instid0(SALU_CYCLE_1)
	s_and_not1_b32 s7, s71, exec_lo
	s_and_b32 s8, s8, exec_lo
	s_and_not1_b32 s9, s72, exec_lo
	s_wait_alu 0xfffe
	s_or_b32 s71, s7, s8
	s_and_not1_b32 s7, s74, exec_lo
	s_and_b32 s8, s16, exec_lo
	s_and_b32 s10, s15, exec_lo
	s_wait_alu 0xfffe
	s_or_b32 s74, s7, s8
	s_or_b32 s72, s9, s10
	s_or_not1_b32 s14, s13, exec_lo
.LBB113_19:                             ;   in Loop: Header=BB113_20 Depth=1
	s_wait_alu 0xfffe
	s_or_b32 exec_lo, exec_lo, s12
	s_delay_alu instid0(SALU_CYCLE_1)
	s_and_b32 s7, exec_lo, s14
	v_mov_b32_e32 v41, v8
	s_wait_alu 0xfffe
	s_or_b32 s69, s7, s69
	s_and_not1_b32 s7, s70, exec_lo
	s_and_b32 s8, s71, exec_lo
	s_and_not1_b32 s9, s75, exec_lo
	s_wait_alu 0xfffe
	s_or_b32 s70, s7, s8
	s_and_b32 s7, s74, exec_lo
	s_and_not1_b32 s8, s73, exec_lo
	s_and_b32 s10, s72, exec_lo
	s_wait_alu 0xfffe
	s_or_b32 s75, s9, s7
	s_or_b32 s73, s8, s10
	s_mov_b32 s76, s20
	s_and_not1_b32 exec_lo, exec_lo, s69
	s_cbranch_execz .LBB113_248
.LBB113_20:                             ; =>This Loop Header: Depth=1
                                        ;     Child Loop BB113_26 Depth 2
                                        ;     Child Loop BB113_39 Depth 2
	;; [unrolled: 1-line block ×16, first 2 shown]
	ds_load_b64 v[3:4], v13 offset:4104
	s_wait_dscnt 0x0
	v_readfirstlane_b32 s48, v3
	s_cmp_lg_u32 s48, 0
	s_cbranch_scc1 .LBB113_47
; %bb.21:                               ;   in Loop: Header=BB113_20 Depth=1
	s_and_b32 vcc_lo, exec_lo, s58
	s_wait_alu 0xfffe
	s_cbranch_vccz .LBB113_34
; %bb.22:                               ;   in Loop: Header=BB113_20 Depth=1
	v_cmp_gt_u32_e32 vcc_lo, 0x181, v4
	s_mov_b32 s9, 0
	s_mov_b32 s7, 0
	s_cbranch_vccz .LBB113_35
; %bb.23:                               ;   in Loop: Header=BB113_20 Depth=1
	s_and_saveexec_b32 s10, s2
	s_cbranch_execz .LBB113_133
; %bb.24:                               ;   in Loop: Header=BB113_20 Depth=1
	global_load_b64 v[3:4], v[14:15], off
	s_load_u16 s11, s[54:55], 0x0
	s_mov_b32 s13, 0
	s_wait_kmcnt 0x0
	v_add_nc_u32_e32 v1, s11, v0
	s_mul_i32 s12, s30, s11
	s_delay_alu instid0(VALU_DEP_1)
	v_mul_lo_u32 v12, s30, v1
	v_mov_b32_e32 v1, v0
	s_branch .LBB113_26
.LBB113_25:                             ;   in Loop: Header=BB113_26 Depth=2
	s_wait_alu 0xfffe
	s_or_b32 exec_lo, exec_lo, s8
	v_dual_mov_b32 v3, v7 :: v_dual_add_nc_u32 v12, s12, v12
	v_mov_b32_e32 v4, v8
	s_and_not1_b32 exec_lo, exec_lo, s13
	s_cbranch_execz .LBB113_133
.LBB113_26:                             ;   Parent Loop BB113_20 Depth=1
                                        ; =>  This Inner Loop Header: Depth=2
	v_mov_b32_e32 v7, 0
	s_delay_alu instid0(VALU_DEP_2) | instskip(SKIP_1) | instid1(VALU_DEP_1)
	v_dual_mov_b32 v8, 0 :: v_dual_add_nc_u32 v1, s11, v1
	s_mov_b32 s8, exec_lo
	v_cmp_le_u32_e32 vcc_lo, s28, v1
	v_cmpx_gt_u32_e64 s28, v1
	s_cbranch_execz .LBB113_28
; %bb.27:                               ;   in Loop: Header=BB113_26 Depth=2
	v_lshlrev_b64_e32 v[7:8], 3, v[12:13]
	s_delay_alu instid0(VALU_DEP_1) | instskip(SKIP_1) | instid1(VALU_DEP_2)
	v_add_co_u32 v7, s7, s38, v7
	s_wait_alu 0xf1ff
	v_add_co_ci_u32_e64 v8, null, s39, v8, s7
	global_load_b64 v[7:8], v[7:8], off
.LBB113_28:                             ;   in Loop: Header=BB113_26 Depth=2
	s_wait_alu 0xfffe
	s_or_b32 exec_lo, exec_lo, s8
	s_wait_loadcnt 0x0
	v_cmp_o_f64_e64 s7, v[3:4], v[3:4]
	s_wait_dscnt 0x0
	v_ashrrev_i32_e32 v9, 31, v4
	s_delay_alu instid0(VALU_DEP_1) | instskip(SKIP_1) | instid1(VALU_DEP_2)
	v_or_b32_e32 v10, 0x80000000, v9
	v_xor_b32_e32 v9, v9, v3
	v_xor_b32_e32 v10, v10, v4
	s_wait_alu 0xf1ff
	s_delay_alu instid0(VALU_DEP_1) | instskip(NEXT) | instid1(VALU_DEP_3)
	v_cndmask_b32_e64 v10, -1, v10, s7
	v_cndmask_b32_e64 v9, -1, v9, s7
	s_delay_alu instid0(VALU_DEP_2) | instskip(NEXT) | instid1(VALU_DEP_2)
	v_and_b32_e32 v10, v10, v22
	v_and_b32_e32 v9, v9, v21
	s_delay_alu instid0(VALU_DEP_1)
	v_cmp_eq_u64_e64 s7, v[9:10], v[18:19]
	v_mov_b32_e32 v9, 0
	s_cmp_lg_u32 s7, 0
	s_cselect_b32 s8, -1, 0
	s_wait_alu 0xfffe
	s_and_b32 s8, s3, s8
	s_wait_alu 0xfffe
	s_and_saveexec_b32 s14, s8
	s_cbranch_execz .LBB113_32
; %bb.29:                               ;   in Loop: Header=BB113_26 Depth=2
	s_mov_b32 s17, exec_lo
	s_bcnt1_i32_b32 s15, s7
	s_wait_alu 0xfffe
	v_mbcnt_lo_u32_b32 v9, s17, 0
	s_mov_b32 s16, exec_lo
                                        ; implicit-def: $vgpr10
	s_delay_alu instid0(VALU_DEP_1)
	v_cmpx_eq_u32_e32 0, v9
; %bb.30:                               ;   in Loop: Header=BB113_26 Depth=2
	s_bcnt1_i32_b32 s8, s17
	s_wait_alu 0xfffe
	s_mul_i32 s8, s15, s8
	s_wait_alu 0xfffe
	v_mov_b32_e32 v10, s8
	ds_add_rtn_u32 v10, v13, v10 offset:4112
; %bb.31:                               ;   in Loop: Header=BB113_26 Depth=2
	s_or_b32 exec_lo, exec_lo, s16
	s_wait_dscnt 0x0
	v_readfirstlane_b32 s8, v10
	s_wait_alu 0xf1ff
	s_delay_alu instid0(VALU_DEP_1)
	v_mad_u32_u24 v9, s15, v9, s8
.LBB113_32:                             ;   in Loop: Header=BB113_26 Depth=2
	s_wait_alu 0xfffe
	s_or_b32 exec_lo, exec_lo, s14
	ds_bpermute_b32 v9, v13, v9
	s_and_b32 s8, exec_lo, vcc_lo
	s_wait_alu 0xfffe
	s_or_b32 s13, s8, s13
	s_and_saveexec_b32 s8, s7
	s_cbranch_execz .LBB113_25
; %bb.33:                               ;   in Loop: Header=BB113_26 Depth=2
	v_and_b32_e32 v10, s7, v33
	s_delay_alu instid0(VALU_DEP_1) | instskip(NEXT) | instid1(VALU_DEP_1)
	v_bcnt_u32_b32 v10, v10, 0
	v_lshlrev_b32_e32 v10, 3, v10
	s_wait_dscnt 0x0
	s_delay_alu instid0(VALU_DEP_1)
	v_lshl_add_u32 v9, v9, 3, v10
	ds_store_b64 v9, v[3:4]
	s_branch .LBB113_25
.LBB113_34:                             ;   in Loop: Header=BB113_20 Depth=1
	s_mov_b32 s9, -1
	s_mov_b32 s7, 0
.LBB113_35:                             ;   in Loop: Header=BB113_20 Depth=1
	s_wait_alu 0xfffe
	s_and_b32 vcc_lo, exec_lo, s9
	s_wait_alu 0xfffe
	s_cbranch_vccz .LBB113_45
.LBB113_36:                             ;   in Loop: Header=BB113_20 Depth=1
	s_and_saveexec_b32 s7, s2
	s_cbranch_execz .LBB113_42
; %bb.37:                               ;   in Loop: Header=BB113_20 Depth=1
	global_load_b64 v[3:4], v[14:15], off
	s_load_u16 s9, s[54:55], 0x0
	v_mov_b32_e32 v1, v0
	s_mov_b32 s8, exec_lo
	s_wait_kmcnt 0x0
	v_add_nc_u32_e32 v7, s9, v0
	s_delay_alu instid0(VALU_DEP_1)
	v_cmpx_gt_u32_e64 s28, v7
	s_cbranch_execz .LBB113_41
; %bb.38:                               ;   in Loop: Header=BB113_20 Depth=1
	v_mul_lo_u32 v12, s30, v7
	v_mov_b32_e32 v9, v29
	v_mov_b32_e32 v1, v0
	s_lshl_b32 s10, s9, 3
	s_mul_i32 s12, s30, s9
	s_mov_b32 s11, 0
.LBB113_39:                             ;   Parent Loop BB113_20 Depth=1
                                        ; =>  This Inner Loop Header: Depth=2
	s_delay_alu instid0(VALU_DEP_3)
	v_lshlrev_b64_e32 v[7:8], 3, v[12:13]
	s_wait_loadcnt 0x0
	ds_store_b64 v9, v[3:4]
	s_wait_alu 0xfffe
	v_add_nc_u32_e32 v9, s10, v9
	v_add_co_u32 v7, vcc_lo, s38, v7
	s_wait_alu 0xfffd
	v_add_co_ci_u32_e64 v8, null, s39, v8, vcc_lo
	global_load_b64 v[7:8], v[7:8], off
	v_add_nc_u32_e32 v1, s9, v1
	s_wait_loadcnt 0x0
	v_dual_mov_b32 v3, v7 :: v_dual_add_nc_u32 v12, s12, v12
	v_mov_b32_e32 v4, v8
	s_delay_alu instid0(VALU_DEP_3) | instskip(NEXT) | instid1(VALU_DEP_1)
	v_add_nc_u32_e32 v10, s9, v1
	v_cmp_le_u32_e32 vcc_lo, s28, v10
	s_or_b32 s11, vcc_lo, s11
	s_wait_alu 0xfffe
	s_and_not1_b32 exec_lo, exec_lo, s11
	s_cbranch_execnz .LBB113_39
; %bb.40:                               ;   in Loop: Header=BB113_20 Depth=1
	s_or_b32 exec_lo, exec_lo, s11
	v_dual_mov_b32 v3, v7 :: v_dual_mov_b32 v4, v8
.LBB113_41:                             ;   in Loop: Header=BB113_20 Depth=1
	s_wait_alu 0xfffe
	s_or_b32 exec_lo, exec_lo, s8
	v_lshlrev_b32_e32 v1, 3, v1
	s_wait_loadcnt 0x0
	ds_store_b64 v1, v[3:4]
.LBB113_42:                             ;   in Loop: Header=BB113_20 Depth=1
	s_wait_alu 0xfffe
	s_or_b32 exec_lo, exec_lo, s7
	s_wait_loadcnt_dscnt 0x0
	s_barrier_signal -1
	s_barrier_wait -1
	global_inv scope:SCOPE_SE
	s_and_saveexec_b32 s7, s0
; %bb.43:                               ;   in Loop: Header=BB113_20 Depth=1
	v_mov_b32_e32 v1, s28
	ds_store_b32 v13, v1 offset:4104
; %bb.44:                               ;   in Loop: Header=BB113_20 Depth=1
	s_wait_alu 0xfffe
	s_or_b32 exec_lo, exec_lo, s7
	s_mov_b32 s7, -1
	s_wait_loadcnt_dscnt 0x0
	s_barrier_signal -1
	s_barrier_wait -1
.LBB113_45:                             ;   in Loop: Header=BB113_20 Depth=1
	s_wait_alu 0xfffe
	s_and_b32 vcc_lo, exec_lo, s7
	s_mov_b32 s48, 0
	s_wait_alu 0xfffe
	s_cbranch_vccz .LBB113_47
; %bb.46:                               ;   in Loop: Header=BB113_20 Depth=1
	s_wait_loadcnt 0x0
	global_inv scope:SCOPE_SE
	ds_load_b32 v1, v13 offset:4104
	s_wait_dscnt 0x0
	v_readfirstlane_b32 s48, v1
.LBB113_47:                             ;   in Loop: Header=BB113_20 Depth=1
	s_delay_alu instid0(VALU_DEP_1)
	s_cmp_lt_i32 s48, 1
	s_mov_b32 s7, -1
                                        ; implicit-def: $vgpr7
	s_cbranch_scc1 .LBB113_57
; %bb.48:                               ;   in Loop: Header=BB113_20 Depth=1
	s_wait_alu 0xfffe
	s_and_b32 vcc_lo, exec_lo, s7
	s_wait_alu 0xfffe
	s_cbranch_vccnz .LBB113_68
.LBB113_49:                             ;   in Loop: Header=BB113_20 Depth=1
	v_lshlrev_b32_e32 v1, 7, v40
	s_and_saveexec_b32 s7, s3
.LBB113_50:                             ;   in Loop: Header=BB113_20 Depth=1
	s_delay_alu instid0(VALU_DEP_1)
	v_lshl_add_u32 v3, v1, 2, v31
	ds_store_b128 v3, v[7:10]
.LBB113_51:                             ;   in Loop: Header=BB113_20 Depth=1
	s_wait_alu 0xfffe
	s_or_b32 exec_lo, exec_lo, s7
	s_wait_loadcnt_dscnt 0x0
	s_barrier_signal -1
	s_barrier_wait -1
	global_inv scope:SCOPE_SE
	s_and_saveexec_b32 s7, s31
	s_cbranch_execz .LBB113_81
; %bb.52:                               ;   in Loop: Header=BB113_20 Depth=1
	v_mov_b32_e32 v3, 0
	s_and_not1_b32 vcc_lo, exec_lo, s59
	s_wait_alu 0xfffe
	s_cbranch_vccnz .LBB113_80
; %bb.53:                               ;   in Loop: Header=BB113_20 Depth=1
	s_and_not1_b32 vcc_lo, exec_lo, s61
	s_wait_alu 0xfffe
	s_cbranch_vccnz .LBB113_77
; %bb.54:                               ;   in Loop: Header=BB113_20 Depth=1
	v_lshl_add_u32 v4, v40, 9, v39
	v_mov_b32_e32 v3, 0
	s_mov_b32 s8, 0
.LBB113_55:                             ;   Parent Loop BB113_20 Depth=1
                                        ; =>  This Inner Loop Header: Depth=2
	ds_load_2addr_b32 v[7:8], v4 offset1:4
	ds_load_2addr_b32 v[9:10], v4 offset0:8 offset1:12
	ds_load_2addr_b32 v[23:24], v4 offset0:16 offset1:20
	;; [unrolled: 1-line block ×3, first 2 shown]
	v_add_nc_u32_e32 v4, 0x80, v4
	s_wait_alu 0xfffe
	s_add_co_i32 s8, s8, 8
	s_wait_alu 0xfffe
	s_cmp_eq_u32 s62, s8
	s_wait_dscnt 0x3
	v_add3_u32 v3, v7, v3, v8
	s_wait_dscnt 0x2
	s_delay_alu instid0(VALU_DEP_1) | instskip(SKIP_1) | instid1(VALU_DEP_1)
	v_add3_u32 v3, v9, v3, v10
	s_wait_dscnt 0x1
	v_add3_u32 v3, v23, v3, v24
	s_wait_dscnt 0x0
	s_delay_alu instid0(VALU_DEP_1)
	v_add3_u32 v3, v25, v3, v26
	s_cbranch_scc0 .LBB113_55
; %bb.56:                               ;   in Loop: Header=BB113_20 Depth=1
	s_mov_b32 s8, s62
	s_and_not1_b32 vcc_lo, exec_lo, s63
	s_wait_alu 0xfffe
	s_cbranch_vccz .LBB113_78
	s_branch .LBB113_80
.LBB113_57:                             ;   in Loop: Header=BB113_20 Depth=1
	v_dual_mov_b32 v7, 0 :: v_dual_mov_b32 v8, 0
	v_dual_mov_b32 v9, 0 :: v_dual_mov_b32 v10, 0
	s_and_saveexec_b32 s21, s4
	s_cbranch_execz .LBB113_61
; %bb.58:                               ;   in Loop: Header=BB113_20 Depth=1
	v_mov_b32_e32 v1, v28
	s_mov_b32 s22, 0
	s_mov_b32 s23, 0
	;; [unrolled: 1-line block ×6, first 2 shown]
.LBB113_59:                             ;   Parent Loop BB113_20 Depth=1
                                        ; =>  This Inner Loop Header: Depth=2
	s_wait_alu 0xfffe
	v_dual_mov_b32 v25, v13 :: v_dual_add_nc_u32 v12, s23, v36
	v_dual_mov_b32 v26, v13 :: v_dual_add_nc_u32 v1, s35, v1
	v_mov_b32_e32 v43, v13
	s_delay_alu instid0(VALU_DEP_3) | instskip(SKIP_1) | instid1(VALU_DEP_1)
	v_lshlrev_b64_e32 v[3:4], 3, v[12:13]
	v_add_nc_u32_e32 v12, s23, v20
	v_lshlrev_b64_e32 v[7:8], 3, v[12:13]
	v_add_nc_u32_e32 v12, s23, v34
	s_delay_alu instid0(VALU_DEP_4) | instskip(SKIP_2) | instid1(VALU_DEP_3)
	v_add_co_u32 v3, vcc_lo, s38, v3
	s_wait_alu 0xfffd
	v_add_co_ci_u32_e64 v4, null, s39, v4, vcc_lo
	v_lshlrev_b64_e32 v[9:10], 3, v[12:13]
	v_add_nc_u32_e32 v12, s23, v35
	v_add_co_u32 v7, vcc_lo, s38, v7
	global_load_b64 v[3:4], v[3:4], off
	s_wait_alu 0xfffd
	v_add_co_ci_u32_e64 v8, null, s39, v8, vcc_lo
	v_lshlrev_b64_e32 v[23:24], 3, v[12:13]
	v_add_co_u32 v9, vcc_lo, s38, v9
	s_wait_alu 0xfffd
	v_add_co_ci_u32_e64 v10, null, s39, v10, vcc_lo
	s_clause 0x1
	global_load_b64 v[7:8], v[7:8], off
	global_load_b64 v[9:10], v[9:10], off
	v_add_co_u32 v23, vcc_lo, s38, v23
	s_wait_alu 0xfffd
	v_add_co_ci_u32_e64 v24, null, s39, v24, vcc_lo
	v_cmp_le_u32_e32 vcc_lo, s64, v1
	s_add_co_i32 s23, s23, s66
	global_load_b64 v[23:24], v[23:24], off
	s_wait_loadcnt 0x3
	v_cmp_o_f64_e64 s7, v[3:4], v[3:4]
	v_ashrrev_i32_e32 v12, 31, v4
	s_delay_alu instid0(VALU_DEP_1)
	v_or_b32_e32 v42, 0x80000000, v12
	v_xor_b32_e32 v12, v12, v3
	s_wait_loadcnt 0x2
	v_cmp_o_f64_e64 s8, v[7:8], v[7:8]
	s_wait_loadcnt 0x1
	v_cmp_o_f64_e64 s9, v[9:10], v[9:10]
	v_xor_b32_e32 v42, v42, v4
	v_ashrrev_i32_e32 v45, 31, v10
	v_ashrrev_i32_e32 v44, 31, v8
	s_delay_alu instid0(VALU_DEP_2) | instskip(SKIP_2) | instid1(VALU_DEP_3)
	v_or_b32_e32 v3, 0x80000000, v45
	s_wait_loadcnt 0x0
	v_cmp_o_f64_e64 s10, v[23:24], v[23:24]
	v_or_b32_e32 v46, 0x80000000, v44
	v_xor_b32_e32 v44, v44, v7
	v_xor_b32_e32 v48, v45, v9
	;; [unrolled: 1-line block ×3, first 2 shown]
	s_delay_alu instid0(VALU_DEP_4) | instskip(SKIP_3) | instid1(VALU_DEP_2)
	v_xor_b32_e32 v46, v46, v8
	s_wait_alu 0xf1ff
	v_cndmask_b32_e64 v4, -1, v42, s7
	v_ashrrev_i32_e32 v42, 31, v24
	v_and_b32_e32 v10, v4, v22
	s_delay_alu instid0(VALU_DEP_2) | instskip(SKIP_3) | instid1(VALU_DEP_4)
	v_or_b32_e32 v7, 0x80000000, v42
	v_xor_b32_e32 v42, v42, v23
	v_cndmask_b32_e64 v8, -1, v46, s8
	v_cndmask_b32_e64 v23, -1, v48, s9
	v_xor_b32_e32 v7, v7, v24
	v_cndmask_b32_e64 v24, -1, v3, s9
	v_cndmask_b32_e64 v3, -1, v12, s7
	v_and_b32_e32 v45, v8, v22
	v_and_b32_e32 v48, v23, v21
	s_delay_alu instid0(VALU_DEP_4) | instskip(NEXT) | instid1(VALU_DEP_4)
	v_and_b32_e32 v49, v24, v22
	v_and_b32_e32 v9, v3, v21
	v_lshrrev_b64 v[3:4], s76, v[3:4]
	v_cndmask_b32_e64 v47, -1, v7, s10
	v_cndmask_b32_e64 v7, -1, v44, s8
	;; [unrolled: 1-line block ×3, first 2 shown]
	v_cmp_eq_u64_e64 s7, v[9:10], v[18:19]
	v_cmp_eq_u64_e64 s13, v[48:49], v[18:19]
	v_and_b32_e32 v12, 3, v3
	v_and_b32_e32 v44, v7, v21
	v_lshrrev_b64 v[7:8], s76, v[7:8]
	v_lshrrev_b64 v[3:4], s76, v[23:24]
	v_and_b32_e32 v50, v47, v22
	v_cmp_eq_u64_e64 s9, 0, v[12:13]
	v_cmp_eq_u64_e64 s10, 1, v[12:13]
	;; [unrolled: 1-line block ×3, first 2 shown]
	v_and_b32_e32 v24, 3, v7
	v_cmp_eq_u64_e64 s12, 3, v[12:13]
	v_cmp_eq_u64_e64 s8, v[44:45], v[18:19]
	s_and_b32 s9, s7, s9
	v_and_b32_e32 v42, 3, v3
	v_cmp_eq_u64_e64 s14, 0, v[24:25]
	v_cmp_eq_u64_e64 s15, 1, v[24:25]
	;; [unrolled: 1-line block ×3, first 2 shown]
	v_lshrrev_b64 v[7:8], s76, v[46:47]
	s_wait_alu 0xfffe
	v_cndmask_b32_e64 v3, 0, 1, s9
	s_and_b32 s9, s7, s10
	v_cmp_eq_u64_e64 s17, 3, v[24:25]
	s_wait_alu 0xfffe
	v_cndmask_b32_e64 v4, 0, 1, s9
	s_and_b32 s9, s7, s11
	s_and_b32 s7, s7, s12
	s_wait_alu 0xfffe
	v_cndmask_b32_e64 v8, 0, 1, s9
	v_cmp_eq_u64_e64 s9, 0, v[42:43]
	v_cmp_eq_u64_e64 s10, 1, v[42:43]
	v_cndmask_b32_e64 v9, 0, 1, s7
	s_and_b32 s14, s8, s14
	s_and_b32 s15, s8, s15
	s_and_b32 s16, s8, s16
	v_and_b32_e32 v49, v46, v21
	v_and_b32_e32 v25, 3, v7
	v_cmp_eq_u64_e64 s11, 2, v[42:43]
	v_cmp_eq_u64_e64 s12, 3, v[42:43]
	v_cmp_ne_u32_e64 s18, 0, v3
	s_wait_alu 0xfffe
	v_cndmask_b32_e64 v3, 0, 1, s14
	v_cmp_ne_u32_e64 s14, 0, v4
	v_cndmask_b32_e64 v4, 0, 1, s15
	v_cndmask_b32_e64 v7, 0, 1, s16
	s_and_b32 s8, s8, s17
	v_cmp_ne_u32_e64 s15, 0, v8
	s_wait_alu 0xfffe
	v_cndmask_b32_e64 v8, 0, 1, s8
	v_cmp_ne_u32_e64 s16, 0, v9
	s_and_b32 s9, s13, s9
	s_and_b32 s10, s13, s10
	v_cmp_eq_u64_e64 s7, v[49:50], v[18:19]
	v_cmp_eq_u64_e64 s8, 0, v[25:26]
	;; [unrolled: 1-line block ×5, first 2 shown]
	s_bcnt1_i32_b32 s78, s18
	v_cmp_ne_u32_e64 s18, 0, v3
	s_wait_alu 0xfffe
	v_cndmask_b32_e64 v3, 0, 1, s9
	v_cmp_ne_u32_e64 s9, 0, v4
	v_cndmask_b32_e64 v4, 0, 1, s10
	v_cmp_ne_u32_e64 s10, 0, v7
	s_and_b32 s11, s13, s11
	s_and_b32 s12, s13, s12
	s_wait_alu 0xfffe
	v_cndmask_b32_e64 v7, 0, 1, s11
	v_cmp_ne_u32_e64 s11, 0, v8
	v_cndmask_b32_e64 v8, 0, 1, s12
	s_bcnt1_i32_b32 s16, s16
	s_and_b32 s8, s7, s8
	s_wait_alu 0xfffe
	s_add_co_i32 s16, s16, s24
	s_bcnt1_i32_b32 s24, s9
	s_and_b32 s9, s7, s17
	s_bcnt1_i32_b32 s17, s10
	s_and_b32 s10, s7, s19
	s_and_b32 s7, s7, s20
	v_cmp_ne_u32_e64 s12, 0, v3
	v_cndmask_b32_e64 v3, 0, 1, s8
	v_cmp_ne_u32_e64 s8, 0, v4
	s_wait_alu 0xfffe
	v_cndmask_b32_e64 v4, 0, 1, s9
	v_cmp_ne_u32_e64 s9, 0, v7
	v_cndmask_b32_e64 v7, 0, 1, s10
	v_cmp_ne_u32_e64 s10, 0, v8
	v_cndmask_b32_e64 v8, 0, 1, s7
	s_bcnt1_i32_b32 s15, s15
	s_add_co_i32 s13, s78, s77
	s_wait_alu 0xfffe
	s_add_co_i32 s15, s15, s25
	s_bcnt1_i32_b32 s18, s18
	s_bcnt1_i32_b32 s11, s11
	s_bcnt1_i32_b32 s14, s14
	s_wait_alu 0xfffe
	s_add_co_i32 s13, s13, s18
	s_add_co_i32 s15, s15, s17
	;; [unrolled: 1-line block ×3, first 2 shown]
	v_cmp_ne_u32_e64 s7, 0, v3
	s_bcnt1_i32_b32 s16, s8
	v_cmp_ne_u32_e64 s8, 0, v4
	s_bcnt1_i32_b32 s17, s9
	;; [unrolled: 2-line block ×3, first 2 shown]
	v_cmp_ne_u32_e64 s10, 0, v8
	s_add_co_i32 s14, s14, s26
	s_bcnt1_i32_b32 s12, s12
	s_wait_alu 0xfffe
	s_add_co_i32 s14, s14, s24
	s_add_co_i32 s12, s13, s12
	s_wait_alu 0xfffe
	s_add_co_i32 s13, s14, s16
	s_add_co_i32 s14, s15, s17
	;; [unrolled: 1-line block ×3, first 2 shown]
	s_bcnt1_i32_b32 s7, s7
	s_bcnt1_i32_b32 s8, s8
	;; [unrolled: 1-line block ×4, first 2 shown]
	s_wait_alu 0xfffe
	s_add_co_i32 s77, s12, s7
	s_add_co_i32 s26, s13, s8
	;; [unrolled: 1-line block ×4, first 2 shown]
	s_wait_alu 0xfffe
	v_dual_mov_b32 v7, s77 :: v_dual_mov_b32 v8, s26
	v_dual_mov_b32 v9, s25 :: v_dual_mov_b32 v10, s24
	s_or_b32 s22, vcc_lo, s22
	s_wait_alu 0xfffe
	s_and_not1_b32 exec_lo, exec_lo, s22
	s_cbranch_execnz .LBB113_59
; %bb.60:                               ;   in Loop: Header=BB113_20 Depth=1
	s_or_b32 exec_lo, exec_lo, s22
.LBB113_61:                             ;   in Loop: Header=BB113_20 Depth=1
	s_wait_alu 0xfffe
	s_or_b32 exec_lo, exec_lo, s21
	s_and_saveexec_b32 s11, s5
	s_cbranch_execz .LBB113_67
; %bb.62:                               ;   in Loop: Header=BB113_20 Depth=1
	global_load_b64 v[25:26], v[16:17], off
	v_mov_b32_e32 v3, v37
	v_mov_b32_e32 v1, v32
	s_mov_b32 s12, 0
	s_branch .LBB113_64
.LBB113_63:                             ;   in Loop: Header=BB113_64 Depth=2
	s_wait_alu 0xfffe
	s_or_b32 exec_lo, exec_lo, s8
	s_wait_loadcnt 0x0
	v_cmp_o_f64_e64 s7, v[25:26], v[25:26]
	v_ashrrev_i32_e32 v4, 31, v26
	s_and_b32 s9, exec_lo, vcc_lo
	v_add_nc_u32_e32 v3, s57, v3
	s_wait_alu 0xfffe
	s_or_b32 s12, s9, s12
	v_or_b32_e32 v12, 0x80000000, v4
	v_xor_b32_e32 v4, v4, v25
	s_delay_alu instid0(VALU_DEP_2) | instskip(NEXT) | instid1(VALU_DEP_1)
	v_xor_b32_e32 v12, v12, v26
	v_cndmask_b32_e64 v26, -1, v12, s7
	s_delay_alu instid0(VALU_DEP_3) | instskip(NEXT) | instid1(VALU_DEP_1)
	v_cndmask_b32_e64 v25, -1, v4, s7
	v_lshrrev_b64 v[42:43], s76, v[25:26]
	v_and_b32_e32 v26, v26, v22
	v_and_b32_e32 v25, v25, v21
	s_delay_alu instid0(VALU_DEP_3) | instskip(NEXT) | instid1(VALU_DEP_2)
	v_and_b32_e32 v12, 3, v42
	v_cmp_eq_u64_e64 s7, v[25:26], v[18:19]
	s_delay_alu instid0(VALU_DEP_2)
	v_cmp_eq_u64_e64 s8, 0, v[12:13]
	v_cmp_eq_u64_e32 vcc_lo, 1, v[12:13]
	v_cmp_eq_u64_e64 s9, 2, v[12:13]
	v_cmp_eq_u64_e64 s10, 3, v[12:13]
	s_and_b32 s8, s7, s8
	s_wait_alu 0xfffe
	v_cndmask_b32_e64 v4, 0, 1, s8
	s_and_b32 s8, s7, vcc_lo
	s_wait_alu 0xfffe
	v_cndmask_b32_e64 v12, 0, 1, s8
	s_and_b32 s8, s7, s9
	s_and_b32 s7, s7, s10
	s_wait_alu 0xfffe
	v_cndmask_b32_e64 v25, 0, 1, s8
	v_cndmask_b32_e64 v26, 0, 1, s7
	v_cmp_ne_u32_e32 vcc_lo, 0, v4
	v_cmp_ne_u32_e64 s7, 0, v12
	s_delay_alu instid0(VALU_DEP_4) | instskip(NEXT) | instid1(VALU_DEP_4)
	v_cmp_ne_u32_e64 s8, 0, v25
	v_cmp_ne_u32_e64 s9, 0, v26
	s_bcnt1_i32_b32 s10, vcc_lo
	s_bcnt1_i32_b32 s7, s7
	v_mov_b32_e32 v26, v24
	s_bcnt1_i32_b32 s8, s8
	s_bcnt1_i32_b32 s9, s9
	s_wait_alu 0xfffe
	v_add_nc_u32_e32 v7, s10, v7
	v_add_nc_u32_e32 v8, s7, v8
	;; [unrolled: 1-line block ×3, first 2 shown]
	v_dual_mov_b32 v25, v23 :: v_dual_add_nc_u32 v10, s9, v10
	s_and_not1_b32 exec_lo, exec_lo, s12
	s_cbranch_execz .LBB113_66
.LBB113_64:                             ;   Parent Loop BB113_20 Depth=1
                                        ; =>  This Inner Loop Header: Depth=2
	v_mov_b32_e32 v23, 0
	s_delay_alu instid0(VALU_DEP_2) | instskip(SKIP_1) | instid1(VALU_DEP_1)
	v_dual_mov_b32 v24, 0 :: v_dual_add_nc_u32 v1, s29, v1
	s_mov_b32 s8, exec_lo
	v_cmp_le_u32_e32 vcc_lo, s28, v1
	v_cmpx_gt_u32_e64 s28, v1
	s_cbranch_execz .LBB113_63
; %bb.65:                               ;   in Loop: Header=BB113_64 Depth=2
	v_mov_b32_e32 v4, v13
	s_delay_alu instid0(VALU_DEP_1) | instskip(NEXT) | instid1(VALU_DEP_1)
	v_lshlrev_b64_e32 v[23:24], 3, v[3:4]
	v_add_co_u32 v23, s7, s38, v23
	s_wait_alu 0xf1fe
	s_delay_alu instid0(VALU_DEP_2)
	v_add_co_ci_u32_e64 v24, null, s39, v24, s7
	global_load_b64 v[23:24], v[23:24], off
	s_branch .LBB113_63
.LBB113_66:                             ;   in Loop: Header=BB113_20 Depth=1
	s_or_b32 exec_lo, exec_lo, s12
.LBB113_67:                             ;   in Loop: Header=BB113_20 Depth=1
	s_wait_alu 0xfffe
	s_or_b32 exec_lo, exec_lo, s11
	s_branch .LBB113_49
.LBB113_68:                             ;   in Loop: Header=BB113_20 Depth=1
	s_mul_u64 s[8:9], s[48:49], s[50:51]
	v_dual_mov_b32 v7, 0 :: v_dual_mov_b32 v8, 0
	s_wait_alu 0xfffe
	s_mul_i32 s7, s9, s35
	v_dual_mov_b32 v9, 0 :: v_dual_mov_b32 v10, 0
	s_wait_alu 0xfffe
	s_sub_co_i32 s7, s48, s7
	s_mov_b32 s78, exec_lo
	s_wait_alu 0xfffe
	s_sub_co_i32 s8, s7, s35
	s_cmp_ge_u32 s7, s35
	s_wait_alu 0xfffe
	s_cselect_b32 s7, s8, s7
	s_wait_alu 0xfffe
	s_sub_co_i32 s8, s7, s35
	s_cmp_ge_u32 s7, s35
	s_wait_alu 0xfffe
	s_cselect_b32 s7, s8, s7
	s_wait_alu 0xfffe
	s_sub_co_i32 s77, s48, s7
	s_wait_alu 0xfffe
	v_cmpx_gt_u32_e64 s77, v28
	s_cbranch_execz .LBB113_72
; %bb.69:                               ;   in Loop: Header=BB113_20 Depth=1
	v_mov_b32_e32 v1, v38
	v_mov_b32_e32 v3, v28
	s_mov_b32 s79, 0
	s_mov_b32 s80, 0
	;; [unrolled: 1-line block ×5, first 2 shown]
.LBB113_70:                             ;   Parent Loop BB113_20 Depth=1
                                        ; =>  This Inner Loop Header: Depth=2
	ds_load_b128 v[7:10], v1
	ds_load_b128 v[23:26], v1 offset:16
	s_wait_dscnt 0x1
	v_cmp_o_f64_e64 s7, v[7:8], v[7:8]
	v_cmp_o_f64_e64 s8, v[9:10], v[9:10]
	s_wait_dscnt 0x0
	v_cmp_o_f64_e64 s9, v[23:24], v[23:24]
	v_cmp_o_f64_e64 s10, v[25:26], v[25:26]
	v_ashrrev_i32_e32 v4, 31, v8
	v_ashrrev_i32_e32 v12, 31, v10
	;; [unrolled: 1-line block ×4, first 2 shown]
	s_delay_alu instid0(VALU_DEP_4) | instskip(NEXT) | instid1(VALU_DEP_4)
	v_or_b32_e32 v46, 0x80000000, v4
	v_or_b32_e32 v48, 0x80000000, v12
	s_delay_alu instid0(VALU_DEP_4) | instskip(NEXT) | instid1(VALU_DEP_4)
	v_or_b32_e32 v49, 0x80000000, v42
	v_or_b32_e32 v50, 0x80000000, v44
	v_xor_b32_e32 v4, v4, v7
	v_xor_b32_e32 v46, v46, v8
	;; [unrolled: 1-line block ×8, first 2 shown]
	s_wait_alu 0xf1ff
	v_cndmask_b32_e64 v8, -1, v46, s7
	v_cndmask_b32_e64 v10, -1, v7, s8
	;; [unrolled: 1-line block ×7, first 2 shown]
	v_dual_mov_b32 v43, v13 :: v_dual_and_b32 v48, v7, v21
	v_and_b32_e32 v49, v8, v22
	v_lshrrev_b64 v[7:8], s76, v[7:8]
	v_cndmask_b32_e64 v25, -1, v44, s10
	v_and_b32_e32 v50, v9, v21
	v_lshrrev_b64 v[8:9], s76, v[9:10]
	v_and_b32_e32 v51, v10, v22
	v_lshrrev_b64 v[9:10], s76, v[23:24]
	v_dual_mov_b32 v45, v13 :: v_dual_and_b32 v52, v23, v21
	v_dual_mov_b32 v47, v13 :: v_dual_and_b32 v12, 3, v7
	v_and_b32_e32 v53, v24, v22
	v_lshrrev_b64 v[23:24], s76, v[25:26]
	v_and_b32_e32 v42, 3, v8
	v_and_b32_e32 v44, 3, v9
	v_cmp_eq_u64_e64 s7, v[48:49], v[18:19]
	v_cmp_eq_u64_e64 s11, 0, v[12:13]
	v_and_b32_e32 v55, v26, v22
	v_and_b32_e32 v54, v25, v21
	;; [unrolled: 1-line block ×3, first 2 shown]
	v_cmp_eq_u64_e64 s8, v[50:51], v[18:19]
	v_cmp_eq_u64_e64 s12, 0, v[42:43]
	;; [unrolled: 1-line block ×6, first 2 shown]
	s_and_b32 s11, s7, s11
	v_cmp_eq_u64_e64 s15, 1, v[12:13]
	s_wait_alu 0xfffe
	v_cndmask_b32_e64 v4, 0, 1, s11
	s_and_b32 s11, s8, s12
	v_cmp_eq_u64_e64 s16, 1, v[42:43]
	s_wait_alu 0xfffe
	v_cndmask_b32_e64 v7, 0, 1, s11
	;; [unrolled: 4-line block ×4, first 2 shown]
	s_and_b32 s11, s7, s15
	v_cmp_eq_u64_e64 s19, 2, v[12:13]
	v_cmp_eq_u64_e64 s23, 3, v[12:13]
	s_wait_alu 0xfffe
	v_cndmask_b32_e64 v10, 0, 1, s11
	s_and_b32 s11, s8, s16
	v_cmp_eq_u64_e64 s20, 2, v[42:43]
	v_cmp_eq_u64_e64 s24, 3, v[42:43]
	s_wait_alu 0xfffe
	v_cndmask_b32_e64 v12, 0, 1, s11
	;; [unrolled: 5-line block ×4, first 2 shown]
	s_and_b32 s11, s7, s19
	s_and_b32 s7, s7, s23
	s_wait_alu 0xfffe
	v_cndmask_b32_e64 v25, 0, 1, s11
	s_and_b32 s11, s8, s20
	v_cndmask_b32_e64 v44, 0, 1, s7
	s_and_b32 s7, s8, s24
	s_wait_alu 0xfffe
	v_cndmask_b32_e64 v26, 0, 1, s11
	s_and_b32 s11, s9, s21
	v_cndmask_b32_e64 v45, 0, 1, s7
	;; [unrolled: 5-line block ×3, first 2 shown]
	s_and_b32 s7, s10, s26
	s_wait_alu 0xfffe
	v_cndmask_b32_e64 v43, 0, 1, s11
	v_cndmask_b32_e64 v47, 0, 1, s7
	v_cmp_ne_u32_e64 s7, 0, v4
	v_cmp_ne_u32_e64 s11, 0, v10
	;; [unrolled: 1-line block ×7, first 2 shown]
	s_bcnt1_i32_b32 s7, s7
	s_bcnt1_i32_b32 s11, s11
	v_cmp_ne_u32_e64 s14, 0, v24
	v_cmp_ne_u32_e64 s16, 0, v26
	;; [unrolled: 1-line block ×3, first 2 shown]
	s_bcnt1_i32_b32 s8, s8
	s_bcnt1_i32_b32 s12, s12
	s_wait_alu 0xfffe
	s_add_co_i32 s7, s7, s83
	s_add_co_i32 s11, s11, s82
	v_cmp_ne_u32_e64 s9, 0, v8
	v_cmp_ne_u32_e64 s17, 0, v42
	;; [unrolled: 1-line block ×3, first 2 shown]
	s_bcnt1_i32_b32 s13, s13
	s_wait_alu 0xfffe
	s_add_co_i32 s7, s7, s8
	s_add_co_i32 s8, s11, s12
	s_bcnt1_i32_b32 s15, s15
	s_bcnt1_i32_b32 s19, s19
	v_cmp_ne_u32_e64 s10, 0, v9
	v_cmp_ne_u32_e64 s18, 0, v43
	;; [unrolled: 1-line block ×3, first 2 shown]
	s_bcnt1_i32_b32 s14, s14
	s_wait_alu 0xfffe
	s_add_co_i32 s8, s8, s13
	s_bcnt1_i32_b32 s16, s16
	s_bcnt1_i32_b32 s20, s20
	s_add_co_i32 s15, s15, s81
	s_add_co_i32 s19, s19, s80
	s_wait_alu 0xfffe
	s_add_co_i32 s82, s8, s14
	s_wait_alu 0xfffe
	v_dual_mov_b32 v8, s82 :: v_dual_add_nc_u32 v3, s35, v3
	s_bcnt1_i32_b32 s9, s9
	s_bcnt1_i32_b32 s17, s17
	;; [unrolled: 1-line block ×3, first 2 shown]
	s_add_co_i32 s11, s15, s16
	s_add_co_i32 s12, s19, s20
	s_bcnt1_i32_b32 s10, s10
	s_bcnt1_i32_b32 s18, s18
	;; [unrolled: 1-line block ×3, first 2 shown]
	s_wait_alu 0xfffe
	s_add_co_i32 s7, s7, s9
	s_add_co_i32 s9, s11, s17
	;; [unrolled: 1-line block ×3, first 2 shown]
	v_cmp_le_u32_e32 vcc_lo, s77, v3
	s_wait_alu 0xfffe
	s_add_co_i32 s83, s7, s10
	s_add_co_i32 s81, s9, s18
	;; [unrolled: 1-line block ×3, first 2 shown]
	s_wait_alu 0xfffe
	v_dual_mov_b32 v10, s80 :: v_dual_add_nc_u32 v1, s67, v1
	v_mov_b32_e32 v7, s83
	v_mov_b32_e32 v9, s81
	s_or_b32 s79, vcc_lo, s79
	s_wait_alu 0xfffe
	s_and_not1_b32 exec_lo, exec_lo, s79
	s_cbranch_execnz .LBB113_70
; %bb.71:                               ;   in Loop: Header=BB113_20 Depth=1
	s_or_b32 exec_lo, exec_lo, s79
.LBB113_72:                             ;   in Loop: Header=BB113_20 Depth=1
	s_delay_alu instid0(SALU_CYCLE_1) | instskip(SKIP_2) | instid1(VALU_DEP_1)
	s_or_b32 exec_lo, exec_lo, s78
	v_add_nc_u32_e32 v1, s77, v0
	s_mov_b32 s12, exec_lo
	v_cmpx_gt_u32_e64 s48, v1
	s_cbranch_execz .LBB113_76
; %bb.73:                               ;   in Loop: Header=BB113_20 Depth=1
	v_lshlrev_b32_e32 v3, 3, v1
	s_mov_b32 s13, 0
.LBB113_74:                             ;   Parent Loop BB113_20 Depth=1
                                        ; =>  This Inner Loop Header: Depth=2
	ds_load_b64 v[23:24], v3
	v_add_nc_u32_e32 v3, s68, v3
	s_wait_dscnt 0x0
	v_cmp_o_f64_e32 vcc_lo, v[23:24], v[23:24]
	v_ashrrev_i32_e32 v4, 31, v24
	s_delay_alu instid0(VALU_DEP_1) | instskip(SKIP_1) | instid1(VALU_DEP_2)
	v_or_b32_e32 v12, 0x80000000, v4
	v_xor_b32_e32 v4, v4, v23
	v_xor_b32_e32 v12, v12, v24
	s_wait_alu 0xfffd
	s_delay_alu instid0(VALU_DEP_1) | instskip(NEXT) | instid1(VALU_DEP_1)
	v_dual_cndmask_b32 v24, -1, v12 :: v_dual_add_nc_u32 v1, s29, v1
	v_cmp_le_u32_e64 s7, s48, v1
	s_delay_alu instid0(VALU_DEP_2) | instskip(NEXT) | instid1(VALU_DEP_1)
	v_dual_cndmask_b32 v23, -1, v4 :: v_dual_and_b32 v26, v24, v22
	v_and_b32_e32 v25, v23, v21
	v_lshrrev_b64 v[23:24], s76, v[23:24]
	s_delay_alu instid0(VALU_DEP_2) | instskip(NEXT) | instid1(VALU_DEP_2)
	v_cmp_eq_u64_e32 vcc_lo, v[25:26], v[18:19]
	v_and_b32_e32 v12, 3, v23
	s_delay_alu instid0(VALU_DEP_1)
	v_cmp_eq_u64_e64 s8, 0, v[12:13]
	v_cmp_eq_u64_e64 s9, 1, v[12:13]
	;; [unrolled: 1-line block ×4, first 2 shown]
	s_and_b32 s8, vcc_lo, s8
	s_wait_alu 0xfffe
	v_cndmask_b32_e64 v4, 0, 1, s8
	s_and_b32 s8, vcc_lo, s9
	s_wait_alu 0xfffe
	v_cndmask_b32_e64 v12, 0, 1, s8
	;; [unrolled: 3-line block ×3, first 2 shown]
	s_and_b32 s8, vcc_lo, s11
	v_cmp_ne_u32_e32 vcc_lo, 0, v4
	s_wait_alu 0xfffe
	v_cndmask_b32_e64 v24, 0, 1, s8
	v_cmp_ne_u32_e64 s8, 0, v12
	v_cmp_ne_u32_e64 s9, 0, v23
	s_bcnt1_i32_b32 s11, vcc_lo
	v_cmp_ne_u32_e64 s10, 0, v24
	s_bcnt1_i32_b32 s8, s8
	s_bcnt1_i32_b32 s9, s9
	s_wait_alu 0xfffe
	v_add_nc_u32_e32 v7, s11, v7
	v_add_nc_u32_e32 v8, s8, v8
	s_bcnt1_i32_b32 s10, s10
	v_add_nc_u32_e32 v9, s9, v9
	s_wait_alu 0xfffe
	v_add_nc_u32_e32 v10, s10, v10
	s_or_b32 s13, s7, s13
	s_wait_alu 0xfffe
	s_and_not1_b32 exec_lo, exec_lo, s13
	s_cbranch_execnz .LBB113_74
; %bb.75:                               ;   in Loop: Header=BB113_20 Depth=1
	s_or_b32 exec_lo, exec_lo, s13
.LBB113_76:                             ;   in Loop: Header=BB113_20 Depth=1
	s_wait_alu 0xfffe
	s_or_b32 exec_lo, exec_lo, s12
	v_lshlrev_b32_e32 v1, 7, v40
	s_and_saveexec_b32 s7, s3
	s_cbranch_execnz .LBB113_50
	s_branch .LBB113_51
.LBB113_77:                             ;   in Loop: Header=BB113_20 Depth=1
	v_mov_b32_e32 v3, 0
	s_mov_b32 s8, 0
	s_and_not1_b32 vcc_lo, exec_lo, s63
	s_wait_alu 0xfffe
	s_cbranch_vccnz .LBB113_80
.LBB113_78:                             ;   in Loop: Header=BB113_20 Depth=1
	v_lshlrev_b32_e32 v4, 9, v40
	s_lshl_b32 s8, s8, 4
	s_wait_alu 0xfffe
	s_delay_alu instid0(VALU_DEP_1)
	v_add3_u32 v4, v4, s8, v39
	s_mov_b32 s8, s60
.LBB113_79:                             ;   Parent Loop BB113_20 Depth=1
                                        ; =>  This Inner Loop Header: Depth=2
	ds_load_b32 v7, v4
	v_add_nc_u32_e32 v4, 16, v4
	s_wait_alu 0xfffe
	s_add_co_i32 s8, s8, -1
	s_wait_alu 0xfffe
	s_cmp_lg_u32 s8, 0
	s_wait_dscnt 0x0
	v_add_nc_u32_e32 v3, v7, v3
	s_cbranch_scc1 .LBB113_79
.LBB113_80:                             ;   in Loop: Header=BB113_20 Depth=1
	v_add_lshl_u32 v4, v1, v27, 2
	ds_store_b32 v4, v3 offset:3072
.LBB113_81:                             ;   in Loop: Header=BB113_20 Depth=1
	s_wait_alu 0xfffe
	s_or_b32 exec_lo, exec_lo, s7
	v_lshlrev_b32_e32 v1, 2, v1
	s_wait_loadcnt_dscnt 0x0
	s_barrier_signal -1
	s_barrier_wait -1
	global_inv scope:SCOPE_SE
	ds_load_b128 v[7:10], v1 offset:3072
	s_lshl_b64 s[8:9], 3, s76
	v_cmp_eq_u32_e32 vcc_lo, 1, v41
	s_wait_alu 0xfffe
	s_not_b64 s[10:11], s[8:9]
	s_mov_b32 s14, -1
	s_mov_b32 s21, -1
                                        ; implicit-def: $sgpr18
                                        ; implicit-def: $sgpr16
	s_wait_dscnt 0x0
	v_readfirstlane_b32 s13, v7
	v_readfirstlane_b32 s19, v8
	;; [unrolled: 1-line block ×4, first 2 shown]
	s_cmp_eq_u32 s13, 1
	s_cselect_b32 s12, -1, 0
	s_wait_alu 0xfffe
	s_and_b32 s15, s12, vcc_lo
	s_wait_alu 0xfffe
	s_and_saveexec_b32 s12, s15
	s_cbranch_execz .LBB113_109
; %bb.82:                               ;   in Loop: Header=BB113_20 Depth=1
	ds_load_b32 v1, v13 offset:4104
	s_wait_loadcnt_dscnt 0x0
	s_barrier_signal -1
	s_barrier_wait -1
	global_inv scope:SCOPE_SE
	v_readfirstlane_b32 s21, v1
	s_and_saveexec_b32 s16, s1
; %bb.83:                               ;   in Loop: Header=BB113_20 Depth=1
	v_mov_b32_e32 v12, v13
	ds_store_b64 v30, v[12:13]
; %bb.84:                               ;   in Loop: Header=BB113_20 Depth=1
	s_wait_alu 0xfffe
	s_or_b32 exec_lo, exec_lo, s16
	v_and_b32_e32 v19, s11, v19
	v_and_b32_e32 v18, s10, v18
	v_or_b32_e32 v22, s9, v22
	v_or_b32_e32 v21, s8, v21
	s_mov_b32 s16, -1
	s_mov_b32 s18, 0
	s_cmp_eq_u32 s21, 0
	s_mov_b32 s20, 0
	s_mov_b32 s22, -1
	s_wait_loadcnt_dscnt 0x0
	s_barrier_signal -1
	s_barrier_wait -1
	global_inv scope:SCOPE_SE
                                        ; implicit-def: $vgpr5_vgpr6
	s_cbranch_scc1 .LBB113_96
; %bb.85:                               ;   in Loop: Header=BB113_20 Depth=1
	s_add_co_i32 s48, s21, s46
                                        ; implicit-def: $vgpr5_vgpr6
	s_wait_alu 0xfffe
	s_mul_u64 s[22:23], s[48:49], s[52:53]
	s_wait_alu 0xfffe
	s_mul_i32 s20, s23, s29
	s_mov_b32 s23, exec_lo
	s_wait_alu 0xfffe
	s_sub_co_i32 s20, s48, s20
	s_wait_alu 0xfffe
	s_sub_co_i32 s22, s20, s29
	s_cmp_ge_u32 s20, s29
	s_wait_alu 0xfffe
	s_cselect_b32 s20, s22, s20
	s_wait_alu 0xfffe
	s_sub_co_i32 s22, s20, s29
	s_cmp_ge_u32 s20, s29
	s_wait_alu 0xfffe
	s_cselect_b32 s20, s22, s20
	s_mov_b32 s22, 0
	s_wait_alu 0xfffe
	s_sub_co_i32 s24, s48, s20
	s_mov_b32 s20, 0
	s_wait_alu 0xfffe
	v_cmpx_gt_u32_e64 s24, v0
	s_cbranch_execz .LBB113_95
; %bb.86:                               ;   in Loop: Header=BB113_20 Depth=1
	v_dual_mov_b32 v7, v29 :: v_dual_mov_b32 v8, v0
                                        ; implicit-def: $sgpr25
	s_branch .LBB113_90
.LBB113_87:                             ;   in Loop: Header=BB113_90 Depth=2
	s_wait_alu 0xfffe
	s_or_b32 exec_lo, exec_lo, s26
	s_wait_loadcnt_dscnt 0x0
	s_barrier_signal -1
	s_barrier_wait -1
	global_inv scope:SCOPE_SE
	ds_load_b128 v[3:6], v13 offset:3072
	s_wait_loadcnt_dscnt 0x0
	s_barrier_signal -1
	s_barrier_wait -1
	global_inv scope:SCOPE_SE
	v_cmp_neq_f64_e32 vcc_lo, 0, v[3:4]
	s_cbranch_vccnz .LBB113_93
; %bb.88:                               ;   in Loop: Header=BB113_90 Depth=2
	v_add_nc_u32_e32 v8, s29, v8
	v_add_nc_u32_e32 v7, s68, v7
	s_mov_b32 s26, 0
	s_delay_alu instid0(VALU_DEP_2)
	v_cmp_le_u32_e32 vcc_lo, s24, v8
	s_or_not1_b32 s48, vcc_lo, exec_lo
.LBB113_89:                             ;   in Loop: Header=BB113_90 Depth=2
	s_wait_alu 0xfffe
	s_and_b32 s48, exec_lo, s48
	s_wait_alu 0xfffe
	s_or_b32 s20, s48, s20
	s_and_not1_b32 s25, s25, exec_lo
	s_and_b32 s26, s26, exec_lo
	s_wait_alu 0xfffe
	s_or_b32 s25, s25, s26
	s_and_not1_b32 exec_lo, exec_lo, s20
	s_cbranch_execz .LBB113_94
.LBB113_90:                             ;   Parent Loop BB113_20 Depth=1
                                        ; =>  This Inner Loop Header: Depth=2
	s_mov_b32 s26, exec_lo
	s_delay_alu instid0(VALU_DEP_1)
	v_cmpx_gt_u32_e64 s21, v8
	s_cbranch_execz .LBB113_87
; %bb.91:                               ;   in Loop: Header=BB113_90 Depth=2
	ds_load_b64 v[3:4], v7
	s_wait_dscnt 0x0
	v_cmp_o_f64_e32 vcc_lo, v[3:4], v[3:4]
	v_ashrrev_i32_e32 v1, 31, v4
	s_delay_alu instid0(VALU_DEP_1) | instskip(SKIP_1) | instid1(VALU_DEP_2)
	v_or_b32_e32 v5, 0x80000000, v1
	v_xor_b32_e32 v1, v1, v3
	v_xor_b32_e32 v5, v5, v4
	s_wait_alu 0xfffd
	s_delay_alu instid0(VALU_DEP_1) | instskip(NEXT) | instid1(VALU_DEP_1)
	v_cndmask_b32_e32 v5, -1, v5, vcc_lo
	v_dual_cndmask_b32 v1, -1, v1 :: v_dual_and_b32 v6, v5, v22
	s_delay_alu instid0(VALU_DEP_1) | instskip(NEXT) | instid1(VALU_DEP_1)
	v_and_b32_e32 v5, v1, v21
	v_cmp_eq_u64_e32 vcc_lo, v[5:6], v[18:19]
	s_and_b32 exec_lo, exec_lo, vcc_lo
	s_cbranch_execz .LBB113_87
; %bb.92:                               ;   in Loop: Header=BB113_90 Depth=2
	v_mov_b32_e32 v1, v13
	ds_store_b128 v13, v[1:4] offset:3072
	s_branch .LBB113_87
.LBB113_93:                             ;   in Loop: Header=BB113_90 Depth=2
	s_mov_b32 s48, -1
	s_mov_b32 s26, -1
                                        ; implicit-def: $vgpr8
                                        ; implicit-def: $vgpr7
	s_branch .LBB113_89
.LBB113_94:                             ;   in Loop: Header=BB113_20 Depth=1
	s_or_b32 exec_lo, exec_lo, s20
	s_wait_alu 0xfffe
	s_and_b32 s20, s25, exec_lo
.LBB113_95:                             ;   in Loop: Header=BB113_20 Depth=1
	s_or_b32 exec_lo, exec_lo, s23
.LBB113_96:                             ;   in Loop: Header=BB113_20 Depth=1
	s_wait_alu 0xfffe
	s_and_b32 vcc_lo, exec_lo, s22
	s_wait_alu 0xfffe
	s_cbranch_vccz .LBB113_108
; %bb.97:                               ;   in Loop: Header=BB113_20 Depth=1
                                        ; implicit-def: $vgpr5_vgpr6
	s_and_saveexec_b32 s16, s6
	s_cbranch_execz .LBB113_107
; %bb.98:                               ;   in Loop: Header=BB113_20 Depth=1
	v_dual_mov_b32 v12, v11 :: v_dual_mov_b32 v7, v0
	s_mov_b32 s21, 0
                                        ; implicit-def: $sgpr18
	s_branch .LBB113_102
.LBB113_99:                             ;   in Loop: Header=BB113_102 Depth=2
	s_wait_alu 0xfffe
	s_or_b32 exec_lo, exec_lo, s22
	s_wait_loadcnt_dscnt 0x0
	s_barrier_signal -1
	s_barrier_wait -1
	global_inv scope:SCOPE_SE
	ds_load_b128 v[3:6], v13 offset:3072
	s_wait_loadcnt_dscnt 0x0
	s_barrier_signal -1
	s_barrier_wait -1
	global_inv scope:SCOPE_SE
	v_cmp_neq_f64_e32 vcc_lo, 0, v[3:4]
	s_cbranch_vccnz .LBB113_105
; %bb.100:                              ;   in Loop: Header=BB113_102 Depth=2
	v_add_nc_u32_e32 v7, s29, v7
	v_add_nc_u32_e32 v12, s57, v12
	s_mov_b32 s22, 0
	s_delay_alu instid0(VALU_DEP_2)
	v_cmp_le_u32_e32 vcc_lo, s65, v7
	s_or_not1_b32 s23, vcc_lo, exec_lo
.LBB113_101:                            ;   in Loop: Header=BB113_102 Depth=2
	s_wait_alu 0xfffe
	s_and_b32 s23, exec_lo, s23
	s_wait_alu 0xfffe
	s_or_b32 s21, s23, s21
	s_and_not1_b32 s18, s18, exec_lo
	s_and_b32 s22, s22, exec_lo
	s_wait_alu 0xfffe
	s_or_b32 s18, s18, s22
	s_and_not1_b32 exec_lo, exec_lo, s21
	s_cbranch_execz .LBB113_106
.LBB113_102:                            ;   Parent Loop BB113_20 Depth=1
                                        ; =>  This Inner Loop Header: Depth=2
	s_mov_b32 s22, exec_lo
	s_delay_alu instid0(VALU_DEP_1)
	v_cmpx_gt_u32_e64 s28, v7
	s_cbranch_execz .LBB113_99
; %bb.103:                              ;   in Loop: Header=BB113_102 Depth=2
	v_lshlrev_b64_e32 v[3:4], 3, v[12:13]
	s_delay_alu instid0(VALU_DEP_1) | instskip(SKIP_1) | instid1(VALU_DEP_2)
	v_add_co_u32 v3, vcc_lo, s38, v3
	s_wait_alu 0xfffd
	v_add_co_ci_u32_e64 v4, null, s39, v4, vcc_lo
	global_load_b64 v[3:4], v[3:4], off
	s_wait_loadcnt 0x0
	v_cmp_o_f64_e32 vcc_lo, v[3:4], v[3:4]
	v_ashrrev_i32_e32 v1, 31, v4
	s_delay_alu instid0(VALU_DEP_1) | instskip(SKIP_1) | instid1(VALU_DEP_2)
	v_or_b32_e32 v5, 0x80000000, v1
	v_xor_b32_e32 v1, v1, v3
	v_xor_b32_e32 v5, v5, v4
	s_wait_alu 0xfffd
	s_delay_alu instid0(VALU_DEP_1) | instskip(NEXT) | instid1(VALU_DEP_1)
	v_cndmask_b32_e32 v5, -1, v5, vcc_lo
	v_dual_cndmask_b32 v1, -1, v1 :: v_dual_and_b32 v6, v5, v22
	s_delay_alu instid0(VALU_DEP_1) | instskip(NEXT) | instid1(VALU_DEP_1)
	v_and_b32_e32 v5, v1, v21
	v_cmp_eq_u64_e32 vcc_lo, v[5:6], v[18:19]
	s_and_b32 exec_lo, exec_lo, vcc_lo
	s_cbranch_execz .LBB113_99
; %bb.104:                              ;   in Loop: Header=BB113_102 Depth=2
	v_mov_b32_e32 v1, v13
	ds_store_b128 v13, v[1:4] offset:3072
	s_branch .LBB113_99
.LBB113_105:                            ;   in Loop: Header=BB113_102 Depth=2
	s_mov_b32 s23, -1
	s_mov_b32 s22, -1
                                        ; implicit-def: $vgpr7
	s_branch .LBB113_101
.LBB113_106:                            ;   in Loop: Header=BB113_20 Depth=1
	s_or_b32 exec_lo, exec_lo, s21
	s_delay_alu instid0(SALU_CYCLE_1)
	s_and_not1_b32 s20, s20, exec_lo
	s_wait_alu 0xfffe
	s_and_b32 s18, s18, exec_lo
	s_wait_alu 0xfffe
	s_or_b32 s20, s20, s18
.LBB113_107:                            ;   in Loop: Header=BB113_20 Depth=1
	s_wait_alu 0xfffe
	s_or_b32 exec_lo, exec_lo, s16
	s_mov_b32 s16, 0
	s_mov_b32 s18, -1
.LBB113_108:                            ;   in Loop: Header=BB113_20 Depth=1
	s_or_not1_b32 s21, s20, exec_lo
.LBB113_109:                            ;   in Loop: Header=BB113_20 Depth=1
	s_wait_alu 0xfffe
	s_or_b32 exec_lo, exec_lo, s12
	v_readfirstlane_b32 s20, v0
	s_and_not1_b32 s12, s74, exec_lo
	s_and_b32 s18, s18, exec_lo
	s_and_not1_b32 s22, s72, exec_lo
	s_and_b32 s16, s16, exec_lo
	s_and_not1_b32 s71, s71, exec_lo
	s_wait_alu 0xfffe
	s_or_b32 s74, s12, s18
	s_or_b32 s72, s22, s16
                                        ; implicit-def: $vgpr8
	s_and_saveexec_b32 s12, s21
	s_cbranch_execz .LBB113_19
; %bb.110:                              ;   in Loop: Header=BB113_20 Depth=1
	v_dual_mov_b32 v8, 1 :: v_dual_mov_b32 v7, 1
	s_xor_b32 s15, s15, -1
	s_mov_b32 s20, 0
	s_wait_alu 0xfffe
	s_and_saveexec_b32 s14, s15
	s_cbranch_execz .LBB113_119
; %bb.111:                              ;   in Loop: Header=BB113_20 Depth=1
	s_mov_b32 s15, exec_lo
	v_cmpx_ge_u32_e64 s13, v41
	s_wait_alu 0xfffe
	s_xor_b32 s15, exec_lo, s15
	s_cbranch_execz .LBB113_116
; %bb.112:                              ;   in Loop: Header=BB113_20 Depth=1
	ds_load_b32 v1, v13 offset:4104
	v_and_b32_e32 v19, s11, v19
	v_and_b32_e32 v18, s10, v18
	v_or_b32_e32 v22, s9, v22
	v_or_b32_e32 v21, s8, v21
	s_wait_dscnt 0x0
	v_cmp_ne_u32_e32 vcc_lo, 0, v1
	s_cbranch_vccnz .LBB113_116
; %bb.113:                              ;   in Loop: Header=BB113_20 Depth=1
	s_and_saveexec_b32 s16, s0
; %bb.114:                              ;   in Loop: Header=BB113_20 Depth=1
	v_mov_b32_e32 v1, s13
	ds_store_b32 v13, v1 offset:4108
; %bb.115:                              ;   in Loop: Header=BB113_20 Depth=1
	s_wait_alu 0xfffe
	s_or_b32 exec_lo, exec_lo, s16
	s_wait_loadcnt_dscnt 0x0
	s_barrier_signal -1
	s_barrier_wait -1
	global_inv scope:SCOPE_SE
.LBB113_116:                            ;   in Loop: Header=BB113_20 Depth=1
	s_wait_alu 0xfffe
	s_or_saveexec_b32 s15, s15
	v_mov_b32_e32 v7, 8
	s_mov_b32 s16, 0
	s_wait_alu 0xfffe
	s_xor_b32 exec_lo, exec_lo, s15
; %bb.117:                              ;   in Loop: Header=BB113_20 Depth=1
	v_subrev_nc_u32_e32 v41, s13, v41
	v_mov_b32_e32 v7, 0
	s_mov_b32 s16, exec_lo
; %bb.118:                              ;   in Loop: Header=BB113_20 Depth=1
	s_or_b32 exec_lo, exec_lo, s15
	s_delay_alu instid0(VALU_DEP_2)
	v_mov_b32_e32 v8, v41
	s_wait_alu 0xfffe
	s_and_b32 s20, s16, exec_lo
.LBB113_119:                            ;   in Loop: Header=BB113_20 Depth=1
	s_wait_alu 0xfffe
	s_or_b32 exec_lo, exec_lo, s14
	s_mov_b32 s13, -1
	s_mov_b32 s18, -1
                                        ; implicit-def: $sgpr15
                                        ; implicit-def: $sgpr16
	s_and_saveexec_b32 s14, s20
	s_wait_alu 0xfffe
	s_xor_b32 s14, exec_lo, s14
	s_cbranch_execz .LBB113_245
; %bb.120:                              ;   in Loop: Header=BB113_20 Depth=1
	v_cmp_eq_u32_e32 vcc_lo, 1, v8
	s_cmp_eq_u32 s19, 1
	s_mov_b32 s21, -1
	s_cselect_b32 s15, -1, 0
                                        ; implicit-def: $sgpr16
	s_wait_alu 0xfffe
	s_and_b32 s20, s15, vcc_lo
                                        ; implicit-def: $sgpr15
	s_wait_alu 0xfffe
	s_and_saveexec_b32 s18, s20
	s_cbranch_execz .LBB113_151
; %bb.121:                              ;   in Loop: Header=BB113_20 Depth=1
	ds_load_b32 v1, v13 offset:4104
	s_wait_loadcnt_dscnt 0x0
	s_barrier_signal -1
	s_barrier_wait -1
	global_inv scope:SCOPE_SE
	v_readfirstlane_b32 s22, v1
	s_and_saveexec_b32 s15, s1
; %bb.122:                              ;   in Loop: Header=BB113_20 Depth=1
	v_mov_b32_e32 v12, v13
	ds_store_b64 v30, v[12:13]
; %bb.123:                              ;   in Loop: Header=BB113_20 Depth=1
	s_wait_alu 0xfffe
	s_or_b32 exec_lo, exec_lo, s15
	v_and_b32_e32 v1, s11, v19
	v_and_b32_e32 v3, s10, v18
	s_lshl_b64 s[24:25], 1, s76
	v_or_b32_e32 v22, s9, v22
	v_or_b32_e32 v21, s8, v21
	s_wait_alu 0xfffe
	v_or_b32_e32 v19, s25, v1
	v_or_b32_e32 v18, s24, v3
	s_mov_b32 s15, -1
	s_mov_b32 s16, 0
	s_cmp_eq_u32 s22, 0
	s_mov_b32 s21, 0
	s_mov_b32 s23, -1
	s_wait_loadcnt_dscnt 0x0
	s_barrier_signal -1
	s_barrier_wait -1
	global_inv scope:SCOPE_SE
                                        ; implicit-def: $vgpr5_vgpr6
	s_cbranch_scc1 .LBB113_138
; %bb.124:                              ;   in Loop: Header=BB113_20 Depth=1
	s_add_co_i32 s48, s22, s46
                                        ; implicit-def: $vgpr5_vgpr6
	s_wait_alu 0xfffe
	s_mul_u64 s[24:25], s[48:49], s[52:53]
	s_mov_b32 s24, exec_lo
	s_wait_alu 0xfffe
	s_mul_i32 s21, s25, s29
	s_wait_alu 0xfffe
	s_sub_co_i32 s21, s48, s21
	s_wait_alu 0xfffe
	s_sub_co_i32 s23, s21, s29
	s_cmp_ge_u32 s21, s29
	s_wait_alu 0xfffe
	s_cselect_b32 s21, s23, s21
	s_wait_alu 0xfffe
	s_sub_co_i32 s23, s21, s29
	s_cmp_ge_u32 s21, s29
	s_wait_alu 0xfffe
	s_cselect_b32 s21, s23, s21
	s_mov_b32 s23, 0
	s_wait_alu 0xfffe
	s_sub_co_i32 s25, s48, s21
	s_mov_b32 s21, 0
	s_wait_alu 0xfffe
	v_cmpx_gt_u32_e64 s25, v0
	s_cbranch_execz .LBB113_137
; %bb.125:                              ;   in Loop: Header=BB113_20 Depth=1
	v_dual_mov_b32 v9, v29 :: v_dual_mov_b32 v10, v0
                                        ; implicit-def: $sgpr26
	s_branch .LBB113_129
.LBB113_126:                            ;   in Loop: Header=BB113_129 Depth=2
	s_wait_alu 0xfffe
	s_or_b32 exec_lo, exec_lo, s48
	s_wait_loadcnt_dscnt 0x0
	s_barrier_signal -1
	s_barrier_wait -1
	global_inv scope:SCOPE_SE
	ds_load_b128 v[3:6], v13 offset:3072
	s_wait_loadcnt_dscnt 0x0
	s_barrier_signal -1
	s_barrier_wait -1
	global_inv scope:SCOPE_SE
	v_cmp_neq_f64_e32 vcc_lo, 0, v[3:4]
	s_cbranch_vccnz .LBB113_132
; %bb.127:                              ;   in Loop: Header=BB113_129 Depth=2
	v_add_nc_u32_e32 v10, s29, v10
	v_add_nc_u32_e32 v9, s68, v9
	s_mov_b32 s48, 0
	s_delay_alu instid0(VALU_DEP_2)
	v_cmp_le_u32_e32 vcc_lo, s25, v10
	s_or_not1_b32 s77, vcc_lo, exec_lo
.LBB113_128:                            ;   in Loop: Header=BB113_129 Depth=2
	s_wait_alu 0xfffe
	s_and_b32 s77, exec_lo, s77
	s_wait_alu 0xfffe
	s_or_b32 s21, s77, s21
	s_and_not1_b32 s26, s26, exec_lo
	s_and_b32 s48, s48, exec_lo
	s_wait_alu 0xfffe
	s_or_b32 s26, s26, s48
	s_and_not1_b32 exec_lo, exec_lo, s21
	s_cbranch_execz .LBB113_136
.LBB113_129:                            ;   Parent Loop BB113_20 Depth=1
                                        ; =>  This Inner Loop Header: Depth=2
	s_mov_b32 s48, exec_lo
	s_delay_alu instid0(VALU_DEP_1)
	v_cmpx_gt_u32_e64 s22, v10
	s_cbranch_execz .LBB113_126
; %bb.130:                              ;   in Loop: Header=BB113_129 Depth=2
	ds_load_b64 v[3:4], v9
	s_wait_dscnt 0x0
	v_cmp_o_f64_e32 vcc_lo, v[3:4], v[3:4]
	v_ashrrev_i32_e32 v1, 31, v4
	s_delay_alu instid0(VALU_DEP_1) | instskip(SKIP_1) | instid1(VALU_DEP_2)
	v_or_b32_e32 v5, 0x80000000, v1
	v_xor_b32_e32 v1, v1, v3
	v_xor_b32_e32 v5, v5, v4
	s_wait_alu 0xfffd
	s_delay_alu instid0(VALU_DEP_1) | instskip(NEXT) | instid1(VALU_DEP_1)
	v_cndmask_b32_e32 v5, -1, v5, vcc_lo
	v_dual_cndmask_b32 v1, -1, v1 :: v_dual_and_b32 v6, v5, v22
	s_delay_alu instid0(VALU_DEP_1) | instskip(NEXT) | instid1(VALU_DEP_1)
	v_and_b32_e32 v5, v1, v21
	v_cmp_eq_u64_e32 vcc_lo, v[5:6], v[18:19]
	s_and_b32 exec_lo, exec_lo, vcc_lo
	s_cbranch_execz .LBB113_126
; %bb.131:                              ;   in Loop: Header=BB113_129 Depth=2
	v_mov_b32_e32 v1, v13
	ds_store_b128 v13, v[1:4] offset:3072
	s_branch .LBB113_126
.LBB113_132:                            ;   in Loop: Header=BB113_129 Depth=2
	s_mov_b32 s77, -1
	s_mov_b32 s48, -1
                                        ; implicit-def: $vgpr10
                                        ; implicit-def: $vgpr9
	s_branch .LBB113_128
.LBB113_133:                            ;   in Loop: Header=BB113_20 Depth=1
	s_wait_alu 0xfffe
	s_or_b32 exec_lo, exec_lo, s10
	s_wait_loadcnt_dscnt 0x0
	s_barrier_signal -1
	s_barrier_wait -1
	global_inv scope:SCOPE_SE
	s_and_saveexec_b32 s7, s0
	s_cbranch_execz .LBB113_135
; %bb.134:                              ;   in Loop: Header=BB113_20 Depth=1
	ds_load_b32 v1, v13 offset:4112
	s_wait_dscnt 0x0
	ds_store_b32 v13, v1 offset:4104
.LBB113_135:                            ;   in Loop: Header=BB113_20 Depth=1
	s_wait_alu 0xfffe
	s_or_b32 exec_lo, exec_lo, s7
	s_wait_loadcnt_dscnt 0x0
	s_barrier_signal -1
	s_mov_b32 s7, -1
	s_barrier_wait -1
	s_and_b32 vcc_lo, exec_lo, s9
	s_wait_alu 0xfffe
	s_cbranch_vccnz .LBB113_36
	s_branch .LBB113_45
.LBB113_136:                            ;   in Loop: Header=BB113_20 Depth=1
	s_or_b32 exec_lo, exec_lo, s21
	s_wait_alu 0xfffe
	s_and_b32 s21, s26, exec_lo
.LBB113_137:                            ;   in Loop: Header=BB113_20 Depth=1
	s_or_b32 exec_lo, exec_lo, s24
.LBB113_138:                            ;   in Loop: Header=BB113_20 Depth=1
	s_wait_alu 0xfffe
	s_and_b32 vcc_lo, exec_lo, s23
	s_wait_alu 0xfffe
	s_cbranch_vccz .LBB113_150
; %bb.139:                              ;   in Loop: Header=BB113_20 Depth=1
                                        ; implicit-def: $vgpr5_vgpr6
	s_and_saveexec_b32 s15, s6
	s_cbranch_execz .LBB113_149
; %bb.140:                              ;   in Loop: Header=BB113_20 Depth=1
	v_dual_mov_b32 v12, v11 :: v_dual_mov_b32 v9, v0
	s_mov_b32 s16, 0
                                        ; implicit-def: $sgpr22
	s_branch .LBB113_144
.LBB113_141:                            ;   in Loop: Header=BB113_144 Depth=2
	s_wait_alu 0xfffe
	s_or_b32 exec_lo, exec_lo, s23
	s_wait_loadcnt_dscnt 0x0
	s_barrier_signal -1
	s_barrier_wait -1
	global_inv scope:SCOPE_SE
	ds_load_b128 v[3:6], v13 offset:3072
	s_wait_loadcnt_dscnt 0x0
	s_barrier_signal -1
	s_barrier_wait -1
	global_inv scope:SCOPE_SE
	v_cmp_eq_f64_e32 vcc_lo, 0, v[3:4]
	s_cbranch_vccz .LBB113_147
; %bb.142:                              ;   in Loop: Header=BB113_144 Depth=2
	v_add_nc_u32_e32 v9, s29, v9
	v_add_nc_u32_e32 v12, s57, v12
	s_mov_b32 s23, 0
	s_delay_alu instid0(VALU_DEP_2)
	v_cmp_le_u32_e32 vcc_lo, s65, v9
	s_or_not1_b32 s24, vcc_lo, exec_lo
.LBB113_143:                            ;   in Loop: Header=BB113_144 Depth=2
	s_wait_alu 0xfffe
	s_and_b32 s24, exec_lo, s24
	s_wait_alu 0xfffe
	s_or_b32 s16, s24, s16
	s_and_not1_b32 s22, s22, exec_lo
	s_and_b32 s23, s23, exec_lo
	s_wait_alu 0xfffe
	s_or_b32 s22, s22, s23
	s_and_not1_b32 exec_lo, exec_lo, s16
	s_cbranch_execz .LBB113_148
.LBB113_144:                            ;   Parent Loop BB113_20 Depth=1
                                        ; =>  This Inner Loop Header: Depth=2
	s_mov_b32 s23, exec_lo
	s_delay_alu instid0(VALU_DEP_1)
	v_cmpx_gt_u32_e64 s28, v9
	s_cbranch_execz .LBB113_141
; %bb.145:                              ;   in Loop: Header=BB113_144 Depth=2
	v_lshlrev_b64_e32 v[3:4], 3, v[12:13]
	s_delay_alu instid0(VALU_DEP_1) | instskip(SKIP_1) | instid1(VALU_DEP_2)
	v_add_co_u32 v3, vcc_lo, s38, v3
	s_wait_alu 0xfffd
	v_add_co_ci_u32_e64 v4, null, s39, v4, vcc_lo
	global_load_b64 v[3:4], v[3:4], off
	s_wait_loadcnt 0x0
	v_cmp_o_f64_e32 vcc_lo, v[3:4], v[3:4]
	v_ashrrev_i32_e32 v1, 31, v4
	s_delay_alu instid0(VALU_DEP_1) | instskip(SKIP_1) | instid1(VALU_DEP_2)
	v_or_b32_e32 v5, 0x80000000, v1
	v_xor_b32_e32 v1, v1, v3
	v_xor_b32_e32 v5, v5, v4
	s_wait_alu 0xfffd
	s_delay_alu instid0(VALU_DEP_1) | instskip(NEXT) | instid1(VALU_DEP_1)
	v_cndmask_b32_e32 v5, -1, v5, vcc_lo
	v_dual_cndmask_b32 v1, -1, v1 :: v_dual_and_b32 v6, v5, v22
	s_delay_alu instid0(VALU_DEP_1) | instskip(NEXT) | instid1(VALU_DEP_1)
	v_and_b32_e32 v5, v1, v21
	v_cmp_eq_u64_e32 vcc_lo, v[5:6], v[18:19]
	s_and_b32 exec_lo, exec_lo, vcc_lo
	s_cbranch_execz .LBB113_141
; %bb.146:                              ;   in Loop: Header=BB113_144 Depth=2
	v_mov_b32_e32 v1, v13
	ds_store_b128 v13, v[1:4] offset:3072
	s_branch .LBB113_141
.LBB113_147:                            ;   in Loop: Header=BB113_144 Depth=2
	s_mov_b32 s24, -1
	s_mov_b32 s23, -1
                                        ; implicit-def: $vgpr9
	s_branch .LBB113_143
.LBB113_148:                            ;   in Loop: Header=BB113_20 Depth=1
	s_or_b32 exec_lo, exec_lo, s16
	s_delay_alu instid0(SALU_CYCLE_1)
	s_and_not1_b32 s16, s21, exec_lo
	s_wait_alu 0xfffe
	s_and_b32 s21, s22, exec_lo
	s_wait_alu 0xfffe
	s_or_b32 s21, s16, s21
.LBB113_149:                            ;   in Loop: Header=BB113_20 Depth=1
	s_wait_alu 0xfffe
	s_or_b32 exec_lo, exec_lo, s15
	s_mov_b32 s15, 0
	s_mov_b32 s16, -1
.LBB113_150:                            ;   in Loop: Header=BB113_20 Depth=1
	s_or_not1_b32 s21, s21, exec_lo
.LBB113_151:                            ;   in Loop: Header=BB113_20 Depth=1
	s_wait_alu 0xfffe
	s_or_b32 exec_lo, exec_lo, s18
	s_mov_b32 s22, 0
	s_and_saveexec_b32 s18, s21
	s_cbranch_execz .LBB113_244
; %bb.152:                              ;   in Loop: Header=BB113_20 Depth=1
	v_mov_b32_e32 v9, 1
	v_mov_b32_e32 v7, 1
	s_xor_b32 s21, s20, -1
	s_mov_b32 s23, 0
	s_wait_alu 0xfffe
	s_and_saveexec_b32 s20, s21
	s_cbranch_execz .LBB113_161
; %bb.153:                              ;   in Loop: Header=BB113_20 Depth=1
	s_mov_b32 s21, exec_lo
	v_cmpx_ge_u32_e64 s19, v8
	s_wait_alu 0xfffe
	s_xor_b32 s21, exec_lo, s21
	s_cbranch_execz .LBB113_158
; %bb.154:                              ;   in Loop: Header=BB113_20 Depth=1
	ds_load_b32 v1, v13 offset:4104
	v_and_b32_e32 v3, s11, v19
	v_and_b32_e32 v4, s10, v18
	s_lshl_b64 s[22:23], 1, s76
	v_or_b32_e32 v22, s9, v22
	v_or_b32_e32 v21, s8, v21
	s_wait_alu 0xfffe
	v_or_b32_e32 v19, s23, v3
	v_or_b32_e32 v18, s22, v4
	s_wait_dscnt 0x0
	v_cmp_ne_u32_e32 vcc_lo, 0, v1
	s_cbranch_vccnz .LBB113_158
; %bb.155:                              ;   in Loop: Header=BB113_20 Depth=1
	s_and_saveexec_b32 s22, s0
; %bb.156:                              ;   in Loop: Header=BB113_20 Depth=1
	v_mov_b32_e32 v1, s19
	ds_store_b32 v13, v1 offset:4108
; %bb.157:                              ;   in Loop: Header=BB113_20 Depth=1
	s_wait_alu 0xfffe
	s_or_b32 exec_lo, exec_lo, s22
	s_wait_loadcnt_dscnt 0x0
	s_barrier_signal -1
	s_barrier_wait -1
	global_inv scope:SCOPE_SE
.LBB113_158:                            ;   in Loop: Header=BB113_20 Depth=1
	s_wait_alu 0xfffe
	s_or_saveexec_b32 s21, s21
	v_mov_b32_e32 v7, 8
	s_mov_b32 s22, 0
	s_wait_alu 0xfffe
	s_xor_b32 exec_lo, exec_lo, s21
; %bb.159:                              ;   in Loop: Header=BB113_20 Depth=1
	v_subrev_nc_u32_e32 v8, s19, v8
	v_mov_b32_e32 v7, 0
	s_mov_b32 s22, exec_lo
; %bb.160:                              ;   in Loop: Header=BB113_20 Depth=1
	s_or_b32 exec_lo, exec_lo, s21
	s_delay_alu instid0(VALU_DEP_2)
	v_mov_b32_e32 v9, v8
	s_wait_alu 0xfffe
	s_and_b32 s23, s22, exec_lo
.LBB113_161:                            ;   in Loop: Header=BB113_20 Depth=1
	s_wait_alu 0xfffe
	s_or_b32 exec_lo, exec_lo, s20
	s_mov_b32 s22, -1
                                        ; implicit-def: $sgpr20
                                        ; implicit-def: $sgpr21
	s_and_saveexec_b32 s19, s23
	s_cbranch_execz .LBB113_243
; %bb.162:                              ;   in Loop: Header=BB113_20 Depth=1
	v_cmp_eq_u32_e32 vcc_lo, 1, v9
	s_cmp_eq_u32 s17, 1
	s_mov_b32 s24, -1
	s_cselect_b32 s20, -1, 0
                                        ; implicit-def: $sgpr21
	s_wait_alu 0xfffe
	s_and_b32 s23, s20, vcc_lo
                                        ; implicit-def: $sgpr20
	s_wait_alu 0xfffe
	s_and_saveexec_b32 s22, s23
	s_cbranch_execz .LBB113_190
; %bb.163:                              ;   in Loop: Header=BB113_20 Depth=1
	ds_load_b32 v1, v13 offset:4104
	s_wait_loadcnt_dscnt 0x0
	s_barrier_signal -1
	s_barrier_wait -1
	global_inv scope:SCOPE_SE
	v_readfirstlane_b32 s25, v1
	s_and_saveexec_b32 s20, s1
; %bb.164:                              ;   in Loop: Header=BB113_20 Depth=1
	v_mov_b32_e32 v12, v13
	ds_store_b64 v30, v[12:13]
; %bb.165:                              ;   in Loop: Header=BB113_20 Depth=1
	s_wait_alu 0xfffe
	s_or_b32 exec_lo, exec_lo, s20
	v_and_b32_e32 v1, s11, v19
	v_and_b32_e32 v3, s10, v18
	s_lshl_b64 s[20:21], 2, s76
	v_or_b32_e32 v22, s9, v22
	v_or_b32_e32 v21, s8, v21
	s_wait_alu 0xfffe
	v_or_b32_e32 v19, s21, v1
	v_or_b32_e32 v18, s20, v3
	s_mov_b32 s20, -1
	s_mov_b32 s21, 0
	s_cmp_eq_u32 s25, 0
	s_mov_b32 s24, 0
	s_mov_b32 s26, -1
	s_wait_loadcnt_dscnt 0x0
	s_barrier_signal -1
	s_barrier_wait -1
	global_inv scope:SCOPE_SE
                                        ; implicit-def: $vgpr5_vgpr6
	s_cbranch_scc1 .LBB113_177
; %bb.166:                              ;   in Loop: Header=BB113_20 Depth=1
	s_add_co_i32 s48, s25, s46
                                        ; implicit-def: $vgpr5_vgpr6
	s_wait_alu 0xfffe
	s_mul_u64 s[78:79], s[48:49], s[52:53]
	s_wait_alu 0xfffe
	s_mul_i32 s24, s79, s29
	s_wait_alu 0xfffe
	s_sub_co_i32 s24, s48, s24
	s_wait_alu 0xfffe
	s_sub_co_i32 s26, s24, s29
	s_cmp_ge_u32 s24, s29
	s_wait_alu 0xfffe
	s_cselect_b32 s24, s26, s24
	s_wait_alu 0xfffe
	s_sub_co_i32 s26, s24, s29
	s_cmp_ge_u32 s24, s29
	s_wait_alu 0xfffe
	s_cselect_b32 s24, s26, s24
	s_mov_b32 s26, 0
	s_wait_alu 0xfffe
	s_sub_co_i32 s77, s48, s24
	s_mov_b32 s24, 0
	s_mov_b32 s48, exec_lo
	s_wait_alu 0xfffe
	v_cmpx_gt_u32_e64 s77, v0
	s_cbranch_execz .LBB113_176
; %bb.167:                              ;   in Loop: Header=BB113_20 Depth=1
	v_mov_b32_e32 v8, v29
	v_mov_b32_e32 v10, v0
                                        ; implicit-def: $sgpr78
	s_branch .LBB113_171
.LBB113_168:                            ;   in Loop: Header=BB113_171 Depth=2
	s_wait_alu 0xfffe
	s_or_b32 exec_lo, exec_lo, s79
	s_wait_loadcnt_dscnt 0x0
	s_barrier_signal -1
	s_barrier_wait -1
	global_inv scope:SCOPE_SE
	ds_load_b128 v[3:6], v13 offset:3072
	s_wait_loadcnt_dscnt 0x0
	s_barrier_signal -1
	s_barrier_wait -1
	global_inv scope:SCOPE_SE
	v_cmp_neq_f64_e32 vcc_lo, 0, v[3:4]
	s_cbranch_vccnz .LBB113_174
; %bb.169:                              ;   in Loop: Header=BB113_171 Depth=2
	v_add_nc_u32_e32 v10, s29, v10
	v_add_nc_u32_e32 v8, s68, v8
	s_mov_b32 s79, 0
	s_delay_alu instid0(VALU_DEP_2)
	v_cmp_le_u32_e32 vcc_lo, s77, v10
	s_or_not1_b32 s80, vcc_lo, exec_lo
.LBB113_170:                            ;   in Loop: Header=BB113_171 Depth=2
	s_wait_alu 0xfffe
	s_and_b32 s80, exec_lo, s80
	s_wait_alu 0xfffe
	s_or_b32 s24, s80, s24
	s_and_not1_b32 s78, s78, exec_lo
	s_and_b32 s79, s79, exec_lo
	s_wait_alu 0xfffe
	s_or_b32 s78, s78, s79
	s_and_not1_b32 exec_lo, exec_lo, s24
	s_cbranch_execz .LBB113_175
.LBB113_171:                            ;   Parent Loop BB113_20 Depth=1
                                        ; =>  This Inner Loop Header: Depth=2
	s_mov_b32 s79, exec_lo
	s_delay_alu instid0(VALU_DEP_1)
	v_cmpx_gt_u32_e64 s25, v10
	s_cbranch_execz .LBB113_168
; %bb.172:                              ;   in Loop: Header=BB113_171 Depth=2
	ds_load_b64 v[3:4], v8
	s_wait_dscnt 0x0
	v_cmp_o_f64_e32 vcc_lo, v[3:4], v[3:4]
	v_ashrrev_i32_e32 v1, 31, v4
	s_delay_alu instid0(VALU_DEP_1) | instskip(SKIP_1) | instid1(VALU_DEP_2)
	v_or_b32_e32 v5, 0x80000000, v1
	v_xor_b32_e32 v1, v1, v3
	v_xor_b32_e32 v5, v5, v4
	s_wait_alu 0xfffd
	s_delay_alu instid0(VALU_DEP_1) | instskip(NEXT) | instid1(VALU_DEP_1)
	v_cndmask_b32_e32 v5, -1, v5, vcc_lo
	v_dual_cndmask_b32 v1, -1, v1 :: v_dual_and_b32 v6, v5, v22
	s_delay_alu instid0(VALU_DEP_1) | instskip(NEXT) | instid1(VALU_DEP_1)
	v_and_b32_e32 v5, v1, v21
	v_cmp_eq_u64_e32 vcc_lo, v[5:6], v[18:19]
	s_and_b32 exec_lo, exec_lo, vcc_lo
	s_cbranch_execz .LBB113_168
; %bb.173:                              ;   in Loop: Header=BB113_171 Depth=2
	v_mov_b32_e32 v1, v13
	ds_store_b128 v13, v[1:4] offset:3072
	s_branch .LBB113_168
.LBB113_174:                            ;   in Loop: Header=BB113_171 Depth=2
	s_mov_b32 s80, -1
	s_mov_b32 s79, -1
                                        ; implicit-def: $vgpr10
                                        ; implicit-def: $vgpr8
	s_branch .LBB113_170
.LBB113_175:                            ;   in Loop: Header=BB113_20 Depth=1
	s_or_b32 exec_lo, exec_lo, s24
	s_wait_alu 0xfffe
	s_and_b32 s24, s78, exec_lo
.LBB113_176:                            ;   in Loop: Header=BB113_20 Depth=1
	s_or_b32 exec_lo, exec_lo, s48
.LBB113_177:                            ;   in Loop: Header=BB113_20 Depth=1
	s_wait_alu 0xfffe
	s_and_b32 vcc_lo, exec_lo, s26
	s_wait_alu 0xfffe
	s_cbranch_vccz .LBB113_189
; %bb.178:                              ;   in Loop: Header=BB113_20 Depth=1
                                        ; implicit-def: $vgpr5_vgpr6
	s_and_saveexec_b32 s20, s6
	s_cbranch_execz .LBB113_188
; %bb.179:                              ;   in Loop: Header=BB113_20 Depth=1
	v_mov_b32_e32 v12, v11
	v_mov_b32_e32 v8, v0
	s_mov_b32 s21, 0
                                        ; implicit-def: $sgpr25
	s_branch .LBB113_183
.LBB113_180:                            ;   in Loop: Header=BB113_183 Depth=2
	s_wait_alu 0xfffe
	s_or_b32 exec_lo, exec_lo, s26
	s_wait_loadcnt_dscnt 0x0
	s_barrier_signal -1
	s_barrier_wait -1
	global_inv scope:SCOPE_SE
	ds_load_b128 v[3:6], v13 offset:3072
	s_wait_loadcnt_dscnt 0x0
	s_barrier_signal -1
	s_barrier_wait -1
	global_inv scope:SCOPE_SE
	v_cmp_eq_f64_e32 vcc_lo, 0, v[3:4]
	s_cbranch_vccz .LBB113_186
; %bb.181:                              ;   in Loop: Header=BB113_183 Depth=2
	v_add_nc_u32_e32 v8, s29, v8
	v_add_nc_u32_e32 v12, s57, v12
	s_mov_b32 s26, 0
	s_delay_alu instid0(VALU_DEP_2)
	v_cmp_le_u32_e32 vcc_lo, s65, v8
	s_or_not1_b32 s48, vcc_lo, exec_lo
.LBB113_182:                            ;   in Loop: Header=BB113_183 Depth=2
	s_wait_alu 0xfffe
	s_and_b32 s48, exec_lo, s48
	s_wait_alu 0xfffe
	s_or_b32 s21, s48, s21
	s_and_not1_b32 s25, s25, exec_lo
	s_and_b32 s26, s26, exec_lo
	s_wait_alu 0xfffe
	s_or_b32 s25, s25, s26
	s_and_not1_b32 exec_lo, exec_lo, s21
	s_cbranch_execz .LBB113_187
.LBB113_183:                            ;   Parent Loop BB113_20 Depth=1
                                        ; =>  This Inner Loop Header: Depth=2
	s_mov_b32 s26, exec_lo
	s_delay_alu instid0(VALU_DEP_1)
	v_cmpx_gt_u32_e64 s28, v8
	s_cbranch_execz .LBB113_180
; %bb.184:                              ;   in Loop: Header=BB113_183 Depth=2
	v_lshlrev_b64_e32 v[3:4], 3, v[12:13]
	s_delay_alu instid0(VALU_DEP_1) | instskip(SKIP_1) | instid1(VALU_DEP_2)
	v_add_co_u32 v3, vcc_lo, s38, v3
	s_wait_alu 0xfffd
	v_add_co_ci_u32_e64 v4, null, s39, v4, vcc_lo
	global_load_b64 v[3:4], v[3:4], off
	s_wait_loadcnt 0x0
	v_cmp_o_f64_e32 vcc_lo, v[3:4], v[3:4]
	v_ashrrev_i32_e32 v1, 31, v4
	s_delay_alu instid0(VALU_DEP_1) | instskip(SKIP_1) | instid1(VALU_DEP_2)
	v_or_b32_e32 v5, 0x80000000, v1
	v_xor_b32_e32 v1, v1, v3
	v_xor_b32_e32 v5, v5, v4
	s_wait_alu 0xfffd
	s_delay_alu instid0(VALU_DEP_1) | instskip(NEXT) | instid1(VALU_DEP_1)
	v_cndmask_b32_e32 v5, -1, v5, vcc_lo
	v_dual_cndmask_b32 v1, -1, v1 :: v_dual_and_b32 v6, v5, v22
	s_delay_alu instid0(VALU_DEP_1) | instskip(NEXT) | instid1(VALU_DEP_1)
	v_and_b32_e32 v5, v1, v21
	v_cmp_eq_u64_e32 vcc_lo, v[5:6], v[18:19]
	s_and_b32 exec_lo, exec_lo, vcc_lo
	s_cbranch_execz .LBB113_180
; %bb.185:                              ;   in Loop: Header=BB113_183 Depth=2
	v_mov_b32_e32 v1, v13
	ds_store_b128 v13, v[1:4] offset:3072
	s_branch .LBB113_180
.LBB113_186:                            ;   in Loop: Header=BB113_183 Depth=2
	s_mov_b32 s48, -1
	s_mov_b32 s26, -1
                                        ; implicit-def: $vgpr8
	s_branch .LBB113_182
.LBB113_187:                            ;   in Loop: Header=BB113_20 Depth=1
	s_or_b32 exec_lo, exec_lo, s21
	s_delay_alu instid0(SALU_CYCLE_1)
	s_and_not1_b32 s21, s24, exec_lo
	s_wait_alu 0xfffe
	s_and_b32 s24, s25, exec_lo
	s_wait_alu 0xfffe
	s_or_b32 s24, s21, s24
.LBB113_188:                            ;   in Loop: Header=BB113_20 Depth=1
	s_wait_alu 0xfffe
	s_or_b32 exec_lo, exec_lo, s20
	s_mov_b32 s20, 0
	s_mov_b32 s21, -1
.LBB113_189:                            ;   in Loop: Header=BB113_20 Depth=1
	s_or_not1_b32 s24, s24, exec_lo
.LBB113_190:                            ;   in Loop: Header=BB113_20 Depth=1
	s_wait_alu 0xfffe
	s_or_b32 exec_lo, exec_lo, s22
	s_mov_b32 s25, 0
	s_and_saveexec_b32 s22, s24
	s_cbranch_execz .LBB113_242
; %bb.191:                              ;   in Loop: Header=BB113_20 Depth=1
	v_dual_mov_b32 v8, 1 :: v_dual_mov_b32 v7, 1
	s_xor_b32 s25, s23, -1
	s_mov_b32 s24, 0
	s_wait_alu 0xfffe
	s_and_saveexec_b32 s23, s25
	s_cbranch_execz .LBB113_200
; %bb.192:                              ;   in Loop: Header=BB113_20 Depth=1
	s_mov_b32 s24, exec_lo
	v_cmpx_ge_u32_e64 s17, v9
	s_wait_alu 0xfffe
	s_xor_b32 s24, exec_lo, s24
	s_cbranch_execz .LBB113_197
; %bb.193:                              ;   in Loop: Header=BB113_20 Depth=1
	ds_load_b32 v1, v13 offset:4104
	v_and_b32_e32 v3, s11, v19
	v_and_b32_e32 v4, s10, v18
	s_lshl_b64 s[10:11], 2, s76
	v_or_b32_e32 v22, s9, v22
	v_or_b32_e32 v21, s8, v21
	s_wait_alu 0xfffe
	v_or_b32_e32 v19, s11, v3
	v_or_b32_e32 v18, s10, v4
	s_wait_dscnt 0x0
	v_cmp_ne_u32_e32 vcc_lo, 0, v1
	s_cbranch_vccnz .LBB113_197
; %bb.194:                              ;   in Loop: Header=BB113_20 Depth=1
	s_and_saveexec_b32 s10, s0
; %bb.195:                              ;   in Loop: Header=BB113_20 Depth=1
	v_mov_b32_e32 v1, s17
	ds_store_b32 v13, v1 offset:4108
; %bb.196:                              ;   in Loop: Header=BB113_20 Depth=1
	s_wait_alu 0xfffe
	s_or_b32 exec_lo, exec_lo, s10
	s_wait_loadcnt_dscnt 0x0
	s_barrier_signal -1
	s_barrier_wait -1
	global_inv scope:SCOPE_SE
.LBB113_197:                            ;   in Loop: Header=BB113_20 Depth=1
	s_wait_alu 0xfffe
	s_or_saveexec_b32 s10, s24
	v_mov_b32_e32 v7, 8
	s_mov_b32 s11, 0
	s_wait_alu 0xfffe
	s_xor_b32 exec_lo, exec_lo, s10
; %bb.198:                              ;   in Loop: Header=BB113_20 Depth=1
	v_subrev_nc_u32_e32 v9, s17, v9
	v_mov_b32_e32 v7, 0
	s_mov_b32 s11, exec_lo
; %bb.199:                              ;   in Loop: Header=BB113_20 Depth=1
	s_or_b32 exec_lo, exec_lo, s10
	s_delay_alu instid0(VALU_DEP_2)
	v_mov_b32_e32 v8, v9
	s_wait_alu 0xfffe
	s_and_b32 s24, s11, exec_lo
.LBB113_200:                            ;   in Loop: Header=BB113_20 Depth=1
	s_wait_alu 0xfffe
	s_or_b32 exec_lo, exec_lo, s23
	s_mov_b32 s11, -1
                                        ; implicit-def: $sgpr23
                                        ; implicit-def: $sgpr17
	s_and_saveexec_b32 s10, s24
	s_cbranch_execz .LBB113_241
; %bb.201:                              ;   in Loop: Header=BB113_20 Depth=1
	v_cmp_eq_u32_e32 vcc_lo, 1, v8
	s_cmp_eq_u32 s7, 1
	s_mov_b32 s25, -1
	s_cselect_b32 s11, -1, 0
                                        ; implicit-def: $sgpr23
                                        ; implicit-def: $sgpr17
	s_wait_alu 0xfffe
	s_and_b32 s11, s11, vcc_lo
	s_wait_alu 0xfffe
	s_and_saveexec_b32 s24, s11
	s_cbranch_execz .LBB113_229
; %bb.202:                              ;   in Loop: Header=BB113_20 Depth=1
	ds_load_b32 v1, v13 offset:4104
	s_wait_loadcnt_dscnt 0x0
	s_barrier_signal -1
	s_barrier_wait -1
	global_inv scope:SCOPE_SE
	v_readfirstlane_b32 s26, v1
	s_and_saveexec_b32 s17, s1
; %bb.203:                              ;   in Loop: Header=BB113_20 Depth=1
	v_mov_b32_e32 v12, v13
	ds_store_b64 v30, v[12:13]
; %bb.204:                              ;   in Loop: Header=BB113_20 Depth=1
	s_wait_alu 0xfffe
	s_or_b32 exec_lo, exec_lo, s17
	v_or_b32_e32 v19, s9, v19
	v_or_b32_e32 v18, s8, v18
	v_or_b32_e32 v22, s9, v22
	v_or_b32_e32 v21, s8, v21
	s_mov_b32 s17, -1
	s_mov_b32 s23, 0
	s_cmp_eq_u32 s26, 0
	s_mov_b32 s25, 0
	s_mov_b32 s48, -1
	s_wait_loadcnt_dscnt 0x0
	s_barrier_signal -1
	s_barrier_wait -1
	global_inv scope:SCOPE_SE
                                        ; implicit-def: $vgpr5_vgpr6
	s_cbranch_scc1 .LBB113_216
; %bb.205:                              ;   in Loop: Header=BB113_20 Depth=1
	s_add_co_i32 s48, s26, s46
                                        ; implicit-def: $vgpr5_vgpr6
	s_wait_alu 0xfffe
	s_mul_u64 s[78:79], s[48:49], s[52:53]
	s_wait_alu 0xfffe
	s_mul_i32 s25, s79, s29
	s_wait_alu 0xfffe
	s_sub_co_i32 s25, s48, s25
	s_wait_alu 0xfffe
	s_sub_co_i32 s77, s25, s29
	s_cmp_ge_u32 s25, s29
	s_wait_alu 0xfffe
	s_cselect_b32 s25, s77, s25
	s_wait_alu 0xfffe
	s_sub_co_i32 s77, s25, s29
	s_cmp_ge_u32 s25, s29
	s_wait_alu 0xfffe
	s_cselect_b32 s25, s77, s25
	s_mov_b32 s77, exec_lo
	s_wait_alu 0xfffe
	s_sub_co_i32 s78, s48, s25
	s_mov_b32 s48, 0
	s_mov_b32 s25, 0
	s_wait_alu 0xfffe
	v_cmpx_gt_u32_e64 s78, v0
	s_cbranch_execz .LBB113_215
; %bb.206:                              ;   in Loop: Header=BB113_20 Depth=1
	v_dual_mov_b32 v9, v29 :: v_dual_mov_b32 v10, v0
                                        ; implicit-def: $sgpr79
	s_branch .LBB113_210
.LBB113_207:                            ;   in Loop: Header=BB113_210 Depth=2
	s_wait_alu 0xfffe
	s_or_b32 exec_lo, exec_lo, s80
	s_wait_loadcnt_dscnt 0x0
	s_barrier_signal -1
	s_barrier_wait -1
	global_inv scope:SCOPE_SE
	ds_load_b128 v[3:6], v13 offset:3072
	s_wait_loadcnt_dscnt 0x0
	s_barrier_signal -1
	s_barrier_wait -1
	global_inv scope:SCOPE_SE
	v_cmp_neq_f64_e32 vcc_lo, 0, v[3:4]
	s_cbranch_vccnz .LBB113_213
; %bb.208:                              ;   in Loop: Header=BB113_210 Depth=2
	v_add_nc_u32_e32 v10, s29, v10
	v_add_nc_u32_e32 v9, s68, v9
	s_mov_b32 s80, 0
	s_delay_alu instid0(VALU_DEP_2)
	v_cmp_le_u32_e32 vcc_lo, s78, v10
	s_or_not1_b32 s81, vcc_lo, exec_lo
.LBB113_209:                            ;   in Loop: Header=BB113_210 Depth=2
	s_wait_alu 0xfffe
	s_and_b32 s81, exec_lo, s81
	s_wait_alu 0xfffe
	s_or_b32 s25, s81, s25
	s_and_not1_b32 s79, s79, exec_lo
	s_and_b32 s80, s80, exec_lo
	s_wait_alu 0xfffe
	s_or_b32 s79, s79, s80
	s_and_not1_b32 exec_lo, exec_lo, s25
	s_cbranch_execz .LBB113_214
.LBB113_210:                            ;   Parent Loop BB113_20 Depth=1
                                        ; =>  This Inner Loop Header: Depth=2
	s_mov_b32 s80, exec_lo
	s_delay_alu instid0(VALU_DEP_1)
	v_cmpx_gt_u32_e64 s26, v10
	s_cbranch_execz .LBB113_207
; %bb.211:                              ;   in Loop: Header=BB113_210 Depth=2
	ds_load_b64 v[3:4], v9
	s_wait_dscnt 0x0
	v_cmp_o_f64_e32 vcc_lo, v[3:4], v[3:4]
	v_ashrrev_i32_e32 v1, 31, v4
	s_delay_alu instid0(VALU_DEP_1) | instskip(SKIP_1) | instid1(VALU_DEP_2)
	v_or_b32_e32 v5, 0x80000000, v1
	v_xor_b32_e32 v1, v1, v3
	v_xor_b32_e32 v5, v5, v4
	s_wait_alu 0xfffd
	s_delay_alu instid0(VALU_DEP_1) | instskip(NEXT) | instid1(VALU_DEP_1)
	v_cndmask_b32_e32 v5, -1, v5, vcc_lo
	v_dual_cndmask_b32 v1, -1, v1 :: v_dual_and_b32 v6, v5, v22
	s_delay_alu instid0(VALU_DEP_1) | instskip(NEXT) | instid1(VALU_DEP_1)
	v_and_b32_e32 v5, v1, v21
	v_cmp_eq_u64_e32 vcc_lo, v[5:6], v[18:19]
	s_and_b32 exec_lo, exec_lo, vcc_lo
	s_cbranch_execz .LBB113_207
; %bb.212:                              ;   in Loop: Header=BB113_210 Depth=2
	v_mov_b32_e32 v1, v13
	ds_store_b128 v13, v[1:4] offset:3072
	s_branch .LBB113_207
.LBB113_213:                            ;   in Loop: Header=BB113_210 Depth=2
	s_mov_b32 s81, -1
	s_mov_b32 s80, -1
                                        ; implicit-def: $vgpr10
                                        ; implicit-def: $vgpr9
	s_branch .LBB113_209
.LBB113_214:                            ;   in Loop: Header=BB113_20 Depth=1
	s_or_b32 exec_lo, exec_lo, s25
	s_wait_alu 0xfffe
	s_and_b32 s25, s79, exec_lo
.LBB113_215:                            ;   in Loop: Header=BB113_20 Depth=1
	s_or_b32 exec_lo, exec_lo, s77
.LBB113_216:                            ;   in Loop: Header=BB113_20 Depth=1
	s_wait_alu 0xfffe
	s_and_b32 vcc_lo, exec_lo, s48
	s_wait_alu 0xfffe
	s_cbranch_vccz .LBB113_228
; %bb.217:                              ;   in Loop: Header=BB113_20 Depth=1
                                        ; implicit-def: $vgpr5_vgpr6
	s_and_saveexec_b32 s17, s6
	s_cbranch_execz .LBB113_227
; %bb.218:                              ;   in Loop: Header=BB113_20 Depth=1
	v_dual_mov_b32 v12, v11 :: v_dual_mov_b32 v9, v0
	s_mov_b32 s23, 0
                                        ; implicit-def: $sgpr26
	s_branch .LBB113_222
.LBB113_219:                            ;   in Loop: Header=BB113_222 Depth=2
	s_wait_alu 0xfffe
	s_or_b32 exec_lo, exec_lo, s48
	s_wait_loadcnt_dscnt 0x0
	s_barrier_signal -1
	s_barrier_wait -1
	global_inv scope:SCOPE_SE
	ds_load_b128 v[3:6], v13 offset:3072
	s_wait_loadcnt_dscnt 0x0
	s_barrier_signal -1
	s_barrier_wait -1
	global_inv scope:SCOPE_SE
	v_cmp_eq_f64_e32 vcc_lo, 0, v[3:4]
	s_cbranch_vccz .LBB113_225
; %bb.220:                              ;   in Loop: Header=BB113_222 Depth=2
	v_add_nc_u32_e32 v9, s29, v9
	v_add_nc_u32_e32 v12, s57, v12
	s_mov_b32 s48, 0
	s_delay_alu instid0(VALU_DEP_2)
	v_cmp_le_u32_e32 vcc_lo, s65, v9
	s_or_not1_b32 s77, vcc_lo, exec_lo
.LBB113_221:                            ;   in Loop: Header=BB113_222 Depth=2
	s_wait_alu 0xfffe
	s_and_b32 s77, exec_lo, s77
	s_wait_alu 0xfffe
	s_or_b32 s23, s77, s23
	s_and_not1_b32 s26, s26, exec_lo
	s_and_b32 s48, s48, exec_lo
	s_wait_alu 0xfffe
	s_or_b32 s26, s26, s48
	s_and_not1_b32 exec_lo, exec_lo, s23
	s_cbranch_execz .LBB113_226
.LBB113_222:                            ;   Parent Loop BB113_20 Depth=1
                                        ; =>  This Inner Loop Header: Depth=2
	s_mov_b32 s48, exec_lo
	s_delay_alu instid0(VALU_DEP_1)
	v_cmpx_gt_u32_e64 s28, v9
	s_cbranch_execz .LBB113_219
; %bb.223:                              ;   in Loop: Header=BB113_222 Depth=2
	v_lshlrev_b64_e32 v[3:4], 3, v[12:13]
	s_delay_alu instid0(VALU_DEP_1) | instskip(SKIP_1) | instid1(VALU_DEP_2)
	v_add_co_u32 v3, vcc_lo, s38, v3
	s_wait_alu 0xfffd
	v_add_co_ci_u32_e64 v4, null, s39, v4, vcc_lo
	global_load_b64 v[3:4], v[3:4], off
	s_wait_loadcnt 0x0
	v_cmp_o_f64_e32 vcc_lo, v[3:4], v[3:4]
	v_ashrrev_i32_e32 v1, 31, v4
	s_delay_alu instid0(VALU_DEP_1) | instskip(SKIP_1) | instid1(VALU_DEP_2)
	v_or_b32_e32 v5, 0x80000000, v1
	v_xor_b32_e32 v1, v1, v3
	v_xor_b32_e32 v5, v5, v4
	s_wait_alu 0xfffd
	s_delay_alu instid0(VALU_DEP_1) | instskip(NEXT) | instid1(VALU_DEP_1)
	v_cndmask_b32_e32 v5, -1, v5, vcc_lo
	v_dual_cndmask_b32 v1, -1, v1 :: v_dual_and_b32 v6, v5, v22
	s_delay_alu instid0(VALU_DEP_1) | instskip(NEXT) | instid1(VALU_DEP_1)
	v_and_b32_e32 v5, v1, v21
	v_cmp_eq_u64_e32 vcc_lo, v[5:6], v[18:19]
	s_and_b32 exec_lo, exec_lo, vcc_lo
	s_cbranch_execz .LBB113_219
; %bb.224:                              ;   in Loop: Header=BB113_222 Depth=2
	v_mov_b32_e32 v1, v13
	ds_store_b128 v13, v[1:4] offset:3072
	s_branch .LBB113_219
.LBB113_225:                            ;   in Loop: Header=BB113_222 Depth=2
	s_mov_b32 s77, -1
	s_mov_b32 s48, -1
                                        ; implicit-def: $vgpr9
	s_branch .LBB113_221
.LBB113_226:                            ;   in Loop: Header=BB113_20 Depth=1
	s_or_b32 exec_lo, exec_lo, s23
	s_delay_alu instid0(SALU_CYCLE_1)
	s_and_not1_b32 s23, s25, exec_lo
	s_wait_alu 0xfffe
	s_and_b32 s25, s26, exec_lo
	s_wait_alu 0xfffe
	s_or_b32 s25, s23, s25
.LBB113_227:                            ;   in Loop: Header=BB113_20 Depth=1
	s_wait_alu 0xfffe
	s_or_b32 exec_lo, exec_lo, s17
	s_mov_b32 s17, 0
	s_mov_b32 s23, -1
.LBB113_228:                            ;   in Loop: Header=BB113_20 Depth=1
	s_or_not1_b32 s25, s25, exec_lo
.LBB113_229:                            ;   in Loop: Header=BB113_20 Depth=1
	s_wait_alu 0xfffe
	s_or_b32 exec_lo, exec_lo, s24
	s_mov_b32 s26, 0
	s_and_saveexec_b32 s24, s25
	s_cbranch_execz .LBB113_240
; %bb.230:                              ;   in Loop: Header=BB113_20 Depth=1
	v_mov_b32_e32 v7, 1
	v_mov_b32_e32 v1, 1
	s_xor_b32 s25, s11, -1
	s_wait_alu 0xfffe
	s_and_saveexec_b32 s11, s25
	s_cbranch_execz .LBB113_239
; %bb.231:                              ;   in Loop: Header=BB113_20 Depth=1
	s_mov_b32 s25, exec_lo
	v_cmpx_ge_u32_e64 s7, v8
	s_wait_alu 0xfffe
	s_xor_b32 s25, exec_lo, s25
	s_cbranch_execz .LBB113_236
; %bb.232:                              ;   in Loop: Header=BB113_20 Depth=1
	ds_load_b32 v1, v13 offset:4104
	v_or_b32_e32 v19, s9, v19
	v_or_b32_e32 v18, s8, v18
	;; [unrolled: 1-line block ×4, first 2 shown]
	s_wait_dscnt 0x0
	v_cmp_ne_u32_e32 vcc_lo, 0, v1
	s_cbranch_vccnz .LBB113_236
; %bb.233:                              ;   in Loop: Header=BB113_20 Depth=1
	s_and_saveexec_b32 s8, s0
; %bb.234:                              ;   in Loop: Header=BB113_20 Depth=1
	v_mov_b32_e32 v1, s7
	ds_store_b32 v13, v1 offset:4108
; %bb.235:                              ;   in Loop: Header=BB113_20 Depth=1
	s_wait_alu 0xfffe
	s_or_b32 exec_lo, exec_lo, s8
	s_wait_loadcnt_dscnt 0x0
	s_barrier_signal -1
	s_barrier_wait -1
	global_inv scope:SCOPE_SE
.LBB113_236:                            ;   in Loop: Header=BB113_20 Depth=1
	s_wait_alu 0xfffe
	s_and_not1_saveexec_b32 s8, s25
; %bb.237:                              ;   in Loop: Header=BB113_20 Depth=1
	v_subrev_nc_u32_e32 v8, s7, v8
; %bb.238:                              ;   in Loop: Header=BB113_20 Depth=1
	s_wait_alu 0xfffe
	s_or_b32 exec_lo, exec_lo, s8
	v_mov_b32_e32 v7, 8
	s_delay_alu instid0(VALU_DEP_2)
	v_mov_b32_e32 v1, v8
.LBB113_239:                            ;   in Loop: Header=BB113_20 Depth=1
	s_wait_alu 0xfffe
	s_or_b32 exec_lo, exec_lo, s11
	s_delay_alu instid0(VALU_DEP_1)
	v_mov_b32_e32 v8, v1
	s_mov_b32 s26, exec_lo
.LBB113_240:                            ;   in Loop: Header=BB113_20 Depth=1
	s_wait_alu 0xfffe
	s_or_b32 exec_lo, exec_lo, s24
	s_delay_alu instid0(SALU_CYCLE_1)
	s_or_not1_b32 s11, s26, exec_lo
.LBB113_241:                            ;   in Loop: Header=BB113_20 Depth=1
	s_wait_alu 0xfffe
	s_or_b32 exec_lo, exec_lo, s10
	v_mov_b32_e32 v9, v8
	s_and_not1_b32 s7, s21, exec_lo
	s_and_b32 s8, s23, exec_lo
	s_and_not1_b32 s9, s20, exec_lo
	s_and_b32 s10, s17, exec_lo
	s_wait_alu 0xfffe
	s_or_b32 s21, s7, s8
	s_or_b32 s20, s9, s10
	s_and_b32 s25, s11, exec_lo
.LBB113_242:                            ;   in Loop: Header=BB113_20 Depth=1
	s_wait_alu 0xfffe
	s_or_b32 exec_lo, exec_lo, s22
	s_delay_alu instid0(SALU_CYCLE_1)
	s_or_not1_b32 s22, s25, exec_lo
.LBB113_243:                            ;   in Loop: Header=BB113_20 Depth=1
	s_wait_alu 0xfffe
	s_or_b32 exec_lo, exec_lo, s19
	v_mov_b32_e32 v8, v9
	s_and_not1_b32 s7, s16, exec_lo
	s_and_b32 s8, s21, exec_lo
	s_and_not1_b32 s9, s15, exec_lo
	s_and_b32 s10, s20, exec_lo
	s_wait_alu 0xfffe
	s_or_b32 s16, s7, s8
	s_or_b32 s15, s9, s10
	s_and_b32 s22, s22, exec_lo
.LBB113_244:                            ;   in Loop: Header=BB113_20 Depth=1
	s_wait_alu 0xfffe
	s_or_b32 exec_lo, exec_lo, s18
	s_delay_alu instid0(SALU_CYCLE_1)
	s_or_not1_b32 s18, s22, exec_lo
.LBB113_245:                            ;   in Loop: Header=BB113_20 Depth=1
	s_wait_alu 0xfffe
	s_or_b32 exec_lo, exec_lo, s14
	s_mov_b32 s8, 0
                                        ; implicit-def: $sgpr20
	s_and_saveexec_b32 s7, s18
	s_wait_alu 0xfffe
	s_xor_b32 s7, exec_lo, s7
	s_cbranch_execz .LBB113_18
; %bb.246:                              ;   in Loop: Header=BB113_20 Depth=1
	v_and_b32_e32 v1, 7, v7
	s_mov_b32 s9, -1
	s_mov_b32 s8, -1
	s_mov_b32 s10, exec_lo
                                        ; implicit-def: $sgpr20
	s_delay_alu instid0(VALU_DEP_1)
	v_cmpx_eq_u32_e32 0, v1
	s_cbranch_execz .LBB113_17
; %bb.247:                              ;   in Loop: Header=BB113_20 Depth=1
	s_add_co_i32 s20, s76, -2
	s_cmp_eq_u32 s76, 0
	v_xor_b32_e32 v40, 1, v40
	s_cselect_b32 s9, -1, 0
	s_xor_b32 s8, exec_lo, -1
	s_wait_alu 0xfffe
	s_or_not1_b32 s9, s9, exec_lo
	s_branch .LBB113_17
.LBB113_248:
	s_or_b32 exec_lo, exec_lo, s69
	s_xor_b32 s4, s75, -1
	s_xor_b32 s3, s73, -1
	;; [unrolled: 1-line block ×3, first 2 shown]
	s_mov_b32 s0, 0
	s_wait_alu 0xfffe
	s_and_saveexec_b32 s5, s3
	s_wait_alu 0xfffe
	s_xor_b32 s3, exec_lo, s5
	s_cbranch_execnz .LBB113_253
; %bb.249:
	s_wait_alu 0xfffe
	s_and_not1_saveexec_b32 s1, s3
	s_cbranch_execnz .LBB113_266
.LBB113_250:
	s_wait_alu 0xfffe
	s_or_b32 exec_lo, exec_lo, s1
	s_and_saveexec_b32 s1, s0
.LBB113_251:
	; divergent unreachable
.LBB113_252:
	s_endpgm
.LBB113_253:
	s_and_saveexec_b32 s0, s4
	s_delay_alu instid0(SALU_CYCLE_1)
	s_xor_b32 s4, exec_lo, s0
	s_cbranch_execz .LBB113_264
; %bb.254:
	s_and_saveexec_b32 s0, s1
	s_delay_alu instid0(SALU_CYCLE_1)
	s_xor_b32 s0, exec_lo, s0
; %bb.255:
	v_lshrrev_b32_e32 v1, 31, v19
	s_delay_alu instid0(VALU_DEP_1) | instskip(NEXT) | instid1(VALU_DEP_1)
	v_add_co_u32 v1, s1, v1, -1
	v_add_co_ci_u32_e64 v2, null, 0, -1, s1
	s_delay_alu instid0(VALU_DEP_2) | instskip(NEXT) | instid1(VALU_DEP_2)
	v_xor_b32_e32 v5, v1, v18
	v_or_b32_e32 v2, 0x80000000, v2
	s_delay_alu instid0(VALU_DEP_1)
	v_xor_b32_e32 v6, v2, v19
; %bb.256:
	s_or_b32 exec_lo, exec_lo, s0
	s_mul_i32 s0, s47, s56
	s_add_co_i32 s1, s47, 1
	s_wait_alu 0xfffe
	s_sub_co_i32 s0, s34, s0
	v_mov_b32_e32 v12, 0
	s_wait_alu 0xfffe
	s_sub_co_i32 s5, s0, s56
	s_cmp_ge_u32 s0, s56
	s_cselect_b32 s1, s1, s47
	s_wait_alu 0xfffe
	s_cselect_b32 s0, s5, s0
	s_add_co_i32 s5, s1, 1
	s_wait_alu 0xfffe
	s_cmp_ge_u32 s0, s56
	s_cselect_b32 s0, s5, s1
	s_wait_alu 0xfffe
	s_mul_i32 s1, s0, s56
	s_mul_i32 s0, s0, s40
	s_wait_alu 0xfffe
	s_sub_co_i32 s1, s34, s1
	s_wait_alu 0xfffe
	s_mul_i32 s1, s1, s41
	s_wait_alu 0xfffe
	s_add_co_i32 s0, s0, s1
	s_mov_b32 s1, 0
	s_wait_alu 0xfffe
	s_lshl_b64 s[6:7], s[0:1], 3
	s_wait_alu 0xfffe
	s_add_nc_u64 s[6:7], s[44:45], s[6:7]
	global_store_b64 v12, v[5:6], s[6:7]
	s_and_saveexec_b32 s5, s2
	s_cbranch_execz .LBB113_263
; %bb.257:
	v_cmp_u_f64_e32 vcc_lo, v[5:6], v[5:6]
                                        ; implicit-def: $sgpr2
                                        ; implicit-def: $sgpr8
                                        ; implicit-def: $sgpr7
	s_xor_b32 s6, vcc_lo, -1
	s_branch .LBB113_259
.LBB113_258:                            ;   in Loop: Header=BB113_259 Depth=1
	s_wait_alu 0xfffe
	s_or_b32 exec_lo, exec_lo, s0
	s_delay_alu instid0(SALU_CYCLE_1)
	s_and_b32 s0, exec_lo, s8
	s_wait_alu 0xfffe
	s_or_b32 s1, s0, s1
	s_and_not1_b32 s0, s2, exec_lo
	s_and_b32 s2, s7, exec_lo
	s_wait_alu 0xfffe
	s_or_b32 s2, s0, s2
	s_and_not1_b32 exec_lo, exec_lo, s1
	s_cbranch_execz .LBB113_261
.LBB113_259:                            ; =>This Inner Loop Header: Depth=1
	v_lshlrev_b64_e32 v[1:2], 3, v[11:12]
	s_wait_alu 0xfffe
	s_or_b32 s7, s7, exec_lo
	s_or_b32 s8, s8, exec_lo
	s_delay_alu instid0(VALU_DEP_1)
	v_add_co_u32 v1, vcc_lo, s38, v1
	s_wait_alu 0xfffd
	v_add_co_ci_u32_e64 v2, null, s39, v2, vcc_lo
	global_load_b64 v[1:2], v[1:2], off
	s_wait_loadcnt 0x0
	v_cmp_o_f64_e32 vcc_lo, v[1:2], v[1:2]
	v_cmp_neq_f64_e64 s0, v[1:2], v[5:6]
	v_mov_b32_e32 v1, v0
                                        ; implicit-def: $vgpr0
	s_or_b32 s9, vcc_lo, s6
	s_wait_alu 0xfffe
	s_and_b32 s9, s0, s9
	s_wait_alu 0xfffe
	s_and_saveexec_b32 s0, s9
	s_cbranch_execz .LBB113_258
; %bb.260:                              ;   in Loop: Header=BB113_259 Depth=1
	v_add_nc_u32_e32 v0, s29, v1
	v_add_nc_u32_e32 v11, s57, v11
	s_and_not1_b32 s8, s8, exec_lo
	s_and_not1_b32 s7, s7, exec_lo
	s_delay_alu instid0(VALU_DEP_2)
	v_cmp_le_u32_e32 vcc_lo, s28, v0
	s_and_b32 s9, vcc_lo, exec_lo
	s_wait_alu 0xfffe
	s_or_b32 s8, s8, s9
	s_branch .LBB113_258
.LBB113_261:
	s_or_b32 exec_lo, exec_lo, s1
	s_wait_alu 0xfffe
	s_and_saveexec_b32 s0, s2
	s_wait_alu 0xfffe
	s_xor_b32 s0, exec_lo, s0
	s_cbranch_execz .LBB113_263
; %bb.262:
	s_mul_i32 s0, s27, s33
	s_add_co_i32 s1, s27, 1
	s_wait_alu 0xfffe
	s_sub_co_i32 s0, s34, s0
	v_mov_b32_e32 v2, 0
	s_wait_alu 0xfffe
	s_sub_co_i32 s2, s0, s33
	s_cmp_ge_u32 s0, s33
	s_cselect_b32 s1, s1, s27
	s_wait_alu 0xfffe
	s_cselect_b32 s0, s2, s0
	s_add_co_i32 s2, s1, 1
	s_wait_alu 0xfffe
	s_cmp_ge_u32 s0, s33
	s_cselect_b32 s0, s2, s1
	s_wait_alu 0xfffe
	s_mul_i32 s1, s0, s33
	s_mul_i32 s0, s0, s36
	s_wait_alu 0xfffe
	s_sub_co_i32 s1, s34, s1
	s_wait_alu 0xfffe
	s_mul_i32 s1, s1, s37
	s_wait_alu 0xfffe
	s_add_co_i32 s0, s0, s1
	s_mov_b32 s1, 0
	s_wait_alu 0xfffe
	s_lshl_b64 s[0:1], s[0:1], 3
	s_wait_alu 0xfffe
	s_add_nc_u64 s[0:1], s[42:43], s[0:1]
	global_store_b64 v2, v[1:2], s[0:1]
.LBB113_263:
	s_wait_alu 0xfffe
	s_or_b32 exec_lo, exec_lo, s5
.LBB113_264:
	s_wait_alu 0xfffe
	s_or_saveexec_b32 s0, s4
	s_mov_b32 s1, 0
	s_wait_alu 0xfffe
	s_xor_b32 exec_lo, exec_lo, s0
	s_cbranch_execnz .LBB113_267
.LBB113_265:
	s_or_b32 exec_lo, exec_lo, s0
	s_wait_alu 0xfffe
	s_and_b32 s0, s1, exec_lo
	s_and_not1_saveexec_b32 s1, s3
	s_cbranch_execz .LBB113_250
.LBB113_266:
	s_wait_alu 0xfffe
	s_or_b32 s0, s0, exec_lo
	s_trap 2
	s_or_b32 exec_lo, exec_lo, s1
	s_wait_alu 0xfffe
	s_and_saveexec_b32 s1, s0
	s_cbranch_execnz .LBB113_251
	s_branch .LBB113_252
.LBB113_267:
	s_mov_b32 s1, exec_lo
	s_trap 2
	s_branch .LBB113_265
	.section	.rodata,"a",@progbits
	.p2align	6, 0x0
	.amdhsa_kernel _ZN2at6native12_GLOBAL__N_112gatherMedianIdjLi2EEEvNS_4cuda6detail10TensorInfoIT_T0_EENS5_IlS7_EENS5_IKS6_S7_EES7_S7_S7_b
		.amdhsa_group_segment_fixed_size 4120
		.amdhsa_private_segment_fixed_size 0
		.amdhsa_kernarg_size 920
		.amdhsa_user_sgpr_count 2
		.amdhsa_user_sgpr_dispatch_ptr 0
		.amdhsa_user_sgpr_queue_ptr 0
		.amdhsa_user_sgpr_kernarg_segment_ptr 1
		.amdhsa_user_sgpr_dispatch_id 0
		.amdhsa_user_sgpr_private_segment_size 0
		.amdhsa_wavefront_size32 1
		.amdhsa_uses_dynamic_stack 0
		.amdhsa_enable_private_segment 0
		.amdhsa_system_sgpr_workgroup_id_x 1
		.amdhsa_system_sgpr_workgroup_id_y 1
		.amdhsa_system_sgpr_workgroup_id_z 1
		.amdhsa_system_sgpr_workgroup_info 0
		.amdhsa_system_vgpr_workitem_id 0
		.amdhsa_next_free_vgpr 56
		.amdhsa_next_free_sgpr 84
		.amdhsa_reserve_vcc 1
		.amdhsa_float_round_mode_32 0
		.amdhsa_float_round_mode_16_64 0
		.amdhsa_float_denorm_mode_32 3
		.amdhsa_float_denorm_mode_16_64 3
		.amdhsa_fp16_overflow 0
		.amdhsa_workgroup_processor_mode 1
		.amdhsa_memory_ordered 1
		.amdhsa_forward_progress 1
		.amdhsa_inst_pref_size 97
		.amdhsa_round_robin_scheduling 0
		.amdhsa_exception_fp_ieee_invalid_op 0
		.amdhsa_exception_fp_denorm_src 0
		.amdhsa_exception_fp_ieee_div_zero 0
		.amdhsa_exception_fp_ieee_overflow 0
		.amdhsa_exception_fp_ieee_underflow 0
		.amdhsa_exception_fp_ieee_inexact 0
		.amdhsa_exception_int_div_zero 0
	.end_amdhsa_kernel
	.section	.text._ZN2at6native12_GLOBAL__N_112gatherMedianIdjLi2EEEvNS_4cuda6detail10TensorInfoIT_T0_EENS5_IlS7_EENS5_IKS6_S7_EES7_S7_S7_b,"axG",@progbits,_ZN2at6native12_GLOBAL__N_112gatherMedianIdjLi2EEEvNS_4cuda6detail10TensorInfoIT_T0_EENS5_IlS7_EENS5_IKS6_S7_EES7_S7_S7_b,comdat
.Lfunc_end113:
	.size	_ZN2at6native12_GLOBAL__N_112gatherMedianIdjLi2EEEvNS_4cuda6detail10TensorInfoIT_T0_EENS5_IlS7_EENS5_IKS6_S7_EES7_S7_S7_b, .Lfunc_end113-_ZN2at6native12_GLOBAL__N_112gatherMedianIdjLi2EEEvNS_4cuda6detail10TensorInfoIT_T0_EENS5_IlS7_EENS5_IKS6_S7_EES7_S7_S7_b
                                        ; -- End function
	.set _ZN2at6native12_GLOBAL__N_112gatherMedianIdjLi2EEEvNS_4cuda6detail10TensorInfoIT_T0_EENS5_IlS7_EENS5_IKS6_S7_EES7_S7_S7_b.num_vgpr, 56
	.set _ZN2at6native12_GLOBAL__N_112gatherMedianIdjLi2EEEvNS_4cuda6detail10TensorInfoIT_T0_EENS5_IlS7_EENS5_IKS6_S7_EES7_S7_S7_b.num_agpr, 0
	.set _ZN2at6native12_GLOBAL__N_112gatherMedianIdjLi2EEEvNS_4cuda6detail10TensorInfoIT_T0_EENS5_IlS7_EENS5_IKS6_S7_EES7_S7_S7_b.numbered_sgpr, 84
	.set _ZN2at6native12_GLOBAL__N_112gatherMedianIdjLi2EEEvNS_4cuda6detail10TensorInfoIT_T0_EENS5_IlS7_EENS5_IKS6_S7_EES7_S7_S7_b.num_named_barrier, 0
	.set _ZN2at6native12_GLOBAL__N_112gatherMedianIdjLi2EEEvNS_4cuda6detail10TensorInfoIT_T0_EENS5_IlS7_EENS5_IKS6_S7_EES7_S7_S7_b.private_seg_size, 0
	.set _ZN2at6native12_GLOBAL__N_112gatherMedianIdjLi2EEEvNS_4cuda6detail10TensorInfoIT_T0_EENS5_IlS7_EENS5_IKS6_S7_EES7_S7_S7_b.uses_vcc, 1
	.set _ZN2at6native12_GLOBAL__N_112gatherMedianIdjLi2EEEvNS_4cuda6detail10TensorInfoIT_T0_EENS5_IlS7_EENS5_IKS6_S7_EES7_S7_S7_b.uses_flat_scratch, 0
	.set _ZN2at6native12_GLOBAL__N_112gatherMedianIdjLi2EEEvNS_4cuda6detail10TensorInfoIT_T0_EENS5_IlS7_EENS5_IKS6_S7_EES7_S7_S7_b.has_dyn_sized_stack, 0
	.set _ZN2at6native12_GLOBAL__N_112gatherMedianIdjLi2EEEvNS_4cuda6detail10TensorInfoIT_T0_EENS5_IlS7_EENS5_IKS6_S7_EES7_S7_S7_b.has_recursion, 0
	.set _ZN2at6native12_GLOBAL__N_112gatherMedianIdjLi2EEEvNS_4cuda6detail10TensorInfoIT_T0_EENS5_IlS7_EENS5_IKS6_S7_EES7_S7_S7_b.has_indirect_call, 0
	.section	.AMDGPU.csdata,"",@progbits
; Kernel info:
; codeLenInByte = 12300
; TotalNumSgprs: 86
; NumVgprs: 56
; ScratchSize: 0
; MemoryBound: 0
; FloatMode: 240
; IeeeMode: 1
; LDSByteSize: 4120 bytes/workgroup (compile time only)
; SGPRBlocks: 0
; VGPRBlocks: 6
; NumSGPRsForWavesPerEU: 86
; NumVGPRsForWavesPerEU: 56
; Occupancy: 16
; WaveLimiterHint : 1
; COMPUTE_PGM_RSRC2:SCRATCH_EN: 0
; COMPUTE_PGM_RSRC2:USER_SGPR: 2
; COMPUTE_PGM_RSRC2:TRAP_HANDLER: 0
; COMPUTE_PGM_RSRC2:TGID_X_EN: 1
; COMPUTE_PGM_RSRC2:TGID_Y_EN: 1
; COMPUTE_PGM_RSRC2:TGID_Z_EN: 1
; COMPUTE_PGM_RSRC2:TIDIG_COMP_CNT: 0
	.section	.text._ZN2at6native12_GLOBAL__N_112gatherMedianIdjLi3EEEvNS_4cuda6detail10TensorInfoIT_T0_EENS5_IlS7_EENS5_IKS6_S7_EES7_S7_S7_b,"axG",@progbits,_ZN2at6native12_GLOBAL__N_112gatherMedianIdjLi3EEEvNS_4cuda6detail10TensorInfoIT_T0_EENS5_IlS7_EENS5_IKS6_S7_EES7_S7_S7_b,comdat
	.globl	_ZN2at6native12_GLOBAL__N_112gatherMedianIdjLi3EEEvNS_4cuda6detail10TensorInfoIT_T0_EENS5_IlS7_EENS5_IKS6_S7_EES7_S7_S7_b ; -- Begin function _ZN2at6native12_GLOBAL__N_112gatherMedianIdjLi3EEEvNS_4cuda6detail10TensorInfoIT_T0_EENS5_IlS7_EENS5_IKS6_S7_EES7_S7_S7_b
	.p2align	8
	.type	_ZN2at6native12_GLOBAL__N_112gatherMedianIdjLi3EEEvNS_4cuda6detail10TensorInfoIT_T0_EENS5_IlS7_EENS5_IKS6_S7_EES7_S7_S7_b,@function
_ZN2at6native12_GLOBAL__N_112gatherMedianIdjLi3EEEvNS_4cuda6detail10TensorInfoIT_T0_EENS5_IlS7_EENS5_IKS6_S7_EES7_S7_S7_b: ; @_ZN2at6native12_GLOBAL__N_112gatherMedianIdjLi3EEEvNS_4cuda6detail10TensorInfoIT_T0_EENS5_IlS7_EENS5_IKS6_S7_EES7_S7_S7_b
; %bb.0:
	s_clause 0x1
	s_load_b64 s[4:5], s[0:1], 0x298
	s_load_b128 s[28:31], s[0:1], 0x288
	s_lshr_b32 s2, ttmp7, 16
	s_and_b32 s3, ttmp7, 0xffff
	s_wait_kmcnt 0x0
	s_mul_i32 s2, s5, s2
	s_delay_alu instid0(SALU_CYCLE_1) | instskip(NEXT) | instid1(SALU_CYCLE_1)
	s_add_co_i32 s2, s2, s3
	s_mul_i32 s33, s2, s4
	s_delay_alu instid0(SALU_CYCLE_1) | instskip(NEXT) | instid1(SALU_CYCLE_1)
	s_add_co_i32 s33, s33, ttmp9
	s_cmp_ge_u32 s33, s29
	s_cbranch_scc1 .LBB114_252
; %bb.1:
	s_clause 0x4
	s_load_b64 s[44:45], s[0:1], 0xc
	s_load_b64 s[34:35], s[0:1], 0xe4
	;; [unrolled: 1-line block ×4, first 2 shown]
	s_load_b96 s[16:18], s[0:1], 0x21c
	s_mov_b32 s51, 0
	s_delay_alu instid0(SALU_CYCLE_1)
	s_mov_b32 s47, s51
	s_wait_kmcnt 0x0
	s_cvt_f32_u32 s5, s45
	s_cvt_f32_u32 s9, s35
	;; [unrolled: 1-line block ×4, first 2 shown]
	v_rcp_iflag_f32_e32 v1, s5
	s_cvt_f32_u32 s5, s44
	v_rcp_iflag_f32_e32 v2, s9
	s_sub_co_i32 s9, 0, s45
	v_rcp_iflag_f32_e32 v3, s10
	v_rcp_iflag_f32_e32 v4, s11
	v_readfirstlane_b32 s8, v1
	s_wait_alu 0xfffe
	v_rcp_iflag_f32_e32 v1, s5
	v_readfirstlane_b32 s10, v2
	s_delay_alu instid0(TRANS32_DEP_2)
	v_readfirstlane_b32 s11, v4
	s_mul_f32 s5, s8, 0x4f7ffffe
	s_cvt_f32_u32 s8, s2
	s_mul_f32 s10, s10, 0x4f7ffffe
	s_wait_alu 0xfffe
	s_cvt_u32_f32 s5, s5
	v_rcp_iflag_f32_e32 v5, s8
	s_delay_alu instid0(TRANS32_DEP_2)
	v_readfirstlane_b32 s8, v1
	s_cvt_u32_f32 s10, s10
	s_wait_alu 0xfffe
	s_mul_i32 s9, s9, s5
	s_mul_f32 s11, s11, 0x4f7ffffe
	s_wait_alu 0xfffe
	s_mul_hi_u32 s9, s5, s9
	s_mul_f32 s8, s8, 0x4f7ffffe
	s_wait_alu 0xfffe
	s_add_co_i32 s5, s5, s9
	v_readfirstlane_b32 s9, v3
	s_wait_alu 0xfffe
	s_mul_hi_u32 s5, s33, s5
	s_cvt_u32_f32 s8, s8
	s_wait_alu 0xfffe
	s_mul_i32 s12, s5, s45
	s_add_co_i32 s13, s5, 1
	s_sub_co_i32 s12, s33, s12
	s_mul_f32 s9, s9, 0x4f7ffffe
	s_sub_co_i32 s14, s12, s45
	s_cmp_ge_u32 s12, s45
	v_mov_b32_e32 v3, 0
	s_cselect_b32 s5, s13, s5
	s_cselect_b32 s12, s14, s12
	s_wait_alu 0xfffe
	s_add_co_i32 s13, s5, 1
	s_cmp_ge_u32 s12, s45
	s_cvt_u32_f32 s9, s9
	s_cselect_b32 s50, s13, s5
	s_sub_co_i32 s5, 0, s35
	s_sub_co_i32 s12, 0, s44
	s_wait_alu 0xfffe
	s_mul_i32 s5, s5, s10
	s_mul_i32 s12, s12, s8
	s_wait_alu 0xfffe
	s_mul_hi_u32 s5, s10, s5
	s_wait_alu 0xfffe
	s_add_co_i32 s10, s10, s5
	s_wait_alu 0xfffe
	s_mul_hi_u32 s5, s33, s10
	s_mul_hi_u32 s10, s8, s12
	s_wait_alu 0xfffe
	s_mul_i32 s12, s5, s35
	s_add_co_i32 s10, s8, s10
	s_sub_co_i32 s8, s33, s12
	s_add_co_i32 s12, s5, 1
	s_wait_alu 0xfffe
	s_sub_co_i32 s13, s8, s35
	s_cmp_ge_u32 s8, s35
	s_cselect_b32 s5, s12, s5
	s_cselect_b32 s8, s13, s8
	s_wait_alu 0xfffe
	s_add_co_i32 s12, s5, 1
	s_cmp_ge_u32 s8, s35
	s_cvt_u32_f32 s8, s11
	s_cselect_b32 s46, s12, s5
	s_sub_co_i32 s5, 0, s3
	s_sub_co_i32 s12, 0, s34
	s_wait_alu 0xfffe
	s_mul_i32 s5, s5, s8
	s_mul_i32 s12, s12, s9
	s_wait_alu 0xfffe
	s_mul_hi_u32 s5, s8, s5
	v_readfirstlane_b32 s11, v5
	s_wait_alu 0xfffe
	s_add_co_i32 s8, s8, s5
	s_wait_alu 0xfffe
	s_mul_hi_u32 s5, s33, s8
	s_mul_hi_u32 s8, s9, s12
	s_wait_alu 0xfffe
	s_mul_i32 s13, s5, s3
	s_add_co_i32 s12, s9, s8
	s_sub_co_i32 s8, s33, s13
	s_add_co_i32 s9, s5, 1
	s_wait_alu 0xfffe
	s_sub_co_i32 s13, s8, s3
	s_cmp_ge_u32 s8, s3
	s_mul_f32 s11, s11, 0x4f7ffffe
	s_cselect_b32 s5, s9, s5
	s_cselect_b32 s8, s13, s8
	s_wait_alu 0xfffe
	s_add_co_i32 s9, s5, 1
	s_cmp_ge_u32 s8, s3
	s_cvt_u32_f32 s8, s11
	s_wait_alu 0xfffe
	s_cselect_b32 s5, s9, s5
	s_sub_co_i32 s9, 0, s2
	s_wait_alu 0xfffe
	s_mul_i32 s3, s5, s3
	s_mul_i32 s9, s9, s8
	s_sub_co_i32 s3, s33, s3
	s_wait_alu 0xfffe
	s_mul_hi_u32 s9, s8, s9
	s_mul_i32 s3, s3, s18
	s_wait_alu 0xfffe
	s_add_co_i32 s8, s8, s9
	s_wait_alu 0xfffe
	s_mul_hi_u32 s11, s5, s8
	s_wait_alu 0xfffe
	s_mul_i32 s8, s11, s2
	s_add_co_i32 s14, s11, 1
	s_wait_alu 0xfffe
	s_sub_co_i32 s13, s5, s8
	s_add_nc_u64 s[8:9], s[0:1], 0x298
	s_sub_co_i32 s15, s13, s2
	s_cmp_ge_u32 s13, s2
	s_cselect_b32 s11, s14, s11
	s_cselect_b32 s13, s15, s13
	s_wait_alu 0xfffe
	s_add_co_i32 s14, s11, 1
	s_cmp_ge_u32 s13, s2
	s_mov_b32 s15, s51
	s_cselect_b32 s13, s14, s11
	s_mov_b32 s11, s51
	s_mul_i32 s2, s13, s2
	s_mul_i32 s13, s13, s16
	s_sub_co_i32 s2, s5, s2
	s_delay_alu instid0(SALU_CYCLE_1) | instskip(NEXT) | instid1(SALU_CYCLE_1)
	s_mul_i32 s2, s2, s17
	s_add_co_i32 s2, s2, s3
	s_delay_alu instid0(SALU_CYCLE_1)
	s_add_co_i32 s14, s2, s13
	v_cmp_gt_u32_e64 s2, s28, v0
	s_lshl_b64 s[14:15], s[14:15], 3
	s_mov_b32 s13, s51
	s_add_nc_u64 s[48:49], s[6:7], s[14:15]
	s_and_saveexec_b32 s5, s2
	s_cbranch_execz .LBB114_5
; %bb.2:
	s_load_b32 s3, s[8:9], 0xc
	v_mov_b32_e32 v2, 0
	v_mul_lo_u32 v1, v0, s30
	v_mov_b32_e32 v4, v0
	s_mov_b32 s7, s51
	s_delay_alu instid0(VALU_DEP_3) | instskip(SKIP_2) | instid1(SALU_CYCLE_1)
	v_mov_b32_e32 v3, v2
	s_wait_kmcnt 0x0
	s_and_b32 s6, s3, 0xffff
	s_mul_i32 s14, s30, s6
.LBB114_3:                              ; =>This Inner Loop Header: Depth=1
	s_delay_alu instid0(VALU_DEP_3) | instskip(SKIP_2) | instid1(VALU_DEP_3)
	v_lshlrev_b64_e32 v[5:6], 3, v[1:2]
	v_add_nc_u32_e32 v4, s6, v4
	v_add_nc_u32_e32 v1, s14, v1
	v_add_co_u32 v5, vcc_lo, s48, v5
	s_wait_alu 0xfffd
	s_delay_alu instid0(VALU_DEP_4)
	v_add_co_ci_u32_e64 v6, null, s49, v6, vcc_lo
	v_cmp_le_u32_e32 vcc_lo, s28, v4
	global_load_b64 v[5:6], v[5:6], off
	s_or_b32 s7, vcc_lo, s7
	s_wait_loadcnt 0x0
	v_cmp_u_f64_e64 s3, v[5:6], v[5:6]
	s_wait_alu 0xf1ff
	s_delay_alu instid0(VALU_DEP_1)
	v_add_co_ci_u32_e64 v3, null, 0, v3, s3
	s_wait_alu 0xfffe
	s_and_not1_b32 exec_lo, exec_lo, s7
	s_cbranch_execnz .LBB114_3
; %bb.4:
	s_or_b32 exec_lo, exec_lo, s7
.LBB114_5:
	s_wait_alu 0xfffe
	s_or_b32 exec_lo, exec_lo, s5
	s_clause 0x3
	s_load_b96 s[36:38], s[0:1], 0x144
	s_load_b64 s[52:53], s[0:1], 0xd8
	s_load_b96 s[40:42], s[0:1], 0x6c
	s_load_b64 s[54:55], s[0:1], 0x0
	v_cmp_eq_u32_e64 s0, 0, v0
	s_mul_u64 s[56:57], s[50:51], s[10:11]
	s_mul_u64 s[26:27], s[46:47], s[12:13]
	s_and_saveexec_b32 s1, s0
; %bb.6:
	v_mov_b32_e32 v1, 0
	s_delay_alu instid0(VALU_DEP_1)
	v_mov_b32_e32 v2, v1
	ds_store_b64 v1, v[1:2] offset:4096
; %bb.7:
	s_or_b32 exec_lo, exec_lo, s1
	s_delay_alu instid0(SALU_CYCLE_1)
	s_mov_b32 s1, exec_lo
	s_wait_dscnt 0x0
	s_barrier_signal -1
	s_barrier_wait -1
	global_inv scope:SCOPE_SE
	v_cmpx_ne_u32_e32 0, v3
	s_cbranch_execz .LBB114_12
; %bb.8:
	v_mov_b32_e32 v1, 0
	s_mov_b32 s3, exec_lo
	s_mov_b64 s[6:7], 0
.LBB114_9:                              ; =>This Inner Loop Header: Depth=1
	s_wait_alu 0xfffe
	s_ctz_i32_b32 s5, s3
	s_wait_alu 0xfffe
	v_readlane_b32 s11, v1, s5
	v_readlane_b32 s10, v3, s5
	s_lshl_b32 s5, 1, s5
	s_wait_alu 0xfffe
	s_and_not1_b32 s3, s3, s5
	s_wait_alu 0xfffe
	s_cmp_lg_u32 s3, 0
	s_add_nc_u64 s[6:7], s[6:7], s[10:11]
	s_cbranch_scc1 .LBB114_9
; %bb.10:
	v_mbcnt_lo_u32_b32 v1, exec_lo, 0
	s_mov_b32 s3, exec_lo
	s_delay_alu instid0(VALU_DEP_1)
	v_cmpx_eq_u32_e32 0, v1
	s_wait_alu 0xfffe
	s_xor_b32 s3, exec_lo, s3
; %bb.11:
	v_mov_b32_e32 v1, s6
	v_dual_mov_b32 v3, 0 :: v_dual_mov_b32 v2, s7
	ds_add_u64 v3, v[1:2] offset:4096
.LBB114_12:
	s_or_b32 exec_lo, exec_lo, s1
	v_mov_b32_e32 v1, 0
	s_wait_loadcnt_dscnt 0x0
	s_barrier_signal -1
	s_barrier_wait -1
	global_inv scope:SCOPE_SE
	ds_load_b64 v[1:2], v1 offset:4096
	s_bitcmp1_b32 s31, 0
	s_mov_b32 s10, s28
	s_cselect_b32 s3, -1, 0
	s_wait_dscnt 0x0
	v_readfirstlane_b32 s6, v1
	v_readfirstlane_b32 s7, v2
	s_wait_alu 0xf1ff
	s_delay_alu instid0(VALU_DEP_1) | instskip(SKIP_2) | instid1(SALU_CYCLE_1)
	v_cmp_lt_i64_e64 s1, s[6:7], 1
	s_wait_alu 0xfffe
	s_or_b32 s1, s3, s1
	s_and_not1_b32 vcc_lo, exec_lo, s1
	s_wait_alu 0xfffe
	s_cbranch_vccnz .LBB114_14
; %bb.13:
	s_not_b64 s[6:7], s[6:7]
	s_mov_b32 s29, 0
	s_wait_alu 0xfffe
	s_add_nc_u64 s[6:7], s[6:7], s[28:29]
	s_mov_b32 s11, s29
	s_wait_alu 0xfffe
	s_lshr_b32 s10, s7, 31
	s_wait_alu 0xfffe
	s_add_nc_u64 s[6:7], s[6:7], s[10:11]
	s_wait_alu 0xfffe
	s_lshr_b64 s[6:7], s[6:7], 1
	s_wait_alu 0xfffe
	s_add_co_i32 s10, s6, 1
.LBB114_14:
	s_and_saveexec_b32 s1, s0
	s_cbranch_execz .LBB114_16
; %bb.15:
	v_dual_mov_b32 v1, 0 :: v_dual_mov_b32 v2, s28
	ds_store_b32 v1, v1 offset:4112
	ds_store_b64 v1, v[1:2] offset:4104
.LBB114_16:
	s_or_b32 exec_lo, exec_lo, s1
	s_wait_loadcnt_dscnt 0x0
	s_barrier_signal -1
	s_barrier_wait -1
	global_inv scope:SCOPE_SE
	s_load_b32 s5, s[8:9], 0xc
	v_mbcnt_lo_u32_b32 v27, -1, 0
	v_cmp_gt_u32_e32 vcc_lo, 32, v0
	v_dual_mov_b32 v13, 0 :: v_dual_lshlrev_b32 v28, 2, v0
	v_mul_lo_u32 v11, s30, v0
	s_delay_alu instid0(VALU_DEP_4)
	v_cmp_gt_i32_e64 s3, 4, v27
	v_lshlrev_b32_e32 v29, 3, v0
	v_lshrrev_b32_e32 v3, 1, v0
	v_mov_b32_e32 v12, v13
	v_lshlrev_b32_e32 v38, 5, v0
	s_and_b32 s31, vcc_lo, s3
	v_mov_b32_e32 v18, 0
	s_wait_alu 0xfffe
	v_mad_co_u64_u32 v[20:21], null, s30, v28, s[30:31]
	v_mov_b32_e32 v21, 0
	v_cmp_gt_u32_e64 s1, 2, v0
	v_dual_mov_b32 v19, 0 :: v_dual_add_nc_u32 v30, 0xc00, v29
	v_dual_mov_b32 v41, s10 :: v_dual_lshlrev_b32 v36, 2, v11
	s_wait_kmcnt 0x0
	s_and_b32 s29, s5, 0xffff
	s_bfe_u32 s5, s5, 0xb0005
	s_wait_alu 0xfffe
	s_lshl_b32 s39, s29, 2
	s_add_co_i32 s43, s29, -1
	s_cvt_f32_u32 s3, s39
	s_add_co_i32 s6, s43, s28
	s_cmp_gt_u32 s28, 0x180
	s_cvt_f32_u32 s11, s29
	s_wait_alu 0xfffe
	v_rcp_iflag_f32_e32 v1, s3
	s_cselect_b32 s51, -1, 0
	s_cmp_gt_u32 s29, 31
	v_lshl_or_b32 v39, v27, 2, 0xc00
	s_cselect_b32 s56, -1, 0
	s_cmp_lt_u32 ttmp9, s4
	s_movk_i32 s4, 0x1f0
	s_cselect_b32 s58, 12, 18
	s_add_co_i32 s3, s5, -1
	s_bfe_u32 s66, s29, 0x30005
	v_readfirstlane_b32 s7, v1
	s_wait_alu 0xfffe
	s_and_b32 s3, s3, 0xffff
	v_rcp_iflag_f32_e32 v1, s11
	s_wait_alu 0xfffe
	s_cmp_gt_u32 s3, 6
	v_and_or_b32 v31, v3, s4, 0xc00
	s_mul_f32 s3, s7, 0x4f7ffffe
	s_cselect_b32 s67, -1, 0
	s_and_b32 s68, s5, 0x7f8
	s_cmp_lg_u32 s66, 0
	s_wait_alu 0xfffe
	s_cvt_u32_f32 s3, s3
	s_cselect_b32 s69, -1, 0
	s_sub_co_i32 s5, 0, s39
	v_readfirstlane_b32 s7, v1
	s_wait_alu 0xfffe
	s_mul_i32 s5, s5, s3
	v_lshlrev_b64_e64 v[1:2], v27, -1
	s_wait_alu 0xfffe
	s_mul_hi_u32 s5, s3, s5
	v_lshlrev_b64_e32 v[2:3], 3, v[11:12]
	s_wait_alu 0xfffe
	s_add_co_i32 s60, s3, s5
	s_mul_f32 s7, s7, 0x4f7ffffe
	s_mul_hi_u32 s5, s28, s60
	v_not_b32_e32 v33, v1
	s_wait_alu 0xfffe
	s_mul_i32 s5, s5, s39
	s_cvt_u32_f32 s7, s7
	s_wait_alu 0xfffe
	s_sub_co_i32 s5, s28, s5
	v_add_co_u32 v14, vcc_lo, s48, v2
	s_wait_alu 0xfffe
	s_sub_co_i32 s11, s5, s39
	s_cmp_ge_u32 s5, s39
	s_wait_alu 0xfffd
	v_add_co_ci_u32_e64 v15, null, s49, v3, vcc_lo
	s_wait_alu 0xfffe
	s_cselect_b32 s5, s11, s5
	v_add3_u32 v3, s29, s28, v0
	s_wait_alu 0xfffe
	s_sub_co_i32 s11, s5, s39
	s_cmp_ge_u32 s5, s39
	v_mov_b32_e32 v5, 0
	s_wait_alu 0xfffe
	s_cselect_b32 s11, s11, s5
	s_sub_co_i32 s5, 0, s29
	s_wait_alu 0xfffe
	s_sub_co_i32 s70, s28, s11
	s_mul_i32 s5, s5, s7
	v_add_nc_u32_e32 v32, s70, v0
	s_wait_alu 0xfffe
	s_mul_hi_u32 s4, s7, s5
	v_subrev_nc_u32_e32 v3, s11, v3
	s_wait_alu 0xfffe
	s_add_co_i32 s62, s7, s4
	v_cmp_eq_u32_e64 s3, 0, v27
	v_mul_lo_u32 v12, v32, s30
	s_mul_hi_u32 s4, s6, s62
	v_mul_lo_u32 v37, s30, v3
	s_wait_alu 0xfffe
	s_mul_i32 s4, s4, s29
	v_mov_b32_e32 v6, 0
	s_wait_alu 0xfffe
	s_sub_co_i32 s4, s6, s4
	v_mov_b32_e32 v22, 0
	s_wait_alu 0xfffe
	s_sub_co_i32 s5, s4, s29
	v_lshlrev_b64_e32 v[1:2], 3, v[12:13]
	s_cmp_ge_u32 s4, s29
	v_mov_b32_e32 v40, 0
	s_wait_alu 0xfffe
	s_cselect_b32 s5, s5, s4
	v_cmp_gt_u32_e64 s4, s70, v28
	s_wait_alu 0xfffe
	s_sub_co_i32 s7, s5, s29
	v_add_co_u32 v16, vcc_lo, s48, v1
	s_wait_alu 0xfffd
	v_add_co_ci_u32_e64 v17, null, s49, v2, vcc_lo
	v_or_b32_e32 v1, 2, v28
	v_or_b32_e32 v2, 3, v28
	s_cmp_ge_u32 s5, s29
	s_mov_b32 s59, 0
	s_wait_alu 0xfffe
	s_cselect_b32 s7, s7, s5
	v_mul_lo_u32 v34, s30, v1
	v_mul_lo_u32 v35, s30, v2
	s_wait_alu 0xfffe
	s_sub_co_i32 s71, s6, s7
	v_cmp_gt_u32_e64 s5, s28, v32
	s_wait_alu 0xfffe
	v_cmp_gt_u32_e64 s6, s71, v0
	v_mov_b32_e32 v2, 0x3ff00000
	s_mul_i32 s47, s30, s29
	s_mov_b32 s61, s59
	s_mov_b32 s63, s59
	s_lshl_b32 s72, s47, 2
	s_lshl_b32 s73, s29, 5
	;; [unrolled: 1-line block ×3, first 2 shown]
	s_mov_b32 s82, 62
	s_add_nc_u64 s[64:65], s[8:9], s[58:59]
	s_mov_b32 s75, 0
                                        ; implicit-def: $sgpr79
                                        ; implicit-def: $sgpr81
                                        ; implicit-def: $sgpr76
                                        ; implicit-def: $sgpr78
                                        ; implicit-def: $sgpr80
                                        ; implicit-def: $sgpr77
	s_branch .LBB114_20
.LBB114_17:                             ;   in Loop: Header=BB114_20 Depth=1
	s_wait_alu 0xfffe
	s_or_b32 exec_lo, exec_lo, s10
	s_delay_alu instid0(SALU_CYCLE_1)
	s_and_b32 s8, s8, exec_lo
	s_and_not1_b32 s16, s16, exec_lo
	s_and_not1_b32 s15, s15, exec_lo
	s_or_not1_b32 s13, s9, exec_lo
.LBB114_18:                             ;   in Loop: Header=BB114_20 Depth=1
	s_wait_alu 0xfffe
	s_or_b32 exec_lo, exec_lo, s7
	s_delay_alu instid0(SALU_CYCLE_1)
	s_and_not1_b32 s7, s77, exec_lo
	s_and_b32 s8, s8, exec_lo
	s_and_not1_b32 s9, s78, exec_lo
	s_wait_alu 0xfffe
	s_or_b32 s77, s7, s8
	s_and_not1_b32 s7, s80, exec_lo
	s_and_b32 s8, s16, exec_lo
	s_and_b32 s10, s15, exec_lo
	s_wait_alu 0xfffe
	s_or_b32 s80, s7, s8
	s_or_b32 s78, s9, s10
	s_or_not1_b32 s14, s13, exec_lo
.LBB114_19:                             ;   in Loop: Header=BB114_20 Depth=1
	s_wait_alu 0xfffe
	s_or_b32 exec_lo, exec_lo, s12
	s_delay_alu instid0(SALU_CYCLE_1)
	s_and_b32 s7, exec_lo, s14
	v_mov_b32_e32 v41, v8
	s_wait_alu 0xfffe
	s_or_b32 s75, s7, s75
	s_and_not1_b32 s7, s76, exec_lo
	s_and_b32 s8, s77, exec_lo
	s_and_not1_b32 s9, s81, exec_lo
	s_wait_alu 0xfffe
	s_or_b32 s76, s7, s8
	s_and_b32 s7, s80, exec_lo
	s_and_not1_b32 s8, s79, exec_lo
	s_and_b32 s10, s78, exec_lo
	s_wait_alu 0xfffe
	s_or_b32 s81, s9, s7
	s_or_b32 s79, s8, s10
	s_mov_b32 s82, s20
	s_and_not1_b32 exec_lo, exec_lo, s75
	s_cbranch_execz .LBB114_248
.LBB114_20:                             ; =>This Loop Header: Depth=1
                                        ;     Child Loop BB114_26 Depth 2
                                        ;     Child Loop BB114_39 Depth 2
	;; [unrolled: 1-line block ×16, first 2 shown]
	ds_load_b64 v[3:4], v13 offset:4104
	s_wait_dscnt 0x0
	v_readfirstlane_b32 s58, v3
	s_cmp_lg_u32 s58, 0
	s_cbranch_scc1 .LBB114_47
; %bb.21:                               ;   in Loop: Header=BB114_20 Depth=1
	s_and_b32 vcc_lo, exec_lo, s51
	s_wait_alu 0xfffe
	s_cbranch_vccz .LBB114_34
; %bb.22:                               ;   in Loop: Header=BB114_20 Depth=1
	v_cmp_gt_u32_e32 vcc_lo, 0x181, v4
	s_mov_b32 s9, 0
	s_mov_b32 s7, 0
	s_cbranch_vccz .LBB114_35
; %bb.23:                               ;   in Loop: Header=BB114_20 Depth=1
	s_and_saveexec_b32 s10, s2
	s_cbranch_execz .LBB114_133
; %bb.24:                               ;   in Loop: Header=BB114_20 Depth=1
	global_load_b64 v[3:4], v[14:15], off
	s_load_u16 s11, s[64:65], 0x0
	s_mov_b32 s13, 0
	s_wait_kmcnt 0x0
	v_add_nc_u32_e32 v1, s11, v0
	s_mul_i32 s12, s30, s11
	s_delay_alu instid0(VALU_DEP_1)
	v_mul_lo_u32 v12, s30, v1
	v_mov_b32_e32 v1, v0
	s_branch .LBB114_26
.LBB114_25:                             ;   in Loop: Header=BB114_26 Depth=2
	s_wait_alu 0xfffe
	s_or_b32 exec_lo, exec_lo, s8
	v_dual_mov_b32 v3, v7 :: v_dual_add_nc_u32 v12, s12, v12
	v_mov_b32_e32 v4, v8
	s_and_not1_b32 exec_lo, exec_lo, s13
	s_cbranch_execz .LBB114_133
.LBB114_26:                             ;   Parent Loop BB114_20 Depth=1
                                        ; =>  This Inner Loop Header: Depth=2
	v_mov_b32_e32 v7, 0
	s_delay_alu instid0(VALU_DEP_2) | instskip(SKIP_1) | instid1(VALU_DEP_1)
	v_dual_mov_b32 v8, 0 :: v_dual_add_nc_u32 v1, s11, v1
	s_mov_b32 s8, exec_lo
	v_cmp_le_u32_e32 vcc_lo, s28, v1
	v_cmpx_gt_u32_e64 s28, v1
	s_cbranch_execz .LBB114_28
; %bb.27:                               ;   in Loop: Header=BB114_26 Depth=2
	v_lshlrev_b64_e32 v[7:8], 3, v[12:13]
	s_delay_alu instid0(VALU_DEP_1) | instskip(SKIP_1) | instid1(VALU_DEP_2)
	v_add_co_u32 v7, s7, s48, v7
	s_wait_alu 0xf1ff
	v_add_co_ci_u32_e64 v8, null, s49, v8, s7
	global_load_b64 v[7:8], v[7:8], off
.LBB114_28:                             ;   in Loop: Header=BB114_26 Depth=2
	s_wait_alu 0xfffe
	s_or_b32 exec_lo, exec_lo, s8
	s_wait_loadcnt 0x0
	v_cmp_o_f64_e64 s7, v[3:4], v[3:4]
	s_wait_dscnt 0x0
	v_ashrrev_i32_e32 v9, 31, v4
	s_delay_alu instid0(VALU_DEP_1) | instskip(SKIP_1) | instid1(VALU_DEP_2)
	v_or_b32_e32 v10, 0x80000000, v9
	v_xor_b32_e32 v9, v9, v3
	v_xor_b32_e32 v10, v10, v4
	s_wait_alu 0xf1ff
	s_delay_alu instid0(VALU_DEP_1) | instskip(NEXT) | instid1(VALU_DEP_3)
	v_cndmask_b32_e64 v10, -1, v10, s7
	v_cndmask_b32_e64 v9, -1, v9, s7
	s_delay_alu instid0(VALU_DEP_2) | instskip(NEXT) | instid1(VALU_DEP_2)
	v_and_b32_e32 v10, v10, v22
	v_and_b32_e32 v9, v9, v21
	s_delay_alu instid0(VALU_DEP_1)
	v_cmp_eq_u64_e64 s7, v[9:10], v[18:19]
	v_mov_b32_e32 v9, 0
	s_cmp_lg_u32 s7, 0
	s_cselect_b32 s8, -1, 0
	s_wait_alu 0xfffe
	s_and_b32 s8, s3, s8
	s_wait_alu 0xfffe
	s_and_saveexec_b32 s14, s8
	s_cbranch_execz .LBB114_32
; %bb.29:                               ;   in Loop: Header=BB114_26 Depth=2
	s_mov_b32 s17, exec_lo
	s_bcnt1_i32_b32 s15, s7
	s_wait_alu 0xfffe
	v_mbcnt_lo_u32_b32 v9, s17, 0
	s_mov_b32 s16, exec_lo
                                        ; implicit-def: $vgpr10
	s_delay_alu instid0(VALU_DEP_1)
	v_cmpx_eq_u32_e32 0, v9
; %bb.30:                               ;   in Loop: Header=BB114_26 Depth=2
	s_bcnt1_i32_b32 s8, s17
	s_wait_alu 0xfffe
	s_mul_i32 s8, s15, s8
	s_wait_alu 0xfffe
	v_mov_b32_e32 v10, s8
	ds_add_rtn_u32 v10, v13, v10 offset:4112
; %bb.31:                               ;   in Loop: Header=BB114_26 Depth=2
	s_or_b32 exec_lo, exec_lo, s16
	s_wait_dscnt 0x0
	v_readfirstlane_b32 s8, v10
	s_wait_alu 0xf1ff
	s_delay_alu instid0(VALU_DEP_1)
	v_mad_u32_u24 v9, s15, v9, s8
.LBB114_32:                             ;   in Loop: Header=BB114_26 Depth=2
	s_wait_alu 0xfffe
	s_or_b32 exec_lo, exec_lo, s14
	ds_bpermute_b32 v9, v13, v9
	s_and_b32 s8, exec_lo, vcc_lo
	s_wait_alu 0xfffe
	s_or_b32 s13, s8, s13
	s_and_saveexec_b32 s8, s7
	s_cbranch_execz .LBB114_25
; %bb.33:                               ;   in Loop: Header=BB114_26 Depth=2
	v_and_b32_e32 v10, s7, v33
	s_delay_alu instid0(VALU_DEP_1) | instskip(NEXT) | instid1(VALU_DEP_1)
	v_bcnt_u32_b32 v10, v10, 0
	v_lshlrev_b32_e32 v10, 3, v10
	s_wait_dscnt 0x0
	s_delay_alu instid0(VALU_DEP_1)
	v_lshl_add_u32 v9, v9, 3, v10
	ds_store_b64 v9, v[3:4]
	s_branch .LBB114_25
.LBB114_34:                             ;   in Loop: Header=BB114_20 Depth=1
	s_mov_b32 s9, -1
	s_mov_b32 s7, 0
.LBB114_35:                             ;   in Loop: Header=BB114_20 Depth=1
	s_wait_alu 0xfffe
	s_and_b32 vcc_lo, exec_lo, s9
	s_wait_alu 0xfffe
	s_cbranch_vccz .LBB114_45
.LBB114_36:                             ;   in Loop: Header=BB114_20 Depth=1
	s_and_saveexec_b32 s7, s2
	s_cbranch_execz .LBB114_42
; %bb.37:                               ;   in Loop: Header=BB114_20 Depth=1
	global_load_b64 v[3:4], v[14:15], off
	s_load_u16 s9, s[64:65], 0x0
	v_mov_b32_e32 v1, v0
	s_mov_b32 s8, exec_lo
	s_wait_kmcnt 0x0
	v_add_nc_u32_e32 v7, s9, v0
	s_delay_alu instid0(VALU_DEP_1)
	v_cmpx_gt_u32_e64 s28, v7
	s_cbranch_execz .LBB114_41
; %bb.38:                               ;   in Loop: Header=BB114_20 Depth=1
	v_mul_lo_u32 v12, s30, v7
	v_mov_b32_e32 v9, v29
	v_mov_b32_e32 v1, v0
	s_lshl_b32 s10, s9, 3
	s_mul_i32 s12, s30, s9
	s_mov_b32 s11, 0
.LBB114_39:                             ;   Parent Loop BB114_20 Depth=1
                                        ; =>  This Inner Loop Header: Depth=2
	s_delay_alu instid0(VALU_DEP_3)
	v_lshlrev_b64_e32 v[7:8], 3, v[12:13]
	s_wait_loadcnt 0x0
	ds_store_b64 v9, v[3:4]
	s_wait_alu 0xfffe
	v_add_nc_u32_e32 v9, s10, v9
	v_add_co_u32 v7, vcc_lo, s48, v7
	s_wait_alu 0xfffd
	v_add_co_ci_u32_e64 v8, null, s49, v8, vcc_lo
	global_load_b64 v[7:8], v[7:8], off
	v_add_nc_u32_e32 v1, s9, v1
	s_wait_loadcnt 0x0
	v_dual_mov_b32 v3, v7 :: v_dual_add_nc_u32 v12, s12, v12
	v_mov_b32_e32 v4, v8
	s_delay_alu instid0(VALU_DEP_3) | instskip(NEXT) | instid1(VALU_DEP_1)
	v_add_nc_u32_e32 v10, s9, v1
	v_cmp_le_u32_e32 vcc_lo, s28, v10
	s_or_b32 s11, vcc_lo, s11
	s_wait_alu 0xfffe
	s_and_not1_b32 exec_lo, exec_lo, s11
	s_cbranch_execnz .LBB114_39
; %bb.40:                               ;   in Loop: Header=BB114_20 Depth=1
	s_or_b32 exec_lo, exec_lo, s11
	v_dual_mov_b32 v3, v7 :: v_dual_mov_b32 v4, v8
.LBB114_41:                             ;   in Loop: Header=BB114_20 Depth=1
	s_wait_alu 0xfffe
	s_or_b32 exec_lo, exec_lo, s8
	v_lshlrev_b32_e32 v1, 3, v1
	s_wait_loadcnt 0x0
	ds_store_b64 v1, v[3:4]
.LBB114_42:                             ;   in Loop: Header=BB114_20 Depth=1
	s_wait_alu 0xfffe
	s_or_b32 exec_lo, exec_lo, s7
	s_wait_loadcnt_dscnt 0x0
	s_barrier_signal -1
	s_barrier_wait -1
	global_inv scope:SCOPE_SE
	s_and_saveexec_b32 s7, s0
; %bb.43:                               ;   in Loop: Header=BB114_20 Depth=1
	v_mov_b32_e32 v1, s28
	ds_store_b32 v13, v1 offset:4104
; %bb.44:                               ;   in Loop: Header=BB114_20 Depth=1
	s_wait_alu 0xfffe
	s_or_b32 exec_lo, exec_lo, s7
	s_mov_b32 s7, -1
	s_wait_loadcnt_dscnt 0x0
	s_barrier_signal -1
	s_barrier_wait -1
.LBB114_45:                             ;   in Loop: Header=BB114_20 Depth=1
	s_wait_alu 0xfffe
	s_and_b32 vcc_lo, exec_lo, s7
	s_mov_b32 s58, 0
	s_wait_alu 0xfffe
	s_cbranch_vccz .LBB114_47
; %bb.46:                               ;   in Loop: Header=BB114_20 Depth=1
	s_wait_loadcnt 0x0
	global_inv scope:SCOPE_SE
	ds_load_b32 v1, v13 offset:4104
	s_wait_dscnt 0x0
	v_readfirstlane_b32 s58, v1
.LBB114_47:                             ;   in Loop: Header=BB114_20 Depth=1
	s_delay_alu instid0(VALU_DEP_1)
	s_cmp_lt_i32 s58, 1
	s_mov_b32 s7, -1
                                        ; implicit-def: $vgpr7
	s_cbranch_scc1 .LBB114_57
; %bb.48:                               ;   in Loop: Header=BB114_20 Depth=1
	s_wait_alu 0xfffe
	s_and_b32 vcc_lo, exec_lo, s7
	s_wait_alu 0xfffe
	s_cbranch_vccnz .LBB114_68
.LBB114_49:                             ;   in Loop: Header=BB114_20 Depth=1
	v_lshlrev_b32_e32 v1, 7, v40
	s_and_saveexec_b32 s7, s3
.LBB114_50:                             ;   in Loop: Header=BB114_20 Depth=1
	s_delay_alu instid0(VALU_DEP_1)
	v_lshl_add_u32 v3, v1, 2, v31
	ds_store_b128 v3, v[7:10]
.LBB114_51:                             ;   in Loop: Header=BB114_20 Depth=1
	s_wait_alu 0xfffe
	s_or_b32 exec_lo, exec_lo, s7
	s_wait_loadcnt_dscnt 0x0
	s_barrier_signal -1
	s_barrier_wait -1
	global_inv scope:SCOPE_SE
	s_and_saveexec_b32 s7, s31
	s_cbranch_execz .LBB114_81
; %bb.52:                               ;   in Loop: Header=BB114_20 Depth=1
	v_mov_b32_e32 v3, 0
	s_and_not1_b32 vcc_lo, exec_lo, s56
	s_wait_alu 0xfffe
	s_cbranch_vccnz .LBB114_80
; %bb.53:                               ;   in Loop: Header=BB114_20 Depth=1
	s_and_not1_b32 vcc_lo, exec_lo, s67
	s_wait_alu 0xfffe
	s_cbranch_vccnz .LBB114_77
; %bb.54:                               ;   in Loop: Header=BB114_20 Depth=1
	v_lshl_add_u32 v4, v40, 9, v39
	v_mov_b32_e32 v3, 0
	s_mov_b32 s8, 0
.LBB114_55:                             ;   Parent Loop BB114_20 Depth=1
                                        ; =>  This Inner Loop Header: Depth=2
	ds_load_2addr_b32 v[7:8], v4 offset1:4
	ds_load_2addr_b32 v[9:10], v4 offset0:8 offset1:12
	ds_load_2addr_b32 v[23:24], v4 offset0:16 offset1:20
	;; [unrolled: 1-line block ×3, first 2 shown]
	v_add_nc_u32_e32 v4, 0x80, v4
	s_wait_alu 0xfffe
	s_add_co_i32 s8, s8, 8
	s_wait_alu 0xfffe
	s_cmp_eq_u32 s68, s8
	s_wait_dscnt 0x3
	v_add3_u32 v3, v7, v3, v8
	s_wait_dscnt 0x2
	s_delay_alu instid0(VALU_DEP_1) | instskip(SKIP_1) | instid1(VALU_DEP_1)
	v_add3_u32 v3, v9, v3, v10
	s_wait_dscnt 0x1
	v_add3_u32 v3, v23, v3, v24
	s_wait_dscnt 0x0
	s_delay_alu instid0(VALU_DEP_1)
	v_add3_u32 v3, v25, v3, v26
	s_cbranch_scc0 .LBB114_55
; %bb.56:                               ;   in Loop: Header=BB114_20 Depth=1
	s_mov_b32 s8, s68
	s_and_not1_b32 vcc_lo, exec_lo, s69
	s_wait_alu 0xfffe
	s_cbranch_vccz .LBB114_78
	s_branch .LBB114_80
.LBB114_57:                             ;   in Loop: Header=BB114_20 Depth=1
	v_dual_mov_b32 v7, 0 :: v_dual_mov_b32 v8, 0
	v_dual_mov_b32 v9, 0 :: v_dual_mov_b32 v10, 0
	s_and_saveexec_b32 s21, s4
	s_cbranch_execz .LBB114_61
; %bb.58:                               ;   in Loop: Header=BB114_20 Depth=1
	v_mov_b32_e32 v1, v28
	s_mov_b32 s22, 0
	s_mov_b32 s23, 0
	;; [unrolled: 1-line block ×6, first 2 shown]
.LBB114_59:                             ;   Parent Loop BB114_20 Depth=1
                                        ; =>  This Inner Loop Header: Depth=2
	s_wait_alu 0xfffe
	v_dual_mov_b32 v25, v13 :: v_dual_add_nc_u32 v12, s23, v36
	v_dual_mov_b32 v26, v13 :: v_dual_add_nc_u32 v1, s39, v1
	v_mov_b32_e32 v43, v13
	s_delay_alu instid0(VALU_DEP_3) | instskip(SKIP_1) | instid1(VALU_DEP_1)
	v_lshlrev_b64_e32 v[3:4], 3, v[12:13]
	v_add_nc_u32_e32 v12, s23, v20
	v_lshlrev_b64_e32 v[7:8], 3, v[12:13]
	v_add_nc_u32_e32 v12, s23, v34
	s_delay_alu instid0(VALU_DEP_4) | instskip(SKIP_2) | instid1(VALU_DEP_3)
	v_add_co_u32 v3, vcc_lo, s48, v3
	s_wait_alu 0xfffd
	v_add_co_ci_u32_e64 v4, null, s49, v4, vcc_lo
	v_lshlrev_b64_e32 v[9:10], 3, v[12:13]
	v_add_nc_u32_e32 v12, s23, v35
	v_add_co_u32 v7, vcc_lo, s48, v7
	global_load_b64 v[3:4], v[3:4], off
	s_wait_alu 0xfffd
	v_add_co_ci_u32_e64 v8, null, s49, v8, vcc_lo
	v_lshlrev_b64_e32 v[23:24], 3, v[12:13]
	v_add_co_u32 v9, vcc_lo, s48, v9
	s_wait_alu 0xfffd
	v_add_co_ci_u32_e64 v10, null, s49, v10, vcc_lo
	s_clause 0x1
	global_load_b64 v[7:8], v[7:8], off
	global_load_b64 v[9:10], v[9:10], off
	v_add_co_u32 v23, vcc_lo, s48, v23
	s_wait_alu 0xfffd
	v_add_co_ci_u32_e64 v24, null, s49, v24, vcc_lo
	v_cmp_le_u32_e32 vcc_lo, s70, v1
	s_add_co_i32 s23, s23, s72
	global_load_b64 v[23:24], v[23:24], off
	s_wait_loadcnt 0x3
	v_cmp_o_f64_e64 s7, v[3:4], v[3:4]
	v_ashrrev_i32_e32 v12, 31, v4
	s_delay_alu instid0(VALU_DEP_1)
	v_or_b32_e32 v42, 0x80000000, v12
	v_xor_b32_e32 v12, v12, v3
	s_wait_loadcnt 0x2
	v_cmp_o_f64_e64 s8, v[7:8], v[7:8]
	s_wait_loadcnt 0x1
	v_cmp_o_f64_e64 s9, v[9:10], v[9:10]
	v_xor_b32_e32 v42, v42, v4
	v_ashrrev_i32_e32 v45, 31, v10
	v_ashrrev_i32_e32 v44, 31, v8
	s_delay_alu instid0(VALU_DEP_2) | instskip(SKIP_2) | instid1(VALU_DEP_3)
	v_or_b32_e32 v3, 0x80000000, v45
	s_wait_loadcnt 0x0
	v_cmp_o_f64_e64 s10, v[23:24], v[23:24]
	v_or_b32_e32 v46, 0x80000000, v44
	v_xor_b32_e32 v44, v44, v7
	v_xor_b32_e32 v48, v45, v9
	;; [unrolled: 1-line block ×3, first 2 shown]
	s_delay_alu instid0(VALU_DEP_4) | instskip(SKIP_3) | instid1(VALU_DEP_2)
	v_xor_b32_e32 v46, v46, v8
	s_wait_alu 0xf1ff
	v_cndmask_b32_e64 v4, -1, v42, s7
	v_ashrrev_i32_e32 v42, 31, v24
	v_and_b32_e32 v10, v4, v22
	s_delay_alu instid0(VALU_DEP_2) | instskip(SKIP_3) | instid1(VALU_DEP_4)
	v_or_b32_e32 v7, 0x80000000, v42
	v_xor_b32_e32 v42, v42, v23
	v_cndmask_b32_e64 v8, -1, v46, s8
	v_cndmask_b32_e64 v23, -1, v48, s9
	v_xor_b32_e32 v7, v7, v24
	v_cndmask_b32_e64 v24, -1, v3, s9
	v_cndmask_b32_e64 v3, -1, v12, s7
	v_and_b32_e32 v45, v8, v22
	v_and_b32_e32 v48, v23, v21
	s_delay_alu instid0(VALU_DEP_4) | instskip(NEXT) | instid1(VALU_DEP_4)
	v_and_b32_e32 v49, v24, v22
	v_and_b32_e32 v9, v3, v21
	v_lshrrev_b64 v[3:4], s82, v[3:4]
	v_cndmask_b32_e64 v47, -1, v7, s10
	v_cndmask_b32_e64 v7, -1, v44, s8
	;; [unrolled: 1-line block ×3, first 2 shown]
	v_cmp_eq_u64_e64 s7, v[9:10], v[18:19]
	v_cmp_eq_u64_e64 s13, v[48:49], v[18:19]
	v_and_b32_e32 v12, 3, v3
	v_and_b32_e32 v44, v7, v21
	v_lshrrev_b64 v[7:8], s82, v[7:8]
	v_lshrrev_b64 v[3:4], s82, v[23:24]
	v_and_b32_e32 v50, v47, v22
	v_cmp_eq_u64_e64 s9, 0, v[12:13]
	v_cmp_eq_u64_e64 s10, 1, v[12:13]
	v_cmp_eq_u64_e64 s11, 2, v[12:13]
	v_and_b32_e32 v24, 3, v7
	v_cmp_eq_u64_e64 s12, 3, v[12:13]
	v_cmp_eq_u64_e64 s8, v[44:45], v[18:19]
	s_and_b32 s9, s7, s9
	v_and_b32_e32 v42, 3, v3
	v_cmp_eq_u64_e64 s14, 0, v[24:25]
	v_cmp_eq_u64_e64 s15, 1, v[24:25]
	;; [unrolled: 1-line block ×3, first 2 shown]
	v_lshrrev_b64 v[7:8], s82, v[46:47]
	s_wait_alu 0xfffe
	v_cndmask_b32_e64 v3, 0, 1, s9
	s_and_b32 s9, s7, s10
	v_cmp_eq_u64_e64 s17, 3, v[24:25]
	s_wait_alu 0xfffe
	v_cndmask_b32_e64 v4, 0, 1, s9
	s_and_b32 s9, s7, s11
	s_and_b32 s7, s7, s12
	s_wait_alu 0xfffe
	v_cndmask_b32_e64 v8, 0, 1, s9
	v_cmp_eq_u64_e64 s9, 0, v[42:43]
	v_cmp_eq_u64_e64 s10, 1, v[42:43]
	v_cndmask_b32_e64 v9, 0, 1, s7
	s_and_b32 s14, s8, s14
	s_and_b32 s15, s8, s15
	;; [unrolled: 1-line block ×3, first 2 shown]
	v_and_b32_e32 v49, v46, v21
	v_and_b32_e32 v25, 3, v7
	v_cmp_eq_u64_e64 s11, 2, v[42:43]
	v_cmp_eq_u64_e64 s12, 3, v[42:43]
	v_cmp_ne_u32_e64 s18, 0, v3
	s_wait_alu 0xfffe
	v_cndmask_b32_e64 v3, 0, 1, s14
	v_cmp_ne_u32_e64 s14, 0, v4
	v_cndmask_b32_e64 v4, 0, 1, s15
	v_cndmask_b32_e64 v7, 0, 1, s16
	s_and_b32 s8, s8, s17
	v_cmp_ne_u32_e64 s15, 0, v8
	s_wait_alu 0xfffe
	v_cndmask_b32_e64 v8, 0, 1, s8
	v_cmp_ne_u32_e64 s16, 0, v9
	s_and_b32 s9, s13, s9
	s_and_b32 s10, s13, s10
	v_cmp_eq_u64_e64 s7, v[49:50], v[18:19]
	v_cmp_eq_u64_e64 s8, 0, v[25:26]
	;; [unrolled: 1-line block ×5, first 2 shown]
	s_bcnt1_i32_b32 s84, s18
	v_cmp_ne_u32_e64 s18, 0, v3
	s_wait_alu 0xfffe
	v_cndmask_b32_e64 v3, 0, 1, s9
	v_cmp_ne_u32_e64 s9, 0, v4
	v_cndmask_b32_e64 v4, 0, 1, s10
	v_cmp_ne_u32_e64 s10, 0, v7
	s_and_b32 s11, s13, s11
	s_and_b32 s12, s13, s12
	s_wait_alu 0xfffe
	v_cndmask_b32_e64 v7, 0, 1, s11
	v_cmp_ne_u32_e64 s11, 0, v8
	v_cndmask_b32_e64 v8, 0, 1, s12
	s_bcnt1_i32_b32 s16, s16
	s_and_b32 s8, s7, s8
	s_wait_alu 0xfffe
	s_add_co_i32 s16, s16, s24
	s_bcnt1_i32_b32 s24, s9
	s_and_b32 s9, s7, s17
	s_bcnt1_i32_b32 s17, s10
	s_and_b32 s10, s7, s19
	s_and_b32 s7, s7, s20
	v_cmp_ne_u32_e64 s12, 0, v3
	v_cndmask_b32_e64 v3, 0, 1, s8
	v_cmp_ne_u32_e64 s8, 0, v4
	s_wait_alu 0xfffe
	v_cndmask_b32_e64 v4, 0, 1, s9
	v_cmp_ne_u32_e64 s9, 0, v7
	v_cndmask_b32_e64 v7, 0, 1, s10
	v_cmp_ne_u32_e64 s10, 0, v8
	v_cndmask_b32_e64 v8, 0, 1, s7
	s_bcnt1_i32_b32 s15, s15
	s_add_co_i32 s13, s84, s83
	s_wait_alu 0xfffe
	s_add_co_i32 s15, s15, s25
	s_bcnt1_i32_b32 s18, s18
	s_bcnt1_i32_b32 s11, s11
	;; [unrolled: 1-line block ×3, first 2 shown]
	s_wait_alu 0xfffe
	s_add_co_i32 s13, s13, s18
	s_add_co_i32 s15, s15, s17
	;; [unrolled: 1-line block ×3, first 2 shown]
	v_cmp_ne_u32_e64 s7, 0, v3
	s_bcnt1_i32_b32 s16, s8
	v_cmp_ne_u32_e64 s8, 0, v4
	s_bcnt1_i32_b32 s17, s9
	;; [unrolled: 2-line block ×3, first 2 shown]
	v_cmp_ne_u32_e64 s10, 0, v8
	s_add_co_i32 s14, s14, s26
	s_bcnt1_i32_b32 s12, s12
	s_wait_alu 0xfffe
	s_add_co_i32 s14, s14, s24
	s_add_co_i32 s12, s13, s12
	s_wait_alu 0xfffe
	s_add_co_i32 s13, s14, s16
	s_add_co_i32 s14, s15, s17
	;; [unrolled: 1-line block ×3, first 2 shown]
	s_bcnt1_i32_b32 s7, s7
	s_bcnt1_i32_b32 s8, s8
	;; [unrolled: 1-line block ×4, first 2 shown]
	s_wait_alu 0xfffe
	s_add_co_i32 s83, s12, s7
	s_add_co_i32 s26, s13, s8
	;; [unrolled: 1-line block ×4, first 2 shown]
	s_wait_alu 0xfffe
	v_dual_mov_b32 v7, s83 :: v_dual_mov_b32 v8, s26
	v_dual_mov_b32 v9, s25 :: v_dual_mov_b32 v10, s24
	s_or_b32 s22, vcc_lo, s22
	s_wait_alu 0xfffe
	s_and_not1_b32 exec_lo, exec_lo, s22
	s_cbranch_execnz .LBB114_59
; %bb.60:                               ;   in Loop: Header=BB114_20 Depth=1
	s_or_b32 exec_lo, exec_lo, s22
.LBB114_61:                             ;   in Loop: Header=BB114_20 Depth=1
	s_wait_alu 0xfffe
	s_or_b32 exec_lo, exec_lo, s21
	s_and_saveexec_b32 s11, s5
	s_cbranch_execz .LBB114_67
; %bb.62:                               ;   in Loop: Header=BB114_20 Depth=1
	global_load_b64 v[25:26], v[16:17], off
	v_mov_b32_e32 v3, v37
	v_mov_b32_e32 v1, v32
	s_mov_b32 s12, 0
	s_branch .LBB114_64
.LBB114_63:                             ;   in Loop: Header=BB114_64 Depth=2
	s_wait_alu 0xfffe
	s_or_b32 exec_lo, exec_lo, s8
	s_wait_loadcnt 0x0
	v_cmp_o_f64_e64 s7, v[25:26], v[25:26]
	v_ashrrev_i32_e32 v4, 31, v26
	s_and_b32 s9, exec_lo, vcc_lo
	v_add_nc_u32_e32 v3, s47, v3
	s_wait_alu 0xfffe
	s_or_b32 s12, s9, s12
	v_or_b32_e32 v12, 0x80000000, v4
	v_xor_b32_e32 v4, v4, v25
	s_delay_alu instid0(VALU_DEP_2) | instskip(NEXT) | instid1(VALU_DEP_1)
	v_xor_b32_e32 v12, v12, v26
	v_cndmask_b32_e64 v26, -1, v12, s7
	s_delay_alu instid0(VALU_DEP_3) | instskip(NEXT) | instid1(VALU_DEP_1)
	v_cndmask_b32_e64 v25, -1, v4, s7
	v_lshrrev_b64 v[42:43], s82, v[25:26]
	v_and_b32_e32 v26, v26, v22
	v_and_b32_e32 v25, v25, v21
	s_delay_alu instid0(VALU_DEP_3) | instskip(NEXT) | instid1(VALU_DEP_2)
	v_and_b32_e32 v12, 3, v42
	v_cmp_eq_u64_e64 s7, v[25:26], v[18:19]
	s_delay_alu instid0(VALU_DEP_2)
	v_cmp_eq_u64_e64 s8, 0, v[12:13]
	v_cmp_eq_u64_e32 vcc_lo, 1, v[12:13]
	v_cmp_eq_u64_e64 s9, 2, v[12:13]
	v_cmp_eq_u64_e64 s10, 3, v[12:13]
	s_and_b32 s8, s7, s8
	s_wait_alu 0xfffe
	v_cndmask_b32_e64 v4, 0, 1, s8
	s_and_b32 s8, s7, vcc_lo
	s_wait_alu 0xfffe
	v_cndmask_b32_e64 v12, 0, 1, s8
	s_and_b32 s8, s7, s9
	s_and_b32 s7, s7, s10
	s_wait_alu 0xfffe
	v_cndmask_b32_e64 v25, 0, 1, s8
	v_cndmask_b32_e64 v26, 0, 1, s7
	v_cmp_ne_u32_e32 vcc_lo, 0, v4
	v_cmp_ne_u32_e64 s7, 0, v12
	s_delay_alu instid0(VALU_DEP_4) | instskip(NEXT) | instid1(VALU_DEP_4)
	v_cmp_ne_u32_e64 s8, 0, v25
	v_cmp_ne_u32_e64 s9, 0, v26
	s_bcnt1_i32_b32 s10, vcc_lo
	s_bcnt1_i32_b32 s7, s7
	v_mov_b32_e32 v26, v24
	s_bcnt1_i32_b32 s8, s8
	s_bcnt1_i32_b32 s9, s9
	s_wait_alu 0xfffe
	v_add_nc_u32_e32 v7, s10, v7
	v_add_nc_u32_e32 v8, s7, v8
	v_add_nc_u32_e32 v9, s8, v9
	v_dual_mov_b32 v25, v23 :: v_dual_add_nc_u32 v10, s9, v10
	s_and_not1_b32 exec_lo, exec_lo, s12
	s_cbranch_execz .LBB114_66
.LBB114_64:                             ;   Parent Loop BB114_20 Depth=1
                                        ; =>  This Inner Loop Header: Depth=2
	v_mov_b32_e32 v23, 0
	s_delay_alu instid0(VALU_DEP_2) | instskip(SKIP_1) | instid1(VALU_DEP_1)
	v_dual_mov_b32 v24, 0 :: v_dual_add_nc_u32 v1, s29, v1
	s_mov_b32 s8, exec_lo
	v_cmp_le_u32_e32 vcc_lo, s28, v1
	v_cmpx_gt_u32_e64 s28, v1
	s_cbranch_execz .LBB114_63
; %bb.65:                               ;   in Loop: Header=BB114_64 Depth=2
	v_mov_b32_e32 v4, v13
	s_delay_alu instid0(VALU_DEP_1) | instskip(NEXT) | instid1(VALU_DEP_1)
	v_lshlrev_b64_e32 v[23:24], 3, v[3:4]
	v_add_co_u32 v23, s7, s48, v23
	s_wait_alu 0xf1fe
	s_delay_alu instid0(VALU_DEP_2)
	v_add_co_ci_u32_e64 v24, null, s49, v24, s7
	global_load_b64 v[23:24], v[23:24], off
	s_branch .LBB114_63
.LBB114_66:                             ;   in Loop: Header=BB114_20 Depth=1
	s_or_b32 exec_lo, exec_lo, s12
.LBB114_67:                             ;   in Loop: Header=BB114_20 Depth=1
	s_wait_alu 0xfffe
	s_or_b32 exec_lo, exec_lo, s11
	s_branch .LBB114_49
.LBB114_68:                             ;   in Loop: Header=BB114_20 Depth=1
	s_mul_u64 s[8:9], s[58:59], s[60:61]
	v_dual_mov_b32 v7, 0 :: v_dual_mov_b32 v8, 0
	s_wait_alu 0xfffe
	s_mul_i32 s7, s9, s39
	v_dual_mov_b32 v9, 0 :: v_dual_mov_b32 v10, 0
	s_wait_alu 0xfffe
	s_sub_co_i32 s7, s58, s7
	s_mov_b32 s84, exec_lo
	s_wait_alu 0xfffe
	s_sub_co_i32 s8, s7, s39
	s_cmp_ge_u32 s7, s39
	s_wait_alu 0xfffe
	s_cselect_b32 s7, s8, s7
	s_wait_alu 0xfffe
	s_sub_co_i32 s8, s7, s39
	s_cmp_ge_u32 s7, s39
	s_wait_alu 0xfffe
	s_cselect_b32 s7, s8, s7
	s_wait_alu 0xfffe
	s_sub_co_i32 s83, s58, s7
	s_wait_alu 0xfffe
	v_cmpx_gt_u32_e64 s83, v28
	s_cbranch_execz .LBB114_72
; %bb.69:                               ;   in Loop: Header=BB114_20 Depth=1
	v_mov_b32_e32 v1, v38
	v_mov_b32_e32 v3, v28
	s_mov_b32 s85, 0
	s_mov_b32 s86, 0
	;; [unrolled: 1-line block ×5, first 2 shown]
.LBB114_70:                             ;   Parent Loop BB114_20 Depth=1
                                        ; =>  This Inner Loop Header: Depth=2
	ds_load_b128 v[7:10], v1
	ds_load_b128 v[23:26], v1 offset:16
	s_wait_dscnt 0x1
	v_cmp_o_f64_e64 s7, v[7:8], v[7:8]
	v_cmp_o_f64_e64 s8, v[9:10], v[9:10]
	s_wait_dscnt 0x0
	v_cmp_o_f64_e64 s9, v[23:24], v[23:24]
	v_cmp_o_f64_e64 s10, v[25:26], v[25:26]
	v_ashrrev_i32_e32 v4, 31, v8
	v_ashrrev_i32_e32 v12, 31, v10
	v_ashrrev_i32_e32 v42, 31, v24
	v_ashrrev_i32_e32 v44, 31, v26
	s_delay_alu instid0(VALU_DEP_4) | instskip(NEXT) | instid1(VALU_DEP_4)
	v_or_b32_e32 v46, 0x80000000, v4
	v_or_b32_e32 v48, 0x80000000, v12
	s_delay_alu instid0(VALU_DEP_4) | instskip(NEXT) | instid1(VALU_DEP_4)
	v_or_b32_e32 v49, 0x80000000, v42
	v_or_b32_e32 v50, 0x80000000, v44
	v_xor_b32_e32 v4, v4, v7
	v_xor_b32_e32 v46, v46, v8
	;; [unrolled: 1-line block ×8, first 2 shown]
	s_wait_alu 0xf1ff
	v_cndmask_b32_e64 v8, -1, v46, s7
	v_cndmask_b32_e64 v10, -1, v7, s8
	;; [unrolled: 1-line block ×7, first 2 shown]
	v_dual_mov_b32 v43, v13 :: v_dual_and_b32 v48, v7, v21
	v_and_b32_e32 v49, v8, v22
	v_lshrrev_b64 v[7:8], s82, v[7:8]
	v_cndmask_b32_e64 v25, -1, v44, s10
	v_and_b32_e32 v50, v9, v21
	v_lshrrev_b64 v[8:9], s82, v[9:10]
	v_and_b32_e32 v51, v10, v22
	v_lshrrev_b64 v[9:10], s82, v[23:24]
	v_dual_mov_b32 v45, v13 :: v_dual_and_b32 v52, v23, v21
	v_dual_mov_b32 v47, v13 :: v_dual_and_b32 v12, 3, v7
	v_and_b32_e32 v53, v24, v22
	v_lshrrev_b64 v[23:24], s82, v[25:26]
	v_and_b32_e32 v42, 3, v8
	v_and_b32_e32 v44, 3, v9
	v_cmp_eq_u64_e64 s7, v[48:49], v[18:19]
	v_cmp_eq_u64_e64 s11, 0, v[12:13]
	v_and_b32_e32 v55, v26, v22
	v_and_b32_e32 v54, v25, v21
	;; [unrolled: 1-line block ×3, first 2 shown]
	v_cmp_eq_u64_e64 s8, v[50:51], v[18:19]
	v_cmp_eq_u64_e64 s12, 0, v[42:43]
	v_cmp_eq_u64_e64 s9, v[52:53], v[18:19]
	v_cmp_eq_u64_e64 s13, 0, v[44:45]
	v_cmp_eq_u64_e64 s10, v[54:55], v[18:19]
	v_cmp_eq_u64_e64 s14, 0, v[46:47]
	s_and_b32 s11, s7, s11
	v_cmp_eq_u64_e64 s15, 1, v[12:13]
	s_wait_alu 0xfffe
	v_cndmask_b32_e64 v4, 0, 1, s11
	s_and_b32 s11, s8, s12
	v_cmp_eq_u64_e64 s16, 1, v[42:43]
	s_wait_alu 0xfffe
	v_cndmask_b32_e64 v7, 0, 1, s11
	;; [unrolled: 4-line block ×4, first 2 shown]
	s_and_b32 s11, s7, s15
	v_cmp_eq_u64_e64 s19, 2, v[12:13]
	v_cmp_eq_u64_e64 s23, 3, v[12:13]
	s_wait_alu 0xfffe
	v_cndmask_b32_e64 v10, 0, 1, s11
	s_and_b32 s11, s8, s16
	v_cmp_eq_u64_e64 s20, 2, v[42:43]
	v_cmp_eq_u64_e64 s24, 3, v[42:43]
	s_wait_alu 0xfffe
	v_cndmask_b32_e64 v12, 0, 1, s11
	;; [unrolled: 5-line block ×4, first 2 shown]
	s_and_b32 s11, s7, s19
	s_and_b32 s7, s7, s23
	s_wait_alu 0xfffe
	v_cndmask_b32_e64 v25, 0, 1, s11
	s_and_b32 s11, s8, s20
	v_cndmask_b32_e64 v44, 0, 1, s7
	s_and_b32 s7, s8, s24
	s_wait_alu 0xfffe
	v_cndmask_b32_e64 v26, 0, 1, s11
	s_and_b32 s11, s9, s21
	v_cndmask_b32_e64 v45, 0, 1, s7
	;; [unrolled: 5-line block ×3, first 2 shown]
	s_and_b32 s7, s10, s26
	s_wait_alu 0xfffe
	v_cndmask_b32_e64 v43, 0, 1, s11
	v_cndmask_b32_e64 v47, 0, 1, s7
	v_cmp_ne_u32_e64 s7, 0, v4
	v_cmp_ne_u32_e64 s11, 0, v10
	;; [unrolled: 1-line block ×7, first 2 shown]
	s_bcnt1_i32_b32 s7, s7
	s_bcnt1_i32_b32 s11, s11
	v_cmp_ne_u32_e64 s14, 0, v24
	v_cmp_ne_u32_e64 s16, 0, v26
	;; [unrolled: 1-line block ×3, first 2 shown]
	s_bcnt1_i32_b32 s8, s8
	s_bcnt1_i32_b32 s12, s12
	s_wait_alu 0xfffe
	s_add_co_i32 s7, s7, s89
	s_add_co_i32 s11, s11, s88
	v_cmp_ne_u32_e64 s9, 0, v8
	v_cmp_ne_u32_e64 s17, 0, v42
	;; [unrolled: 1-line block ×3, first 2 shown]
	s_bcnt1_i32_b32 s13, s13
	s_wait_alu 0xfffe
	s_add_co_i32 s7, s7, s8
	s_add_co_i32 s8, s11, s12
	s_bcnt1_i32_b32 s15, s15
	s_bcnt1_i32_b32 s19, s19
	v_cmp_ne_u32_e64 s10, 0, v9
	v_cmp_ne_u32_e64 s18, 0, v43
	v_cmp_ne_u32_e64 s22, 0, v47
	s_bcnt1_i32_b32 s14, s14
	s_wait_alu 0xfffe
	s_add_co_i32 s8, s8, s13
	s_bcnt1_i32_b32 s16, s16
	s_bcnt1_i32_b32 s20, s20
	s_add_co_i32 s15, s15, s87
	s_add_co_i32 s19, s19, s86
	s_wait_alu 0xfffe
	s_add_co_i32 s88, s8, s14
	s_wait_alu 0xfffe
	v_dual_mov_b32 v8, s88 :: v_dual_add_nc_u32 v3, s39, v3
	s_bcnt1_i32_b32 s9, s9
	s_bcnt1_i32_b32 s17, s17
	;; [unrolled: 1-line block ×3, first 2 shown]
	s_add_co_i32 s11, s15, s16
	s_add_co_i32 s12, s19, s20
	s_bcnt1_i32_b32 s10, s10
	s_bcnt1_i32_b32 s18, s18
	;; [unrolled: 1-line block ×3, first 2 shown]
	s_wait_alu 0xfffe
	s_add_co_i32 s7, s7, s9
	s_add_co_i32 s9, s11, s17
	;; [unrolled: 1-line block ×3, first 2 shown]
	v_cmp_le_u32_e32 vcc_lo, s83, v3
	s_wait_alu 0xfffe
	s_add_co_i32 s89, s7, s10
	s_add_co_i32 s87, s9, s18
	;; [unrolled: 1-line block ×3, first 2 shown]
	s_wait_alu 0xfffe
	v_dual_mov_b32 v10, s86 :: v_dual_add_nc_u32 v1, s73, v1
	v_mov_b32_e32 v7, s89
	v_mov_b32_e32 v9, s87
	s_or_b32 s85, vcc_lo, s85
	s_wait_alu 0xfffe
	s_and_not1_b32 exec_lo, exec_lo, s85
	s_cbranch_execnz .LBB114_70
; %bb.71:                               ;   in Loop: Header=BB114_20 Depth=1
	s_or_b32 exec_lo, exec_lo, s85
.LBB114_72:                             ;   in Loop: Header=BB114_20 Depth=1
	s_delay_alu instid0(SALU_CYCLE_1) | instskip(SKIP_2) | instid1(VALU_DEP_1)
	s_or_b32 exec_lo, exec_lo, s84
	v_add_nc_u32_e32 v1, s83, v0
	s_mov_b32 s12, exec_lo
	v_cmpx_gt_u32_e64 s58, v1
	s_cbranch_execz .LBB114_76
; %bb.73:                               ;   in Loop: Header=BB114_20 Depth=1
	v_lshlrev_b32_e32 v3, 3, v1
	s_mov_b32 s13, 0
.LBB114_74:                             ;   Parent Loop BB114_20 Depth=1
                                        ; =>  This Inner Loop Header: Depth=2
	ds_load_b64 v[23:24], v3
	v_add_nc_u32_e32 v3, s74, v3
	s_wait_dscnt 0x0
	v_cmp_o_f64_e32 vcc_lo, v[23:24], v[23:24]
	v_ashrrev_i32_e32 v4, 31, v24
	s_delay_alu instid0(VALU_DEP_1) | instskip(SKIP_1) | instid1(VALU_DEP_2)
	v_or_b32_e32 v12, 0x80000000, v4
	v_xor_b32_e32 v4, v4, v23
	v_xor_b32_e32 v12, v12, v24
	s_wait_alu 0xfffd
	s_delay_alu instid0(VALU_DEP_1) | instskip(NEXT) | instid1(VALU_DEP_1)
	v_dual_cndmask_b32 v24, -1, v12 :: v_dual_add_nc_u32 v1, s29, v1
	v_cmp_le_u32_e64 s7, s58, v1
	s_delay_alu instid0(VALU_DEP_2) | instskip(NEXT) | instid1(VALU_DEP_1)
	v_dual_cndmask_b32 v23, -1, v4 :: v_dual_and_b32 v26, v24, v22
	v_and_b32_e32 v25, v23, v21
	v_lshrrev_b64 v[23:24], s82, v[23:24]
	s_delay_alu instid0(VALU_DEP_2) | instskip(NEXT) | instid1(VALU_DEP_2)
	v_cmp_eq_u64_e32 vcc_lo, v[25:26], v[18:19]
	v_and_b32_e32 v12, 3, v23
	s_delay_alu instid0(VALU_DEP_1)
	v_cmp_eq_u64_e64 s8, 0, v[12:13]
	v_cmp_eq_u64_e64 s9, 1, v[12:13]
	;; [unrolled: 1-line block ×4, first 2 shown]
	s_and_b32 s8, vcc_lo, s8
	s_wait_alu 0xfffe
	v_cndmask_b32_e64 v4, 0, 1, s8
	s_and_b32 s8, vcc_lo, s9
	s_wait_alu 0xfffe
	v_cndmask_b32_e64 v12, 0, 1, s8
	;; [unrolled: 3-line block ×3, first 2 shown]
	s_and_b32 s8, vcc_lo, s11
	v_cmp_ne_u32_e32 vcc_lo, 0, v4
	s_wait_alu 0xfffe
	v_cndmask_b32_e64 v24, 0, 1, s8
	v_cmp_ne_u32_e64 s8, 0, v12
	v_cmp_ne_u32_e64 s9, 0, v23
	s_bcnt1_i32_b32 s11, vcc_lo
	v_cmp_ne_u32_e64 s10, 0, v24
	s_bcnt1_i32_b32 s8, s8
	s_bcnt1_i32_b32 s9, s9
	s_wait_alu 0xfffe
	v_add_nc_u32_e32 v7, s11, v7
	v_add_nc_u32_e32 v8, s8, v8
	s_bcnt1_i32_b32 s10, s10
	v_add_nc_u32_e32 v9, s9, v9
	s_wait_alu 0xfffe
	v_add_nc_u32_e32 v10, s10, v10
	s_or_b32 s13, s7, s13
	s_wait_alu 0xfffe
	s_and_not1_b32 exec_lo, exec_lo, s13
	s_cbranch_execnz .LBB114_74
; %bb.75:                               ;   in Loop: Header=BB114_20 Depth=1
	s_or_b32 exec_lo, exec_lo, s13
.LBB114_76:                             ;   in Loop: Header=BB114_20 Depth=1
	s_wait_alu 0xfffe
	s_or_b32 exec_lo, exec_lo, s12
	v_lshlrev_b32_e32 v1, 7, v40
	s_and_saveexec_b32 s7, s3
	s_cbranch_execnz .LBB114_50
	s_branch .LBB114_51
.LBB114_77:                             ;   in Loop: Header=BB114_20 Depth=1
	v_mov_b32_e32 v3, 0
	s_mov_b32 s8, 0
	s_and_not1_b32 vcc_lo, exec_lo, s69
	s_wait_alu 0xfffe
	s_cbranch_vccnz .LBB114_80
.LBB114_78:                             ;   in Loop: Header=BB114_20 Depth=1
	v_lshlrev_b32_e32 v4, 9, v40
	s_lshl_b32 s8, s8, 4
	s_wait_alu 0xfffe
	s_delay_alu instid0(VALU_DEP_1)
	v_add3_u32 v4, v4, s8, v39
	s_mov_b32 s8, s66
.LBB114_79:                             ;   Parent Loop BB114_20 Depth=1
                                        ; =>  This Inner Loop Header: Depth=2
	ds_load_b32 v7, v4
	v_add_nc_u32_e32 v4, 16, v4
	s_wait_alu 0xfffe
	s_add_co_i32 s8, s8, -1
	s_wait_alu 0xfffe
	s_cmp_lg_u32 s8, 0
	s_wait_dscnt 0x0
	v_add_nc_u32_e32 v3, v7, v3
	s_cbranch_scc1 .LBB114_79
.LBB114_80:                             ;   in Loop: Header=BB114_20 Depth=1
	v_add_lshl_u32 v4, v1, v27, 2
	ds_store_b32 v4, v3 offset:3072
.LBB114_81:                             ;   in Loop: Header=BB114_20 Depth=1
	s_wait_alu 0xfffe
	s_or_b32 exec_lo, exec_lo, s7
	v_lshlrev_b32_e32 v1, 2, v1
	s_wait_loadcnt_dscnt 0x0
	s_barrier_signal -1
	s_barrier_wait -1
	global_inv scope:SCOPE_SE
	ds_load_b128 v[7:10], v1 offset:3072
	s_lshl_b64 s[8:9], 3, s82
	v_cmp_eq_u32_e32 vcc_lo, 1, v41
	s_wait_alu 0xfffe
	s_not_b64 s[10:11], s[8:9]
	s_mov_b32 s14, -1
	s_mov_b32 s21, -1
                                        ; implicit-def: $sgpr18
                                        ; implicit-def: $sgpr16
	s_wait_dscnt 0x0
	v_readfirstlane_b32 s13, v7
	v_readfirstlane_b32 s19, v8
	;; [unrolled: 1-line block ×4, first 2 shown]
	s_cmp_eq_u32 s13, 1
	s_cselect_b32 s12, -1, 0
	s_wait_alu 0xfffe
	s_and_b32 s15, s12, vcc_lo
	s_wait_alu 0xfffe
	s_and_saveexec_b32 s12, s15
	s_cbranch_execz .LBB114_109
; %bb.82:                               ;   in Loop: Header=BB114_20 Depth=1
	ds_load_b32 v1, v13 offset:4104
	s_wait_loadcnt_dscnt 0x0
	s_barrier_signal -1
	s_barrier_wait -1
	global_inv scope:SCOPE_SE
	v_readfirstlane_b32 s21, v1
	s_and_saveexec_b32 s16, s1
; %bb.83:                               ;   in Loop: Header=BB114_20 Depth=1
	v_mov_b32_e32 v12, v13
	ds_store_b64 v30, v[12:13]
; %bb.84:                               ;   in Loop: Header=BB114_20 Depth=1
	s_wait_alu 0xfffe
	s_or_b32 exec_lo, exec_lo, s16
	v_and_b32_e32 v19, s11, v19
	v_and_b32_e32 v18, s10, v18
	v_or_b32_e32 v22, s9, v22
	v_or_b32_e32 v21, s8, v21
	s_mov_b32 s16, -1
	s_mov_b32 s18, 0
	s_cmp_eq_u32 s21, 0
	s_mov_b32 s20, 0
	s_mov_b32 s22, -1
	s_wait_loadcnt_dscnt 0x0
	s_barrier_signal -1
	s_barrier_wait -1
	global_inv scope:SCOPE_SE
                                        ; implicit-def: $vgpr5_vgpr6
	s_cbranch_scc1 .LBB114_96
; %bb.85:                               ;   in Loop: Header=BB114_20 Depth=1
	s_add_co_i32 s58, s21, s43
                                        ; implicit-def: $vgpr5_vgpr6
	s_wait_alu 0xfffe
	s_mul_u64 s[22:23], s[58:59], s[62:63]
	s_wait_alu 0xfffe
	s_mul_i32 s20, s23, s29
	s_mov_b32 s23, exec_lo
	s_wait_alu 0xfffe
	s_sub_co_i32 s20, s58, s20
	s_wait_alu 0xfffe
	s_sub_co_i32 s22, s20, s29
	s_cmp_ge_u32 s20, s29
	s_wait_alu 0xfffe
	s_cselect_b32 s20, s22, s20
	s_wait_alu 0xfffe
	s_sub_co_i32 s22, s20, s29
	s_cmp_ge_u32 s20, s29
	s_wait_alu 0xfffe
	s_cselect_b32 s20, s22, s20
	s_mov_b32 s22, 0
	s_wait_alu 0xfffe
	s_sub_co_i32 s24, s58, s20
	s_mov_b32 s20, 0
	s_wait_alu 0xfffe
	v_cmpx_gt_u32_e64 s24, v0
	s_cbranch_execz .LBB114_95
; %bb.86:                               ;   in Loop: Header=BB114_20 Depth=1
	v_dual_mov_b32 v7, v29 :: v_dual_mov_b32 v8, v0
                                        ; implicit-def: $sgpr25
	s_branch .LBB114_90
.LBB114_87:                             ;   in Loop: Header=BB114_90 Depth=2
	s_wait_alu 0xfffe
	s_or_b32 exec_lo, exec_lo, s26
	s_wait_loadcnt_dscnt 0x0
	s_barrier_signal -1
	s_barrier_wait -1
	global_inv scope:SCOPE_SE
	ds_load_b128 v[3:6], v13 offset:3072
	s_wait_loadcnt_dscnt 0x0
	s_barrier_signal -1
	s_barrier_wait -1
	global_inv scope:SCOPE_SE
	v_cmp_neq_f64_e32 vcc_lo, 0, v[3:4]
	s_cbranch_vccnz .LBB114_93
; %bb.88:                               ;   in Loop: Header=BB114_90 Depth=2
	v_add_nc_u32_e32 v8, s29, v8
	v_add_nc_u32_e32 v7, s74, v7
	s_mov_b32 s26, 0
	s_delay_alu instid0(VALU_DEP_2)
	v_cmp_le_u32_e32 vcc_lo, s24, v8
	s_or_not1_b32 s58, vcc_lo, exec_lo
.LBB114_89:                             ;   in Loop: Header=BB114_90 Depth=2
	s_wait_alu 0xfffe
	s_and_b32 s58, exec_lo, s58
	s_wait_alu 0xfffe
	s_or_b32 s20, s58, s20
	s_and_not1_b32 s25, s25, exec_lo
	s_and_b32 s26, s26, exec_lo
	s_wait_alu 0xfffe
	s_or_b32 s25, s25, s26
	s_and_not1_b32 exec_lo, exec_lo, s20
	s_cbranch_execz .LBB114_94
.LBB114_90:                             ;   Parent Loop BB114_20 Depth=1
                                        ; =>  This Inner Loop Header: Depth=2
	s_mov_b32 s26, exec_lo
	s_delay_alu instid0(VALU_DEP_1)
	v_cmpx_gt_u32_e64 s21, v8
	s_cbranch_execz .LBB114_87
; %bb.91:                               ;   in Loop: Header=BB114_90 Depth=2
	ds_load_b64 v[3:4], v7
	s_wait_dscnt 0x0
	v_cmp_o_f64_e32 vcc_lo, v[3:4], v[3:4]
	v_ashrrev_i32_e32 v1, 31, v4
	s_delay_alu instid0(VALU_DEP_1) | instskip(SKIP_1) | instid1(VALU_DEP_2)
	v_or_b32_e32 v5, 0x80000000, v1
	v_xor_b32_e32 v1, v1, v3
	v_xor_b32_e32 v5, v5, v4
	s_wait_alu 0xfffd
	s_delay_alu instid0(VALU_DEP_1) | instskip(NEXT) | instid1(VALU_DEP_1)
	v_cndmask_b32_e32 v5, -1, v5, vcc_lo
	v_dual_cndmask_b32 v1, -1, v1 :: v_dual_and_b32 v6, v5, v22
	s_delay_alu instid0(VALU_DEP_1) | instskip(NEXT) | instid1(VALU_DEP_1)
	v_and_b32_e32 v5, v1, v21
	v_cmp_eq_u64_e32 vcc_lo, v[5:6], v[18:19]
	s_and_b32 exec_lo, exec_lo, vcc_lo
	s_cbranch_execz .LBB114_87
; %bb.92:                               ;   in Loop: Header=BB114_90 Depth=2
	v_mov_b32_e32 v1, v13
	ds_store_b128 v13, v[1:4] offset:3072
	s_branch .LBB114_87
.LBB114_93:                             ;   in Loop: Header=BB114_90 Depth=2
	s_mov_b32 s58, -1
	s_mov_b32 s26, -1
                                        ; implicit-def: $vgpr8
                                        ; implicit-def: $vgpr7
	s_branch .LBB114_89
.LBB114_94:                             ;   in Loop: Header=BB114_20 Depth=1
	s_or_b32 exec_lo, exec_lo, s20
	s_wait_alu 0xfffe
	s_and_b32 s20, s25, exec_lo
.LBB114_95:                             ;   in Loop: Header=BB114_20 Depth=1
	s_or_b32 exec_lo, exec_lo, s23
.LBB114_96:                             ;   in Loop: Header=BB114_20 Depth=1
	s_wait_alu 0xfffe
	s_and_b32 vcc_lo, exec_lo, s22
	s_wait_alu 0xfffe
	s_cbranch_vccz .LBB114_108
; %bb.97:                               ;   in Loop: Header=BB114_20 Depth=1
                                        ; implicit-def: $vgpr5_vgpr6
	s_and_saveexec_b32 s16, s6
	s_cbranch_execz .LBB114_107
; %bb.98:                               ;   in Loop: Header=BB114_20 Depth=1
	v_dual_mov_b32 v12, v11 :: v_dual_mov_b32 v7, v0
	s_mov_b32 s21, 0
                                        ; implicit-def: $sgpr18
	s_branch .LBB114_102
.LBB114_99:                             ;   in Loop: Header=BB114_102 Depth=2
	s_wait_alu 0xfffe
	s_or_b32 exec_lo, exec_lo, s22
	s_wait_loadcnt_dscnt 0x0
	s_barrier_signal -1
	s_barrier_wait -1
	global_inv scope:SCOPE_SE
	ds_load_b128 v[3:6], v13 offset:3072
	s_wait_loadcnt_dscnt 0x0
	s_barrier_signal -1
	s_barrier_wait -1
	global_inv scope:SCOPE_SE
	v_cmp_neq_f64_e32 vcc_lo, 0, v[3:4]
	s_cbranch_vccnz .LBB114_105
; %bb.100:                              ;   in Loop: Header=BB114_102 Depth=2
	v_add_nc_u32_e32 v7, s29, v7
	v_add_nc_u32_e32 v12, s47, v12
	s_mov_b32 s22, 0
	s_delay_alu instid0(VALU_DEP_2)
	v_cmp_le_u32_e32 vcc_lo, s71, v7
	s_or_not1_b32 s23, vcc_lo, exec_lo
.LBB114_101:                            ;   in Loop: Header=BB114_102 Depth=2
	s_wait_alu 0xfffe
	s_and_b32 s23, exec_lo, s23
	s_wait_alu 0xfffe
	s_or_b32 s21, s23, s21
	s_and_not1_b32 s18, s18, exec_lo
	s_and_b32 s22, s22, exec_lo
	s_wait_alu 0xfffe
	s_or_b32 s18, s18, s22
	s_and_not1_b32 exec_lo, exec_lo, s21
	s_cbranch_execz .LBB114_106
.LBB114_102:                            ;   Parent Loop BB114_20 Depth=1
                                        ; =>  This Inner Loop Header: Depth=2
	s_mov_b32 s22, exec_lo
	s_delay_alu instid0(VALU_DEP_1)
	v_cmpx_gt_u32_e64 s28, v7
	s_cbranch_execz .LBB114_99
; %bb.103:                              ;   in Loop: Header=BB114_102 Depth=2
	v_lshlrev_b64_e32 v[3:4], 3, v[12:13]
	s_delay_alu instid0(VALU_DEP_1) | instskip(SKIP_1) | instid1(VALU_DEP_2)
	v_add_co_u32 v3, vcc_lo, s48, v3
	s_wait_alu 0xfffd
	v_add_co_ci_u32_e64 v4, null, s49, v4, vcc_lo
	global_load_b64 v[3:4], v[3:4], off
	s_wait_loadcnt 0x0
	v_cmp_o_f64_e32 vcc_lo, v[3:4], v[3:4]
	v_ashrrev_i32_e32 v1, 31, v4
	s_delay_alu instid0(VALU_DEP_1) | instskip(SKIP_1) | instid1(VALU_DEP_2)
	v_or_b32_e32 v5, 0x80000000, v1
	v_xor_b32_e32 v1, v1, v3
	v_xor_b32_e32 v5, v5, v4
	s_wait_alu 0xfffd
	s_delay_alu instid0(VALU_DEP_1) | instskip(NEXT) | instid1(VALU_DEP_1)
	v_cndmask_b32_e32 v5, -1, v5, vcc_lo
	v_dual_cndmask_b32 v1, -1, v1 :: v_dual_and_b32 v6, v5, v22
	s_delay_alu instid0(VALU_DEP_1) | instskip(NEXT) | instid1(VALU_DEP_1)
	v_and_b32_e32 v5, v1, v21
	v_cmp_eq_u64_e32 vcc_lo, v[5:6], v[18:19]
	s_and_b32 exec_lo, exec_lo, vcc_lo
	s_cbranch_execz .LBB114_99
; %bb.104:                              ;   in Loop: Header=BB114_102 Depth=2
	v_mov_b32_e32 v1, v13
	ds_store_b128 v13, v[1:4] offset:3072
	s_branch .LBB114_99
.LBB114_105:                            ;   in Loop: Header=BB114_102 Depth=2
	s_mov_b32 s23, -1
	s_mov_b32 s22, -1
                                        ; implicit-def: $vgpr7
	s_branch .LBB114_101
.LBB114_106:                            ;   in Loop: Header=BB114_20 Depth=1
	s_or_b32 exec_lo, exec_lo, s21
	s_delay_alu instid0(SALU_CYCLE_1)
	s_and_not1_b32 s20, s20, exec_lo
	s_wait_alu 0xfffe
	s_and_b32 s18, s18, exec_lo
	s_wait_alu 0xfffe
	s_or_b32 s20, s20, s18
.LBB114_107:                            ;   in Loop: Header=BB114_20 Depth=1
	s_wait_alu 0xfffe
	s_or_b32 exec_lo, exec_lo, s16
	s_mov_b32 s16, 0
	s_mov_b32 s18, -1
.LBB114_108:                            ;   in Loop: Header=BB114_20 Depth=1
	s_or_not1_b32 s21, s20, exec_lo
.LBB114_109:                            ;   in Loop: Header=BB114_20 Depth=1
	s_wait_alu 0xfffe
	s_or_b32 exec_lo, exec_lo, s12
	v_readfirstlane_b32 s20, v0
	s_and_not1_b32 s12, s80, exec_lo
	s_and_b32 s18, s18, exec_lo
	s_and_not1_b32 s22, s78, exec_lo
	s_and_b32 s16, s16, exec_lo
	s_and_not1_b32 s77, s77, exec_lo
	s_wait_alu 0xfffe
	s_or_b32 s80, s12, s18
	s_or_b32 s78, s22, s16
                                        ; implicit-def: $vgpr8
	s_and_saveexec_b32 s12, s21
	s_cbranch_execz .LBB114_19
; %bb.110:                              ;   in Loop: Header=BB114_20 Depth=1
	v_dual_mov_b32 v8, 1 :: v_dual_mov_b32 v7, 1
	s_xor_b32 s15, s15, -1
	s_mov_b32 s20, 0
	s_wait_alu 0xfffe
	s_and_saveexec_b32 s14, s15
	s_cbranch_execz .LBB114_119
; %bb.111:                              ;   in Loop: Header=BB114_20 Depth=1
	s_mov_b32 s15, exec_lo
	v_cmpx_ge_u32_e64 s13, v41
	s_wait_alu 0xfffe
	s_xor_b32 s15, exec_lo, s15
	s_cbranch_execz .LBB114_116
; %bb.112:                              ;   in Loop: Header=BB114_20 Depth=1
	ds_load_b32 v1, v13 offset:4104
	v_and_b32_e32 v19, s11, v19
	v_and_b32_e32 v18, s10, v18
	v_or_b32_e32 v22, s9, v22
	v_or_b32_e32 v21, s8, v21
	s_wait_dscnt 0x0
	v_cmp_ne_u32_e32 vcc_lo, 0, v1
	s_cbranch_vccnz .LBB114_116
; %bb.113:                              ;   in Loop: Header=BB114_20 Depth=1
	s_and_saveexec_b32 s16, s0
; %bb.114:                              ;   in Loop: Header=BB114_20 Depth=1
	v_mov_b32_e32 v1, s13
	ds_store_b32 v13, v1 offset:4108
; %bb.115:                              ;   in Loop: Header=BB114_20 Depth=1
	s_wait_alu 0xfffe
	s_or_b32 exec_lo, exec_lo, s16
	s_wait_loadcnt_dscnt 0x0
	s_barrier_signal -1
	s_barrier_wait -1
	global_inv scope:SCOPE_SE
.LBB114_116:                            ;   in Loop: Header=BB114_20 Depth=1
	s_wait_alu 0xfffe
	s_or_saveexec_b32 s15, s15
	v_mov_b32_e32 v7, 8
	s_mov_b32 s16, 0
	s_wait_alu 0xfffe
	s_xor_b32 exec_lo, exec_lo, s15
; %bb.117:                              ;   in Loop: Header=BB114_20 Depth=1
	v_subrev_nc_u32_e32 v41, s13, v41
	v_mov_b32_e32 v7, 0
	s_mov_b32 s16, exec_lo
; %bb.118:                              ;   in Loop: Header=BB114_20 Depth=1
	s_or_b32 exec_lo, exec_lo, s15
	s_delay_alu instid0(VALU_DEP_2)
	v_mov_b32_e32 v8, v41
	s_wait_alu 0xfffe
	s_and_b32 s20, s16, exec_lo
.LBB114_119:                            ;   in Loop: Header=BB114_20 Depth=1
	s_wait_alu 0xfffe
	s_or_b32 exec_lo, exec_lo, s14
	s_mov_b32 s13, -1
	s_mov_b32 s18, -1
                                        ; implicit-def: $sgpr15
                                        ; implicit-def: $sgpr16
	s_and_saveexec_b32 s14, s20
	s_wait_alu 0xfffe
	s_xor_b32 s14, exec_lo, s14
	s_cbranch_execz .LBB114_245
; %bb.120:                              ;   in Loop: Header=BB114_20 Depth=1
	v_cmp_eq_u32_e32 vcc_lo, 1, v8
	s_cmp_eq_u32 s19, 1
	s_mov_b32 s21, -1
	s_cselect_b32 s15, -1, 0
                                        ; implicit-def: $sgpr16
	s_wait_alu 0xfffe
	s_and_b32 s20, s15, vcc_lo
                                        ; implicit-def: $sgpr15
	s_wait_alu 0xfffe
	s_and_saveexec_b32 s18, s20
	s_cbranch_execz .LBB114_151
; %bb.121:                              ;   in Loop: Header=BB114_20 Depth=1
	ds_load_b32 v1, v13 offset:4104
	s_wait_loadcnt_dscnt 0x0
	s_barrier_signal -1
	s_barrier_wait -1
	global_inv scope:SCOPE_SE
	v_readfirstlane_b32 s22, v1
	s_and_saveexec_b32 s15, s1
; %bb.122:                              ;   in Loop: Header=BB114_20 Depth=1
	v_mov_b32_e32 v12, v13
	ds_store_b64 v30, v[12:13]
; %bb.123:                              ;   in Loop: Header=BB114_20 Depth=1
	s_wait_alu 0xfffe
	s_or_b32 exec_lo, exec_lo, s15
	v_and_b32_e32 v1, s11, v19
	v_and_b32_e32 v3, s10, v18
	s_lshl_b64 s[24:25], 1, s82
	v_or_b32_e32 v22, s9, v22
	v_or_b32_e32 v21, s8, v21
	s_wait_alu 0xfffe
	v_or_b32_e32 v19, s25, v1
	v_or_b32_e32 v18, s24, v3
	s_mov_b32 s15, -1
	s_mov_b32 s16, 0
	s_cmp_eq_u32 s22, 0
	s_mov_b32 s21, 0
	s_mov_b32 s23, -1
	s_wait_loadcnt_dscnt 0x0
	s_barrier_signal -1
	s_barrier_wait -1
	global_inv scope:SCOPE_SE
                                        ; implicit-def: $vgpr5_vgpr6
	s_cbranch_scc1 .LBB114_138
; %bb.124:                              ;   in Loop: Header=BB114_20 Depth=1
	s_add_co_i32 s58, s22, s43
                                        ; implicit-def: $vgpr5_vgpr6
	s_wait_alu 0xfffe
	s_mul_u64 s[24:25], s[58:59], s[62:63]
	s_mov_b32 s24, exec_lo
	s_wait_alu 0xfffe
	s_mul_i32 s21, s25, s29
	s_wait_alu 0xfffe
	s_sub_co_i32 s21, s58, s21
	s_wait_alu 0xfffe
	s_sub_co_i32 s23, s21, s29
	s_cmp_ge_u32 s21, s29
	s_wait_alu 0xfffe
	s_cselect_b32 s21, s23, s21
	s_wait_alu 0xfffe
	s_sub_co_i32 s23, s21, s29
	s_cmp_ge_u32 s21, s29
	s_wait_alu 0xfffe
	s_cselect_b32 s21, s23, s21
	s_mov_b32 s23, 0
	s_wait_alu 0xfffe
	s_sub_co_i32 s25, s58, s21
	s_mov_b32 s21, 0
	s_wait_alu 0xfffe
	v_cmpx_gt_u32_e64 s25, v0
	s_cbranch_execz .LBB114_137
; %bb.125:                              ;   in Loop: Header=BB114_20 Depth=1
	v_dual_mov_b32 v9, v29 :: v_dual_mov_b32 v10, v0
                                        ; implicit-def: $sgpr26
	s_branch .LBB114_129
.LBB114_126:                            ;   in Loop: Header=BB114_129 Depth=2
	s_wait_alu 0xfffe
	s_or_b32 exec_lo, exec_lo, s58
	s_wait_loadcnt_dscnt 0x0
	s_barrier_signal -1
	s_barrier_wait -1
	global_inv scope:SCOPE_SE
	ds_load_b128 v[3:6], v13 offset:3072
	s_wait_loadcnt_dscnt 0x0
	s_barrier_signal -1
	s_barrier_wait -1
	global_inv scope:SCOPE_SE
	v_cmp_neq_f64_e32 vcc_lo, 0, v[3:4]
	s_cbranch_vccnz .LBB114_132
; %bb.127:                              ;   in Loop: Header=BB114_129 Depth=2
	v_add_nc_u32_e32 v10, s29, v10
	v_add_nc_u32_e32 v9, s74, v9
	s_mov_b32 s58, 0
	s_delay_alu instid0(VALU_DEP_2)
	v_cmp_le_u32_e32 vcc_lo, s25, v10
	s_or_not1_b32 s83, vcc_lo, exec_lo
.LBB114_128:                            ;   in Loop: Header=BB114_129 Depth=2
	s_wait_alu 0xfffe
	s_and_b32 s83, exec_lo, s83
	s_wait_alu 0xfffe
	s_or_b32 s21, s83, s21
	s_and_not1_b32 s26, s26, exec_lo
	s_and_b32 s58, s58, exec_lo
	s_wait_alu 0xfffe
	s_or_b32 s26, s26, s58
	s_and_not1_b32 exec_lo, exec_lo, s21
	s_cbranch_execz .LBB114_136
.LBB114_129:                            ;   Parent Loop BB114_20 Depth=1
                                        ; =>  This Inner Loop Header: Depth=2
	s_mov_b32 s58, exec_lo
	s_delay_alu instid0(VALU_DEP_1)
	v_cmpx_gt_u32_e64 s22, v10
	s_cbranch_execz .LBB114_126
; %bb.130:                              ;   in Loop: Header=BB114_129 Depth=2
	ds_load_b64 v[3:4], v9
	s_wait_dscnt 0x0
	v_cmp_o_f64_e32 vcc_lo, v[3:4], v[3:4]
	v_ashrrev_i32_e32 v1, 31, v4
	s_delay_alu instid0(VALU_DEP_1) | instskip(SKIP_1) | instid1(VALU_DEP_2)
	v_or_b32_e32 v5, 0x80000000, v1
	v_xor_b32_e32 v1, v1, v3
	v_xor_b32_e32 v5, v5, v4
	s_wait_alu 0xfffd
	s_delay_alu instid0(VALU_DEP_1) | instskip(NEXT) | instid1(VALU_DEP_1)
	v_cndmask_b32_e32 v5, -1, v5, vcc_lo
	v_dual_cndmask_b32 v1, -1, v1 :: v_dual_and_b32 v6, v5, v22
	s_delay_alu instid0(VALU_DEP_1) | instskip(NEXT) | instid1(VALU_DEP_1)
	v_and_b32_e32 v5, v1, v21
	v_cmp_eq_u64_e32 vcc_lo, v[5:6], v[18:19]
	s_and_b32 exec_lo, exec_lo, vcc_lo
	s_cbranch_execz .LBB114_126
; %bb.131:                              ;   in Loop: Header=BB114_129 Depth=2
	v_mov_b32_e32 v1, v13
	ds_store_b128 v13, v[1:4] offset:3072
	s_branch .LBB114_126
.LBB114_132:                            ;   in Loop: Header=BB114_129 Depth=2
	s_mov_b32 s83, -1
	s_mov_b32 s58, -1
                                        ; implicit-def: $vgpr10
                                        ; implicit-def: $vgpr9
	s_branch .LBB114_128
.LBB114_133:                            ;   in Loop: Header=BB114_20 Depth=1
	s_wait_alu 0xfffe
	s_or_b32 exec_lo, exec_lo, s10
	s_wait_loadcnt_dscnt 0x0
	s_barrier_signal -1
	s_barrier_wait -1
	global_inv scope:SCOPE_SE
	s_and_saveexec_b32 s7, s0
	s_cbranch_execz .LBB114_135
; %bb.134:                              ;   in Loop: Header=BB114_20 Depth=1
	ds_load_b32 v1, v13 offset:4112
	s_wait_dscnt 0x0
	ds_store_b32 v13, v1 offset:4104
.LBB114_135:                            ;   in Loop: Header=BB114_20 Depth=1
	s_wait_alu 0xfffe
	s_or_b32 exec_lo, exec_lo, s7
	s_wait_loadcnt_dscnt 0x0
	s_barrier_signal -1
	s_mov_b32 s7, -1
	s_barrier_wait -1
	s_and_b32 vcc_lo, exec_lo, s9
	s_wait_alu 0xfffe
	s_cbranch_vccnz .LBB114_36
	s_branch .LBB114_45
.LBB114_136:                            ;   in Loop: Header=BB114_20 Depth=1
	s_or_b32 exec_lo, exec_lo, s21
	s_wait_alu 0xfffe
	s_and_b32 s21, s26, exec_lo
.LBB114_137:                            ;   in Loop: Header=BB114_20 Depth=1
	s_or_b32 exec_lo, exec_lo, s24
.LBB114_138:                            ;   in Loop: Header=BB114_20 Depth=1
	s_wait_alu 0xfffe
	s_and_b32 vcc_lo, exec_lo, s23
	s_wait_alu 0xfffe
	s_cbranch_vccz .LBB114_150
; %bb.139:                              ;   in Loop: Header=BB114_20 Depth=1
                                        ; implicit-def: $vgpr5_vgpr6
	s_and_saveexec_b32 s15, s6
	s_cbranch_execz .LBB114_149
; %bb.140:                              ;   in Loop: Header=BB114_20 Depth=1
	v_dual_mov_b32 v12, v11 :: v_dual_mov_b32 v9, v0
	s_mov_b32 s16, 0
                                        ; implicit-def: $sgpr22
	s_branch .LBB114_144
.LBB114_141:                            ;   in Loop: Header=BB114_144 Depth=2
	s_wait_alu 0xfffe
	s_or_b32 exec_lo, exec_lo, s23
	s_wait_loadcnt_dscnt 0x0
	s_barrier_signal -1
	s_barrier_wait -1
	global_inv scope:SCOPE_SE
	ds_load_b128 v[3:6], v13 offset:3072
	s_wait_loadcnt_dscnt 0x0
	s_barrier_signal -1
	s_barrier_wait -1
	global_inv scope:SCOPE_SE
	v_cmp_eq_f64_e32 vcc_lo, 0, v[3:4]
	s_cbranch_vccz .LBB114_147
; %bb.142:                              ;   in Loop: Header=BB114_144 Depth=2
	v_add_nc_u32_e32 v9, s29, v9
	v_add_nc_u32_e32 v12, s47, v12
	s_mov_b32 s23, 0
	s_delay_alu instid0(VALU_DEP_2)
	v_cmp_le_u32_e32 vcc_lo, s71, v9
	s_or_not1_b32 s24, vcc_lo, exec_lo
.LBB114_143:                            ;   in Loop: Header=BB114_144 Depth=2
	s_wait_alu 0xfffe
	s_and_b32 s24, exec_lo, s24
	s_wait_alu 0xfffe
	s_or_b32 s16, s24, s16
	s_and_not1_b32 s22, s22, exec_lo
	s_and_b32 s23, s23, exec_lo
	s_wait_alu 0xfffe
	s_or_b32 s22, s22, s23
	s_and_not1_b32 exec_lo, exec_lo, s16
	s_cbranch_execz .LBB114_148
.LBB114_144:                            ;   Parent Loop BB114_20 Depth=1
                                        ; =>  This Inner Loop Header: Depth=2
	s_mov_b32 s23, exec_lo
	s_delay_alu instid0(VALU_DEP_1)
	v_cmpx_gt_u32_e64 s28, v9
	s_cbranch_execz .LBB114_141
; %bb.145:                              ;   in Loop: Header=BB114_144 Depth=2
	v_lshlrev_b64_e32 v[3:4], 3, v[12:13]
	s_delay_alu instid0(VALU_DEP_1) | instskip(SKIP_1) | instid1(VALU_DEP_2)
	v_add_co_u32 v3, vcc_lo, s48, v3
	s_wait_alu 0xfffd
	v_add_co_ci_u32_e64 v4, null, s49, v4, vcc_lo
	global_load_b64 v[3:4], v[3:4], off
	s_wait_loadcnt 0x0
	v_cmp_o_f64_e32 vcc_lo, v[3:4], v[3:4]
	v_ashrrev_i32_e32 v1, 31, v4
	s_delay_alu instid0(VALU_DEP_1) | instskip(SKIP_1) | instid1(VALU_DEP_2)
	v_or_b32_e32 v5, 0x80000000, v1
	v_xor_b32_e32 v1, v1, v3
	v_xor_b32_e32 v5, v5, v4
	s_wait_alu 0xfffd
	s_delay_alu instid0(VALU_DEP_1) | instskip(NEXT) | instid1(VALU_DEP_1)
	v_cndmask_b32_e32 v5, -1, v5, vcc_lo
	v_dual_cndmask_b32 v1, -1, v1 :: v_dual_and_b32 v6, v5, v22
	s_delay_alu instid0(VALU_DEP_1) | instskip(NEXT) | instid1(VALU_DEP_1)
	v_and_b32_e32 v5, v1, v21
	v_cmp_eq_u64_e32 vcc_lo, v[5:6], v[18:19]
	s_and_b32 exec_lo, exec_lo, vcc_lo
	s_cbranch_execz .LBB114_141
; %bb.146:                              ;   in Loop: Header=BB114_144 Depth=2
	v_mov_b32_e32 v1, v13
	ds_store_b128 v13, v[1:4] offset:3072
	s_branch .LBB114_141
.LBB114_147:                            ;   in Loop: Header=BB114_144 Depth=2
	s_mov_b32 s24, -1
	s_mov_b32 s23, -1
                                        ; implicit-def: $vgpr9
	s_branch .LBB114_143
.LBB114_148:                            ;   in Loop: Header=BB114_20 Depth=1
	s_or_b32 exec_lo, exec_lo, s16
	s_delay_alu instid0(SALU_CYCLE_1)
	s_and_not1_b32 s16, s21, exec_lo
	s_wait_alu 0xfffe
	s_and_b32 s21, s22, exec_lo
	s_wait_alu 0xfffe
	s_or_b32 s21, s16, s21
.LBB114_149:                            ;   in Loop: Header=BB114_20 Depth=1
	s_wait_alu 0xfffe
	s_or_b32 exec_lo, exec_lo, s15
	s_mov_b32 s15, 0
	s_mov_b32 s16, -1
.LBB114_150:                            ;   in Loop: Header=BB114_20 Depth=1
	s_or_not1_b32 s21, s21, exec_lo
.LBB114_151:                            ;   in Loop: Header=BB114_20 Depth=1
	s_wait_alu 0xfffe
	s_or_b32 exec_lo, exec_lo, s18
	s_mov_b32 s22, 0
	s_and_saveexec_b32 s18, s21
	s_cbranch_execz .LBB114_244
; %bb.152:                              ;   in Loop: Header=BB114_20 Depth=1
	v_mov_b32_e32 v9, 1
	v_mov_b32_e32 v7, 1
	s_xor_b32 s21, s20, -1
	s_mov_b32 s23, 0
	s_wait_alu 0xfffe
	s_and_saveexec_b32 s20, s21
	s_cbranch_execz .LBB114_161
; %bb.153:                              ;   in Loop: Header=BB114_20 Depth=1
	s_mov_b32 s21, exec_lo
	v_cmpx_ge_u32_e64 s19, v8
	s_wait_alu 0xfffe
	s_xor_b32 s21, exec_lo, s21
	s_cbranch_execz .LBB114_158
; %bb.154:                              ;   in Loop: Header=BB114_20 Depth=1
	ds_load_b32 v1, v13 offset:4104
	v_and_b32_e32 v3, s11, v19
	v_and_b32_e32 v4, s10, v18
	s_lshl_b64 s[22:23], 1, s82
	v_or_b32_e32 v22, s9, v22
	v_or_b32_e32 v21, s8, v21
	s_wait_alu 0xfffe
	v_or_b32_e32 v19, s23, v3
	v_or_b32_e32 v18, s22, v4
	s_wait_dscnt 0x0
	v_cmp_ne_u32_e32 vcc_lo, 0, v1
	s_cbranch_vccnz .LBB114_158
; %bb.155:                              ;   in Loop: Header=BB114_20 Depth=1
	s_and_saveexec_b32 s22, s0
; %bb.156:                              ;   in Loop: Header=BB114_20 Depth=1
	v_mov_b32_e32 v1, s19
	ds_store_b32 v13, v1 offset:4108
; %bb.157:                              ;   in Loop: Header=BB114_20 Depth=1
	s_wait_alu 0xfffe
	s_or_b32 exec_lo, exec_lo, s22
	s_wait_loadcnt_dscnt 0x0
	s_barrier_signal -1
	s_barrier_wait -1
	global_inv scope:SCOPE_SE
.LBB114_158:                            ;   in Loop: Header=BB114_20 Depth=1
	s_wait_alu 0xfffe
	s_or_saveexec_b32 s21, s21
	v_mov_b32_e32 v7, 8
	s_mov_b32 s22, 0
	s_wait_alu 0xfffe
	s_xor_b32 exec_lo, exec_lo, s21
; %bb.159:                              ;   in Loop: Header=BB114_20 Depth=1
	v_subrev_nc_u32_e32 v8, s19, v8
	v_mov_b32_e32 v7, 0
	s_mov_b32 s22, exec_lo
; %bb.160:                              ;   in Loop: Header=BB114_20 Depth=1
	s_or_b32 exec_lo, exec_lo, s21
	s_delay_alu instid0(VALU_DEP_2)
	v_mov_b32_e32 v9, v8
	s_wait_alu 0xfffe
	s_and_b32 s23, s22, exec_lo
.LBB114_161:                            ;   in Loop: Header=BB114_20 Depth=1
	s_wait_alu 0xfffe
	s_or_b32 exec_lo, exec_lo, s20
	s_mov_b32 s22, -1
                                        ; implicit-def: $sgpr20
                                        ; implicit-def: $sgpr21
	s_and_saveexec_b32 s19, s23
	s_cbranch_execz .LBB114_243
; %bb.162:                              ;   in Loop: Header=BB114_20 Depth=1
	v_cmp_eq_u32_e32 vcc_lo, 1, v9
	s_cmp_eq_u32 s17, 1
	s_mov_b32 s24, -1
	s_cselect_b32 s20, -1, 0
                                        ; implicit-def: $sgpr21
	s_wait_alu 0xfffe
	s_and_b32 s23, s20, vcc_lo
                                        ; implicit-def: $sgpr20
	s_wait_alu 0xfffe
	s_and_saveexec_b32 s22, s23
	s_cbranch_execz .LBB114_190
; %bb.163:                              ;   in Loop: Header=BB114_20 Depth=1
	ds_load_b32 v1, v13 offset:4104
	s_wait_loadcnt_dscnt 0x0
	s_barrier_signal -1
	s_barrier_wait -1
	global_inv scope:SCOPE_SE
	v_readfirstlane_b32 s25, v1
	s_and_saveexec_b32 s20, s1
; %bb.164:                              ;   in Loop: Header=BB114_20 Depth=1
	v_mov_b32_e32 v12, v13
	ds_store_b64 v30, v[12:13]
; %bb.165:                              ;   in Loop: Header=BB114_20 Depth=1
	s_wait_alu 0xfffe
	s_or_b32 exec_lo, exec_lo, s20
	v_and_b32_e32 v1, s11, v19
	v_and_b32_e32 v3, s10, v18
	s_lshl_b64 s[20:21], 2, s82
	v_or_b32_e32 v22, s9, v22
	v_or_b32_e32 v21, s8, v21
	s_wait_alu 0xfffe
	v_or_b32_e32 v19, s21, v1
	v_or_b32_e32 v18, s20, v3
	s_mov_b32 s20, -1
	s_mov_b32 s21, 0
	s_cmp_eq_u32 s25, 0
	s_mov_b32 s24, 0
	s_mov_b32 s26, -1
	s_wait_loadcnt_dscnt 0x0
	s_barrier_signal -1
	s_barrier_wait -1
	global_inv scope:SCOPE_SE
                                        ; implicit-def: $vgpr5_vgpr6
	s_cbranch_scc1 .LBB114_177
; %bb.166:                              ;   in Loop: Header=BB114_20 Depth=1
	s_add_co_i32 s58, s25, s43
                                        ; implicit-def: $vgpr5_vgpr6
	s_wait_alu 0xfffe
	s_mul_u64 s[84:85], s[58:59], s[62:63]
	s_wait_alu 0xfffe
	s_mul_i32 s24, s85, s29
	s_wait_alu 0xfffe
	s_sub_co_i32 s24, s58, s24
	s_wait_alu 0xfffe
	s_sub_co_i32 s26, s24, s29
	s_cmp_ge_u32 s24, s29
	s_wait_alu 0xfffe
	s_cselect_b32 s24, s26, s24
	s_wait_alu 0xfffe
	s_sub_co_i32 s26, s24, s29
	s_cmp_ge_u32 s24, s29
	s_wait_alu 0xfffe
	s_cselect_b32 s24, s26, s24
	s_mov_b32 s26, 0
	s_wait_alu 0xfffe
	s_sub_co_i32 s83, s58, s24
	s_mov_b32 s24, 0
	s_mov_b32 s58, exec_lo
	s_wait_alu 0xfffe
	v_cmpx_gt_u32_e64 s83, v0
	s_cbranch_execz .LBB114_176
; %bb.167:                              ;   in Loop: Header=BB114_20 Depth=1
	v_mov_b32_e32 v8, v29
	v_mov_b32_e32 v10, v0
                                        ; implicit-def: $sgpr84
	s_branch .LBB114_171
.LBB114_168:                            ;   in Loop: Header=BB114_171 Depth=2
	s_wait_alu 0xfffe
	s_or_b32 exec_lo, exec_lo, s85
	s_wait_loadcnt_dscnt 0x0
	s_barrier_signal -1
	s_barrier_wait -1
	global_inv scope:SCOPE_SE
	ds_load_b128 v[3:6], v13 offset:3072
	s_wait_loadcnt_dscnt 0x0
	s_barrier_signal -1
	s_barrier_wait -1
	global_inv scope:SCOPE_SE
	v_cmp_neq_f64_e32 vcc_lo, 0, v[3:4]
	s_cbranch_vccnz .LBB114_174
; %bb.169:                              ;   in Loop: Header=BB114_171 Depth=2
	v_add_nc_u32_e32 v10, s29, v10
	v_add_nc_u32_e32 v8, s74, v8
	s_mov_b32 s85, 0
	s_delay_alu instid0(VALU_DEP_2)
	v_cmp_le_u32_e32 vcc_lo, s83, v10
	s_or_not1_b32 s86, vcc_lo, exec_lo
.LBB114_170:                            ;   in Loop: Header=BB114_171 Depth=2
	s_wait_alu 0xfffe
	s_and_b32 s86, exec_lo, s86
	s_wait_alu 0xfffe
	s_or_b32 s24, s86, s24
	s_and_not1_b32 s84, s84, exec_lo
	s_and_b32 s85, s85, exec_lo
	s_wait_alu 0xfffe
	s_or_b32 s84, s84, s85
	s_and_not1_b32 exec_lo, exec_lo, s24
	s_cbranch_execz .LBB114_175
.LBB114_171:                            ;   Parent Loop BB114_20 Depth=1
                                        ; =>  This Inner Loop Header: Depth=2
	s_mov_b32 s85, exec_lo
	s_delay_alu instid0(VALU_DEP_1)
	v_cmpx_gt_u32_e64 s25, v10
	s_cbranch_execz .LBB114_168
; %bb.172:                              ;   in Loop: Header=BB114_171 Depth=2
	ds_load_b64 v[3:4], v8
	s_wait_dscnt 0x0
	v_cmp_o_f64_e32 vcc_lo, v[3:4], v[3:4]
	v_ashrrev_i32_e32 v1, 31, v4
	s_delay_alu instid0(VALU_DEP_1) | instskip(SKIP_1) | instid1(VALU_DEP_2)
	v_or_b32_e32 v5, 0x80000000, v1
	v_xor_b32_e32 v1, v1, v3
	v_xor_b32_e32 v5, v5, v4
	s_wait_alu 0xfffd
	s_delay_alu instid0(VALU_DEP_1) | instskip(NEXT) | instid1(VALU_DEP_1)
	v_cndmask_b32_e32 v5, -1, v5, vcc_lo
	v_dual_cndmask_b32 v1, -1, v1 :: v_dual_and_b32 v6, v5, v22
	s_delay_alu instid0(VALU_DEP_1) | instskip(NEXT) | instid1(VALU_DEP_1)
	v_and_b32_e32 v5, v1, v21
	v_cmp_eq_u64_e32 vcc_lo, v[5:6], v[18:19]
	s_and_b32 exec_lo, exec_lo, vcc_lo
	s_cbranch_execz .LBB114_168
; %bb.173:                              ;   in Loop: Header=BB114_171 Depth=2
	v_mov_b32_e32 v1, v13
	ds_store_b128 v13, v[1:4] offset:3072
	s_branch .LBB114_168
.LBB114_174:                            ;   in Loop: Header=BB114_171 Depth=2
	s_mov_b32 s86, -1
	s_mov_b32 s85, -1
                                        ; implicit-def: $vgpr10
                                        ; implicit-def: $vgpr8
	s_branch .LBB114_170
.LBB114_175:                            ;   in Loop: Header=BB114_20 Depth=1
	s_or_b32 exec_lo, exec_lo, s24
	s_wait_alu 0xfffe
	s_and_b32 s24, s84, exec_lo
.LBB114_176:                            ;   in Loop: Header=BB114_20 Depth=1
	s_or_b32 exec_lo, exec_lo, s58
.LBB114_177:                            ;   in Loop: Header=BB114_20 Depth=1
	s_wait_alu 0xfffe
	s_and_b32 vcc_lo, exec_lo, s26
	s_wait_alu 0xfffe
	s_cbranch_vccz .LBB114_189
; %bb.178:                              ;   in Loop: Header=BB114_20 Depth=1
                                        ; implicit-def: $vgpr5_vgpr6
	s_and_saveexec_b32 s20, s6
	s_cbranch_execz .LBB114_188
; %bb.179:                              ;   in Loop: Header=BB114_20 Depth=1
	v_mov_b32_e32 v12, v11
	v_mov_b32_e32 v8, v0
	s_mov_b32 s21, 0
                                        ; implicit-def: $sgpr25
	s_branch .LBB114_183
.LBB114_180:                            ;   in Loop: Header=BB114_183 Depth=2
	s_wait_alu 0xfffe
	s_or_b32 exec_lo, exec_lo, s26
	s_wait_loadcnt_dscnt 0x0
	s_barrier_signal -1
	s_barrier_wait -1
	global_inv scope:SCOPE_SE
	ds_load_b128 v[3:6], v13 offset:3072
	s_wait_loadcnt_dscnt 0x0
	s_barrier_signal -1
	s_barrier_wait -1
	global_inv scope:SCOPE_SE
	v_cmp_eq_f64_e32 vcc_lo, 0, v[3:4]
	s_cbranch_vccz .LBB114_186
; %bb.181:                              ;   in Loop: Header=BB114_183 Depth=2
	v_add_nc_u32_e32 v8, s29, v8
	v_add_nc_u32_e32 v12, s47, v12
	s_mov_b32 s26, 0
	s_delay_alu instid0(VALU_DEP_2)
	v_cmp_le_u32_e32 vcc_lo, s71, v8
	s_or_not1_b32 s58, vcc_lo, exec_lo
.LBB114_182:                            ;   in Loop: Header=BB114_183 Depth=2
	s_wait_alu 0xfffe
	s_and_b32 s58, exec_lo, s58
	s_wait_alu 0xfffe
	s_or_b32 s21, s58, s21
	s_and_not1_b32 s25, s25, exec_lo
	s_and_b32 s26, s26, exec_lo
	s_wait_alu 0xfffe
	s_or_b32 s25, s25, s26
	s_and_not1_b32 exec_lo, exec_lo, s21
	s_cbranch_execz .LBB114_187
.LBB114_183:                            ;   Parent Loop BB114_20 Depth=1
                                        ; =>  This Inner Loop Header: Depth=2
	s_mov_b32 s26, exec_lo
	s_delay_alu instid0(VALU_DEP_1)
	v_cmpx_gt_u32_e64 s28, v8
	s_cbranch_execz .LBB114_180
; %bb.184:                              ;   in Loop: Header=BB114_183 Depth=2
	v_lshlrev_b64_e32 v[3:4], 3, v[12:13]
	s_delay_alu instid0(VALU_DEP_1) | instskip(SKIP_1) | instid1(VALU_DEP_2)
	v_add_co_u32 v3, vcc_lo, s48, v3
	s_wait_alu 0xfffd
	v_add_co_ci_u32_e64 v4, null, s49, v4, vcc_lo
	global_load_b64 v[3:4], v[3:4], off
	s_wait_loadcnt 0x0
	v_cmp_o_f64_e32 vcc_lo, v[3:4], v[3:4]
	v_ashrrev_i32_e32 v1, 31, v4
	s_delay_alu instid0(VALU_DEP_1) | instskip(SKIP_1) | instid1(VALU_DEP_2)
	v_or_b32_e32 v5, 0x80000000, v1
	v_xor_b32_e32 v1, v1, v3
	v_xor_b32_e32 v5, v5, v4
	s_wait_alu 0xfffd
	s_delay_alu instid0(VALU_DEP_1) | instskip(NEXT) | instid1(VALU_DEP_1)
	v_cndmask_b32_e32 v5, -1, v5, vcc_lo
	v_dual_cndmask_b32 v1, -1, v1 :: v_dual_and_b32 v6, v5, v22
	s_delay_alu instid0(VALU_DEP_1) | instskip(NEXT) | instid1(VALU_DEP_1)
	v_and_b32_e32 v5, v1, v21
	v_cmp_eq_u64_e32 vcc_lo, v[5:6], v[18:19]
	s_and_b32 exec_lo, exec_lo, vcc_lo
	s_cbranch_execz .LBB114_180
; %bb.185:                              ;   in Loop: Header=BB114_183 Depth=2
	v_mov_b32_e32 v1, v13
	ds_store_b128 v13, v[1:4] offset:3072
	s_branch .LBB114_180
.LBB114_186:                            ;   in Loop: Header=BB114_183 Depth=2
	s_mov_b32 s58, -1
	s_mov_b32 s26, -1
                                        ; implicit-def: $vgpr8
	s_branch .LBB114_182
.LBB114_187:                            ;   in Loop: Header=BB114_20 Depth=1
	s_or_b32 exec_lo, exec_lo, s21
	s_delay_alu instid0(SALU_CYCLE_1)
	s_and_not1_b32 s21, s24, exec_lo
	s_wait_alu 0xfffe
	s_and_b32 s24, s25, exec_lo
	s_wait_alu 0xfffe
	s_or_b32 s24, s21, s24
.LBB114_188:                            ;   in Loop: Header=BB114_20 Depth=1
	s_wait_alu 0xfffe
	s_or_b32 exec_lo, exec_lo, s20
	s_mov_b32 s20, 0
	s_mov_b32 s21, -1
.LBB114_189:                            ;   in Loop: Header=BB114_20 Depth=1
	s_or_not1_b32 s24, s24, exec_lo
.LBB114_190:                            ;   in Loop: Header=BB114_20 Depth=1
	s_wait_alu 0xfffe
	s_or_b32 exec_lo, exec_lo, s22
	s_mov_b32 s25, 0
	s_and_saveexec_b32 s22, s24
	s_cbranch_execz .LBB114_242
; %bb.191:                              ;   in Loop: Header=BB114_20 Depth=1
	v_dual_mov_b32 v8, 1 :: v_dual_mov_b32 v7, 1
	s_xor_b32 s25, s23, -1
	s_mov_b32 s24, 0
	s_wait_alu 0xfffe
	s_and_saveexec_b32 s23, s25
	s_cbranch_execz .LBB114_200
; %bb.192:                              ;   in Loop: Header=BB114_20 Depth=1
	s_mov_b32 s24, exec_lo
	v_cmpx_ge_u32_e64 s17, v9
	s_wait_alu 0xfffe
	s_xor_b32 s24, exec_lo, s24
	s_cbranch_execz .LBB114_197
; %bb.193:                              ;   in Loop: Header=BB114_20 Depth=1
	ds_load_b32 v1, v13 offset:4104
	v_and_b32_e32 v3, s11, v19
	v_and_b32_e32 v4, s10, v18
	s_lshl_b64 s[10:11], 2, s82
	v_or_b32_e32 v22, s9, v22
	v_or_b32_e32 v21, s8, v21
	s_wait_alu 0xfffe
	v_or_b32_e32 v19, s11, v3
	v_or_b32_e32 v18, s10, v4
	s_wait_dscnt 0x0
	v_cmp_ne_u32_e32 vcc_lo, 0, v1
	s_cbranch_vccnz .LBB114_197
; %bb.194:                              ;   in Loop: Header=BB114_20 Depth=1
	s_and_saveexec_b32 s10, s0
; %bb.195:                              ;   in Loop: Header=BB114_20 Depth=1
	v_mov_b32_e32 v1, s17
	ds_store_b32 v13, v1 offset:4108
; %bb.196:                              ;   in Loop: Header=BB114_20 Depth=1
	s_wait_alu 0xfffe
	s_or_b32 exec_lo, exec_lo, s10
	s_wait_loadcnt_dscnt 0x0
	s_barrier_signal -1
	s_barrier_wait -1
	global_inv scope:SCOPE_SE
.LBB114_197:                            ;   in Loop: Header=BB114_20 Depth=1
	s_wait_alu 0xfffe
	s_or_saveexec_b32 s10, s24
	v_mov_b32_e32 v7, 8
	s_mov_b32 s11, 0
	s_wait_alu 0xfffe
	s_xor_b32 exec_lo, exec_lo, s10
; %bb.198:                              ;   in Loop: Header=BB114_20 Depth=1
	v_subrev_nc_u32_e32 v9, s17, v9
	v_mov_b32_e32 v7, 0
	s_mov_b32 s11, exec_lo
; %bb.199:                              ;   in Loop: Header=BB114_20 Depth=1
	s_or_b32 exec_lo, exec_lo, s10
	s_delay_alu instid0(VALU_DEP_2)
	v_mov_b32_e32 v8, v9
	s_wait_alu 0xfffe
	s_and_b32 s24, s11, exec_lo
.LBB114_200:                            ;   in Loop: Header=BB114_20 Depth=1
	s_wait_alu 0xfffe
	s_or_b32 exec_lo, exec_lo, s23
	s_mov_b32 s11, -1
                                        ; implicit-def: $sgpr23
                                        ; implicit-def: $sgpr17
	s_and_saveexec_b32 s10, s24
	s_cbranch_execz .LBB114_241
; %bb.201:                              ;   in Loop: Header=BB114_20 Depth=1
	v_cmp_eq_u32_e32 vcc_lo, 1, v8
	s_cmp_eq_u32 s7, 1
	s_mov_b32 s25, -1
	s_cselect_b32 s11, -1, 0
                                        ; implicit-def: $sgpr23
                                        ; implicit-def: $sgpr17
	s_wait_alu 0xfffe
	s_and_b32 s11, s11, vcc_lo
	s_wait_alu 0xfffe
	s_and_saveexec_b32 s24, s11
	s_cbranch_execz .LBB114_229
; %bb.202:                              ;   in Loop: Header=BB114_20 Depth=1
	ds_load_b32 v1, v13 offset:4104
	s_wait_loadcnt_dscnt 0x0
	s_barrier_signal -1
	s_barrier_wait -1
	global_inv scope:SCOPE_SE
	v_readfirstlane_b32 s26, v1
	s_and_saveexec_b32 s17, s1
; %bb.203:                              ;   in Loop: Header=BB114_20 Depth=1
	v_mov_b32_e32 v12, v13
	ds_store_b64 v30, v[12:13]
; %bb.204:                              ;   in Loop: Header=BB114_20 Depth=1
	s_wait_alu 0xfffe
	s_or_b32 exec_lo, exec_lo, s17
	v_or_b32_e32 v19, s9, v19
	v_or_b32_e32 v18, s8, v18
	;; [unrolled: 1-line block ×4, first 2 shown]
	s_mov_b32 s17, -1
	s_mov_b32 s23, 0
	s_cmp_eq_u32 s26, 0
	s_mov_b32 s25, 0
	s_mov_b32 s58, -1
	s_wait_loadcnt_dscnt 0x0
	s_barrier_signal -1
	s_barrier_wait -1
	global_inv scope:SCOPE_SE
                                        ; implicit-def: $vgpr5_vgpr6
	s_cbranch_scc1 .LBB114_216
; %bb.205:                              ;   in Loop: Header=BB114_20 Depth=1
	s_add_co_i32 s58, s26, s43
                                        ; implicit-def: $vgpr5_vgpr6
	s_wait_alu 0xfffe
	s_mul_u64 s[84:85], s[58:59], s[62:63]
	s_wait_alu 0xfffe
	s_mul_i32 s25, s85, s29
	s_wait_alu 0xfffe
	s_sub_co_i32 s25, s58, s25
	s_wait_alu 0xfffe
	s_sub_co_i32 s83, s25, s29
	s_cmp_ge_u32 s25, s29
	s_wait_alu 0xfffe
	s_cselect_b32 s25, s83, s25
	s_wait_alu 0xfffe
	s_sub_co_i32 s83, s25, s29
	s_cmp_ge_u32 s25, s29
	s_wait_alu 0xfffe
	s_cselect_b32 s25, s83, s25
	s_mov_b32 s83, exec_lo
	s_wait_alu 0xfffe
	s_sub_co_i32 s84, s58, s25
	s_mov_b32 s58, 0
	s_mov_b32 s25, 0
	s_wait_alu 0xfffe
	v_cmpx_gt_u32_e64 s84, v0
	s_cbranch_execz .LBB114_215
; %bb.206:                              ;   in Loop: Header=BB114_20 Depth=1
	v_dual_mov_b32 v9, v29 :: v_dual_mov_b32 v10, v0
                                        ; implicit-def: $sgpr85
	s_branch .LBB114_210
.LBB114_207:                            ;   in Loop: Header=BB114_210 Depth=2
	s_wait_alu 0xfffe
	s_or_b32 exec_lo, exec_lo, s86
	s_wait_loadcnt_dscnt 0x0
	s_barrier_signal -1
	s_barrier_wait -1
	global_inv scope:SCOPE_SE
	ds_load_b128 v[3:6], v13 offset:3072
	s_wait_loadcnt_dscnt 0x0
	s_barrier_signal -1
	s_barrier_wait -1
	global_inv scope:SCOPE_SE
	v_cmp_neq_f64_e32 vcc_lo, 0, v[3:4]
	s_cbranch_vccnz .LBB114_213
; %bb.208:                              ;   in Loop: Header=BB114_210 Depth=2
	v_add_nc_u32_e32 v10, s29, v10
	v_add_nc_u32_e32 v9, s74, v9
	s_mov_b32 s86, 0
	s_delay_alu instid0(VALU_DEP_2)
	v_cmp_le_u32_e32 vcc_lo, s84, v10
	s_or_not1_b32 s87, vcc_lo, exec_lo
.LBB114_209:                            ;   in Loop: Header=BB114_210 Depth=2
	s_wait_alu 0xfffe
	s_and_b32 s87, exec_lo, s87
	s_wait_alu 0xfffe
	s_or_b32 s25, s87, s25
	s_and_not1_b32 s85, s85, exec_lo
	s_and_b32 s86, s86, exec_lo
	s_wait_alu 0xfffe
	s_or_b32 s85, s85, s86
	s_and_not1_b32 exec_lo, exec_lo, s25
	s_cbranch_execz .LBB114_214
.LBB114_210:                            ;   Parent Loop BB114_20 Depth=1
                                        ; =>  This Inner Loop Header: Depth=2
	s_mov_b32 s86, exec_lo
	s_delay_alu instid0(VALU_DEP_1)
	v_cmpx_gt_u32_e64 s26, v10
	s_cbranch_execz .LBB114_207
; %bb.211:                              ;   in Loop: Header=BB114_210 Depth=2
	ds_load_b64 v[3:4], v9
	s_wait_dscnt 0x0
	v_cmp_o_f64_e32 vcc_lo, v[3:4], v[3:4]
	v_ashrrev_i32_e32 v1, 31, v4
	s_delay_alu instid0(VALU_DEP_1) | instskip(SKIP_1) | instid1(VALU_DEP_2)
	v_or_b32_e32 v5, 0x80000000, v1
	v_xor_b32_e32 v1, v1, v3
	v_xor_b32_e32 v5, v5, v4
	s_wait_alu 0xfffd
	s_delay_alu instid0(VALU_DEP_1) | instskip(NEXT) | instid1(VALU_DEP_1)
	v_cndmask_b32_e32 v5, -1, v5, vcc_lo
	v_dual_cndmask_b32 v1, -1, v1 :: v_dual_and_b32 v6, v5, v22
	s_delay_alu instid0(VALU_DEP_1) | instskip(NEXT) | instid1(VALU_DEP_1)
	v_and_b32_e32 v5, v1, v21
	v_cmp_eq_u64_e32 vcc_lo, v[5:6], v[18:19]
	s_and_b32 exec_lo, exec_lo, vcc_lo
	s_cbranch_execz .LBB114_207
; %bb.212:                              ;   in Loop: Header=BB114_210 Depth=2
	v_mov_b32_e32 v1, v13
	ds_store_b128 v13, v[1:4] offset:3072
	s_branch .LBB114_207
.LBB114_213:                            ;   in Loop: Header=BB114_210 Depth=2
	s_mov_b32 s87, -1
	s_mov_b32 s86, -1
                                        ; implicit-def: $vgpr10
                                        ; implicit-def: $vgpr9
	s_branch .LBB114_209
.LBB114_214:                            ;   in Loop: Header=BB114_20 Depth=1
	s_or_b32 exec_lo, exec_lo, s25
	s_wait_alu 0xfffe
	s_and_b32 s25, s85, exec_lo
.LBB114_215:                            ;   in Loop: Header=BB114_20 Depth=1
	s_or_b32 exec_lo, exec_lo, s83
.LBB114_216:                            ;   in Loop: Header=BB114_20 Depth=1
	s_wait_alu 0xfffe
	s_and_b32 vcc_lo, exec_lo, s58
	s_wait_alu 0xfffe
	s_cbranch_vccz .LBB114_228
; %bb.217:                              ;   in Loop: Header=BB114_20 Depth=1
                                        ; implicit-def: $vgpr5_vgpr6
	s_and_saveexec_b32 s17, s6
	s_cbranch_execz .LBB114_227
; %bb.218:                              ;   in Loop: Header=BB114_20 Depth=1
	v_dual_mov_b32 v12, v11 :: v_dual_mov_b32 v9, v0
	s_mov_b32 s23, 0
                                        ; implicit-def: $sgpr26
	s_branch .LBB114_222
.LBB114_219:                            ;   in Loop: Header=BB114_222 Depth=2
	s_wait_alu 0xfffe
	s_or_b32 exec_lo, exec_lo, s58
	s_wait_loadcnt_dscnt 0x0
	s_barrier_signal -1
	s_barrier_wait -1
	global_inv scope:SCOPE_SE
	ds_load_b128 v[3:6], v13 offset:3072
	s_wait_loadcnt_dscnt 0x0
	s_barrier_signal -1
	s_barrier_wait -1
	global_inv scope:SCOPE_SE
	v_cmp_eq_f64_e32 vcc_lo, 0, v[3:4]
	s_cbranch_vccz .LBB114_225
; %bb.220:                              ;   in Loop: Header=BB114_222 Depth=2
	v_add_nc_u32_e32 v9, s29, v9
	v_add_nc_u32_e32 v12, s47, v12
	s_mov_b32 s58, 0
	s_delay_alu instid0(VALU_DEP_2)
	v_cmp_le_u32_e32 vcc_lo, s71, v9
	s_or_not1_b32 s83, vcc_lo, exec_lo
.LBB114_221:                            ;   in Loop: Header=BB114_222 Depth=2
	s_wait_alu 0xfffe
	s_and_b32 s83, exec_lo, s83
	s_wait_alu 0xfffe
	s_or_b32 s23, s83, s23
	s_and_not1_b32 s26, s26, exec_lo
	s_and_b32 s58, s58, exec_lo
	s_wait_alu 0xfffe
	s_or_b32 s26, s26, s58
	s_and_not1_b32 exec_lo, exec_lo, s23
	s_cbranch_execz .LBB114_226
.LBB114_222:                            ;   Parent Loop BB114_20 Depth=1
                                        ; =>  This Inner Loop Header: Depth=2
	s_mov_b32 s58, exec_lo
	s_delay_alu instid0(VALU_DEP_1)
	v_cmpx_gt_u32_e64 s28, v9
	s_cbranch_execz .LBB114_219
; %bb.223:                              ;   in Loop: Header=BB114_222 Depth=2
	v_lshlrev_b64_e32 v[3:4], 3, v[12:13]
	s_delay_alu instid0(VALU_DEP_1) | instskip(SKIP_1) | instid1(VALU_DEP_2)
	v_add_co_u32 v3, vcc_lo, s48, v3
	s_wait_alu 0xfffd
	v_add_co_ci_u32_e64 v4, null, s49, v4, vcc_lo
	global_load_b64 v[3:4], v[3:4], off
	s_wait_loadcnt 0x0
	v_cmp_o_f64_e32 vcc_lo, v[3:4], v[3:4]
	v_ashrrev_i32_e32 v1, 31, v4
	s_delay_alu instid0(VALU_DEP_1) | instskip(SKIP_1) | instid1(VALU_DEP_2)
	v_or_b32_e32 v5, 0x80000000, v1
	v_xor_b32_e32 v1, v1, v3
	v_xor_b32_e32 v5, v5, v4
	s_wait_alu 0xfffd
	s_delay_alu instid0(VALU_DEP_1) | instskip(NEXT) | instid1(VALU_DEP_1)
	v_cndmask_b32_e32 v5, -1, v5, vcc_lo
	v_dual_cndmask_b32 v1, -1, v1 :: v_dual_and_b32 v6, v5, v22
	s_delay_alu instid0(VALU_DEP_1) | instskip(NEXT) | instid1(VALU_DEP_1)
	v_and_b32_e32 v5, v1, v21
	v_cmp_eq_u64_e32 vcc_lo, v[5:6], v[18:19]
	s_and_b32 exec_lo, exec_lo, vcc_lo
	s_cbranch_execz .LBB114_219
; %bb.224:                              ;   in Loop: Header=BB114_222 Depth=2
	v_mov_b32_e32 v1, v13
	ds_store_b128 v13, v[1:4] offset:3072
	s_branch .LBB114_219
.LBB114_225:                            ;   in Loop: Header=BB114_222 Depth=2
	s_mov_b32 s83, -1
	s_mov_b32 s58, -1
                                        ; implicit-def: $vgpr9
	s_branch .LBB114_221
.LBB114_226:                            ;   in Loop: Header=BB114_20 Depth=1
	s_or_b32 exec_lo, exec_lo, s23
	s_delay_alu instid0(SALU_CYCLE_1)
	s_and_not1_b32 s23, s25, exec_lo
	s_wait_alu 0xfffe
	s_and_b32 s25, s26, exec_lo
	s_wait_alu 0xfffe
	s_or_b32 s25, s23, s25
.LBB114_227:                            ;   in Loop: Header=BB114_20 Depth=1
	s_wait_alu 0xfffe
	s_or_b32 exec_lo, exec_lo, s17
	s_mov_b32 s17, 0
	s_mov_b32 s23, -1
.LBB114_228:                            ;   in Loop: Header=BB114_20 Depth=1
	s_or_not1_b32 s25, s25, exec_lo
.LBB114_229:                            ;   in Loop: Header=BB114_20 Depth=1
	s_wait_alu 0xfffe
	s_or_b32 exec_lo, exec_lo, s24
	s_mov_b32 s26, 0
	s_and_saveexec_b32 s24, s25
	s_cbranch_execz .LBB114_240
; %bb.230:                              ;   in Loop: Header=BB114_20 Depth=1
	v_mov_b32_e32 v7, 1
	v_mov_b32_e32 v1, 1
	s_xor_b32 s25, s11, -1
	s_wait_alu 0xfffe
	s_and_saveexec_b32 s11, s25
	s_cbranch_execz .LBB114_239
; %bb.231:                              ;   in Loop: Header=BB114_20 Depth=1
	s_mov_b32 s25, exec_lo
	v_cmpx_ge_u32_e64 s7, v8
	s_wait_alu 0xfffe
	s_xor_b32 s25, exec_lo, s25
	s_cbranch_execz .LBB114_236
; %bb.232:                              ;   in Loop: Header=BB114_20 Depth=1
	ds_load_b32 v1, v13 offset:4104
	v_or_b32_e32 v19, s9, v19
	v_or_b32_e32 v18, s8, v18
	;; [unrolled: 1-line block ×4, first 2 shown]
	s_wait_dscnt 0x0
	v_cmp_ne_u32_e32 vcc_lo, 0, v1
	s_cbranch_vccnz .LBB114_236
; %bb.233:                              ;   in Loop: Header=BB114_20 Depth=1
	s_and_saveexec_b32 s8, s0
; %bb.234:                              ;   in Loop: Header=BB114_20 Depth=1
	v_mov_b32_e32 v1, s7
	ds_store_b32 v13, v1 offset:4108
; %bb.235:                              ;   in Loop: Header=BB114_20 Depth=1
	s_wait_alu 0xfffe
	s_or_b32 exec_lo, exec_lo, s8
	s_wait_loadcnt_dscnt 0x0
	s_barrier_signal -1
	s_barrier_wait -1
	global_inv scope:SCOPE_SE
.LBB114_236:                            ;   in Loop: Header=BB114_20 Depth=1
	s_wait_alu 0xfffe
	s_and_not1_saveexec_b32 s8, s25
; %bb.237:                              ;   in Loop: Header=BB114_20 Depth=1
	v_subrev_nc_u32_e32 v8, s7, v8
; %bb.238:                              ;   in Loop: Header=BB114_20 Depth=1
	s_wait_alu 0xfffe
	s_or_b32 exec_lo, exec_lo, s8
	v_mov_b32_e32 v7, 8
	s_delay_alu instid0(VALU_DEP_2)
	v_mov_b32_e32 v1, v8
.LBB114_239:                            ;   in Loop: Header=BB114_20 Depth=1
	s_wait_alu 0xfffe
	s_or_b32 exec_lo, exec_lo, s11
	s_delay_alu instid0(VALU_DEP_1)
	v_mov_b32_e32 v8, v1
	s_mov_b32 s26, exec_lo
.LBB114_240:                            ;   in Loop: Header=BB114_20 Depth=1
	s_wait_alu 0xfffe
	s_or_b32 exec_lo, exec_lo, s24
	s_delay_alu instid0(SALU_CYCLE_1)
	s_or_not1_b32 s11, s26, exec_lo
.LBB114_241:                            ;   in Loop: Header=BB114_20 Depth=1
	s_wait_alu 0xfffe
	s_or_b32 exec_lo, exec_lo, s10
	v_mov_b32_e32 v9, v8
	s_and_not1_b32 s7, s21, exec_lo
	s_and_b32 s8, s23, exec_lo
	s_and_not1_b32 s9, s20, exec_lo
	s_and_b32 s10, s17, exec_lo
	s_wait_alu 0xfffe
	s_or_b32 s21, s7, s8
	s_or_b32 s20, s9, s10
	s_and_b32 s25, s11, exec_lo
.LBB114_242:                            ;   in Loop: Header=BB114_20 Depth=1
	s_wait_alu 0xfffe
	s_or_b32 exec_lo, exec_lo, s22
	s_delay_alu instid0(SALU_CYCLE_1)
	s_or_not1_b32 s22, s25, exec_lo
.LBB114_243:                            ;   in Loop: Header=BB114_20 Depth=1
	s_wait_alu 0xfffe
	s_or_b32 exec_lo, exec_lo, s19
	v_mov_b32_e32 v8, v9
	s_and_not1_b32 s7, s16, exec_lo
	s_and_b32 s8, s21, exec_lo
	s_and_not1_b32 s9, s15, exec_lo
	s_and_b32 s10, s20, exec_lo
	s_wait_alu 0xfffe
	s_or_b32 s16, s7, s8
	s_or_b32 s15, s9, s10
	s_and_b32 s22, s22, exec_lo
.LBB114_244:                            ;   in Loop: Header=BB114_20 Depth=1
	s_wait_alu 0xfffe
	s_or_b32 exec_lo, exec_lo, s18
	s_delay_alu instid0(SALU_CYCLE_1)
	s_or_not1_b32 s18, s22, exec_lo
.LBB114_245:                            ;   in Loop: Header=BB114_20 Depth=1
	s_wait_alu 0xfffe
	s_or_b32 exec_lo, exec_lo, s14
	s_mov_b32 s8, 0
                                        ; implicit-def: $sgpr20
	s_and_saveexec_b32 s7, s18
	s_wait_alu 0xfffe
	s_xor_b32 s7, exec_lo, s7
	s_cbranch_execz .LBB114_18
; %bb.246:                              ;   in Loop: Header=BB114_20 Depth=1
	v_and_b32_e32 v1, 7, v7
	s_mov_b32 s9, -1
	s_mov_b32 s8, -1
	s_mov_b32 s10, exec_lo
                                        ; implicit-def: $sgpr20
	s_delay_alu instid0(VALU_DEP_1)
	v_cmpx_eq_u32_e32 0, v1
	s_cbranch_execz .LBB114_17
; %bb.247:                              ;   in Loop: Header=BB114_20 Depth=1
	s_add_co_i32 s20, s82, -2
	s_cmp_eq_u32 s82, 0
	v_xor_b32_e32 v40, 1, v40
	s_cselect_b32 s9, -1, 0
	s_xor_b32 s8, exec_lo, -1
	s_wait_alu 0xfffe
	s_or_not1_b32 s9, s9, exec_lo
	s_branch .LBB114_17
.LBB114_248:
	s_or_b32 exec_lo, exec_lo, s75
	s_xor_b32 s4, s81, -1
	s_xor_b32 s3, s79, -1
	;; [unrolled: 1-line block ×3, first 2 shown]
	s_mov_b32 s0, 0
	s_wait_alu 0xfffe
	s_and_saveexec_b32 s5, s3
	s_wait_alu 0xfffe
	s_xor_b32 s3, exec_lo, s5
	s_cbranch_execnz .LBB114_253
; %bb.249:
	s_wait_alu 0xfffe
	s_and_not1_saveexec_b32 s1, s3
	s_cbranch_execnz .LBB114_266
.LBB114_250:
	s_wait_alu 0xfffe
	s_or_b32 exec_lo, exec_lo, s1
	s_and_saveexec_b32 s1, s0
.LBB114_251:
	; divergent unreachable
.LBB114_252:
	s_endpgm
.LBB114_253:
	s_and_saveexec_b32 s0, s4
	s_delay_alu instid0(SALU_CYCLE_1)
	s_xor_b32 s4, exec_lo, s0
	s_cbranch_execz .LBB114_264
; %bb.254:
	s_and_saveexec_b32 s0, s1
	s_delay_alu instid0(SALU_CYCLE_1)
	s_xor_b32 s0, exec_lo, s0
; %bb.255:
	v_lshrrev_b32_e32 v1, 31, v19
	s_delay_alu instid0(VALU_DEP_1) | instskip(NEXT) | instid1(VALU_DEP_1)
	v_add_co_u32 v1, s1, v1, -1
	v_add_co_ci_u32_e64 v2, null, 0, -1, s1
	s_delay_alu instid0(VALU_DEP_2) | instskip(NEXT) | instid1(VALU_DEP_2)
	v_xor_b32_e32 v5, v1, v18
	v_or_b32_e32 v2, 0x80000000, v2
	s_delay_alu instid0(VALU_DEP_1)
	v_xor_b32_e32 v6, v2, v19
; %bb.256:
	s_or_b32 exec_lo, exec_lo, s0
	s_mul_i32 s1, s57, s44
	s_mul_i32 s0, s50, s45
	s_wait_alu 0xfffe
	s_sub_co_i32 s1, s50, s1
	s_sub_co_i32 s0, s33, s0
	s_add_co_i32 s5, s57, 1
	s_wait_alu 0xfffe
	s_sub_co_i32 s6, s1, s44
	s_cmp_ge_u32 s1, s44
	s_mul_i32 s0, s0, s42
	s_cselect_b32 s5, s5, s57
	s_wait_alu 0xfffe
	s_cselect_b32 s1, s6, s1
	s_add_co_i32 s6, s5, 1
	s_wait_alu 0xfffe
	s_cmp_ge_u32 s1, s44
	v_mov_b32_e32 v12, 0
	s_cselect_b32 s1, s6, s5
	s_wait_alu 0xfffe
	s_mul_i32 s5, s1, s44
	s_mul_i32 s1, s1, s40
	s_wait_alu 0xfffe
	s_sub_co_i32 s5, s50, s5
	s_wait_alu 0xfffe
	s_mul_i32 s5, s5, s41
	s_wait_alu 0xfffe
	s_add_co_i32 s0, s5, s0
	s_wait_alu 0xfffe
	s_add_co_i32 s0, s0, s1
	s_mov_b32 s1, 0
	s_wait_alu 0xfffe
	s_lshl_b64 s[6:7], s[0:1], 3
	s_wait_alu 0xfffe
	s_add_nc_u64 s[6:7], s[54:55], s[6:7]
	global_store_b64 v12, v[5:6], s[6:7]
	s_and_saveexec_b32 s5, s2
	s_cbranch_execz .LBB114_263
; %bb.257:
	v_cmp_u_f64_e32 vcc_lo, v[5:6], v[5:6]
                                        ; implicit-def: $sgpr2
                                        ; implicit-def: $sgpr8
                                        ; implicit-def: $sgpr7
	s_xor_b32 s6, vcc_lo, -1
	s_branch .LBB114_259
.LBB114_258:                            ;   in Loop: Header=BB114_259 Depth=1
	s_wait_alu 0xfffe
	s_or_b32 exec_lo, exec_lo, s0
	s_delay_alu instid0(SALU_CYCLE_1)
	s_and_b32 s0, exec_lo, s8
	s_wait_alu 0xfffe
	s_or_b32 s1, s0, s1
	s_and_not1_b32 s0, s2, exec_lo
	s_and_b32 s2, s7, exec_lo
	s_wait_alu 0xfffe
	s_or_b32 s2, s0, s2
	s_and_not1_b32 exec_lo, exec_lo, s1
	s_cbranch_execz .LBB114_261
.LBB114_259:                            ; =>This Inner Loop Header: Depth=1
	v_lshlrev_b64_e32 v[1:2], 3, v[11:12]
	s_wait_alu 0xfffe
	s_or_b32 s7, s7, exec_lo
	s_or_b32 s8, s8, exec_lo
	s_delay_alu instid0(VALU_DEP_1)
	v_add_co_u32 v1, vcc_lo, s48, v1
	s_wait_alu 0xfffd
	v_add_co_ci_u32_e64 v2, null, s49, v2, vcc_lo
	global_load_b64 v[1:2], v[1:2], off
	s_wait_loadcnt 0x0
	v_cmp_o_f64_e32 vcc_lo, v[1:2], v[1:2]
	v_cmp_neq_f64_e64 s0, v[1:2], v[5:6]
	v_mov_b32_e32 v1, v0
                                        ; implicit-def: $vgpr0
	s_or_b32 s9, vcc_lo, s6
	s_wait_alu 0xfffe
	s_and_b32 s9, s0, s9
	s_wait_alu 0xfffe
	s_and_saveexec_b32 s0, s9
	s_cbranch_execz .LBB114_258
; %bb.260:                              ;   in Loop: Header=BB114_259 Depth=1
	v_add_nc_u32_e32 v0, s29, v1
	v_add_nc_u32_e32 v11, s47, v11
	s_and_not1_b32 s8, s8, exec_lo
	s_and_not1_b32 s7, s7, exec_lo
	s_delay_alu instid0(VALU_DEP_2)
	v_cmp_le_u32_e32 vcc_lo, s28, v0
	s_and_b32 s9, vcc_lo, exec_lo
	s_wait_alu 0xfffe
	s_or_b32 s8, s8, s9
	s_branch .LBB114_258
.LBB114_261:
	s_or_b32 exec_lo, exec_lo, s1
	s_wait_alu 0xfffe
	s_and_saveexec_b32 s0, s2
	s_wait_alu 0xfffe
	s_xor_b32 s0, exec_lo, s0
	s_cbranch_execz .LBB114_263
; %bb.262:
	s_mul_i32 s1, s27, s34
	s_mul_i32 s0, s46, s35
	s_wait_alu 0xfffe
	s_sub_co_i32 s1, s46, s1
	s_sub_co_i32 s0, s33, s0
	s_add_co_i32 s2, s27, 1
	s_wait_alu 0xfffe
	s_sub_co_i32 s6, s1, s34
	s_cmp_ge_u32 s1, s34
	s_mul_i32 s0, s0, s38
	s_cselect_b32 s2, s2, s27
	s_wait_alu 0xfffe
	s_cselect_b32 s1, s6, s1
	s_add_co_i32 s6, s2, 1
	s_wait_alu 0xfffe
	s_cmp_ge_u32 s1, s34
	v_mov_b32_e32 v2, 0
	s_cselect_b32 s1, s6, s2
	s_wait_alu 0xfffe
	s_mul_i32 s2, s1, s34
	s_mul_i32 s1, s1, s36
	s_wait_alu 0xfffe
	s_sub_co_i32 s2, s46, s2
	s_wait_alu 0xfffe
	s_mul_i32 s2, s2, s37
	s_wait_alu 0xfffe
	s_add_co_i32 s0, s2, s0
	s_wait_alu 0xfffe
	s_add_co_i32 s0, s0, s1
	s_mov_b32 s1, 0
	s_wait_alu 0xfffe
	s_lshl_b64 s[0:1], s[0:1], 3
	s_wait_alu 0xfffe
	s_add_nc_u64 s[0:1], s[52:53], s[0:1]
	global_store_b64 v2, v[1:2], s[0:1]
.LBB114_263:
	s_wait_alu 0xfffe
	s_or_b32 exec_lo, exec_lo, s5
.LBB114_264:
	s_wait_alu 0xfffe
	s_or_saveexec_b32 s0, s4
	s_mov_b32 s1, 0
	s_wait_alu 0xfffe
	s_xor_b32 exec_lo, exec_lo, s0
	s_cbranch_execnz .LBB114_267
.LBB114_265:
	s_or_b32 exec_lo, exec_lo, s0
	s_wait_alu 0xfffe
	s_and_b32 s0, s1, exec_lo
	s_and_not1_saveexec_b32 s1, s3
	s_cbranch_execz .LBB114_250
.LBB114_266:
	s_wait_alu 0xfffe
	s_or_b32 s0, s0, exec_lo
	s_trap 2
	s_or_b32 exec_lo, exec_lo, s1
	s_wait_alu 0xfffe
	s_and_saveexec_b32 s1, s0
	s_cbranch_execnz .LBB114_251
	s_branch .LBB114_252
.LBB114_267:
	s_mov_b32 s1, exec_lo
	s_trap 2
	s_branch .LBB114_265
	.section	.rodata,"a",@progbits
	.p2align	6, 0x0
	.amdhsa_kernel _ZN2at6native12_GLOBAL__N_112gatherMedianIdjLi3EEEvNS_4cuda6detail10TensorInfoIT_T0_EENS5_IlS7_EENS5_IKS6_S7_EES7_S7_S7_b
		.amdhsa_group_segment_fixed_size 4120
		.amdhsa_private_segment_fixed_size 0
		.amdhsa_kernarg_size 920
		.amdhsa_user_sgpr_count 2
		.amdhsa_user_sgpr_dispatch_ptr 0
		.amdhsa_user_sgpr_queue_ptr 0
		.amdhsa_user_sgpr_kernarg_segment_ptr 1
		.amdhsa_user_sgpr_dispatch_id 0
		.amdhsa_user_sgpr_private_segment_size 0
		.amdhsa_wavefront_size32 1
		.amdhsa_uses_dynamic_stack 0
		.amdhsa_enable_private_segment 0
		.amdhsa_system_sgpr_workgroup_id_x 1
		.amdhsa_system_sgpr_workgroup_id_y 1
		.amdhsa_system_sgpr_workgroup_id_z 1
		.amdhsa_system_sgpr_workgroup_info 0
		.amdhsa_system_vgpr_workitem_id 0
		.amdhsa_next_free_vgpr 56
		.amdhsa_next_free_sgpr 90
		.amdhsa_reserve_vcc 1
		.amdhsa_float_round_mode_32 0
		.amdhsa_float_round_mode_16_64 0
		.amdhsa_float_denorm_mode_32 3
		.amdhsa_float_denorm_mode_16_64 3
		.amdhsa_fp16_overflow 0
		.amdhsa_workgroup_processor_mode 1
		.amdhsa_memory_ordered 1
		.amdhsa_forward_progress 1
		.amdhsa_inst_pref_size 100
		.amdhsa_round_robin_scheduling 0
		.amdhsa_exception_fp_ieee_invalid_op 0
		.amdhsa_exception_fp_denorm_src 0
		.amdhsa_exception_fp_ieee_div_zero 0
		.amdhsa_exception_fp_ieee_overflow 0
		.amdhsa_exception_fp_ieee_underflow 0
		.amdhsa_exception_fp_ieee_inexact 0
		.amdhsa_exception_int_div_zero 0
	.end_amdhsa_kernel
	.section	.text._ZN2at6native12_GLOBAL__N_112gatherMedianIdjLi3EEEvNS_4cuda6detail10TensorInfoIT_T0_EENS5_IlS7_EENS5_IKS6_S7_EES7_S7_S7_b,"axG",@progbits,_ZN2at6native12_GLOBAL__N_112gatherMedianIdjLi3EEEvNS_4cuda6detail10TensorInfoIT_T0_EENS5_IlS7_EENS5_IKS6_S7_EES7_S7_S7_b,comdat
.Lfunc_end114:
	.size	_ZN2at6native12_GLOBAL__N_112gatherMedianIdjLi3EEEvNS_4cuda6detail10TensorInfoIT_T0_EENS5_IlS7_EENS5_IKS6_S7_EES7_S7_S7_b, .Lfunc_end114-_ZN2at6native12_GLOBAL__N_112gatherMedianIdjLi3EEEvNS_4cuda6detail10TensorInfoIT_T0_EENS5_IlS7_EENS5_IKS6_S7_EES7_S7_S7_b
                                        ; -- End function
	.set _ZN2at6native12_GLOBAL__N_112gatherMedianIdjLi3EEEvNS_4cuda6detail10TensorInfoIT_T0_EENS5_IlS7_EENS5_IKS6_S7_EES7_S7_S7_b.num_vgpr, 56
	.set _ZN2at6native12_GLOBAL__N_112gatherMedianIdjLi3EEEvNS_4cuda6detail10TensorInfoIT_T0_EENS5_IlS7_EENS5_IKS6_S7_EES7_S7_S7_b.num_agpr, 0
	.set _ZN2at6native12_GLOBAL__N_112gatherMedianIdjLi3EEEvNS_4cuda6detail10TensorInfoIT_T0_EENS5_IlS7_EENS5_IKS6_S7_EES7_S7_S7_b.numbered_sgpr, 90
	.set _ZN2at6native12_GLOBAL__N_112gatherMedianIdjLi3EEEvNS_4cuda6detail10TensorInfoIT_T0_EENS5_IlS7_EENS5_IKS6_S7_EES7_S7_S7_b.num_named_barrier, 0
	.set _ZN2at6native12_GLOBAL__N_112gatherMedianIdjLi3EEEvNS_4cuda6detail10TensorInfoIT_T0_EENS5_IlS7_EENS5_IKS6_S7_EES7_S7_S7_b.private_seg_size, 0
	.set _ZN2at6native12_GLOBAL__N_112gatherMedianIdjLi3EEEvNS_4cuda6detail10TensorInfoIT_T0_EENS5_IlS7_EENS5_IKS6_S7_EES7_S7_S7_b.uses_vcc, 1
	.set _ZN2at6native12_GLOBAL__N_112gatherMedianIdjLi3EEEvNS_4cuda6detail10TensorInfoIT_T0_EENS5_IlS7_EENS5_IKS6_S7_EES7_S7_S7_b.uses_flat_scratch, 0
	.set _ZN2at6native12_GLOBAL__N_112gatherMedianIdjLi3EEEvNS_4cuda6detail10TensorInfoIT_T0_EENS5_IlS7_EENS5_IKS6_S7_EES7_S7_S7_b.has_dyn_sized_stack, 0
	.set _ZN2at6native12_GLOBAL__N_112gatherMedianIdjLi3EEEvNS_4cuda6detail10TensorInfoIT_T0_EENS5_IlS7_EENS5_IKS6_S7_EES7_S7_S7_b.has_recursion, 0
	.set _ZN2at6native12_GLOBAL__N_112gatherMedianIdjLi3EEEvNS_4cuda6detail10TensorInfoIT_T0_EENS5_IlS7_EENS5_IKS6_S7_EES7_S7_S7_b.has_indirect_call, 0
	.section	.AMDGPU.csdata,"",@progbits
; Kernel info:
; codeLenInByte = 12712
; TotalNumSgprs: 92
; NumVgprs: 56
; ScratchSize: 0
; MemoryBound: 0
; FloatMode: 240
; IeeeMode: 1
; LDSByteSize: 4120 bytes/workgroup (compile time only)
; SGPRBlocks: 0
; VGPRBlocks: 6
; NumSGPRsForWavesPerEU: 92
; NumVGPRsForWavesPerEU: 56
; Occupancy: 16
; WaveLimiterHint : 1
; COMPUTE_PGM_RSRC2:SCRATCH_EN: 0
; COMPUTE_PGM_RSRC2:USER_SGPR: 2
; COMPUTE_PGM_RSRC2:TRAP_HANDLER: 0
; COMPUTE_PGM_RSRC2:TGID_X_EN: 1
; COMPUTE_PGM_RSRC2:TGID_Y_EN: 1
; COMPUTE_PGM_RSRC2:TGID_Z_EN: 1
; COMPUTE_PGM_RSRC2:TIDIG_COMP_CNT: 0
	.section	.text._ZN2at6native12_GLOBAL__N_112gatherMedianIdjLin1EEEvNS_4cuda6detail10TensorInfoIT_T0_EENS5_IlS7_EENS5_IKS6_S7_EES7_S7_S7_b,"axG",@progbits,_ZN2at6native12_GLOBAL__N_112gatherMedianIdjLin1EEEvNS_4cuda6detail10TensorInfoIT_T0_EENS5_IlS7_EENS5_IKS6_S7_EES7_S7_S7_b,comdat
	.globl	_ZN2at6native12_GLOBAL__N_112gatherMedianIdjLin1EEEvNS_4cuda6detail10TensorInfoIT_T0_EENS5_IlS7_EENS5_IKS6_S7_EES7_S7_S7_b ; -- Begin function _ZN2at6native12_GLOBAL__N_112gatherMedianIdjLin1EEEvNS_4cuda6detail10TensorInfoIT_T0_EENS5_IlS7_EENS5_IKS6_S7_EES7_S7_S7_b
	.p2align	8
	.type	_ZN2at6native12_GLOBAL__N_112gatherMedianIdjLin1EEEvNS_4cuda6detail10TensorInfoIT_T0_EENS5_IlS7_EENS5_IKS6_S7_EES7_S7_S7_b,@function
_ZN2at6native12_GLOBAL__N_112gatherMedianIdjLin1EEEvNS_4cuda6detail10TensorInfoIT_T0_EENS5_IlS7_EENS5_IKS6_S7_EES7_S7_S7_b: ; @_ZN2at6native12_GLOBAL__N_112gatherMedianIdjLin1EEEvNS_4cuda6detail10TensorInfoIT_T0_EENS5_IlS7_EENS5_IKS6_S7_EES7_S7_S7_b
; %bb.0:
	s_clause 0x1
	s_load_b64 s[4:5], s[0:1], 0x298
	s_load_b128 s[28:31], s[0:1], 0x288
	s_lshr_b32 s2, ttmp7, 16
	s_and_b32 s3, ttmp7, 0xffff
	s_wait_kmcnt 0x0
	s_mul_i32 s2, s5, s2
	s_delay_alu instid0(SALU_CYCLE_1) | instskip(NEXT) | instid1(SALU_CYCLE_1)
	s_add_co_i32 s2, s2, s3
	s_mul_i32 s2, s2, s4
	s_delay_alu instid0(SALU_CYCLE_1) | instskip(NEXT) | instid1(SALU_CYCLE_1)
	s_add_co_i32 s5, s2, ttmp9
	s_cmp_ge_u32 s5, s29
	s_cbranch_scc1 .LBB115_261
; %bb.1:
	s_load_b32 s2, s[0:1], 0xd0
	s_mov_b32 s35, 0
	s_mov_b32 s34, s5
	s_wait_kmcnt 0x0
	s_cmp_lt_i32 s2, 2
	s_cbranch_scc1 .LBB115_4
; %bb.2:
	s_add_co_i32 s34, s2, -1
	s_delay_alu instid0(SALU_CYCLE_1)
	s_lshl_b64 s[6:7], s[34:35], 2
	s_mov_b32 s34, s5
	s_add_nc_u64 s[8:9], s[0:1], s[6:7]
	s_add_co_i32 s6, s2, 1
	s_add_nc_u64 s[2:3], s[8:9], 8
.LBB115_3:                              ; =>This Inner Loop Header: Depth=1
	s_clause 0x1
	s_load_b32 s7, s[2:3], 0x0
	s_load_b32 s8, s[2:3], 0x64
	s_mov_b32 s11, s34
	s_add_nc_u64 s[2:3], s[2:3], -4
	s_wait_kmcnt 0x0
	s_cvt_f32_u32 s9, s7
	s_sub_co_i32 s10, 0, s7
	s_wait_alu 0xfffe
	s_delay_alu instid0(SALU_CYCLE_1) | instskip(NEXT) | instid1(TRANS32_DEP_1)
	v_rcp_iflag_f32_e32 v1, s9
	v_readfirstlane_b32 s9, v1
	s_mul_f32 s9, s9, 0x4f7ffffe
	s_wait_alu 0xfffe
	s_delay_alu instid0(SALU_CYCLE_2) | instskip(SKIP_1) | instid1(SALU_CYCLE_2)
	s_cvt_u32_f32 s9, s9
	s_wait_alu 0xfffe
	s_mul_i32 s10, s10, s9
	s_delay_alu instid0(SALU_CYCLE_1) | instskip(NEXT) | instid1(SALU_CYCLE_1)
	s_mul_hi_u32 s10, s9, s10
	s_add_co_i32 s9, s9, s10
	s_wait_alu 0xfffe
	s_mul_hi_u32 s9, s34, s9
	s_wait_alu 0xfffe
	s_mul_i32 s10, s9, s7
	s_add_co_i32 s12, s9, 1
	s_sub_co_i32 s10, s34, s10
	s_delay_alu instid0(SALU_CYCLE_1)
	s_sub_co_i32 s13, s10, s7
	s_cmp_ge_u32 s10, s7
	s_cselect_b32 s9, s12, s9
	s_cselect_b32 s10, s13, s10
	s_wait_alu 0xfffe
	s_add_co_i32 s12, s9, 1
	s_cmp_ge_u32 s10, s7
	s_cselect_b32 s34, s12, s9
	s_add_co_i32 s6, s6, -1
	s_mul_i32 s7, s34, s7
	s_delay_alu instid0(SALU_CYCLE_1) | instskip(NEXT) | instid1(SALU_CYCLE_1)
	s_sub_co_i32 s7, s11, s7
	s_mul_i32 s7, s8, s7
	s_delay_alu instid0(SALU_CYCLE_1)
	s_add_co_i32 s35, s7, s35
	s_cmp_gt_u32 s6, 2
	s_cbranch_scc1 .LBB115_3
.LBB115_4:
	s_load_b32 s6, s[0:1], 0x1a8
	s_add_nc_u64 s[8:9], s[0:1], 0x298
	s_add_nc_u64 s[2:3], s[0:1], 0xd8
	s_mov_b32 s27, 0
	s_mov_b32 s33, s5
	s_wait_kmcnt 0x0
	s_cmp_lt_i32 s6, 2
	s_cbranch_scc1 .LBB115_7
; %bb.5:
	s_add_co_i32 s26, s6, -1
	s_mov_b32 s33, s5
	s_lshl_b64 s[10:11], s[26:27], 2
	s_delay_alu instid0(SALU_CYCLE_1)
	s_add_nc_u64 s[12:13], s[2:3], s[10:11]
	s_add_co_i32 s10, s6, 1
	s_add_nc_u64 s[6:7], s[12:13], 8
.LBB115_6:                              ; =>This Inner Loop Header: Depth=1
	s_clause 0x1
	s_load_b32 s11, s[6:7], 0x0
	s_load_b32 s12, s[6:7], 0x64
	s_mov_b32 s15, s33
	s_add_nc_u64 s[6:7], s[6:7], -4
	s_wait_kmcnt 0x0
	s_cvt_f32_u32 s13, s11
	s_sub_co_i32 s14, 0, s11
	s_wait_alu 0xfffe
	s_delay_alu instid0(SALU_CYCLE_1) | instskip(NEXT) | instid1(TRANS32_DEP_1)
	v_rcp_iflag_f32_e32 v1, s13
	v_readfirstlane_b32 s13, v1
	s_mul_f32 s13, s13, 0x4f7ffffe
	s_wait_alu 0xfffe
	s_delay_alu instid0(SALU_CYCLE_2) | instskip(SKIP_1) | instid1(SALU_CYCLE_2)
	s_cvt_u32_f32 s13, s13
	s_wait_alu 0xfffe
	s_mul_i32 s14, s14, s13
	s_delay_alu instid0(SALU_CYCLE_1) | instskip(NEXT) | instid1(SALU_CYCLE_1)
	s_mul_hi_u32 s14, s13, s14
	s_add_co_i32 s13, s13, s14
	s_wait_alu 0xfffe
	s_mul_hi_u32 s13, s33, s13
	s_wait_alu 0xfffe
	s_mul_i32 s14, s13, s11
	s_add_co_i32 s16, s13, 1
	s_sub_co_i32 s14, s33, s14
	s_delay_alu instid0(SALU_CYCLE_1)
	s_sub_co_i32 s17, s14, s11
	s_cmp_ge_u32 s14, s11
	s_cselect_b32 s13, s16, s13
	s_cselect_b32 s14, s17, s14
	s_wait_alu 0xfffe
	s_add_co_i32 s16, s13, 1
	s_cmp_ge_u32 s14, s11
	s_cselect_b32 s33, s16, s13
	s_add_co_i32 s10, s10, -1
	s_mul_i32 s11, s33, s11
	s_delay_alu instid0(SALU_CYCLE_1) | instskip(NEXT) | instid1(SALU_CYCLE_1)
	s_sub_co_i32 s11, s15, s11
	s_mul_i32 s11, s12, s11
	s_delay_alu instid0(SALU_CYCLE_1)
	s_add_co_i32 s27, s11, s27
	s_cmp_gt_u32 s10, 2
	s_cbranch_scc1 .LBB115_6
.LBB115_7:
	s_clause 0x1
	s_load_b32 s51, s[0:1], 0x6c
	s_load_b32 s10, s[0:1], 0x280
	s_mov_b32 s7, 0
	s_wait_kmcnt 0x0
	s_cmp_lt_i32 s10, 2
	s_cbranch_scc1 .LBB115_10
; %bb.8:
	s_add_co_i32 s6, s10, -1
	s_add_nc_u64 s[12:13], s[0:1], 0x1b0
	s_lshl_b64 s[14:15], s[6:7], 2
	s_add_co_i32 s6, s10, 1
	s_wait_alu 0xfffe
	s_add_nc_u64 s[12:13], s[12:13], s[14:15]
	s_wait_alu 0xfffe
	s_add_nc_u64 s[10:11], s[12:13], 8
.LBB115_9:                              ; =>This Inner Loop Header: Depth=1
	s_clause 0x1
	s_load_b32 s12, s[10:11], 0x0
	s_load_b32 s13, s[10:11], 0x64
	s_mov_b32 s16, s5
	s_add_nc_u64 s[10:11], s[10:11], -4
	s_wait_kmcnt 0x0
	s_cvt_f32_u32 s14, s12
	s_sub_co_i32 s15, 0, s12
	s_wait_alu 0xfffe
	s_delay_alu instid0(SALU_CYCLE_1) | instskip(NEXT) | instid1(TRANS32_DEP_1)
	v_rcp_iflag_f32_e32 v1, s14
	v_readfirstlane_b32 s14, v1
	s_mul_f32 s14, s14, 0x4f7ffffe
	s_wait_alu 0xfffe
	s_delay_alu instid0(SALU_CYCLE_2) | instskip(SKIP_1) | instid1(SALU_CYCLE_2)
	s_cvt_u32_f32 s14, s14
	s_wait_alu 0xfffe
	s_mul_i32 s15, s15, s14
	s_wait_alu 0xfffe
	s_mul_hi_u32 s15, s14, s15
	s_wait_alu 0xfffe
	s_add_co_i32 s14, s14, s15
	s_wait_alu 0xfffe
	s_mul_hi_u32 s5, s5, s14
	s_delay_alu instid0(SALU_CYCLE_1)
	s_mul_i32 s14, s5, s12
	s_add_co_i32 s15, s5, 1
	s_wait_alu 0xfffe
	s_sub_co_i32 s14, s16, s14
	s_wait_alu 0xfffe
	s_sub_co_i32 s17, s14, s12
	s_cmp_ge_u32 s14, s12
	s_cselect_b32 s5, s15, s5
	s_cselect_b32 s14, s17, s14
	s_add_co_i32 s15, s5, 1
	s_wait_alu 0xfffe
	s_cmp_ge_u32 s14, s12
	s_cselect_b32 s5, s15, s5
	s_add_co_i32 s6, s6, -1
	s_mul_i32 s12, s5, s12
	s_wait_alu 0xfffe
	s_sub_co_i32 s12, s16, s12
	s_wait_alu 0xfffe
	s_mul_i32 s12, s13, s12
	s_wait_alu 0xfffe
	s_add_co_i32 s7, s12, s7
	s_cmp_gt_u32 s6, 2
	s_cbranch_scc1 .LBB115_9
.LBB115_10:
	s_clause 0x2
	s_load_b32 s50, s[2:3], 0x6c
	s_load_b32 s2, s[0:1], 0x21c
	s_load_b64 s[12:13], s[0:1], 0x1b0
	s_mov_b32 s11, 0
	v_mov_b32_e32 v3, 0
	s_wait_kmcnt 0x0
	s_mul_i32 s2, s2, s5
	s_delay_alu instid0(SALU_CYCLE_1) | instskip(SKIP_2) | instid1(SALU_CYCLE_1)
	s_add_co_i32 s10, s2, s7
	v_cmp_gt_u32_e64 s2, s28, v0
	s_lshl_b64 s[6:7], s[10:11], 3
	s_add_nc_u64 s[36:37], s[12:13], s[6:7]
	s_and_saveexec_b32 s5, s2
	s_cbranch_execz .LBB115_14
; %bb.11:
	s_load_b32 s3, s[8:9], 0xc
	v_mov_b32_e32 v2, 0
	v_mul_lo_u32 v1, v0, s30
	s_delay_alu instid0(VALU_DEP_2) | instskip(SKIP_2) | instid1(SALU_CYCLE_1)
	v_dual_mov_b32 v4, v0 :: v_dual_mov_b32 v3, v2
	s_wait_kmcnt 0x0
	s_and_b32 s6, s3, 0xffff
	s_mul_i32 s7, s30, s6
.LBB115_12:                             ; =>This Inner Loop Header: Depth=1
	s_delay_alu instid0(VALU_DEP_2) | instskip(SKIP_2) | instid1(VALU_DEP_3)
	v_lshlrev_b64_e32 v[5:6], 3, v[1:2]
	v_add_nc_u32_e32 v4, s6, v4
	v_add_nc_u32_e32 v1, s7, v1
	v_add_co_u32 v5, vcc_lo, s36, v5
	s_wait_alu 0xfffd
	s_delay_alu instid0(VALU_DEP_4)
	v_add_co_ci_u32_e64 v6, null, s37, v6, vcc_lo
	v_cmp_le_u32_e32 vcc_lo, s28, v4
	global_load_b64 v[5:6], v[5:6], off
	s_or_b32 s11, vcc_lo, s11
	s_wait_loadcnt 0x0
	v_cmp_u_f64_e64 s3, v[5:6], v[5:6]
	s_wait_alu 0xf1ff
	s_delay_alu instid0(VALU_DEP_1)
	v_add_co_ci_u32_e64 v3, null, 0, v3, s3
	s_and_not1_b32 exec_lo, exec_lo, s11
	s_cbranch_execnz .LBB115_12
; %bb.13:
	s_or_b32 exec_lo, exec_lo, s11
.LBB115_14:
	s_delay_alu instid0(SALU_CYCLE_1)
	s_or_b32 exec_lo, exec_lo, s5
	s_clause 0x1
	s_load_b64 s[40:41], s[0:1], 0x0
	s_load_b64 s[38:39], s[0:1], 0xd8
	v_cmp_eq_u32_e64 s0, 0, v0
	s_and_saveexec_b32 s1, s0
; %bb.15:
	v_mov_b32_e32 v1, 0
	s_delay_alu instid0(VALU_DEP_1)
	v_mov_b32_e32 v2, v1
	ds_store_b64 v1, v[1:2] offset:4096
; %bb.16:
	s_or_b32 exec_lo, exec_lo, s1
	s_delay_alu instid0(SALU_CYCLE_1)
	s_mov_b32 s1, exec_lo
	s_wait_dscnt 0x0
	s_barrier_signal -1
	s_barrier_wait -1
	global_inv scope:SCOPE_SE
	v_cmpx_ne_u32_e32 0, v3
	s_cbranch_execz .LBB115_21
; %bb.17:
	v_mov_b32_e32 v1, 0
	s_mov_b32 s3, exec_lo
	s_mov_b64 s[6:7], 0
.LBB115_18:                             ; =>This Inner Loop Header: Depth=1
	s_wait_alu 0xfffe
	s_ctz_i32_b32 s5, s3
	s_wait_alu 0xfffe
	v_readlane_b32 s11, v1, s5
	v_readlane_b32 s10, v3, s5
	s_lshl_b32 s5, 1, s5
	s_wait_alu 0xfffe
	s_and_not1_b32 s3, s3, s5
	s_wait_alu 0xfffe
	s_cmp_lg_u32 s3, 0
	s_add_nc_u64 s[6:7], s[6:7], s[10:11]
	s_cbranch_scc1 .LBB115_18
; %bb.19:
	v_mbcnt_lo_u32_b32 v1, exec_lo, 0
	s_mov_b32 s3, exec_lo
	s_delay_alu instid0(VALU_DEP_1)
	v_cmpx_eq_u32_e32 0, v1
	s_wait_alu 0xfffe
	s_xor_b32 s3, exec_lo, s3
; %bb.20:
	v_mov_b32_e32 v1, s6
	v_dual_mov_b32 v3, 0 :: v_dual_mov_b32 v2, s7
	ds_add_u64 v3, v[1:2] offset:4096
.LBB115_21:
	s_or_b32 exec_lo, exec_lo, s1
	v_mov_b32_e32 v1, 0
	s_wait_loadcnt_dscnt 0x0
	s_barrier_signal -1
	s_barrier_wait -1
	global_inv scope:SCOPE_SE
	ds_load_b64 v[1:2], v1 offset:4096
	s_bitcmp1_b32 s31, 0
	s_mov_b32 s10, s28
	s_cselect_b32 s3, -1, 0
	s_wait_dscnt 0x0
	v_readfirstlane_b32 s6, v1
	v_readfirstlane_b32 s7, v2
	s_wait_alu 0xf1ff
	s_delay_alu instid0(VALU_DEP_1) | instskip(SKIP_2) | instid1(SALU_CYCLE_1)
	v_cmp_lt_i64_e64 s1, s[6:7], 1
	s_wait_alu 0xfffe
	s_or_b32 s1, s3, s1
	s_and_not1_b32 vcc_lo, exec_lo, s1
	s_wait_alu 0xfffe
	s_cbranch_vccnz .LBB115_23
; %bb.22:
	s_not_b64 s[6:7], s[6:7]
	s_mov_b32 s29, 0
	s_wait_alu 0xfffe
	s_add_nc_u64 s[6:7], s[6:7], s[28:29]
	s_mov_b32 s11, s29
	s_wait_alu 0xfffe
	s_lshr_b32 s10, s7, 31
	s_delay_alu instid0(SALU_CYCLE_1)
	s_add_nc_u64 s[6:7], s[6:7], s[10:11]
	s_wait_alu 0xfffe
	s_lshr_b64 s[6:7], s[6:7], 1
	s_wait_alu 0xfffe
	s_add_co_i32 s10, s6, 1
.LBB115_23:
	s_and_saveexec_b32 s1, s0
	s_cbranch_execz .LBB115_25
; %bb.24:
	v_dual_mov_b32 v1, 0 :: v_dual_mov_b32 v2, s28
	ds_store_b32 v1, v1 offset:4112
	ds_store_b64 v1, v[1:2] offset:4104
.LBB115_25:
	s_or_b32 exec_lo, exec_lo, s1
	s_wait_loadcnt_dscnt 0x0
	s_barrier_signal -1
	s_barrier_wait -1
	global_inv scope:SCOPE_SE
	s_load_b32 s5, s[8:9], 0xc
	v_mbcnt_lo_u32_b32 v27, -1, 0
	v_cmp_gt_u32_e32 vcc_lo, 32, v0
	v_dual_mov_b32 v13, 0 :: v_dual_lshlrev_b32 v28, 2, v0
	v_mul_lo_u32 v11, s30, v0
	s_delay_alu instid0(VALU_DEP_4)
	v_cmp_gt_i32_e64 s3, 4, v27
	v_lshlrev_b32_e32 v29, 3, v0
	v_lshrrev_b32_e32 v3, 1, v0
	v_mov_b32_e32 v12, v13
	v_lshlrev_b32_e32 v38, 5, v0
	s_and_b32 s31, vcc_lo, s3
	v_mov_b32_e32 v18, 0
	s_wait_alu 0xfffe
	v_mad_co_u64_u32 v[20:21], null, s30, v28, s[30:31]
	v_mov_b32_e32 v21, 0
	v_cmp_gt_u32_e64 s1, 2, v0
	v_dual_mov_b32 v19, 0 :: v_dual_add_nc_u32 v30, 0xc00, v29
	v_dual_mov_b32 v41, s10 :: v_dual_lshlrev_b32 v36, 2, v11
	s_wait_kmcnt 0x0
	s_and_b32 s29, s5, 0xffff
	s_bfe_u32 s5, s5, 0xb0005
	s_wait_alu 0xfffe
	s_lshl_b32 s52, s29, 2
	s_add_co_i32 s53, s29, -1
	s_cvt_f32_u32 s3, s52
	s_add_co_i32 s6, s53, s28
	s_cmp_gt_u32 s28, 0x180
	s_cvt_f32_u32 s11, s29
	s_wait_alu 0xfffe
	v_rcp_iflag_f32_e32 v1, s3
	s_cselect_b32 s55, -1, 0
	s_cmp_gt_u32 s29, 31
	v_lshl_or_b32 v39, v27, 2, 0xc00
	s_cselect_b32 s56, -1, 0
	s_cmp_lt_u32 ttmp9, s4
	s_movk_i32 s4, 0x1f0
	s_cselect_b32 s42, 12, 18
	s_add_co_i32 s3, s5, -1
	s_bfe_u32 s57, s29, 0x30005
	v_readfirstlane_b32 s7, v1
	s_wait_alu 0xfffe
	s_and_b32 s3, s3, 0xffff
	v_rcp_iflag_f32_e32 v1, s11
	s_wait_alu 0xfffe
	s_cmp_gt_u32 s3, 6
	v_and_or_b32 v31, v3, s4, 0xc00
	s_mul_f32 s3, s7, 0x4f7ffffe
	s_cselect_b32 s58, -1, 0
	s_and_b32 s59, s5, 0x7f8
	s_cmp_lg_u32 s57, 0
	s_wait_alu 0xfffe
	s_cvt_u32_f32 s3, s3
	s_cselect_b32 s60, -1, 0
	s_sub_co_i32 s5, 0, s52
	v_readfirstlane_b32 s7, v1
	s_wait_alu 0xfffe
	s_mul_i32 s5, s5, s3
	v_lshlrev_b64_e64 v[1:2], v27, -1
	s_wait_alu 0xfffe
	s_mul_hi_u32 s5, s3, s5
	v_lshlrev_b64_e32 v[2:3], 3, v[11:12]
	s_wait_alu 0xfffe
	s_add_co_i32 s44, s3, s5
	s_mul_f32 s7, s7, 0x4f7ffffe
	s_mul_hi_u32 s5, s28, s44
	v_not_b32_e32 v33, v1
	s_wait_alu 0xfffe
	s_mul_i32 s5, s5, s52
	s_cvt_u32_f32 s7, s7
	s_wait_alu 0xfffe
	s_sub_co_i32 s5, s28, s5
	v_add_co_u32 v14, vcc_lo, s36, v2
	s_wait_alu 0xfffe
	s_sub_co_i32 s11, s5, s52
	s_cmp_ge_u32 s5, s52
	s_wait_alu 0xfffd
	v_add_co_ci_u32_e64 v15, null, s37, v3, vcc_lo
	s_wait_alu 0xfffe
	s_cselect_b32 s5, s11, s5
	v_add3_u32 v3, s29, s28, v0
	s_wait_alu 0xfffe
	s_sub_co_i32 s11, s5, s52
	s_cmp_ge_u32 s5, s52
	v_mov_b32_e32 v5, 0
	s_wait_alu 0xfffe
	s_cselect_b32 s11, s11, s5
	s_sub_co_i32 s5, 0, s29
	s_wait_alu 0xfffe
	s_sub_co_i32 s61, s28, s11
	s_mul_i32 s5, s5, s7
	v_add_nc_u32_e32 v32, s61, v0
	s_wait_alu 0xfffe
	s_mul_hi_u32 s4, s7, s5
	v_subrev_nc_u32_e32 v3, s11, v3
	s_wait_alu 0xfffe
	s_add_co_i32 s46, s7, s4
	v_cmp_eq_u32_e64 s3, 0, v27
	v_mul_lo_u32 v12, v32, s30
	s_mul_hi_u32 s4, s6, s46
	v_mul_lo_u32 v37, s30, v3
	s_wait_alu 0xfffe
	s_mul_i32 s4, s4, s29
	v_mov_b32_e32 v6, 0
	s_wait_alu 0xfffe
	s_sub_co_i32 s4, s6, s4
	v_mov_b32_e32 v22, 0
	s_wait_alu 0xfffe
	s_sub_co_i32 s5, s4, s29
	v_lshlrev_b64_e32 v[1:2], 3, v[12:13]
	s_cmp_ge_u32 s4, s29
	v_mov_b32_e32 v40, 0
	s_wait_alu 0xfffe
	s_cselect_b32 s5, s5, s4
	v_cmp_gt_u32_e64 s4, s61, v28
	s_wait_alu 0xfffe
	s_sub_co_i32 s7, s5, s29
	v_add_co_u32 v16, vcc_lo, s36, v1
	s_wait_alu 0xfffd
	v_add_co_ci_u32_e64 v17, null, s37, v2, vcc_lo
	v_or_b32_e32 v1, 2, v28
	v_or_b32_e32 v2, 3, v28
	s_cmp_ge_u32 s5, s29
	s_mov_b32 s43, 0
	s_wait_alu 0xfffe
	s_cselect_b32 s7, s7, s5
	v_mul_lo_u32 v34, s30, v1
	v_mul_lo_u32 v35, s30, v2
	s_wait_alu 0xfffe
	s_sub_co_i32 s62, s6, s7
	v_cmp_gt_u32_e64 s5, s28, v32
	v_cmp_gt_u32_e64 s6, s62, v0
	v_mov_b32_e32 v2, 0x3ff00000
	s_mul_i32 s54, s30, s29
	s_mov_b32 s45, s43
	s_mov_b32 s47, s43
	s_lshl_b32 s63, s54, 2
	s_lshl_b32 s64, s29, 5
	s_lshl_b32 s65, s29, 3
	s_mov_b32 s73, 62
	s_add_nc_u64 s[48:49], s[8:9], s[42:43]
	s_mov_b32 s66, 0
                                        ; implicit-def: $sgpr70
                                        ; implicit-def: $sgpr72
                                        ; implicit-def: $sgpr67
                                        ; implicit-def: $sgpr69
                                        ; implicit-def: $sgpr71
                                        ; implicit-def: $sgpr68
	s_branch .LBB115_29
.LBB115_26:                             ;   in Loop: Header=BB115_29 Depth=1
	s_wait_alu 0xfffe
	s_or_b32 exec_lo, exec_lo, s10
	s_delay_alu instid0(SALU_CYCLE_1)
	s_and_b32 s8, s8, exec_lo
	s_and_not1_b32 s16, s16, exec_lo
	s_and_not1_b32 s15, s15, exec_lo
	s_or_not1_b32 s13, s9, exec_lo
.LBB115_27:                             ;   in Loop: Header=BB115_29 Depth=1
	s_wait_alu 0xfffe
	s_or_b32 exec_lo, exec_lo, s7
	s_delay_alu instid0(SALU_CYCLE_1)
	s_and_not1_b32 s7, s68, exec_lo
	s_and_b32 s8, s8, exec_lo
	s_and_not1_b32 s9, s69, exec_lo
	s_wait_alu 0xfffe
	s_or_b32 s68, s7, s8
	s_and_not1_b32 s7, s71, exec_lo
	s_and_b32 s8, s16, exec_lo
	s_and_b32 s10, s15, exec_lo
	s_wait_alu 0xfffe
	s_or_b32 s71, s7, s8
	s_or_b32 s69, s9, s10
	s_or_not1_b32 s14, s13, exec_lo
.LBB115_28:                             ;   in Loop: Header=BB115_29 Depth=1
	s_wait_alu 0xfffe
	s_or_b32 exec_lo, exec_lo, s12
	s_delay_alu instid0(SALU_CYCLE_1)
	s_and_b32 s7, exec_lo, s14
	v_mov_b32_e32 v41, v8
	s_wait_alu 0xfffe
	s_or_b32 s66, s7, s66
	s_and_not1_b32 s7, s67, exec_lo
	s_and_b32 s8, s68, exec_lo
	s_and_not1_b32 s9, s72, exec_lo
	s_wait_alu 0xfffe
	s_or_b32 s67, s7, s8
	s_and_b32 s7, s71, exec_lo
	s_and_not1_b32 s8, s70, exec_lo
	s_and_b32 s10, s69, exec_lo
	s_wait_alu 0xfffe
	s_or_b32 s72, s9, s7
	s_or_b32 s70, s8, s10
	s_mov_b32 s73, s20
	s_and_not1_b32 exec_lo, exec_lo, s66
	s_cbranch_execz .LBB115_257
.LBB115_29:                             ; =>This Loop Header: Depth=1
                                        ;     Child Loop BB115_35 Depth 2
                                        ;     Child Loop BB115_48 Depth 2
	;; [unrolled: 1-line block ×16, first 2 shown]
	ds_load_b64 v[3:4], v13 offset:4104
	s_wait_dscnt 0x0
	v_readfirstlane_b32 s42, v3
	s_cmp_lg_u32 s42, 0
	s_cbranch_scc1 .LBB115_56
; %bb.30:                               ;   in Loop: Header=BB115_29 Depth=1
	s_and_b32 vcc_lo, exec_lo, s55
	s_wait_alu 0xfffe
	s_cbranch_vccz .LBB115_43
; %bb.31:                               ;   in Loop: Header=BB115_29 Depth=1
	v_cmp_gt_u32_e32 vcc_lo, 0x181, v4
	s_mov_b32 s9, 0
	s_mov_b32 s7, 0
	s_cbranch_vccz .LBB115_44
; %bb.32:                               ;   in Loop: Header=BB115_29 Depth=1
	s_and_saveexec_b32 s10, s2
	s_cbranch_execz .LBB115_142
; %bb.33:                               ;   in Loop: Header=BB115_29 Depth=1
	global_load_b64 v[3:4], v[14:15], off
	s_load_u16 s11, s[48:49], 0x0
	s_mov_b32 s13, 0
	s_wait_kmcnt 0x0
	v_add_nc_u32_e32 v1, s11, v0
	s_mul_i32 s12, s30, s11
	s_delay_alu instid0(VALU_DEP_1)
	v_mul_lo_u32 v12, s30, v1
	v_mov_b32_e32 v1, v0
	s_branch .LBB115_35
.LBB115_34:                             ;   in Loop: Header=BB115_35 Depth=2
	s_wait_alu 0xfffe
	s_or_b32 exec_lo, exec_lo, s8
	v_dual_mov_b32 v3, v7 :: v_dual_add_nc_u32 v12, s12, v12
	v_mov_b32_e32 v4, v8
	s_and_not1_b32 exec_lo, exec_lo, s13
	s_cbranch_execz .LBB115_142
.LBB115_35:                             ;   Parent Loop BB115_29 Depth=1
                                        ; =>  This Inner Loop Header: Depth=2
	v_mov_b32_e32 v7, 0
	s_delay_alu instid0(VALU_DEP_2) | instskip(SKIP_1) | instid1(VALU_DEP_1)
	v_dual_mov_b32 v8, 0 :: v_dual_add_nc_u32 v1, s11, v1
	s_mov_b32 s8, exec_lo
	v_cmp_le_u32_e32 vcc_lo, s28, v1
	v_cmpx_gt_u32_e64 s28, v1
	s_cbranch_execz .LBB115_37
; %bb.36:                               ;   in Loop: Header=BB115_35 Depth=2
	v_lshlrev_b64_e32 v[7:8], 3, v[12:13]
	s_delay_alu instid0(VALU_DEP_1) | instskip(SKIP_1) | instid1(VALU_DEP_2)
	v_add_co_u32 v7, s7, s36, v7
	s_wait_alu 0xf1ff
	v_add_co_ci_u32_e64 v8, null, s37, v8, s7
	global_load_b64 v[7:8], v[7:8], off
.LBB115_37:                             ;   in Loop: Header=BB115_35 Depth=2
	s_wait_alu 0xfffe
	s_or_b32 exec_lo, exec_lo, s8
	s_wait_loadcnt 0x0
	v_cmp_o_f64_e64 s7, v[3:4], v[3:4]
	s_wait_dscnt 0x0
	v_ashrrev_i32_e32 v9, 31, v4
	s_delay_alu instid0(VALU_DEP_1) | instskip(SKIP_1) | instid1(VALU_DEP_2)
	v_or_b32_e32 v10, 0x80000000, v9
	v_xor_b32_e32 v9, v9, v3
	v_xor_b32_e32 v10, v10, v4
	s_wait_alu 0xf1ff
	s_delay_alu instid0(VALU_DEP_1) | instskip(NEXT) | instid1(VALU_DEP_3)
	v_cndmask_b32_e64 v10, -1, v10, s7
	v_cndmask_b32_e64 v9, -1, v9, s7
	s_delay_alu instid0(VALU_DEP_2) | instskip(NEXT) | instid1(VALU_DEP_2)
	v_and_b32_e32 v10, v10, v22
	v_and_b32_e32 v9, v9, v21
	s_delay_alu instid0(VALU_DEP_1)
	v_cmp_eq_u64_e64 s7, v[9:10], v[18:19]
	v_mov_b32_e32 v9, 0
	s_cmp_lg_u32 s7, 0
	s_cselect_b32 s8, -1, 0
	s_wait_alu 0xfffe
	s_and_b32 s8, s3, s8
	s_wait_alu 0xfffe
	s_and_saveexec_b32 s14, s8
	s_cbranch_execz .LBB115_41
; %bb.38:                               ;   in Loop: Header=BB115_35 Depth=2
	s_mov_b32 s17, exec_lo
	s_bcnt1_i32_b32 s15, s7
	s_wait_alu 0xfffe
	v_mbcnt_lo_u32_b32 v9, s17, 0
	s_mov_b32 s16, exec_lo
                                        ; implicit-def: $vgpr10
	s_delay_alu instid0(VALU_DEP_1)
	v_cmpx_eq_u32_e32 0, v9
; %bb.39:                               ;   in Loop: Header=BB115_35 Depth=2
	s_bcnt1_i32_b32 s8, s17
	s_wait_alu 0xfffe
	s_mul_i32 s8, s15, s8
	s_wait_alu 0xfffe
	v_mov_b32_e32 v10, s8
	ds_add_rtn_u32 v10, v13, v10 offset:4112
; %bb.40:                               ;   in Loop: Header=BB115_35 Depth=2
	s_or_b32 exec_lo, exec_lo, s16
	s_wait_dscnt 0x0
	v_readfirstlane_b32 s8, v10
	s_wait_alu 0xf1ff
	s_delay_alu instid0(VALU_DEP_1)
	v_mad_u32_u24 v9, s15, v9, s8
.LBB115_41:                             ;   in Loop: Header=BB115_35 Depth=2
	s_wait_alu 0xfffe
	s_or_b32 exec_lo, exec_lo, s14
	ds_bpermute_b32 v9, v13, v9
	s_and_b32 s8, exec_lo, vcc_lo
	s_wait_alu 0xfffe
	s_or_b32 s13, s8, s13
	s_and_saveexec_b32 s8, s7
	s_cbranch_execz .LBB115_34
; %bb.42:                               ;   in Loop: Header=BB115_35 Depth=2
	v_and_b32_e32 v10, s7, v33
	s_delay_alu instid0(VALU_DEP_1) | instskip(NEXT) | instid1(VALU_DEP_1)
	v_bcnt_u32_b32 v10, v10, 0
	v_lshlrev_b32_e32 v10, 3, v10
	s_wait_dscnt 0x0
	s_delay_alu instid0(VALU_DEP_1)
	v_lshl_add_u32 v9, v9, 3, v10
	ds_store_b64 v9, v[3:4]
	s_branch .LBB115_34
.LBB115_43:                             ;   in Loop: Header=BB115_29 Depth=1
	s_mov_b32 s9, -1
	s_mov_b32 s7, 0
.LBB115_44:                             ;   in Loop: Header=BB115_29 Depth=1
	s_wait_alu 0xfffe
	s_and_b32 vcc_lo, exec_lo, s9
	s_wait_alu 0xfffe
	s_cbranch_vccz .LBB115_54
.LBB115_45:                             ;   in Loop: Header=BB115_29 Depth=1
	s_and_saveexec_b32 s7, s2
	s_cbranch_execz .LBB115_51
; %bb.46:                               ;   in Loop: Header=BB115_29 Depth=1
	global_load_b64 v[3:4], v[14:15], off
	s_load_u16 s9, s[48:49], 0x0
	v_mov_b32_e32 v1, v0
	s_mov_b32 s8, exec_lo
	s_wait_kmcnt 0x0
	v_add_nc_u32_e32 v7, s9, v0
	s_delay_alu instid0(VALU_DEP_1)
	v_cmpx_gt_u32_e64 s28, v7
	s_cbranch_execz .LBB115_50
; %bb.47:                               ;   in Loop: Header=BB115_29 Depth=1
	v_mul_lo_u32 v12, s30, v7
	v_mov_b32_e32 v9, v29
	v_mov_b32_e32 v1, v0
	s_lshl_b32 s10, s9, 3
	s_mul_i32 s12, s30, s9
	s_mov_b32 s11, 0
.LBB115_48:                             ;   Parent Loop BB115_29 Depth=1
                                        ; =>  This Inner Loop Header: Depth=2
	s_delay_alu instid0(VALU_DEP_3)
	v_lshlrev_b64_e32 v[7:8], 3, v[12:13]
	s_wait_loadcnt 0x0
	ds_store_b64 v9, v[3:4]
	s_wait_alu 0xfffe
	v_add_nc_u32_e32 v9, s10, v9
	v_add_co_u32 v7, vcc_lo, s36, v7
	s_wait_alu 0xfffd
	v_add_co_ci_u32_e64 v8, null, s37, v8, vcc_lo
	global_load_b64 v[7:8], v[7:8], off
	v_add_nc_u32_e32 v1, s9, v1
	s_wait_loadcnt 0x0
	v_dual_mov_b32 v3, v7 :: v_dual_add_nc_u32 v12, s12, v12
	v_mov_b32_e32 v4, v8
	s_delay_alu instid0(VALU_DEP_3) | instskip(NEXT) | instid1(VALU_DEP_1)
	v_add_nc_u32_e32 v10, s9, v1
	v_cmp_le_u32_e32 vcc_lo, s28, v10
	s_or_b32 s11, vcc_lo, s11
	s_wait_alu 0xfffe
	s_and_not1_b32 exec_lo, exec_lo, s11
	s_cbranch_execnz .LBB115_48
; %bb.49:                               ;   in Loop: Header=BB115_29 Depth=1
	s_or_b32 exec_lo, exec_lo, s11
	v_dual_mov_b32 v3, v7 :: v_dual_mov_b32 v4, v8
.LBB115_50:                             ;   in Loop: Header=BB115_29 Depth=1
	s_wait_alu 0xfffe
	s_or_b32 exec_lo, exec_lo, s8
	v_lshlrev_b32_e32 v1, 3, v1
	s_wait_loadcnt 0x0
	ds_store_b64 v1, v[3:4]
.LBB115_51:                             ;   in Loop: Header=BB115_29 Depth=1
	s_wait_alu 0xfffe
	s_or_b32 exec_lo, exec_lo, s7
	s_wait_loadcnt_dscnt 0x0
	s_barrier_signal -1
	s_barrier_wait -1
	global_inv scope:SCOPE_SE
	s_and_saveexec_b32 s7, s0
; %bb.52:                               ;   in Loop: Header=BB115_29 Depth=1
	v_mov_b32_e32 v1, s28
	ds_store_b32 v13, v1 offset:4104
; %bb.53:                               ;   in Loop: Header=BB115_29 Depth=1
	s_wait_alu 0xfffe
	s_or_b32 exec_lo, exec_lo, s7
	s_mov_b32 s7, -1
	s_wait_loadcnt_dscnt 0x0
	s_barrier_signal -1
	s_barrier_wait -1
.LBB115_54:                             ;   in Loop: Header=BB115_29 Depth=1
	s_wait_alu 0xfffe
	s_and_b32 vcc_lo, exec_lo, s7
	s_mov_b32 s42, 0
	s_wait_alu 0xfffe
	s_cbranch_vccz .LBB115_56
; %bb.55:                               ;   in Loop: Header=BB115_29 Depth=1
	s_wait_loadcnt 0x0
	global_inv scope:SCOPE_SE
	ds_load_b32 v1, v13 offset:4104
	s_wait_dscnt 0x0
	v_readfirstlane_b32 s42, v1
.LBB115_56:                             ;   in Loop: Header=BB115_29 Depth=1
	s_delay_alu instid0(VALU_DEP_1)
	s_cmp_lt_i32 s42, 1
	s_mov_b32 s7, -1
                                        ; implicit-def: $vgpr7
	s_cbranch_scc1 .LBB115_66
; %bb.57:                               ;   in Loop: Header=BB115_29 Depth=1
	s_wait_alu 0xfffe
	s_and_b32 vcc_lo, exec_lo, s7
	s_wait_alu 0xfffe
	s_cbranch_vccnz .LBB115_77
.LBB115_58:                             ;   in Loop: Header=BB115_29 Depth=1
	v_lshlrev_b32_e32 v1, 7, v40
	s_and_saveexec_b32 s7, s3
.LBB115_59:                             ;   in Loop: Header=BB115_29 Depth=1
	s_delay_alu instid0(VALU_DEP_1)
	v_lshl_add_u32 v3, v1, 2, v31
	ds_store_b128 v3, v[7:10]
.LBB115_60:                             ;   in Loop: Header=BB115_29 Depth=1
	s_wait_alu 0xfffe
	s_or_b32 exec_lo, exec_lo, s7
	s_wait_loadcnt_dscnt 0x0
	s_barrier_signal -1
	s_barrier_wait -1
	global_inv scope:SCOPE_SE
	s_and_saveexec_b32 s7, s31
	s_cbranch_execz .LBB115_90
; %bb.61:                               ;   in Loop: Header=BB115_29 Depth=1
	v_mov_b32_e32 v3, 0
	s_and_not1_b32 vcc_lo, exec_lo, s56
	s_wait_alu 0xfffe
	s_cbranch_vccnz .LBB115_89
; %bb.62:                               ;   in Loop: Header=BB115_29 Depth=1
	s_and_not1_b32 vcc_lo, exec_lo, s58
	s_wait_alu 0xfffe
	s_cbranch_vccnz .LBB115_86
; %bb.63:                               ;   in Loop: Header=BB115_29 Depth=1
	v_lshl_add_u32 v4, v40, 9, v39
	v_mov_b32_e32 v3, 0
	s_mov_b32 s8, 0
.LBB115_64:                             ;   Parent Loop BB115_29 Depth=1
                                        ; =>  This Inner Loop Header: Depth=2
	ds_load_2addr_b32 v[7:8], v4 offset1:4
	ds_load_2addr_b32 v[9:10], v4 offset0:8 offset1:12
	ds_load_2addr_b32 v[23:24], v4 offset0:16 offset1:20
	;; [unrolled: 1-line block ×3, first 2 shown]
	v_add_nc_u32_e32 v4, 0x80, v4
	s_wait_alu 0xfffe
	s_add_co_i32 s8, s8, 8
	s_wait_alu 0xfffe
	s_cmp_eq_u32 s59, s8
	s_wait_dscnt 0x3
	v_add3_u32 v3, v7, v3, v8
	s_wait_dscnt 0x2
	s_delay_alu instid0(VALU_DEP_1) | instskip(SKIP_1) | instid1(VALU_DEP_1)
	v_add3_u32 v3, v9, v3, v10
	s_wait_dscnt 0x1
	v_add3_u32 v3, v23, v3, v24
	s_wait_dscnt 0x0
	s_delay_alu instid0(VALU_DEP_1)
	v_add3_u32 v3, v25, v3, v26
	s_cbranch_scc0 .LBB115_64
; %bb.65:                               ;   in Loop: Header=BB115_29 Depth=1
	s_mov_b32 s8, s59
	s_and_not1_b32 vcc_lo, exec_lo, s60
	s_wait_alu 0xfffe
	s_cbranch_vccz .LBB115_87
	s_branch .LBB115_89
.LBB115_66:                             ;   in Loop: Header=BB115_29 Depth=1
	v_dual_mov_b32 v7, 0 :: v_dual_mov_b32 v8, 0
	v_dual_mov_b32 v9, 0 :: v_dual_mov_b32 v10, 0
	s_and_saveexec_b32 s21, s4
	s_cbranch_execz .LBB115_70
; %bb.67:                               ;   in Loop: Header=BB115_29 Depth=1
	v_mov_b32_e32 v1, v28
	s_mov_b32 s22, 0
	s_mov_b32 s23, 0
	;; [unrolled: 1-line block ×6, first 2 shown]
.LBB115_68:                             ;   Parent Loop BB115_29 Depth=1
                                        ; =>  This Inner Loop Header: Depth=2
	s_wait_alu 0xfffe
	v_dual_mov_b32 v25, v13 :: v_dual_add_nc_u32 v12, s23, v36
	v_dual_mov_b32 v26, v13 :: v_dual_add_nc_u32 v1, s52, v1
	v_mov_b32_e32 v43, v13
	s_delay_alu instid0(VALU_DEP_3) | instskip(SKIP_1) | instid1(VALU_DEP_1)
	v_lshlrev_b64_e32 v[3:4], 3, v[12:13]
	v_add_nc_u32_e32 v12, s23, v20
	v_lshlrev_b64_e32 v[7:8], 3, v[12:13]
	v_add_nc_u32_e32 v12, s23, v34
	s_delay_alu instid0(VALU_DEP_4) | instskip(SKIP_2) | instid1(VALU_DEP_3)
	v_add_co_u32 v3, vcc_lo, s36, v3
	s_wait_alu 0xfffd
	v_add_co_ci_u32_e64 v4, null, s37, v4, vcc_lo
	v_lshlrev_b64_e32 v[9:10], 3, v[12:13]
	v_add_nc_u32_e32 v12, s23, v35
	v_add_co_u32 v7, vcc_lo, s36, v7
	global_load_b64 v[3:4], v[3:4], off
	s_wait_alu 0xfffd
	v_add_co_ci_u32_e64 v8, null, s37, v8, vcc_lo
	v_lshlrev_b64_e32 v[23:24], 3, v[12:13]
	v_add_co_u32 v9, vcc_lo, s36, v9
	s_wait_alu 0xfffd
	v_add_co_ci_u32_e64 v10, null, s37, v10, vcc_lo
	s_clause 0x1
	global_load_b64 v[7:8], v[7:8], off
	global_load_b64 v[9:10], v[9:10], off
	v_add_co_u32 v23, vcc_lo, s36, v23
	s_wait_alu 0xfffd
	v_add_co_ci_u32_e64 v24, null, s37, v24, vcc_lo
	v_cmp_le_u32_e32 vcc_lo, s61, v1
	s_add_co_i32 s23, s23, s63
	global_load_b64 v[23:24], v[23:24], off
	s_wait_loadcnt 0x3
	v_cmp_o_f64_e64 s7, v[3:4], v[3:4]
	v_ashrrev_i32_e32 v12, 31, v4
	s_delay_alu instid0(VALU_DEP_1)
	v_or_b32_e32 v42, 0x80000000, v12
	v_xor_b32_e32 v12, v12, v3
	s_wait_loadcnt 0x2
	v_cmp_o_f64_e64 s8, v[7:8], v[7:8]
	s_wait_loadcnt 0x1
	v_cmp_o_f64_e64 s9, v[9:10], v[9:10]
	v_xor_b32_e32 v42, v42, v4
	v_ashrrev_i32_e32 v45, 31, v10
	v_ashrrev_i32_e32 v44, 31, v8
	s_delay_alu instid0(VALU_DEP_2) | instskip(SKIP_2) | instid1(VALU_DEP_3)
	v_or_b32_e32 v3, 0x80000000, v45
	s_wait_loadcnt 0x0
	v_cmp_o_f64_e64 s10, v[23:24], v[23:24]
	v_or_b32_e32 v46, 0x80000000, v44
	v_xor_b32_e32 v44, v44, v7
	v_xor_b32_e32 v48, v45, v9
	;; [unrolled: 1-line block ×3, first 2 shown]
	s_delay_alu instid0(VALU_DEP_4) | instskip(SKIP_3) | instid1(VALU_DEP_2)
	v_xor_b32_e32 v46, v46, v8
	s_wait_alu 0xf1ff
	v_cndmask_b32_e64 v4, -1, v42, s7
	v_ashrrev_i32_e32 v42, 31, v24
	v_and_b32_e32 v10, v4, v22
	s_delay_alu instid0(VALU_DEP_2) | instskip(SKIP_3) | instid1(VALU_DEP_4)
	v_or_b32_e32 v7, 0x80000000, v42
	v_xor_b32_e32 v42, v42, v23
	v_cndmask_b32_e64 v8, -1, v46, s8
	v_cndmask_b32_e64 v23, -1, v48, s9
	v_xor_b32_e32 v7, v7, v24
	v_cndmask_b32_e64 v24, -1, v3, s9
	v_cndmask_b32_e64 v3, -1, v12, s7
	v_and_b32_e32 v45, v8, v22
	v_and_b32_e32 v48, v23, v21
	s_delay_alu instid0(VALU_DEP_4) | instskip(NEXT) | instid1(VALU_DEP_4)
	v_and_b32_e32 v49, v24, v22
	v_and_b32_e32 v9, v3, v21
	v_lshrrev_b64 v[3:4], s73, v[3:4]
	v_cndmask_b32_e64 v47, -1, v7, s10
	v_cndmask_b32_e64 v7, -1, v44, s8
	;; [unrolled: 1-line block ×3, first 2 shown]
	v_cmp_eq_u64_e64 s7, v[9:10], v[18:19]
	v_cmp_eq_u64_e64 s13, v[48:49], v[18:19]
	v_and_b32_e32 v12, 3, v3
	v_and_b32_e32 v44, v7, v21
	v_lshrrev_b64 v[7:8], s73, v[7:8]
	v_lshrrev_b64 v[3:4], s73, v[23:24]
	v_and_b32_e32 v50, v47, v22
	v_cmp_eq_u64_e64 s9, 0, v[12:13]
	v_cmp_eq_u64_e64 s10, 1, v[12:13]
	;; [unrolled: 1-line block ×3, first 2 shown]
	v_and_b32_e32 v24, 3, v7
	v_cmp_eq_u64_e64 s12, 3, v[12:13]
	v_cmp_eq_u64_e64 s8, v[44:45], v[18:19]
	s_and_b32 s9, s7, s9
	v_and_b32_e32 v42, 3, v3
	v_cmp_eq_u64_e64 s14, 0, v[24:25]
	v_cmp_eq_u64_e64 s15, 1, v[24:25]
	;; [unrolled: 1-line block ×3, first 2 shown]
	v_lshrrev_b64 v[7:8], s73, v[46:47]
	s_wait_alu 0xfffe
	v_cndmask_b32_e64 v3, 0, 1, s9
	s_and_b32 s9, s7, s10
	v_cmp_eq_u64_e64 s17, 3, v[24:25]
	s_wait_alu 0xfffe
	v_cndmask_b32_e64 v4, 0, 1, s9
	s_and_b32 s9, s7, s11
	s_and_b32 s7, s7, s12
	s_wait_alu 0xfffe
	v_cndmask_b32_e64 v8, 0, 1, s9
	v_cmp_eq_u64_e64 s9, 0, v[42:43]
	v_cmp_eq_u64_e64 s10, 1, v[42:43]
	v_cndmask_b32_e64 v9, 0, 1, s7
	s_and_b32 s14, s8, s14
	s_and_b32 s15, s8, s15
	;; [unrolled: 1-line block ×3, first 2 shown]
	v_and_b32_e32 v49, v46, v21
	v_and_b32_e32 v25, 3, v7
	v_cmp_eq_u64_e64 s11, 2, v[42:43]
	v_cmp_eq_u64_e64 s12, 3, v[42:43]
	v_cmp_ne_u32_e64 s18, 0, v3
	s_wait_alu 0xfffe
	v_cndmask_b32_e64 v3, 0, 1, s14
	v_cmp_ne_u32_e64 s14, 0, v4
	v_cndmask_b32_e64 v4, 0, 1, s15
	v_cndmask_b32_e64 v7, 0, 1, s16
	s_and_b32 s8, s8, s17
	v_cmp_ne_u32_e64 s15, 0, v8
	s_wait_alu 0xfffe
	v_cndmask_b32_e64 v8, 0, 1, s8
	v_cmp_ne_u32_e64 s16, 0, v9
	s_and_b32 s9, s13, s9
	s_and_b32 s10, s13, s10
	v_cmp_eq_u64_e64 s7, v[49:50], v[18:19]
	v_cmp_eq_u64_e64 s8, 0, v[25:26]
	;; [unrolled: 1-line block ×5, first 2 shown]
	s_bcnt1_i32_b32 s75, s18
	v_cmp_ne_u32_e64 s18, 0, v3
	s_wait_alu 0xfffe
	v_cndmask_b32_e64 v3, 0, 1, s9
	v_cmp_ne_u32_e64 s9, 0, v4
	v_cndmask_b32_e64 v4, 0, 1, s10
	v_cmp_ne_u32_e64 s10, 0, v7
	s_and_b32 s11, s13, s11
	s_and_b32 s12, s13, s12
	s_wait_alu 0xfffe
	v_cndmask_b32_e64 v7, 0, 1, s11
	v_cmp_ne_u32_e64 s11, 0, v8
	v_cndmask_b32_e64 v8, 0, 1, s12
	s_bcnt1_i32_b32 s16, s16
	s_and_b32 s8, s7, s8
	s_wait_alu 0xfffe
	s_add_co_i32 s16, s16, s24
	s_bcnt1_i32_b32 s24, s9
	s_and_b32 s9, s7, s17
	s_bcnt1_i32_b32 s17, s10
	s_and_b32 s10, s7, s19
	s_and_b32 s7, s7, s20
	v_cmp_ne_u32_e64 s12, 0, v3
	v_cndmask_b32_e64 v3, 0, 1, s8
	v_cmp_ne_u32_e64 s8, 0, v4
	s_wait_alu 0xfffe
	v_cndmask_b32_e64 v4, 0, 1, s9
	v_cmp_ne_u32_e64 s9, 0, v7
	v_cndmask_b32_e64 v7, 0, 1, s10
	v_cmp_ne_u32_e64 s10, 0, v8
	v_cndmask_b32_e64 v8, 0, 1, s7
	s_bcnt1_i32_b32 s15, s15
	s_add_co_i32 s13, s75, s74
	s_wait_alu 0xfffe
	s_add_co_i32 s15, s15, s25
	s_bcnt1_i32_b32 s18, s18
	s_bcnt1_i32_b32 s11, s11
	;; [unrolled: 1-line block ×3, first 2 shown]
	s_wait_alu 0xfffe
	s_add_co_i32 s13, s13, s18
	s_add_co_i32 s15, s15, s17
	;; [unrolled: 1-line block ×3, first 2 shown]
	v_cmp_ne_u32_e64 s7, 0, v3
	s_bcnt1_i32_b32 s16, s8
	v_cmp_ne_u32_e64 s8, 0, v4
	s_bcnt1_i32_b32 s17, s9
	;; [unrolled: 2-line block ×3, first 2 shown]
	v_cmp_ne_u32_e64 s10, 0, v8
	s_add_co_i32 s14, s14, s26
	s_bcnt1_i32_b32 s12, s12
	s_wait_alu 0xfffe
	s_add_co_i32 s14, s14, s24
	s_add_co_i32 s12, s13, s12
	s_wait_alu 0xfffe
	s_add_co_i32 s13, s14, s16
	s_add_co_i32 s14, s15, s17
	;; [unrolled: 1-line block ×3, first 2 shown]
	s_bcnt1_i32_b32 s7, s7
	s_bcnt1_i32_b32 s8, s8
	;; [unrolled: 1-line block ×4, first 2 shown]
	s_wait_alu 0xfffe
	s_add_co_i32 s74, s12, s7
	s_add_co_i32 s26, s13, s8
	;; [unrolled: 1-line block ×4, first 2 shown]
	s_wait_alu 0xfffe
	v_dual_mov_b32 v7, s74 :: v_dual_mov_b32 v8, s26
	v_dual_mov_b32 v9, s25 :: v_dual_mov_b32 v10, s24
	s_or_b32 s22, vcc_lo, s22
	s_wait_alu 0xfffe
	s_and_not1_b32 exec_lo, exec_lo, s22
	s_cbranch_execnz .LBB115_68
; %bb.69:                               ;   in Loop: Header=BB115_29 Depth=1
	s_or_b32 exec_lo, exec_lo, s22
.LBB115_70:                             ;   in Loop: Header=BB115_29 Depth=1
	s_wait_alu 0xfffe
	s_or_b32 exec_lo, exec_lo, s21
	s_and_saveexec_b32 s11, s5
	s_cbranch_execz .LBB115_76
; %bb.71:                               ;   in Loop: Header=BB115_29 Depth=1
	global_load_b64 v[25:26], v[16:17], off
	v_mov_b32_e32 v3, v37
	v_mov_b32_e32 v1, v32
	s_mov_b32 s12, 0
	s_branch .LBB115_73
.LBB115_72:                             ;   in Loop: Header=BB115_73 Depth=2
	s_wait_alu 0xfffe
	s_or_b32 exec_lo, exec_lo, s8
	s_wait_loadcnt 0x0
	v_cmp_o_f64_e64 s7, v[25:26], v[25:26]
	v_ashrrev_i32_e32 v4, 31, v26
	s_and_b32 s9, exec_lo, vcc_lo
	v_add_nc_u32_e32 v3, s54, v3
	s_wait_alu 0xfffe
	s_or_b32 s12, s9, s12
	v_or_b32_e32 v12, 0x80000000, v4
	v_xor_b32_e32 v4, v4, v25
	s_delay_alu instid0(VALU_DEP_2) | instskip(NEXT) | instid1(VALU_DEP_1)
	v_xor_b32_e32 v12, v12, v26
	v_cndmask_b32_e64 v26, -1, v12, s7
	s_delay_alu instid0(VALU_DEP_3) | instskip(NEXT) | instid1(VALU_DEP_1)
	v_cndmask_b32_e64 v25, -1, v4, s7
	v_lshrrev_b64 v[42:43], s73, v[25:26]
	v_and_b32_e32 v26, v26, v22
	v_and_b32_e32 v25, v25, v21
	s_delay_alu instid0(VALU_DEP_3) | instskip(NEXT) | instid1(VALU_DEP_2)
	v_and_b32_e32 v12, 3, v42
	v_cmp_eq_u64_e64 s7, v[25:26], v[18:19]
	s_delay_alu instid0(VALU_DEP_2)
	v_cmp_eq_u64_e64 s8, 0, v[12:13]
	v_cmp_eq_u64_e32 vcc_lo, 1, v[12:13]
	v_cmp_eq_u64_e64 s9, 2, v[12:13]
	v_cmp_eq_u64_e64 s10, 3, v[12:13]
	s_and_b32 s8, s7, s8
	s_wait_alu 0xfffe
	v_cndmask_b32_e64 v4, 0, 1, s8
	s_and_b32 s8, s7, vcc_lo
	s_wait_alu 0xfffe
	v_cndmask_b32_e64 v12, 0, 1, s8
	s_and_b32 s8, s7, s9
	s_and_b32 s7, s7, s10
	s_wait_alu 0xfffe
	v_cndmask_b32_e64 v25, 0, 1, s8
	v_cndmask_b32_e64 v26, 0, 1, s7
	v_cmp_ne_u32_e32 vcc_lo, 0, v4
	v_cmp_ne_u32_e64 s7, 0, v12
	s_delay_alu instid0(VALU_DEP_4) | instskip(NEXT) | instid1(VALU_DEP_4)
	v_cmp_ne_u32_e64 s8, 0, v25
	v_cmp_ne_u32_e64 s9, 0, v26
	s_bcnt1_i32_b32 s10, vcc_lo
	s_bcnt1_i32_b32 s7, s7
	v_mov_b32_e32 v26, v24
	s_bcnt1_i32_b32 s8, s8
	s_bcnt1_i32_b32 s9, s9
	s_wait_alu 0xfffe
	v_add_nc_u32_e32 v7, s10, v7
	v_add_nc_u32_e32 v8, s7, v8
	;; [unrolled: 1-line block ×3, first 2 shown]
	v_dual_mov_b32 v25, v23 :: v_dual_add_nc_u32 v10, s9, v10
	s_and_not1_b32 exec_lo, exec_lo, s12
	s_cbranch_execz .LBB115_75
.LBB115_73:                             ;   Parent Loop BB115_29 Depth=1
                                        ; =>  This Inner Loop Header: Depth=2
	v_mov_b32_e32 v23, 0
	s_delay_alu instid0(VALU_DEP_2) | instskip(SKIP_1) | instid1(VALU_DEP_1)
	v_dual_mov_b32 v24, 0 :: v_dual_add_nc_u32 v1, s29, v1
	s_mov_b32 s8, exec_lo
	v_cmp_le_u32_e32 vcc_lo, s28, v1
	v_cmpx_gt_u32_e64 s28, v1
	s_cbranch_execz .LBB115_72
; %bb.74:                               ;   in Loop: Header=BB115_73 Depth=2
	v_mov_b32_e32 v4, v13
	s_delay_alu instid0(VALU_DEP_1) | instskip(NEXT) | instid1(VALU_DEP_1)
	v_lshlrev_b64_e32 v[23:24], 3, v[3:4]
	v_add_co_u32 v23, s7, s36, v23
	s_wait_alu 0xf1fe
	s_delay_alu instid0(VALU_DEP_2)
	v_add_co_ci_u32_e64 v24, null, s37, v24, s7
	global_load_b64 v[23:24], v[23:24], off
	s_branch .LBB115_72
.LBB115_75:                             ;   in Loop: Header=BB115_29 Depth=1
	s_or_b32 exec_lo, exec_lo, s12
.LBB115_76:                             ;   in Loop: Header=BB115_29 Depth=1
	s_wait_alu 0xfffe
	s_or_b32 exec_lo, exec_lo, s11
	s_branch .LBB115_58
.LBB115_77:                             ;   in Loop: Header=BB115_29 Depth=1
	s_mul_u64 s[8:9], s[42:43], s[44:45]
	v_dual_mov_b32 v7, 0 :: v_dual_mov_b32 v8, 0
	s_wait_alu 0xfffe
	s_mul_i32 s7, s9, s52
	v_dual_mov_b32 v9, 0 :: v_dual_mov_b32 v10, 0
	s_wait_alu 0xfffe
	s_sub_co_i32 s7, s42, s7
	s_mov_b32 s75, exec_lo
	s_wait_alu 0xfffe
	s_sub_co_i32 s8, s7, s52
	s_cmp_ge_u32 s7, s52
	s_wait_alu 0xfffe
	s_cselect_b32 s7, s8, s7
	s_wait_alu 0xfffe
	s_sub_co_i32 s8, s7, s52
	s_cmp_ge_u32 s7, s52
	s_wait_alu 0xfffe
	s_cselect_b32 s7, s8, s7
	s_wait_alu 0xfffe
	s_sub_co_i32 s74, s42, s7
	s_wait_alu 0xfffe
	v_cmpx_gt_u32_e64 s74, v28
	s_cbranch_execz .LBB115_81
; %bb.78:                               ;   in Loop: Header=BB115_29 Depth=1
	v_mov_b32_e32 v1, v38
	v_mov_b32_e32 v3, v28
	s_mov_b32 s76, 0
	s_mov_b32 s77, 0
	;; [unrolled: 1-line block ×5, first 2 shown]
.LBB115_79:                             ;   Parent Loop BB115_29 Depth=1
                                        ; =>  This Inner Loop Header: Depth=2
	ds_load_b128 v[7:10], v1
	ds_load_b128 v[23:26], v1 offset:16
	s_wait_dscnt 0x1
	v_cmp_o_f64_e64 s7, v[7:8], v[7:8]
	v_cmp_o_f64_e64 s8, v[9:10], v[9:10]
	s_wait_dscnt 0x0
	v_cmp_o_f64_e64 s9, v[23:24], v[23:24]
	v_cmp_o_f64_e64 s10, v[25:26], v[25:26]
	v_ashrrev_i32_e32 v4, 31, v8
	v_ashrrev_i32_e32 v12, 31, v10
	;; [unrolled: 1-line block ×4, first 2 shown]
	s_delay_alu instid0(VALU_DEP_4) | instskip(NEXT) | instid1(VALU_DEP_4)
	v_or_b32_e32 v46, 0x80000000, v4
	v_or_b32_e32 v48, 0x80000000, v12
	s_delay_alu instid0(VALU_DEP_4) | instskip(NEXT) | instid1(VALU_DEP_4)
	v_or_b32_e32 v49, 0x80000000, v42
	v_or_b32_e32 v50, 0x80000000, v44
	v_xor_b32_e32 v4, v4, v7
	v_xor_b32_e32 v46, v46, v8
	;; [unrolled: 1-line block ×8, first 2 shown]
	s_wait_alu 0xf1ff
	v_cndmask_b32_e64 v8, -1, v46, s7
	v_cndmask_b32_e64 v10, -1, v7, s8
	;; [unrolled: 1-line block ×7, first 2 shown]
	v_dual_mov_b32 v43, v13 :: v_dual_and_b32 v48, v7, v21
	v_and_b32_e32 v49, v8, v22
	v_lshrrev_b64 v[7:8], s73, v[7:8]
	v_cndmask_b32_e64 v25, -1, v44, s10
	v_and_b32_e32 v50, v9, v21
	v_lshrrev_b64 v[8:9], s73, v[9:10]
	v_and_b32_e32 v51, v10, v22
	v_lshrrev_b64 v[9:10], s73, v[23:24]
	v_dual_mov_b32 v45, v13 :: v_dual_and_b32 v52, v23, v21
	v_dual_mov_b32 v47, v13 :: v_dual_and_b32 v12, 3, v7
	v_and_b32_e32 v53, v24, v22
	v_lshrrev_b64 v[23:24], s73, v[25:26]
	v_and_b32_e32 v42, 3, v8
	v_and_b32_e32 v44, 3, v9
	v_cmp_eq_u64_e64 s7, v[48:49], v[18:19]
	v_cmp_eq_u64_e64 s11, 0, v[12:13]
	v_and_b32_e32 v55, v26, v22
	v_and_b32_e32 v54, v25, v21
	;; [unrolled: 1-line block ×3, first 2 shown]
	v_cmp_eq_u64_e64 s8, v[50:51], v[18:19]
	v_cmp_eq_u64_e64 s12, 0, v[42:43]
	;; [unrolled: 1-line block ×6, first 2 shown]
	s_and_b32 s11, s7, s11
	v_cmp_eq_u64_e64 s15, 1, v[12:13]
	s_wait_alu 0xfffe
	v_cndmask_b32_e64 v4, 0, 1, s11
	s_and_b32 s11, s8, s12
	v_cmp_eq_u64_e64 s16, 1, v[42:43]
	s_wait_alu 0xfffe
	v_cndmask_b32_e64 v7, 0, 1, s11
	;; [unrolled: 4-line block ×4, first 2 shown]
	s_and_b32 s11, s7, s15
	v_cmp_eq_u64_e64 s19, 2, v[12:13]
	v_cmp_eq_u64_e64 s23, 3, v[12:13]
	s_wait_alu 0xfffe
	v_cndmask_b32_e64 v10, 0, 1, s11
	s_and_b32 s11, s8, s16
	v_cmp_eq_u64_e64 s20, 2, v[42:43]
	v_cmp_eq_u64_e64 s24, 3, v[42:43]
	s_wait_alu 0xfffe
	v_cndmask_b32_e64 v12, 0, 1, s11
	;; [unrolled: 5-line block ×4, first 2 shown]
	s_and_b32 s11, s7, s19
	s_and_b32 s7, s7, s23
	s_wait_alu 0xfffe
	v_cndmask_b32_e64 v25, 0, 1, s11
	s_and_b32 s11, s8, s20
	v_cndmask_b32_e64 v44, 0, 1, s7
	s_and_b32 s7, s8, s24
	s_wait_alu 0xfffe
	v_cndmask_b32_e64 v26, 0, 1, s11
	s_and_b32 s11, s9, s21
	v_cndmask_b32_e64 v45, 0, 1, s7
	;; [unrolled: 5-line block ×3, first 2 shown]
	s_and_b32 s7, s10, s26
	s_wait_alu 0xfffe
	v_cndmask_b32_e64 v43, 0, 1, s11
	v_cndmask_b32_e64 v47, 0, 1, s7
	v_cmp_ne_u32_e64 s7, 0, v4
	v_cmp_ne_u32_e64 s11, 0, v10
	;; [unrolled: 1-line block ×7, first 2 shown]
	s_bcnt1_i32_b32 s7, s7
	s_bcnt1_i32_b32 s11, s11
	v_cmp_ne_u32_e64 s14, 0, v24
	v_cmp_ne_u32_e64 s16, 0, v26
	;; [unrolled: 1-line block ×3, first 2 shown]
	s_bcnt1_i32_b32 s8, s8
	s_bcnt1_i32_b32 s12, s12
	s_wait_alu 0xfffe
	s_add_co_i32 s7, s7, s80
	s_add_co_i32 s11, s11, s79
	v_cmp_ne_u32_e64 s9, 0, v8
	v_cmp_ne_u32_e64 s17, 0, v42
	;; [unrolled: 1-line block ×3, first 2 shown]
	s_bcnt1_i32_b32 s13, s13
	s_wait_alu 0xfffe
	s_add_co_i32 s7, s7, s8
	s_add_co_i32 s8, s11, s12
	s_bcnt1_i32_b32 s15, s15
	s_bcnt1_i32_b32 s19, s19
	v_cmp_ne_u32_e64 s10, 0, v9
	v_cmp_ne_u32_e64 s18, 0, v43
	;; [unrolled: 1-line block ×3, first 2 shown]
	s_bcnt1_i32_b32 s14, s14
	s_wait_alu 0xfffe
	s_add_co_i32 s8, s8, s13
	s_bcnt1_i32_b32 s16, s16
	s_bcnt1_i32_b32 s20, s20
	s_add_co_i32 s15, s15, s78
	s_add_co_i32 s19, s19, s77
	s_wait_alu 0xfffe
	s_add_co_i32 s79, s8, s14
	s_wait_alu 0xfffe
	v_dual_mov_b32 v8, s79 :: v_dual_add_nc_u32 v3, s52, v3
	s_bcnt1_i32_b32 s9, s9
	s_bcnt1_i32_b32 s17, s17
	;; [unrolled: 1-line block ×3, first 2 shown]
	s_add_co_i32 s11, s15, s16
	s_add_co_i32 s12, s19, s20
	s_bcnt1_i32_b32 s10, s10
	s_bcnt1_i32_b32 s18, s18
	;; [unrolled: 1-line block ×3, first 2 shown]
	s_wait_alu 0xfffe
	s_add_co_i32 s7, s7, s9
	s_add_co_i32 s9, s11, s17
	;; [unrolled: 1-line block ×3, first 2 shown]
	v_cmp_le_u32_e32 vcc_lo, s74, v3
	s_wait_alu 0xfffe
	s_add_co_i32 s80, s7, s10
	s_add_co_i32 s78, s9, s18
	;; [unrolled: 1-line block ×3, first 2 shown]
	s_wait_alu 0xfffe
	v_dual_mov_b32 v10, s77 :: v_dual_add_nc_u32 v1, s64, v1
	v_mov_b32_e32 v7, s80
	v_mov_b32_e32 v9, s78
	s_or_b32 s76, vcc_lo, s76
	s_wait_alu 0xfffe
	s_and_not1_b32 exec_lo, exec_lo, s76
	s_cbranch_execnz .LBB115_79
; %bb.80:                               ;   in Loop: Header=BB115_29 Depth=1
	s_or_b32 exec_lo, exec_lo, s76
.LBB115_81:                             ;   in Loop: Header=BB115_29 Depth=1
	s_delay_alu instid0(SALU_CYCLE_1) | instskip(SKIP_2) | instid1(VALU_DEP_1)
	s_or_b32 exec_lo, exec_lo, s75
	v_add_nc_u32_e32 v1, s74, v0
	s_mov_b32 s12, exec_lo
	v_cmpx_gt_u32_e64 s42, v1
	s_cbranch_execz .LBB115_85
; %bb.82:                               ;   in Loop: Header=BB115_29 Depth=1
	v_lshlrev_b32_e32 v3, 3, v1
	s_mov_b32 s13, 0
.LBB115_83:                             ;   Parent Loop BB115_29 Depth=1
                                        ; =>  This Inner Loop Header: Depth=2
	ds_load_b64 v[23:24], v3
	v_add_nc_u32_e32 v3, s65, v3
	s_wait_dscnt 0x0
	v_cmp_o_f64_e32 vcc_lo, v[23:24], v[23:24]
	v_ashrrev_i32_e32 v4, 31, v24
	s_delay_alu instid0(VALU_DEP_1) | instskip(SKIP_1) | instid1(VALU_DEP_2)
	v_or_b32_e32 v12, 0x80000000, v4
	v_xor_b32_e32 v4, v4, v23
	v_xor_b32_e32 v12, v12, v24
	s_wait_alu 0xfffd
	s_delay_alu instid0(VALU_DEP_1) | instskip(NEXT) | instid1(VALU_DEP_1)
	v_dual_cndmask_b32 v24, -1, v12 :: v_dual_add_nc_u32 v1, s29, v1
	v_cmp_le_u32_e64 s7, s42, v1
	s_delay_alu instid0(VALU_DEP_2) | instskip(NEXT) | instid1(VALU_DEP_1)
	v_dual_cndmask_b32 v23, -1, v4 :: v_dual_and_b32 v26, v24, v22
	v_and_b32_e32 v25, v23, v21
	v_lshrrev_b64 v[23:24], s73, v[23:24]
	s_delay_alu instid0(VALU_DEP_2) | instskip(NEXT) | instid1(VALU_DEP_2)
	v_cmp_eq_u64_e32 vcc_lo, v[25:26], v[18:19]
	v_and_b32_e32 v12, 3, v23
	s_delay_alu instid0(VALU_DEP_1)
	v_cmp_eq_u64_e64 s8, 0, v[12:13]
	v_cmp_eq_u64_e64 s9, 1, v[12:13]
	;; [unrolled: 1-line block ×4, first 2 shown]
	s_and_b32 s8, vcc_lo, s8
	s_wait_alu 0xfffe
	v_cndmask_b32_e64 v4, 0, 1, s8
	s_and_b32 s8, vcc_lo, s9
	s_wait_alu 0xfffe
	v_cndmask_b32_e64 v12, 0, 1, s8
	;; [unrolled: 3-line block ×3, first 2 shown]
	s_and_b32 s8, vcc_lo, s11
	v_cmp_ne_u32_e32 vcc_lo, 0, v4
	s_wait_alu 0xfffe
	v_cndmask_b32_e64 v24, 0, 1, s8
	v_cmp_ne_u32_e64 s8, 0, v12
	v_cmp_ne_u32_e64 s9, 0, v23
	s_bcnt1_i32_b32 s11, vcc_lo
	v_cmp_ne_u32_e64 s10, 0, v24
	s_bcnt1_i32_b32 s8, s8
	s_bcnt1_i32_b32 s9, s9
	s_wait_alu 0xfffe
	v_add_nc_u32_e32 v7, s11, v7
	v_add_nc_u32_e32 v8, s8, v8
	s_bcnt1_i32_b32 s10, s10
	v_add_nc_u32_e32 v9, s9, v9
	s_wait_alu 0xfffe
	v_add_nc_u32_e32 v10, s10, v10
	s_or_b32 s13, s7, s13
	s_wait_alu 0xfffe
	s_and_not1_b32 exec_lo, exec_lo, s13
	s_cbranch_execnz .LBB115_83
; %bb.84:                               ;   in Loop: Header=BB115_29 Depth=1
	s_or_b32 exec_lo, exec_lo, s13
.LBB115_85:                             ;   in Loop: Header=BB115_29 Depth=1
	s_wait_alu 0xfffe
	s_or_b32 exec_lo, exec_lo, s12
	v_lshlrev_b32_e32 v1, 7, v40
	s_and_saveexec_b32 s7, s3
	s_cbranch_execnz .LBB115_59
	s_branch .LBB115_60
.LBB115_86:                             ;   in Loop: Header=BB115_29 Depth=1
	v_mov_b32_e32 v3, 0
	s_mov_b32 s8, 0
	s_and_not1_b32 vcc_lo, exec_lo, s60
	s_wait_alu 0xfffe
	s_cbranch_vccnz .LBB115_89
.LBB115_87:                             ;   in Loop: Header=BB115_29 Depth=1
	v_lshlrev_b32_e32 v4, 9, v40
	s_lshl_b32 s8, s8, 4
	s_wait_alu 0xfffe
	s_delay_alu instid0(VALU_DEP_1)
	v_add3_u32 v4, v4, s8, v39
	s_mov_b32 s8, s57
.LBB115_88:                             ;   Parent Loop BB115_29 Depth=1
                                        ; =>  This Inner Loop Header: Depth=2
	ds_load_b32 v7, v4
	v_add_nc_u32_e32 v4, 16, v4
	s_wait_alu 0xfffe
	s_add_co_i32 s8, s8, -1
	s_wait_alu 0xfffe
	s_cmp_lg_u32 s8, 0
	s_wait_dscnt 0x0
	v_add_nc_u32_e32 v3, v7, v3
	s_cbranch_scc1 .LBB115_88
.LBB115_89:                             ;   in Loop: Header=BB115_29 Depth=1
	v_add_lshl_u32 v4, v1, v27, 2
	ds_store_b32 v4, v3 offset:3072
.LBB115_90:                             ;   in Loop: Header=BB115_29 Depth=1
	s_wait_alu 0xfffe
	s_or_b32 exec_lo, exec_lo, s7
	v_lshlrev_b32_e32 v1, 2, v1
	s_wait_loadcnt_dscnt 0x0
	s_barrier_signal -1
	s_barrier_wait -1
	global_inv scope:SCOPE_SE
	ds_load_b128 v[7:10], v1 offset:3072
	s_lshl_b64 s[8:9], 3, s73
	v_cmp_eq_u32_e32 vcc_lo, 1, v41
	s_wait_alu 0xfffe
	s_not_b64 s[10:11], s[8:9]
	s_mov_b32 s14, -1
	s_mov_b32 s21, -1
                                        ; implicit-def: $sgpr18
                                        ; implicit-def: $sgpr16
	s_wait_dscnt 0x0
	v_readfirstlane_b32 s13, v7
	v_readfirstlane_b32 s19, v8
	;; [unrolled: 1-line block ×4, first 2 shown]
	s_cmp_eq_u32 s13, 1
	s_cselect_b32 s12, -1, 0
	s_wait_alu 0xfffe
	s_and_b32 s15, s12, vcc_lo
	s_wait_alu 0xfffe
	s_and_saveexec_b32 s12, s15
	s_cbranch_execz .LBB115_118
; %bb.91:                               ;   in Loop: Header=BB115_29 Depth=1
	ds_load_b32 v1, v13 offset:4104
	s_wait_loadcnt_dscnt 0x0
	s_barrier_signal -1
	s_barrier_wait -1
	global_inv scope:SCOPE_SE
	v_readfirstlane_b32 s21, v1
	s_and_saveexec_b32 s16, s1
; %bb.92:                               ;   in Loop: Header=BB115_29 Depth=1
	v_mov_b32_e32 v12, v13
	ds_store_b64 v30, v[12:13]
; %bb.93:                               ;   in Loop: Header=BB115_29 Depth=1
	s_wait_alu 0xfffe
	s_or_b32 exec_lo, exec_lo, s16
	v_and_b32_e32 v19, s11, v19
	v_and_b32_e32 v18, s10, v18
	v_or_b32_e32 v22, s9, v22
	v_or_b32_e32 v21, s8, v21
	s_mov_b32 s16, -1
	s_mov_b32 s18, 0
	s_cmp_eq_u32 s21, 0
	s_mov_b32 s20, 0
	s_mov_b32 s22, -1
	s_wait_loadcnt_dscnt 0x0
	s_barrier_signal -1
	s_barrier_wait -1
	global_inv scope:SCOPE_SE
                                        ; implicit-def: $vgpr5_vgpr6
	s_cbranch_scc1 .LBB115_105
; %bb.94:                               ;   in Loop: Header=BB115_29 Depth=1
	s_add_co_i32 s42, s21, s53
                                        ; implicit-def: $vgpr5_vgpr6
	s_wait_alu 0xfffe
	s_mul_u64 s[22:23], s[42:43], s[46:47]
	s_wait_alu 0xfffe
	s_mul_i32 s20, s23, s29
	s_mov_b32 s23, exec_lo
	s_wait_alu 0xfffe
	s_sub_co_i32 s20, s42, s20
	s_wait_alu 0xfffe
	s_sub_co_i32 s22, s20, s29
	s_cmp_ge_u32 s20, s29
	s_wait_alu 0xfffe
	s_cselect_b32 s20, s22, s20
	s_wait_alu 0xfffe
	s_sub_co_i32 s22, s20, s29
	s_cmp_ge_u32 s20, s29
	s_wait_alu 0xfffe
	s_cselect_b32 s20, s22, s20
	s_mov_b32 s22, 0
	s_wait_alu 0xfffe
	s_sub_co_i32 s24, s42, s20
	s_mov_b32 s20, 0
	s_wait_alu 0xfffe
	v_cmpx_gt_u32_e64 s24, v0
	s_cbranch_execz .LBB115_104
; %bb.95:                               ;   in Loop: Header=BB115_29 Depth=1
	v_dual_mov_b32 v7, v29 :: v_dual_mov_b32 v8, v0
                                        ; implicit-def: $sgpr25
	s_branch .LBB115_99
.LBB115_96:                             ;   in Loop: Header=BB115_99 Depth=2
	s_wait_alu 0xfffe
	s_or_b32 exec_lo, exec_lo, s26
	s_wait_loadcnt_dscnt 0x0
	s_barrier_signal -1
	s_barrier_wait -1
	global_inv scope:SCOPE_SE
	ds_load_b128 v[3:6], v13 offset:3072
	s_wait_loadcnt_dscnt 0x0
	s_barrier_signal -1
	s_barrier_wait -1
	global_inv scope:SCOPE_SE
	v_cmp_neq_f64_e32 vcc_lo, 0, v[3:4]
	s_cbranch_vccnz .LBB115_102
; %bb.97:                               ;   in Loop: Header=BB115_99 Depth=2
	v_add_nc_u32_e32 v8, s29, v8
	v_add_nc_u32_e32 v7, s65, v7
	s_mov_b32 s26, 0
	s_delay_alu instid0(VALU_DEP_2)
	v_cmp_le_u32_e32 vcc_lo, s24, v8
	s_or_not1_b32 s42, vcc_lo, exec_lo
.LBB115_98:                             ;   in Loop: Header=BB115_99 Depth=2
	s_wait_alu 0xfffe
	s_and_b32 s42, exec_lo, s42
	s_wait_alu 0xfffe
	s_or_b32 s20, s42, s20
	s_and_not1_b32 s25, s25, exec_lo
	s_and_b32 s26, s26, exec_lo
	s_wait_alu 0xfffe
	s_or_b32 s25, s25, s26
	s_and_not1_b32 exec_lo, exec_lo, s20
	s_cbranch_execz .LBB115_103
.LBB115_99:                             ;   Parent Loop BB115_29 Depth=1
                                        ; =>  This Inner Loop Header: Depth=2
	s_mov_b32 s26, exec_lo
	s_delay_alu instid0(VALU_DEP_1)
	v_cmpx_gt_u32_e64 s21, v8
	s_cbranch_execz .LBB115_96
; %bb.100:                              ;   in Loop: Header=BB115_99 Depth=2
	ds_load_b64 v[3:4], v7
	s_wait_dscnt 0x0
	v_cmp_o_f64_e32 vcc_lo, v[3:4], v[3:4]
	v_ashrrev_i32_e32 v1, 31, v4
	s_delay_alu instid0(VALU_DEP_1) | instskip(SKIP_1) | instid1(VALU_DEP_2)
	v_or_b32_e32 v5, 0x80000000, v1
	v_xor_b32_e32 v1, v1, v3
	v_xor_b32_e32 v5, v5, v4
	s_wait_alu 0xfffd
	s_delay_alu instid0(VALU_DEP_1) | instskip(NEXT) | instid1(VALU_DEP_1)
	v_cndmask_b32_e32 v5, -1, v5, vcc_lo
	v_dual_cndmask_b32 v1, -1, v1 :: v_dual_and_b32 v6, v5, v22
	s_delay_alu instid0(VALU_DEP_1) | instskip(NEXT) | instid1(VALU_DEP_1)
	v_and_b32_e32 v5, v1, v21
	v_cmp_eq_u64_e32 vcc_lo, v[5:6], v[18:19]
	s_and_b32 exec_lo, exec_lo, vcc_lo
	s_cbranch_execz .LBB115_96
; %bb.101:                              ;   in Loop: Header=BB115_99 Depth=2
	v_mov_b32_e32 v1, v13
	ds_store_b128 v13, v[1:4] offset:3072
	s_branch .LBB115_96
.LBB115_102:                            ;   in Loop: Header=BB115_99 Depth=2
	s_mov_b32 s42, -1
	s_mov_b32 s26, -1
                                        ; implicit-def: $vgpr8
                                        ; implicit-def: $vgpr7
	s_branch .LBB115_98
.LBB115_103:                            ;   in Loop: Header=BB115_29 Depth=1
	s_or_b32 exec_lo, exec_lo, s20
	s_wait_alu 0xfffe
	s_and_b32 s20, s25, exec_lo
.LBB115_104:                            ;   in Loop: Header=BB115_29 Depth=1
	s_or_b32 exec_lo, exec_lo, s23
.LBB115_105:                            ;   in Loop: Header=BB115_29 Depth=1
	s_wait_alu 0xfffe
	s_and_b32 vcc_lo, exec_lo, s22
	s_wait_alu 0xfffe
	s_cbranch_vccz .LBB115_117
; %bb.106:                              ;   in Loop: Header=BB115_29 Depth=1
                                        ; implicit-def: $vgpr5_vgpr6
	s_and_saveexec_b32 s16, s6
	s_cbranch_execz .LBB115_116
; %bb.107:                              ;   in Loop: Header=BB115_29 Depth=1
	v_dual_mov_b32 v12, v11 :: v_dual_mov_b32 v7, v0
	s_mov_b32 s21, 0
                                        ; implicit-def: $sgpr18
	s_branch .LBB115_111
.LBB115_108:                            ;   in Loop: Header=BB115_111 Depth=2
	s_wait_alu 0xfffe
	s_or_b32 exec_lo, exec_lo, s22
	s_wait_loadcnt_dscnt 0x0
	s_barrier_signal -1
	s_barrier_wait -1
	global_inv scope:SCOPE_SE
	ds_load_b128 v[3:6], v13 offset:3072
	s_wait_loadcnt_dscnt 0x0
	s_barrier_signal -1
	s_barrier_wait -1
	global_inv scope:SCOPE_SE
	v_cmp_neq_f64_e32 vcc_lo, 0, v[3:4]
	s_cbranch_vccnz .LBB115_114
; %bb.109:                              ;   in Loop: Header=BB115_111 Depth=2
	v_add_nc_u32_e32 v7, s29, v7
	v_add_nc_u32_e32 v12, s54, v12
	s_mov_b32 s22, 0
	s_delay_alu instid0(VALU_DEP_2)
	v_cmp_le_u32_e32 vcc_lo, s62, v7
	s_or_not1_b32 s23, vcc_lo, exec_lo
.LBB115_110:                            ;   in Loop: Header=BB115_111 Depth=2
	s_wait_alu 0xfffe
	s_and_b32 s23, exec_lo, s23
	s_wait_alu 0xfffe
	s_or_b32 s21, s23, s21
	s_and_not1_b32 s18, s18, exec_lo
	s_and_b32 s22, s22, exec_lo
	s_wait_alu 0xfffe
	s_or_b32 s18, s18, s22
	s_and_not1_b32 exec_lo, exec_lo, s21
	s_cbranch_execz .LBB115_115
.LBB115_111:                            ;   Parent Loop BB115_29 Depth=1
                                        ; =>  This Inner Loop Header: Depth=2
	s_mov_b32 s22, exec_lo
	s_delay_alu instid0(VALU_DEP_1)
	v_cmpx_gt_u32_e64 s28, v7
	s_cbranch_execz .LBB115_108
; %bb.112:                              ;   in Loop: Header=BB115_111 Depth=2
	v_lshlrev_b64_e32 v[3:4], 3, v[12:13]
	s_delay_alu instid0(VALU_DEP_1) | instskip(SKIP_1) | instid1(VALU_DEP_2)
	v_add_co_u32 v3, vcc_lo, s36, v3
	s_wait_alu 0xfffd
	v_add_co_ci_u32_e64 v4, null, s37, v4, vcc_lo
	global_load_b64 v[3:4], v[3:4], off
	s_wait_loadcnt 0x0
	v_cmp_o_f64_e32 vcc_lo, v[3:4], v[3:4]
	v_ashrrev_i32_e32 v1, 31, v4
	s_delay_alu instid0(VALU_DEP_1) | instskip(SKIP_1) | instid1(VALU_DEP_2)
	v_or_b32_e32 v5, 0x80000000, v1
	v_xor_b32_e32 v1, v1, v3
	v_xor_b32_e32 v5, v5, v4
	s_wait_alu 0xfffd
	s_delay_alu instid0(VALU_DEP_1) | instskip(NEXT) | instid1(VALU_DEP_1)
	v_cndmask_b32_e32 v5, -1, v5, vcc_lo
	v_dual_cndmask_b32 v1, -1, v1 :: v_dual_and_b32 v6, v5, v22
	s_delay_alu instid0(VALU_DEP_1) | instskip(NEXT) | instid1(VALU_DEP_1)
	v_and_b32_e32 v5, v1, v21
	v_cmp_eq_u64_e32 vcc_lo, v[5:6], v[18:19]
	s_and_b32 exec_lo, exec_lo, vcc_lo
	s_cbranch_execz .LBB115_108
; %bb.113:                              ;   in Loop: Header=BB115_111 Depth=2
	v_mov_b32_e32 v1, v13
	ds_store_b128 v13, v[1:4] offset:3072
	s_branch .LBB115_108
.LBB115_114:                            ;   in Loop: Header=BB115_111 Depth=2
	s_mov_b32 s23, -1
	s_mov_b32 s22, -1
                                        ; implicit-def: $vgpr7
	s_branch .LBB115_110
.LBB115_115:                            ;   in Loop: Header=BB115_29 Depth=1
	s_or_b32 exec_lo, exec_lo, s21
	s_delay_alu instid0(SALU_CYCLE_1)
	s_and_not1_b32 s20, s20, exec_lo
	s_wait_alu 0xfffe
	s_and_b32 s18, s18, exec_lo
	s_wait_alu 0xfffe
	s_or_b32 s20, s20, s18
.LBB115_116:                            ;   in Loop: Header=BB115_29 Depth=1
	s_wait_alu 0xfffe
	s_or_b32 exec_lo, exec_lo, s16
	s_mov_b32 s16, 0
	s_mov_b32 s18, -1
.LBB115_117:                            ;   in Loop: Header=BB115_29 Depth=1
	s_or_not1_b32 s21, s20, exec_lo
.LBB115_118:                            ;   in Loop: Header=BB115_29 Depth=1
	s_wait_alu 0xfffe
	s_or_b32 exec_lo, exec_lo, s12
	v_readfirstlane_b32 s20, v0
	s_and_not1_b32 s12, s71, exec_lo
	s_and_b32 s18, s18, exec_lo
	s_and_not1_b32 s22, s69, exec_lo
	s_and_b32 s16, s16, exec_lo
	s_and_not1_b32 s68, s68, exec_lo
	s_wait_alu 0xfffe
	s_or_b32 s71, s12, s18
	s_or_b32 s69, s22, s16
                                        ; implicit-def: $vgpr8
	s_and_saveexec_b32 s12, s21
	s_cbranch_execz .LBB115_28
; %bb.119:                              ;   in Loop: Header=BB115_29 Depth=1
	v_dual_mov_b32 v8, 1 :: v_dual_mov_b32 v7, 1
	s_xor_b32 s15, s15, -1
	s_mov_b32 s20, 0
	s_wait_alu 0xfffe
	s_and_saveexec_b32 s14, s15
	s_cbranch_execz .LBB115_128
; %bb.120:                              ;   in Loop: Header=BB115_29 Depth=1
	s_mov_b32 s15, exec_lo
	v_cmpx_ge_u32_e64 s13, v41
	s_wait_alu 0xfffe
	s_xor_b32 s15, exec_lo, s15
	s_cbranch_execz .LBB115_125
; %bb.121:                              ;   in Loop: Header=BB115_29 Depth=1
	ds_load_b32 v1, v13 offset:4104
	v_and_b32_e32 v19, s11, v19
	v_and_b32_e32 v18, s10, v18
	v_or_b32_e32 v22, s9, v22
	v_or_b32_e32 v21, s8, v21
	s_wait_dscnt 0x0
	v_cmp_ne_u32_e32 vcc_lo, 0, v1
	s_cbranch_vccnz .LBB115_125
; %bb.122:                              ;   in Loop: Header=BB115_29 Depth=1
	s_and_saveexec_b32 s16, s0
; %bb.123:                              ;   in Loop: Header=BB115_29 Depth=1
	v_mov_b32_e32 v1, s13
	ds_store_b32 v13, v1 offset:4108
; %bb.124:                              ;   in Loop: Header=BB115_29 Depth=1
	s_wait_alu 0xfffe
	s_or_b32 exec_lo, exec_lo, s16
	s_wait_loadcnt_dscnt 0x0
	s_barrier_signal -1
	s_barrier_wait -1
	global_inv scope:SCOPE_SE
.LBB115_125:                            ;   in Loop: Header=BB115_29 Depth=1
	s_wait_alu 0xfffe
	s_or_saveexec_b32 s15, s15
	v_mov_b32_e32 v7, 8
	s_mov_b32 s16, 0
	s_wait_alu 0xfffe
	s_xor_b32 exec_lo, exec_lo, s15
; %bb.126:                              ;   in Loop: Header=BB115_29 Depth=1
	v_subrev_nc_u32_e32 v41, s13, v41
	v_mov_b32_e32 v7, 0
	s_mov_b32 s16, exec_lo
; %bb.127:                              ;   in Loop: Header=BB115_29 Depth=1
	s_or_b32 exec_lo, exec_lo, s15
	s_delay_alu instid0(VALU_DEP_2)
	v_mov_b32_e32 v8, v41
	s_wait_alu 0xfffe
	s_and_b32 s20, s16, exec_lo
.LBB115_128:                            ;   in Loop: Header=BB115_29 Depth=1
	s_wait_alu 0xfffe
	s_or_b32 exec_lo, exec_lo, s14
	s_mov_b32 s13, -1
	s_mov_b32 s18, -1
                                        ; implicit-def: $sgpr15
                                        ; implicit-def: $sgpr16
	s_and_saveexec_b32 s14, s20
	s_wait_alu 0xfffe
	s_xor_b32 s14, exec_lo, s14
	s_cbranch_execz .LBB115_254
; %bb.129:                              ;   in Loop: Header=BB115_29 Depth=1
	v_cmp_eq_u32_e32 vcc_lo, 1, v8
	s_cmp_eq_u32 s19, 1
	s_mov_b32 s21, -1
	s_cselect_b32 s15, -1, 0
                                        ; implicit-def: $sgpr16
	s_wait_alu 0xfffe
	s_and_b32 s20, s15, vcc_lo
                                        ; implicit-def: $sgpr15
	s_wait_alu 0xfffe
	s_and_saveexec_b32 s18, s20
	s_cbranch_execz .LBB115_160
; %bb.130:                              ;   in Loop: Header=BB115_29 Depth=1
	ds_load_b32 v1, v13 offset:4104
	s_wait_loadcnt_dscnt 0x0
	s_barrier_signal -1
	s_barrier_wait -1
	global_inv scope:SCOPE_SE
	v_readfirstlane_b32 s22, v1
	s_and_saveexec_b32 s15, s1
; %bb.131:                              ;   in Loop: Header=BB115_29 Depth=1
	v_mov_b32_e32 v12, v13
	ds_store_b64 v30, v[12:13]
; %bb.132:                              ;   in Loop: Header=BB115_29 Depth=1
	s_wait_alu 0xfffe
	s_or_b32 exec_lo, exec_lo, s15
	v_and_b32_e32 v1, s11, v19
	v_and_b32_e32 v3, s10, v18
	s_lshl_b64 s[24:25], 1, s73
	v_or_b32_e32 v22, s9, v22
	v_or_b32_e32 v21, s8, v21
	s_wait_alu 0xfffe
	v_or_b32_e32 v19, s25, v1
	v_or_b32_e32 v18, s24, v3
	s_mov_b32 s15, -1
	s_mov_b32 s16, 0
	s_cmp_eq_u32 s22, 0
	s_mov_b32 s21, 0
	s_mov_b32 s23, -1
	s_wait_loadcnt_dscnt 0x0
	s_barrier_signal -1
	s_barrier_wait -1
	global_inv scope:SCOPE_SE
                                        ; implicit-def: $vgpr5_vgpr6
	s_cbranch_scc1 .LBB115_147
; %bb.133:                              ;   in Loop: Header=BB115_29 Depth=1
	s_add_co_i32 s42, s22, s53
                                        ; implicit-def: $vgpr5_vgpr6
	s_wait_alu 0xfffe
	s_mul_u64 s[24:25], s[42:43], s[46:47]
	s_mov_b32 s24, exec_lo
	s_wait_alu 0xfffe
	s_mul_i32 s21, s25, s29
	s_wait_alu 0xfffe
	s_sub_co_i32 s21, s42, s21
	s_wait_alu 0xfffe
	s_sub_co_i32 s23, s21, s29
	s_cmp_ge_u32 s21, s29
	s_wait_alu 0xfffe
	s_cselect_b32 s21, s23, s21
	s_wait_alu 0xfffe
	s_sub_co_i32 s23, s21, s29
	s_cmp_ge_u32 s21, s29
	s_wait_alu 0xfffe
	s_cselect_b32 s21, s23, s21
	s_mov_b32 s23, 0
	s_wait_alu 0xfffe
	s_sub_co_i32 s25, s42, s21
	s_mov_b32 s21, 0
	s_wait_alu 0xfffe
	v_cmpx_gt_u32_e64 s25, v0
	s_cbranch_execz .LBB115_146
; %bb.134:                              ;   in Loop: Header=BB115_29 Depth=1
	v_dual_mov_b32 v9, v29 :: v_dual_mov_b32 v10, v0
                                        ; implicit-def: $sgpr26
	s_branch .LBB115_138
.LBB115_135:                            ;   in Loop: Header=BB115_138 Depth=2
	s_wait_alu 0xfffe
	s_or_b32 exec_lo, exec_lo, s42
	s_wait_loadcnt_dscnt 0x0
	s_barrier_signal -1
	s_barrier_wait -1
	global_inv scope:SCOPE_SE
	ds_load_b128 v[3:6], v13 offset:3072
	s_wait_loadcnt_dscnt 0x0
	s_barrier_signal -1
	s_barrier_wait -1
	global_inv scope:SCOPE_SE
	v_cmp_neq_f64_e32 vcc_lo, 0, v[3:4]
	s_cbranch_vccnz .LBB115_141
; %bb.136:                              ;   in Loop: Header=BB115_138 Depth=2
	v_add_nc_u32_e32 v10, s29, v10
	v_add_nc_u32_e32 v9, s65, v9
	s_mov_b32 s42, 0
	s_delay_alu instid0(VALU_DEP_2)
	v_cmp_le_u32_e32 vcc_lo, s25, v10
	s_or_not1_b32 s74, vcc_lo, exec_lo
.LBB115_137:                            ;   in Loop: Header=BB115_138 Depth=2
	s_wait_alu 0xfffe
	s_and_b32 s74, exec_lo, s74
	s_wait_alu 0xfffe
	s_or_b32 s21, s74, s21
	s_and_not1_b32 s26, s26, exec_lo
	s_and_b32 s42, s42, exec_lo
	s_wait_alu 0xfffe
	s_or_b32 s26, s26, s42
	s_and_not1_b32 exec_lo, exec_lo, s21
	s_cbranch_execz .LBB115_145
.LBB115_138:                            ;   Parent Loop BB115_29 Depth=1
                                        ; =>  This Inner Loop Header: Depth=2
	s_mov_b32 s42, exec_lo
	s_delay_alu instid0(VALU_DEP_1)
	v_cmpx_gt_u32_e64 s22, v10
	s_cbranch_execz .LBB115_135
; %bb.139:                              ;   in Loop: Header=BB115_138 Depth=2
	ds_load_b64 v[3:4], v9
	s_wait_dscnt 0x0
	v_cmp_o_f64_e32 vcc_lo, v[3:4], v[3:4]
	v_ashrrev_i32_e32 v1, 31, v4
	s_delay_alu instid0(VALU_DEP_1) | instskip(SKIP_1) | instid1(VALU_DEP_2)
	v_or_b32_e32 v5, 0x80000000, v1
	v_xor_b32_e32 v1, v1, v3
	v_xor_b32_e32 v5, v5, v4
	s_wait_alu 0xfffd
	s_delay_alu instid0(VALU_DEP_1) | instskip(NEXT) | instid1(VALU_DEP_1)
	v_cndmask_b32_e32 v5, -1, v5, vcc_lo
	v_dual_cndmask_b32 v1, -1, v1 :: v_dual_and_b32 v6, v5, v22
	s_delay_alu instid0(VALU_DEP_1) | instskip(NEXT) | instid1(VALU_DEP_1)
	v_and_b32_e32 v5, v1, v21
	v_cmp_eq_u64_e32 vcc_lo, v[5:6], v[18:19]
	s_and_b32 exec_lo, exec_lo, vcc_lo
	s_cbranch_execz .LBB115_135
; %bb.140:                              ;   in Loop: Header=BB115_138 Depth=2
	v_mov_b32_e32 v1, v13
	ds_store_b128 v13, v[1:4] offset:3072
	s_branch .LBB115_135
.LBB115_141:                            ;   in Loop: Header=BB115_138 Depth=2
	s_mov_b32 s74, -1
	s_mov_b32 s42, -1
                                        ; implicit-def: $vgpr10
                                        ; implicit-def: $vgpr9
	s_branch .LBB115_137
.LBB115_142:                            ;   in Loop: Header=BB115_29 Depth=1
	s_wait_alu 0xfffe
	s_or_b32 exec_lo, exec_lo, s10
	s_wait_loadcnt_dscnt 0x0
	s_barrier_signal -1
	s_barrier_wait -1
	global_inv scope:SCOPE_SE
	s_and_saveexec_b32 s7, s0
	s_cbranch_execz .LBB115_144
; %bb.143:                              ;   in Loop: Header=BB115_29 Depth=1
	ds_load_b32 v1, v13 offset:4112
	s_wait_dscnt 0x0
	ds_store_b32 v13, v1 offset:4104
.LBB115_144:                            ;   in Loop: Header=BB115_29 Depth=1
	s_wait_alu 0xfffe
	s_or_b32 exec_lo, exec_lo, s7
	s_wait_loadcnt_dscnt 0x0
	s_barrier_signal -1
	s_mov_b32 s7, -1
	s_barrier_wait -1
	s_and_b32 vcc_lo, exec_lo, s9
	s_wait_alu 0xfffe
	s_cbranch_vccnz .LBB115_45
	s_branch .LBB115_54
.LBB115_145:                            ;   in Loop: Header=BB115_29 Depth=1
	s_or_b32 exec_lo, exec_lo, s21
	s_wait_alu 0xfffe
	s_and_b32 s21, s26, exec_lo
.LBB115_146:                            ;   in Loop: Header=BB115_29 Depth=1
	s_or_b32 exec_lo, exec_lo, s24
.LBB115_147:                            ;   in Loop: Header=BB115_29 Depth=1
	s_wait_alu 0xfffe
	s_and_b32 vcc_lo, exec_lo, s23
	s_wait_alu 0xfffe
	s_cbranch_vccz .LBB115_159
; %bb.148:                              ;   in Loop: Header=BB115_29 Depth=1
                                        ; implicit-def: $vgpr5_vgpr6
	s_and_saveexec_b32 s15, s6
	s_cbranch_execz .LBB115_158
; %bb.149:                              ;   in Loop: Header=BB115_29 Depth=1
	v_dual_mov_b32 v12, v11 :: v_dual_mov_b32 v9, v0
	s_mov_b32 s16, 0
                                        ; implicit-def: $sgpr22
	s_branch .LBB115_153
.LBB115_150:                            ;   in Loop: Header=BB115_153 Depth=2
	s_wait_alu 0xfffe
	s_or_b32 exec_lo, exec_lo, s23
	s_wait_loadcnt_dscnt 0x0
	s_barrier_signal -1
	s_barrier_wait -1
	global_inv scope:SCOPE_SE
	ds_load_b128 v[3:6], v13 offset:3072
	s_wait_loadcnt_dscnt 0x0
	s_barrier_signal -1
	s_barrier_wait -1
	global_inv scope:SCOPE_SE
	v_cmp_eq_f64_e32 vcc_lo, 0, v[3:4]
	s_cbranch_vccz .LBB115_156
; %bb.151:                              ;   in Loop: Header=BB115_153 Depth=2
	v_add_nc_u32_e32 v9, s29, v9
	v_add_nc_u32_e32 v12, s54, v12
	s_mov_b32 s23, 0
	s_delay_alu instid0(VALU_DEP_2)
	v_cmp_le_u32_e32 vcc_lo, s62, v9
	s_or_not1_b32 s24, vcc_lo, exec_lo
.LBB115_152:                            ;   in Loop: Header=BB115_153 Depth=2
	s_wait_alu 0xfffe
	s_and_b32 s24, exec_lo, s24
	s_wait_alu 0xfffe
	s_or_b32 s16, s24, s16
	s_and_not1_b32 s22, s22, exec_lo
	s_and_b32 s23, s23, exec_lo
	s_wait_alu 0xfffe
	s_or_b32 s22, s22, s23
	s_and_not1_b32 exec_lo, exec_lo, s16
	s_cbranch_execz .LBB115_157
.LBB115_153:                            ;   Parent Loop BB115_29 Depth=1
                                        ; =>  This Inner Loop Header: Depth=2
	s_mov_b32 s23, exec_lo
	s_delay_alu instid0(VALU_DEP_1)
	v_cmpx_gt_u32_e64 s28, v9
	s_cbranch_execz .LBB115_150
; %bb.154:                              ;   in Loop: Header=BB115_153 Depth=2
	v_lshlrev_b64_e32 v[3:4], 3, v[12:13]
	s_delay_alu instid0(VALU_DEP_1) | instskip(SKIP_1) | instid1(VALU_DEP_2)
	v_add_co_u32 v3, vcc_lo, s36, v3
	s_wait_alu 0xfffd
	v_add_co_ci_u32_e64 v4, null, s37, v4, vcc_lo
	global_load_b64 v[3:4], v[3:4], off
	s_wait_loadcnt 0x0
	v_cmp_o_f64_e32 vcc_lo, v[3:4], v[3:4]
	v_ashrrev_i32_e32 v1, 31, v4
	s_delay_alu instid0(VALU_DEP_1) | instskip(SKIP_1) | instid1(VALU_DEP_2)
	v_or_b32_e32 v5, 0x80000000, v1
	v_xor_b32_e32 v1, v1, v3
	v_xor_b32_e32 v5, v5, v4
	s_wait_alu 0xfffd
	s_delay_alu instid0(VALU_DEP_1) | instskip(NEXT) | instid1(VALU_DEP_1)
	v_cndmask_b32_e32 v5, -1, v5, vcc_lo
	v_dual_cndmask_b32 v1, -1, v1 :: v_dual_and_b32 v6, v5, v22
	s_delay_alu instid0(VALU_DEP_1) | instskip(NEXT) | instid1(VALU_DEP_1)
	v_and_b32_e32 v5, v1, v21
	v_cmp_eq_u64_e32 vcc_lo, v[5:6], v[18:19]
	s_and_b32 exec_lo, exec_lo, vcc_lo
	s_cbranch_execz .LBB115_150
; %bb.155:                              ;   in Loop: Header=BB115_153 Depth=2
	v_mov_b32_e32 v1, v13
	ds_store_b128 v13, v[1:4] offset:3072
	s_branch .LBB115_150
.LBB115_156:                            ;   in Loop: Header=BB115_153 Depth=2
	s_mov_b32 s24, -1
	s_mov_b32 s23, -1
                                        ; implicit-def: $vgpr9
	s_branch .LBB115_152
.LBB115_157:                            ;   in Loop: Header=BB115_29 Depth=1
	s_or_b32 exec_lo, exec_lo, s16
	s_delay_alu instid0(SALU_CYCLE_1)
	s_and_not1_b32 s16, s21, exec_lo
	s_wait_alu 0xfffe
	s_and_b32 s21, s22, exec_lo
	s_wait_alu 0xfffe
	s_or_b32 s21, s16, s21
.LBB115_158:                            ;   in Loop: Header=BB115_29 Depth=1
	s_wait_alu 0xfffe
	s_or_b32 exec_lo, exec_lo, s15
	s_mov_b32 s15, 0
	s_mov_b32 s16, -1
.LBB115_159:                            ;   in Loop: Header=BB115_29 Depth=1
	s_or_not1_b32 s21, s21, exec_lo
.LBB115_160:                            ;   in Loop: Header=BB115_29 Depth=1
	s_wait_alu 0xfffe
	s_or_b32 exec_lo, exec_lo, s18
	s_mov_b32 s22, 0
	s_and_saveexec_b32 s18, s21
	s_cbranch_execz .LBB115_253
; %bb.161:                              ;   in Loop: Header=BB115_29 Depth=1
	v_mov_b32_e32 v9, 1
	v_mov_b32_e32 v7, 1
	s_xor_b32 s21, s20, -1
	s_mov_b32 s23, 0
	s_wait_alu 0xfffe
	s_and_saveexec_b32 s20, s21
	s_cbranch_execz .LBB115_170
; %bb.162:                              ;   in Loop: Header=BB115_29 Depth=1
	s_mov_b32 s21, exec_lo
	v_cmpx_ge_u32_e64 s19, v8
	s_wait_alu 0xfffe
	s_xor_b32 s21, exec_lo, s21
	s_cbranch_execz .LBB115_167
; %bb.163:                              ;   in Loop: Header=BB115_29 Depth=1
	ds_load_b32 v1, v13 offset:4104
	v_and_b32_e32 v3, s11, v19
	v_and_b32_e32 v4, s10, v18
	s_lshl_b64 s[22:23], 1, s73
	v_or_b32_e32 v22, s9, v22
	v_or_b32_e32 v21, s8, v21
	s_wait_alu 0xfffe
	v_or_b32_e32 v19, s23, v3
	v_or_b32_e32 v18, s22, v4
	s_wait_dscnt 0x0
	v_cmp_ne_u32_e32 vcc_lo, 0, v1
	s_cbranch_vccnz .LBB115_167
; %bb.164:                              ;   in Loop: Header=BB115_29 Depth=1
	s_and_saveexec_b32 s22, s0
; %bb.165:                              ;   in Loop: Header=BB115_29 Depth=1
	v_mov_b32_e32 v1, s19
	ds_store_b32 v13, v1 offset:4108
; %bb.166:                              ;   in Loop: Header=BB115_29 Depth=1
	s_wait_alu 0xfffe
	s_or_b32 exec_lo, exec_lo, s22
	s_wait_loadcnt_dscnt 0x0
	s_barrier_signal -1
	s_barrier_wait -1
	global_inv scope:SCOPE_SE
.LBB115_167:                            ;   in Loop: Header=BB115_29 Depth=1
	s_wait_alu 0xfffe
	s_or_saveexec_b32 s21, s21
	v_mov_b32_e32 v7, 8
	s_mov_b32 s22, 0
	s_wait_alu 0xfffe
	s_xor_b32 exec_lo, exec_lo, s21
; %bb.168:                              ;   in Loop: Header=BB115_29 Depth=1
	v_subrev_nc_u32_e32 v8, s19, v8
	v_mov_b32_e32 v7, 0
	s_mov_b32 s22, exec_lo
; %bb.169:                              ;   in Loop: Header=BB115_29 Depth=1
	s_or_b32 exec_lo, exec_lo, s21
	s_delay_alu instid0(VALU_DEP_2)
	v_mov_b32_e32 v9, v8
	s_wait_alu 0xfffe
	s_and_b32 s23, s22, exec_lo
.LBB115_170:                            ;   in Loop: Header=BB115_29 Depth=1
	s_wait_alu 0xfffe
	s_or_b32 exec_lo, exec_lo, s20
	s_mov_b32 s22, -1
                                        ; implicit-def: $sgpr20
                                        ; implicit-def: $sgpr21
	s_and_saveexec_b32 s19, s23
	s_cbranch_execz .LBB115_252
; %bb.171:                              ;   in Loop: Header=BB115_29 Depth=1
	v_cmp_eq_u32_e32 vcc_lo, 1, v9
	s_cmp_eq_u32 s17, 1
	s_mov_b32 s24, -1
	s_cselect_b32 s20, -1, 0
                                        ; implicit-def: $sgpr21
	s_wait_alu 0xfffe
	s_and_b32 s23, s20, vcc_lo
                                        ; implicit-def: $sgpr20
	s_wait_alu 0xfffe
	s_and_saveexec_b32 s22, s23
	s_cbranch_execz .LBB115_199
; %bb.172:                              ;   in Loop: Header=BB115_29 Depth=1
	ds_load_b32 v1, v13 offset:4104
	s_wait_loadcnt_dscnt 0x0
	s_barrier_signal -1
	s_barrier_wait -1
	global_inv scope:SCOPE_SE
	v_readfirstlane_b32 s25, v1
	s_and_saveexec_b32 s20, s1
; %bb.173:                              ;   in Loop: Header=BB115_29 Depth=1
	v_mov_b32_e32 v12, v13
	ds_store_b64 v30, v[12:13]
; %bb.174:                              ;   in Loop: Header=BB115_29 Depth=1
	s_wait_alu 0xfffe
	s_or_b32 exec_lo, exec_lo, s20
	v_and_b32_e32 v1, s11, v19
	v_and_b32_e32 v3, s10, v18
	s_lshl_b64 s[20:21], 2, s73
	v_or_b32_e32 v22, s9, v22
	v_or_b32_e32 v21, s8, v21
	s_wait_alu 0xfffe
	v_or_b32_e32 v19, s21, v1
	v_or_b32_e32 v18, s20, v3
	s_mov_b32 s20, -1
	s_mov_b32 s21, 0
	s_cmp_eq_u32 s25, 0
	s_mov_b32 s24, 0
	s_mov_b32 s26, -1
	s_wait_loadcnt_dscnt 0x0
	s_barrier_signal -1
	s_barrier_wait -1
	global_inv scope:SCOPE_SE
                                        ; implicit-def: $vgpr5_vgpr6
	s_cbranch_scc1 .LBB115_186
; %bb.175:                              ;   in Loop: Header=BB115_29 Depth=1
	s_add_co_i32 s42, s25, s53
                                        ; implicit-def: $vgpr5_vgpr6
	s_wait_alu 0xfffe
	s_mul_u64 s[74:75], s[42:43], s[46:47]
	s_wait_alu 0xfffe
	s_mul_i32 s24, s75, s29
	s_wait_alu 0xfffe
	s_sub_co_i32 s24, s42, s24
	s_wait_alu 0xfffe
	s_sub_co_i32 s26, s24, s29
	s_cmp_ge_u32 s24, s29
	s_wait_alu 0xfffe
	s_cselect_b32 s24, s26, s24
	s_wait_alu 0xfffe
	s_sub_co_i32 s26, s24, s29
	s_cmp_ge_u32 s24, s29
	s_wait_alu 0xfffe
	s_cselect_b32 s24, s26, s24
	s_mov_b32 s26, 0
	s_wait_alu 0xfffe
	s_sub_co_i32 s74, s42, s24
	s_mov_b32 s24, 0
	s_mov_b32 s42, exec_lo
	s_wait_alu 0xfffe
	v_cmpx_gt_u32_e64 s74, v0
	s_cbranch_execz .LBB115_185
; %bb.176:                              ;   in Loop: Header=BB115_29 Depth=1
	v_mov_b32_e32 v8, v29
	v_mov_b32_e32 v10, v0
                                        ; implicit-def: $sgpr75
	s_branch .LBB115_180
.LBB115_177:                            ;   in Loop: Header=BB115_180 Depth=2
	s_wait_alu 0xfffe
	s_or_b32 exec_lo, exec_lo, s76
	s_wait_loadcnt_dscnt 0x0
	s_barrier_signal -1
	s_barrier_wait -1
	global_inv scope:SCOPE_SE
	ds_load_b128 v[3:6], v13 offset:3072
	s_wait_loadcnt_dscnt 0x0
	s_barrier_signal -1
	s_barrier_wait -1
	global_inv scope:SCOPE_SE
	v_cmp_neq_f64_e32 vcc_lo, 0, v[3:4]
	s_cbranch_vccnz .LBB115_183
; %bb.178:                              ;   in Loop: Header=BB115_180 Depth=2
	v_add_nc_u32_e32 v10, s29, v10
	v_add_nc_u32_e32 v8, s65, v8
	s_mov_b32 s76, 0
	s_delay_alu instid0(VALU_DEP_2)
	v_cmp_le_u32_e32 vcc_lo, s74, v10
	s_or_not1_b32 s77, vcc_lo, exec_lo
.LBB115_179:                            ;   in Loop: Header=BB115_180 Depth=2
	s_wait_alu 0xfffe
	s_and_b32 s77, exec_lo, s77
	s_wait_alu 0xfffe
	s_or_b32 s24, s77, s24
	s_and_not1_b32 s75, s75, exec_lo
	s_and_b32 s76, s76, exec_lo
	s_wait_alu 0xfffe
	s_or_b32 s75, s75, s76
	s_and_not1_b32 exec_lo, exec_lo, s24
	s_cbranch_execz .LBB115_184
.LBB115_180:                            ;   Parent Loop BB115_29 Depth=1
                                        ; =>  This Inner Loop Header: Depth=2
	s_mov_b32 s76, exec_lo
	s_delay_alu instid0(VALU_DEP_1)
	v_cmpx_gt_u32_e64 s25, v10
	s_cbranch_execz .LBB115_177
; %bb.181:                              ;   in Loop: Header=BB115_180 Depth=2
	ds_load_b64 v[3:4], v8
	s_wait_dscnt 0x0
	v_cmp_o_f64_e32 vcc_lo, v[3:4], v[3:4]
	v_ashrrev_i32_e32 v1, 31, v4
	s_delay_alu instid0(VALU_DEP_1) | instskip(SKIP_1) | instid1(VALU_DEP_2)
	v_or_b32_e32 v5, 0x80000000, v1
	v_xor_b32_e32 v1, v1, v3
	v_xor_b32_e32 v5, v5, v4
	s_wait_alu 0xfffd
	s_delay_alu instid0(VALU_DEP_1) | instskip(NEXT) | instid1(VALU_DEP_1)
	v_cndmask_b32_e32 v5, -1, v5, vcc_lo
	v_dual_cndmask_b32 v1, -1, v1 :: v_dual_and_b32 v6, v5, v22
	s_delay_alu instid0(VALU_DEP_1) | instskip(NEXT) | instid1(VALU_DEP_1)
	v_and_b32_e32 v5, v1, v21
	v_cmp_eq_u64_e32 vcc_lo, v[5:6], v[18:19]
	s_and_b32 exec_lo, exec_lo, vcc_lo
	s_cbranch_execz .LBB115_177
; %bb.182:                              ;   in Loop: Header=BB115_180 Depth=2
	v_mov_b32_e32 v1, v13
	ds_store_b128 v13, v[1:4] offset:3072
	s_branch .LBB115_177
.LBB115_183:                            ;   in Loop: Header=BB115_180 Depth=2
	s_mov_b32 s77, -1
	s_mov_b32 s76, -1
                                        ; implicit-def: $vgpr10
                                        ; implicit-def: $vgpr8
	s_branch .LBB115_179
.LBB115_184:                            ;   in Loop: Header=BB115_29 Depth=1
	s_or_b32 exec_lo, exec_lo, s24
	s_wait_alu 0xfffe
	s_and_b32 s24, s75, exec_lo
.LBB115_185:                            ;   in Loop: Header=BB115_29 Depth=1
	s_or_b32 exec_lo, exec_lo, s42
.LBB115_186:                            ;   in Loop: Header=BB115_29 Depth=1
	s_wait_alu 0xfffe
	s_and_b32 vcc_lo, exec_lo, s26
	s_wait_alu 0xfffe
	s_cbranch_vccz .LBB115_198
; %bb.187:                              ;   in Loop: Header=BB115_29 Depth=1
                                        ; implicit-def: $vgpr5_vgpr6
	s_and_saveexec_b32 s20, s6
	s_cbranch_execz .LBB115_197
; %bb.188:                              ;   in Loop: Header=BB115_29 Depth=1
	v_mov_b32_e32 v12, v11
	v_mov_b32_e32 v8, v0
	s_mov_b32 s21, 0
                                        ; implicit-def: $sgpr25
	s_branch .LBB115_192
.LBB115_189:                            ;   in Loop: Header=BB115_192 Depth=2
	s_wait_alu 0xfffe
	s_or_b32 exec_lo, exec_lo, s26
	s_wait_loadcnt_dscnt 0x0
	s_barrier_signal -1
	s_barrier_wait -1
	global_inv scope:SCOPE_SE
	ds_load_b128 v[3:6], v13 offset:3072
	s_wait_loadcnt_dscnt 0x0
	s_barrier_signal -1
	s_barrier_wait -1
	global_inv scope:SCOPE_SE
	v_cmp_eq_f64_e32 vcc_lo, 0, v[3:4]
	s_cbranch_vccz .LBB115_195
; %bb.190:                              ;   in Loop: Header=BB115_192 Depth=2
	v_add_nc_u32_e32 v8, s29, v8
	v_add_nc_u32_e32 v12, s54, v12
	s_mov_b32 s26, 0
	s_delay_alu instid0(VALU_DEP_2)
	v_cmp_le_u32_e32 vcc_lo, s62, v8
	s_or_not1_b32 s42, vcc_lo, exec_lo
.LBB115_191:                            ;   in Loop: Header=BB115_192 Depth=2
	s_wait_alu 0xfffe
	s_and_b32 s42, exec_lo, s42
	s_wait_alu 0xfffe
	s_or_b32 s21, s42, s21
	s_and_not1_b32 s25, s25, exec_lo
	s_and_b32 s26, s26, exec_lo
	s_wait_alu 0xfffe
	s_or_b32 s25, s25, s26
	s_and_not1_b32 exec_lo, exec_lo, s21
	s_cbranch_execz .LBB115_196
.LBB115_192:                            ;   Parent Loop BB115_29 Depth=1
                                        ; =>  This Inner Loop Header: Depth=2
	s_mov_b32 s26, exec_lo
	s_delay_alu instid0(VALU_DEP_1)
	v_cmpx_gt_u32_e64 s28, v8
	s_cbranch_execz .LBB115_189
; %bb.193:                              ;   in Loop: Header=BB115_192 Depth=2
	v_lshlrev_b64_e32 v[3:4], 3, v[12:13]
	s_delay_alu instid0(VALU_DEP_1) | instskip(SKIP_1) | instid1(VALU_DEP_2)
	v_add_co_u32 v3, vcc_lo, s36, v3
	s_wait_alu 0xfffd
	v_add_co_ci_u32_e64 v4, null, s37, v4, vcc_lo
	global_load_b64 v[3:4], v[3:4], off
	s_wait_loadcnt 0x0
	v_cmp_o_f64_e32 vcc_lo, v[3:4], v[3:4]
	v_ashrrev_i32_e32 v1, 31, v4
	s_delay_alu instid0(VALU_DEP_1) | instskip(SKIP_1) | instid1(VALU_DEP_2)
	v_or_b32_e32 v5, 0x80000000, v1
	v_xor_b32_e32 v1, v1, v3
	v_xor_b32_e32 v5, v5, v4
	s_wait_alu 0xfffd
	s_delay_alu instid0(VALU_DEP_1) | instskip(NEXT) | instid1(VALU_DEP_1)
	v_cndmask_b32_e32 v5, -1, v5, vcc_lo
	v_dual_cndmask_b32 v1, -1, v1 :: v_dual_and_b32 v6, v5, v22
	s_delay_alu instid0(VALU_DEP_1) | instskip(NEXT) | instid1(VALU_DEP_1)
	v_and_b32_e32 v5, v1, v21
	v_cmp_eq_u64_e32 vcc_lo, v[5:6], v[18:19]
	s_and_b32 exec_lo, exec_lo, vcc_lo
	s_cbranch_execz .LBB115_189
; %bb.194:                              ;   in Loop: Header=BB115_192 Depth=2
	v_mov_b32_e32 v1, v13
	ds_store_b128 v13, v[1:4] offset:3072
	s_branch .LBB115_189
.LBB115_195:                            ;   in Loop: Header=BB115_192 Depth=2
	s_mov_b32 s42, -1
	s_mov_b32 s26, -1
                                        ; implicit-def: $vgpr8
	s_branch .LBB115_191
.LBB115_196:                            ;   in Loop: Header=BB115_29 Depth=1
	s_or_b32 exec_lo, exec_lo, s21
	s_delay_alu instid0(SALU_CYCLE_1)
	s_and_not1_b32 s21, s24, exec_lo
	s_wait_alu 0xfffe
	s_and_b32 s24, s25, exec_lo
	s_wait_alu 0xfffe
	s_or_b32 s24, s21, s24
.LBB115_197:                            ;   in Loop: Header=BB115_29 Depth=1
	s_wait_alu 0xfffe
	s_or_b32 exec_lo, exec_lo, s20
	s_mov_b32 s20, 0
	s_mov_b32 s21, -1
.LBB115_198:                            ;   in Loop: Header=BB115_29 Depth=1
	s_or_not1_b32 s24, s24, exec_lo
.LBB115_199:                            ;   in Loop: Header=BB115_29 Depth=1
	s_wait_alu 0xfffe
	s_or_b32 exec_lo, exec_lo, s22
	s_mov_b32 s25, 0
	s_and_saveexec_b32 s22, s24
	s_cbranch_execz .LBB115_251
; %bb.200:                              ;   in Loop: Header=BB115_29 Depth=1
	v_dual_mov_b32 v8, 1 :: v_dual_mov_b32 v7, 1
	s_xor_b32 s25, s23, -1
	s_mov_b32 s24, 0
	s_wait_alu 0xfffe
	s_and_saveexec_b32 s23, s25
	s_cbranch_execz .LBB115_209
; %bb.201:                              ;   in Loop: Header=BB115_29 Depth=1
	s_mov_b32 s24, exec_lo
	v_cmpx_ge_u32_e64 s17, v9
	s_wait_alu 0xfffe
	s_xor_b32 s24, exec_lo, s24
	s_cbranch_execz .LBB115_206
; %bb.202:                              ;   in Loop: Header=BB115_29 Depth=1
	ds_load_b32 v1, v13 offset:4104
	v_and_b32_e32 v3, s11, v19
	v_and_b32_e32 v4, s10, v18
	s_lshl_b64 s[10:11], 2, s73
	v_or_b32_e32 v22, s9, v22
	v_or_b32_e32 v21, s8, v21
	s_wait_alu 0xfffe
	v_or_b32_e32 v19, s11, v3
	v_or_b32_e32 v18, s10, v4
	s_wait_dscnt 0x0
	v_cmp_ne_u32_e32 vcc_lo, 0, v1
	s_cbranch_vccnz .LBB115_206
; %bb.203:                              ;   in Loop: Header=BB115_29 Depth=1
	s_and_saveexec_b32 s10, s0
; %bb.204:                              ;   in Loop: Header=BB115_29 Depth=1
	v_mov_b32_e32 v1, s17
	ds_store_b32 v13, v1 offset:4108
; %bb.205:                              ;   in Loop: Header=BB115_29 Depth=1
	s_wait_alu 0xfffe
	s_or_b32 exec_lo, exec_lo, s10
	s_wait_loadcnt_dscnt 0x0
	s_barrier_signal -1
	s_barrier_wait -1
	global_inv scope:SCOPE_SE
.LBB115_206:                            ;   in Loop: Header=BB115_29 Depth=1
	s_wait_alu 0xfffe
	s_or_saveexec_b32 s10, s24
	v_mov_b32_e32 v7, 8
	s_mov_b32 s11, 0
	s_wait_alu 0xfffe
	s_xor_b32 exec_lo, exec_lo, s10
; %bb.207:                              ;   in Loop: Header=BB115_29 Depth=1
	v_subrev_nc_u32_e32 v9, s17, v9
	v_mov_b32_e32 v7, 0
	s_mov_b32 s11, exec_lo
; %bb.208:                              ;   in Loop: Header=BB115_29 Depth=1
	s_or_b32 exec_lo, exec_lo, s10
	s_delay_alu instid0(VALU_DEP_2)
	v_mov_b32_e32 v8, v9
	s_wait_alu 0xfffe
	s_and_b32 s24, s11, exec_lo
.LBB115_209:                            ;   in Loop: Header=BB115_29 Depth=1
	s_wait_alu 0xfffe
	s_or_b32 exec_lo, exec_lo, s23
	s_mov_b32 s11, -1
                                        ; implicit-def: $sgpr23
                                        ; implicit-def: $sgpr17
	s_and_saveexec_b32 s10, s24
	s_cbranch_execz .LBB115_250
; %bb.210:                              ;   in Loop: Header=BB115_29 Depth=1
	v_cmp_eq_u32_e32 vcc_lo, 1, v8
	s_cmp_eq_u32 s7, 1
	s_mov_b32 s25, -1
	s_cselect_b32 s11, -1, 0
                                        ; implicit-def: $sgpr23
                                        ; implicit-def: $sgpr17
	s_wait_alu 0xfffe
	s_and_b32 s11, s11, vcc_lo
	s_wait_alu 0xfffe
	s_and_saveexec_b32 s24, s11
	s_cbranch_execz .LBB115_238
; %bb.211:                              ;   in Loop: Header=BB115_29 Depth=1
	ds_load_b32 v1, v13 offset:4104
	s_wait_loadcnt_dscnt 0x0
	s_barrier_signal -1
	s_barrier_wait -1
	global_inv scope:SCOPE_SE
	v_readfirstlane_b32 s26, v1
	s_and_saveexec_b32 s17, s1
; %bb.212:                              ;   in Loop: Header=BB115_29 Depth=1
	v_mov_b32_e32 v12, v13
	ds_store_b64 v30, v[12:13]
; %bb.213:                              ;   in Loop: Header=BB115_29 Depth=1
	s_wait_alu 0xfffe
	s_or_b32 exec_lo, exec_lo, s17
	v_or_b32_e32 v19, s9, v19
	v_or_b32_e32 v18, s8, v18
	;; [unrolled: 1-line block ×4, first 2 shown]
	s_mov_b32 s17, -1
	s_mov_b32 s23, 0
	s_cmp_eq_u32 s26, 0
	s_mov_b32 s25, 0
	s_mov_b32 s42, -1
	s_wait_loadcnt_dscnt 0x0
	s_barrier_signal -1
	s_barrier_wait -1
	global_inv scope:SCOPE_SE
                                        ; implicit-def: $vgpr5_vgpr6
	s_cbranch_scc1 .LBB115_225
; %bb.214:                              ;   in Loop: Header=BB115_29 Depth=1
	s_add_co_i32 s42, s26, s53
                                        ; implicit-def: $vgpr5_vgpr6
	s_wait_alu 0xfffe
	s_mul_u64 s[74:75], s[42:43], s[46:47]
	s_wait_alu 0xfffe
	s_mul_i32 s25, s75, s29
	s_wait_alu 0xfffe
	s_sub_co_i32 s25, s42, s25
	s_wait_alu 0xfffe
	s_sub_co_i32 s74, s25, s29
	s_cmp_ge_u32 s25, s29
	s_wait_alu 0xfffe
	s_cselect_b32 s25, s74, s25
	s_wait_alu 0xfffe
	s_sub_co_i32 s74, s25, s29
	s_cmp_ge_u32 s25, s29
	s_wait_alu 0xfffe
	s_cselect_b32 s25, s74, s25
	s_mov_b32 s74, exec_lo
	s_wait_alu 0xfffe
	s_sub_co_i32 s75, s42, s25
	s_mov_b32 s42, 0
	s_mov_b32 s25, 0
	s_wait_alu 0xfffe
	v_cmpx_gt_u32_e64 s75, v0
	s_cbranch_execz .LBB115_224
; %bb.215:                              ;   in Loop: Header=BB115_29 Depth=1
	v_dual_mov_b32 v9, v29 :: v_dual_mov_b32 v10, v0
                                        ; implicit-def: $sgpr76
	s_branch .LBB115_219
.LBB115_216:                            ;   in Loop: Header=BB115_219 Depth=2
	s_wait_alu 0xfffe
	s_or_b32 exec_lo, exec_lo, s77
	s_wait_loadcnt_dscnt 0x0
	s_barrier_signal -1
	s_barrier_wait -1
	global_inv scope:SCOPE_SE
	ds_load_b128 v[3:6], v13 offset:3072
	s_wait_loadcnt_dscnt 0x0
	s_barrier_signal -1
	s_barrier_wait -1
	global_inv scope:SCOPE_SE
	v_cmp_neq_f64_e32 vcc_lo, 0, v[3:4]
	s_cbranch_vccnz .LBB115_222
; %bb.217:                              ;   in Loop: Header=BB115_219 Depth=2
	v_add_nc_u32_e32 v10, s29, v10
	v_add_nc_u32_e32 v9, s65, v9
	s_mov_b32 s77, 0
	s_delay_alu instid0(VALU_DEP_2)
	v_cmp_le_u32_e32 vcc_lo, s75, v10
	s_or_not1_b32 s78, vcc_lo, exec_lo
.LBB115_218:                            ;   in Loop: Header=BB115_219 Depth=2
	s_wait_alu 0xfffe
	s_and_b32 s78, exec_lo, s78
	s_wait_alu 0xfffe
	s_or_b32 s25, s78, s25
	s_and_not1_b32 s76, s76, exec_lo
	s_and_b32 s77, s77, exec_lo
	s_wait_alu 0xfffe
	s_or_b32 s76, s76, s77
	s_and_not1_b32 exec_lo, exec_lo, s25
	s_cbranch_execz .LBB115_223
.LBB115_219:                            ;   Parent Loop BB115_29 Depth=1
                                        ; =>  This Inner Loop Header: Depth=2
	s_mov_b32 s77, exec_lo
	s_delay_alu instid0(VALU_DEP_1)
	v_cmpx_gt_u32_e64 s26, v10
	s_cbranch_execz .LBB115_216
; %bb.220:                              ;   in Loop: Header=BB115_219 Depth=2
	ds_load_b64 v[3:4], v9
	s_wait_dscnt 0x0
	v_cmp_o_f64_e32 vcc_lo, v[3:4], v[3:4]
	v_ashrrev_i32_e32 v1, 31, v4
	s_delay_alu instid0(VALU_DEP_1) | instskip(SKIP_1) | instid1(VALU_DEP_2)
	v_or_b32_e32 v5, 0x80000000, v1
	v_xor_b32_e32 v1, v1, v3
	v_xor_b32_e32 v5, v5, v4
	s_wait_alu 0xfffd
	s_delay_alu instid0(VALU_DEP_1) | instskip(NEXT) | instid1(VALU_DEP_1)
	v_cndmask_b32_e32 v5, -1, v5, vcc_lo
	v_dual_cndmask_b32 v1, -1, v1 :: v_dual_and_b32 v6, v5, v22
	s_delay_alu instid0(VALU_DEP_1) | instskip(NEXT) | instid1(VALU_DEP_1)
	v_and_b32_e32 v5, v1, v21
	v_cmp_eq_u64_e32 vcc_lo, v[5:6], v[18:19]
	s_and_b32 exec_lo, exec_lo, vcc_lo
	s_cbranch_execz .LBB115_216
; %bb.221:                              ;   in Loop: Header=BB115_219 Depth=2
	v_mov_b32_e32 v1, v13
	ds_store_b128 v13, v[1:4] offset:3072
	s_branch .LBB115_216
.LBB115_222:                            ;   in Loop: Header=BB115_219 Depth=2
	s_mov_b32 s78, -1
	s_mov_b32 s77, -1
                                        ; implicit-def: $vgpr10
                                        ; implicit-def: $vgpr9
	s_branch .LBB115_218
.LBB115_223:                            ;   in Loop: Header=BB115_29 Depth=1
	s_or_b32 exec_lo, exec_lo, s25
	s_wait_alu 0xfffe
	s_and_b32 s25, s76, exec_lo
.LBB115_224:                            ;   in Loop: Header=BB115_29 Depth=1
	s_or_b32 exec_lo, exec_lo, s74
.LBB115_225:                            ;   in Loop: Header=BB115_29 Depth=1
	s_wait_alu 0xfffe
	s_and_b32 vcc_lo, exec_lo, s42
	s_wait_alu 0xfffe
	s_cbranch_vccz .LBB115_237
; %bb.226:                              ;   in Loop: Header=BB115_29 Depth=1
                                        ; implicit-def: $vgpr5_vgpr6
	s_and_saveexec_b32 s17, s6
	s_cbranch_execz .LBB115_236
; %bb.227:                              ;   in Loop: Header=BB115_29 Depth=1
	v_dual_mov_b32 v12, v11 :: v_dual_mov_b32 v9, v0
	s_mov_b32 s23, 0
                                        ; implicit-def: $sgpr26
	s_branch .LBB115_231
.LBB115_228:                            ;   in Loop: Header=BB115_231 Depth=2
	s_wait_alu 0xfffe
	s_or_b32 exec_lo, exec_lo, s42
	s_wait_loadcnt_dscnt 0x0
	s_barrier_signal -1
	s_barrier_wait -1
	global_inv scope:SCOPE_SE
	ds_load_b128 v[3:6], v13 offset:3072
	s_wait_loadcnt_dscnt 0x0
	s_barrier_signal -1
	s_barrier_wait -1
	global_inv scope:SCOPE_SE
	v_cmp_eq_f64_e32 vcc_lo, 0, v[3:4]
	s_cbranch_vccz .LBB115_234
; %bb.229:                              ;   in Loop: Header=BB115_231 Depth=2
	v_add_nc_u32_e32 v9, s29, v9
	v_add_nc_u32_e32 v12, s54, v12
	s_mov_b32 s42, 0
	s_delay_alu instid0(VALU_DEP_2)
	v_cmp_le_u32_e32 vcc_lo, s62, v9
	s_or_not1_b32 s74, vcc_lo, exec_lo
.LBB115_230:                            ;   in Loop: Header=BB115_231 Depth=2
	s_wait_alu 0xfffe
	s_and_b32 s74, exec_lo, s74
	s_wait_alu 0xfffe
	s_or_b32 s23, s74, s23
	s_and_not1_b32 s26, s26, exec_lo
	s_and_b32 s42, s42, exec_lo
	s_wait_alu 0xfffe
	s_or_b32 s26, s26, s42
	s_and_not1_b32 exec_lo, exec_lo, s23
	s_cbranch_execz .LBB115_235
.LBB115_231:                            ;   Parent Loop BB115_29 Depth=1
                                        ; =>  This Inner Loop Header: Depth=2
	s_mov_b32 s42, exec_lo
	s_delay_alu instid0(VALU_DEP_1)
	v_cmpx_gt_u32_e64 s28, v9
	s_cbranch_execz .LBB115_228
; %bb.232:                              ;   in Loop: Header=BB115_231 Depth=2
	v_lshlrev_b64_e32 v[3:4], 3, v[12:13]
	s_delay_alu instid0(VALU_DEP_1) | instskip(SKIP_1) | instid1(VALU_DEP_2)
	v_add_co_u32 v3, vcc_lo, s36, v3
	s_wait_alu 0xfffd
	v_add_co_ci_u32_e64 v4, null, s37, v4, vcc_lo
	global_load_b64 v[3:4], v[3:4], off
	s_wait_loadcnt 0x0
	v_cmp_o_f64_e32 vcc_lo, v[3:4], v[3:4]
	v_ashrrev_i32_e32 v1, 31, v4
	s_delay_alu instid0(VALU_DEP_1) | instskip(SKIP_1) | instid1(VALU_DEP_2)
	v_or_b32_e32 v5, 0x80000000, v1
	v_xor_b32_e32 v1, v1, v3
	v_xor_b32_e32 v5, v5, v4
	s_wait_alu 0xfffd
	s_delay_alu instid0(VALU_DEP_1) | instskip(NEXT) | instid1(VALU_DEP_1)
	v_cndmask_b32_e32 v5, -1, v5, vcc_lo
	v_dual_cndmask_b32 v1, -1, v1 :: v_dual_and_b32 v6, v5, v22
	s_delay_alu instid0(VALU_DEP_1) | instskip(NEXT) | instid1(VALU_DEP_1)
	v_and_b32_e32 v5, v1, v21
	v_cmp_eq_u64_e32 vcc_lo, v[5:6], v[18:19]
	s_and_b32 exec_lo, exec_lo, vcc_lo
	s_cbranch_execz .LBB115_228
; %bb.233:                              ;   in Loop: Header=BB115_231 Depth=2
	v_mov_b32_e32 v1, v13
	ds_store_b128 v13, v[1:4] offset:3072
	s_branch .LBB115_228
.LBB115_234:                            ;   in Loop: Header=BB115_231 Depth=2
	s_mov_b32 s74, -1
	s_mov_b32 s42, -1
                                        ; implicit-def: $vgpr9
	s_branch .LBB115_230
.LBB115_235:                            ;   in Loop: Header=BB115_29 Depth=1
	s_or_b32 exec_lo, exec_lo, s23
	s_delay_alu instid0(SALU_CYCLE_1)
	s_and_not1_b32 s23, s25, exec_lo
	s_wait_alu 0xfffe
	s_and_b32 s25, s26, exec_lo
	s_wait_alu 0xfffe
	s_or_b32 s25, s23, s25
.LBB115_236:                            ;   in Loop: Header=BB115_29 Depth=1
	s_wait_alu 0xfffe
	s_or_b32 exec_lo, exec_lo, s17
	s_mov_b32 s17, 0
	s_mov_b32 s23, -1
.LBB115_237:                            ;   in Loop: Header=BB115_29 Depth=1
	s_or_not1_b32 s25, s25, exec_lo
.LBB115_238:                            ;   in Loop: Header=BB115_29 Depth=1
	s_wait_alu 0xfffe
	s_or_b32 exec_lo, exec_lo, s24
	s_mov_b32 s26, 0
	s_and_saveexec_b32 s24, s25
	s_cbranch_execz .LBB115_249
; %bb.239:                              ;   in Loop: Header=BB115_29 Depth=1
	v_mov_b32_e32 v7, 1
	v_mov_b32_e32 v1, 1
	s_xor_b32 s25, s11, -1
	s_wait_alu 0xfffe
	s_and_saveexec_b32 s11, s25
	s_cbranch_execz .LBB115_248
; %bb.240:                              ;   in Loop: Header=BB115_29 Depth=1
	s_mov_b32 s25, exec_lo
	v_cmpx_ge_u32_e64 s7, v8
	s_wait_alu 0xfffe
	s_xor_b32 s25, exec_lo, s25
	s_cbranch_execz .LBB115_245
; %bb.241:                              ;   in Loop: Header=BB115_29 Depth=1
	ds_load_b32 v1, v13 offset:4104
	v_or_b32_e32 v19, s9, v19
	v_or_b32_e32 v18, s8, v18
	;; [unrolled: 1-line block ×4, first 2 shown]
	s_wait_dscnt 0x0
	v_cmp_ne_u32_e32 vcc_lo, 0, v1
	s_cbranch_vccnz .LBB115_245
; %bb.242:                              ;   in Loop: Header=BB115_29 Depth=1
	s_and_saveexec_b32 s8, s0
; %bb.243:                              ;   in Loop: Header=BB115_29 Depth=1
	v_mov_b32_e32 v1, s7
	ds_store_b32 v13, v1 offset:4108
; %bb.244:                              ;   in Loop: Header=BB115_29 Depth=1
	s_wait_alu 0xfffe
	s_or_b32 exec_lo, exec_lo, s8
	s_wait_loadcnt_dscnt 0x0
	s_barrier_signal -1
	s_barrier_wait -1
	global_inv scope:SCOPE_SE
.LBB115_245:                            ;   in Loop: Header=BB115_29 Depth=1
	s_wait_alu 0xfffe
	s_and_not1_saveexec_b32 s8, s25
; %bb.246:                              ;   in Loop: Header=BB115_29 Depth=1
	v_subrev_nc_u32_e32 v8, s7, v8
; %bb.247:                              ;   in Loop: Header=BB115_29 Depth=1
	s_wait_alu 0xfffe
	s_or_b32 exec_lo, exec_lo, s8
	v_mov_b32_e32 v7, 8
	s_delay_alu instid0(VALU_DEP_2)
	v_mov_b32_e32 v1, v8
.LBB115_248:                            ;   in Loop: Header=BB115_29 Depth=1
	s_wait_alu 0xfffe
	s_or_b32 exec_lo, exec_lo, s11
	s_delay_alu instid0(VALU_DEP_1)
	v_mov_b32_e32 v8, v1
	s_mov_b32 s26, exec_lo
.LBB115_249:                            ;   in Loop: Header=BB115_29 Depth=1
	s_wait_alu 0xfffe
	s_or_b32 exec_lo, exec_lo, s24
	s_delay_alu instid0(SALU_CYCLE_1)
	s_or_not1_b32 s11, s26, exec_lo
.LBB115_250:                            ;   in Loop: Header=BB115_29 Depth=1
	s_wait_alu 0xfffe
	s_or_b32 exec_lo, exec_lo, s10
	v_mov_b32_e32 v9, v8
	s_and_not1_b32 s7, s21, exec_lo
	s_and_b32 s8, s23, exec_lo
	s_and_not1_b32 s9, s20, exec_lo
	s_and_b32 s10, s17, exec_lo
	s_wait_alu 0xfffe
	s_or_b32 s21, s7, s8
	s_or_b32 s20, s9, s10
	s_and_b32 s25, s11, exec_lo
.LBB115_251:                            ;   in Loop: Header=BB115_29 Depth=1
	s_wait_alu 0xfffe
	s_or_b32 exec_lo, exec_lo, s22
	s_delay_alu instid0(SALU_CYCLE_1)
	s_or_not1_b32 s22, s25, exec_lo
.LBB115_252:                            ;   in Loop: Header=BB115_29 Depth=1
	s_wait_alu 0xfffe
	s_or_b32 exec_lo, exec_lo, s19
	v_mov_b32_e32 v8, v9
	s_and_not1_b32 s7, s16, exec_lo
	s_and_b32 s8, s21, exec_lo
	s_and_not1_b32 s9, s15, exec_lo
	s_and_b32 s10, s20, exec_lo
	s_wait_alu 0xfffe
	s_or_b32 s16, s7, s8
	s_or_b32 s15, s9, s10
	s_and_b32 s22, s22, exec_lo
.LBB115_253:                            ;   in Loop: Header=BB115_29 Depth=1
	s_wait_alu 0xfffe
	s_or_b32 exec_lo, exec_lo, s18
	s_delay_alu instid0(SALU_CYCLE_1)
	s_or_not1_b32 s18, s22, exec_lo
.LBB115_254:                            ;   in Loop: Header=BB115_29 Depth=1
	s_wait_alu 0xfffe
	s_or_b32 exec_lo, exec_lo, s14
	s_mov_b32 s8, 0
                                        ; implicit-def: $sgpr20
	s_and_saveexec_b32 s7, s18
	s_wait_alu 0xfffe
	s_xor_b32 s7, exec_lo, s7
	s_cbranch_execz .LBB115_27
; %bb.255:                              ;   in Loop: Header=BB115_29 Depth=1
	v_and_b32_e32 v1, 7, v7
	s_mov_b32 s9, -1
	s_mov_b32 s8, -1
	s_mov_b32 s10, exec_lo
                                        ; implicit-def: $sgpr20
	s_delay_alu instid0(VALU_DEP_1)
	v_cmpx_eq_u32_e32 0, v1
	s_cbranch_execz .LBB115_26
; %bb.256:                              ;   in Loop: Header=BB115_29 Depth=1
	s_add_co_i32 s20, s73, -2
	s_cmp_eq_u32 s73, 0
	v_xor_b32_e32 v40, 1, v40
	s_cselect_b32 s9, -1, 0
	s_xor_b32 s8, exec_lo, -1
	s_wait_alu 0xfffe
	s_or_not1_b32 s9, s9, exec_lo
	s_branch .LBB115_26
.LBB115_257:
	s_or_b32 exec_lo, exec_lo, s66
	s_wait_alu 0xfffe
	s_xor_b32 s4, s72, -1
	s_xor_b32 s3, s70, -1
	;; [unrolled: 1-line block ×3, first 2 shown]
	s_mov_b32 s0, 0
	s_wait_alu 0xfffe
	s_and_saveexec_b32 s5, s3
	s_wait_alu 0xfffe
	s_xor_b32 s3, exec_lo, s5
	s_cbranch_execnz .LBB115_262
; %bb.258:
	s_wait_alu 0xfffe
	s_and_not1_saveexec_b32 s1, s3
	s_cbranch_execnz .LBB115_275
.LBB115_259:
	s_wait_alu 0xfffe
	s_or_b32 exec_lo, exec_lo, s1
	s_and_saveexec_b32 s1, s0
.LBB115_260:
	; divergent unreachable
.LBB115_261:
	s_endpgm
.LBB115_262:
	s_and_saveexec_b32 s0, s4
	s_delay_alu instid0(SALU_CYCLE_1)
	s_xor_b32 s4, exec_lo, s0
	s_cbranch_execz .LBB115_273
; %bb.263:
	s_and_saveexec_b32 s0, s1
	s_delay_alu instid0(SALU_CYCLE_1)
	s_xor_b32 s0, exec_lo, s0
; %bb.264:
	v_lshrrev_b32_e32 v1, 31, v19
	s_delay_alu instid0(VALU_DEP_1) | instskip(NEXT) | instid1(VALU_DEP_1)
	v_add_co_u32 v1, s1, v1, -1
	v_add_co_ci_u32_e64 v2, null, 0, -1, s1
	s_delay_alu instid0(VALU_DEP_2) | instskip(NEXT) | instid1(VALU_DEP_2)
	v_xor_b32_e32 v5, v1, v18
	v_or_b32_e32 v2, 0x80000000, v2
	s_delay_alu instid0(VALU_DEP_1)
	v_xor_b32_e32 v6, v2, v19
; %bb.265:
	s_or_b32 exec_lo, exec_lo, s0
	s_mul_i32 s0, s51, s34
	s_mov_b32 s1, 0
	s_wait_alu 0xfffe
	s_add_co_i32 s0, s0, s35
	v_mov_b32_e32 v12, 0
	s_wait_alu 0xfffe
	s_lshl_b64 s[6:7], s[0:1], 3
	s_wait_alu 0xfffe
	s_add_nc_u64 s[6:7], s[40:41], s[6:7]
	global_store_b64 v12, v[5:6], s[6:7]
	s_and_saveexec_b32 s5, s2
	s_cbranch_execz .LBB115_272
; %bb.266:
	v_cmp_u_f64_e32 vcc_lo, v[5:6], v[5:6]
                                        ; implicit-def: $sgpr2
                                        ; implicit-def: $sgpr8
                                        ; implicit-def: $sgpr7
	s_xor_b32 s6, vcc_lo, -1
	s_branch .LBB115_268
.LBB115_267:                            ;   in Loop: Header=BB115_268 Depth=1
	s_wait_alu 0xfffe
	s_or_b32 exec_lo, exec_lo, s0
	s_delay_alu instid0(SALU_CYCLE_1)
	s_and_b32 s0, exec_lo, s8
	s_wait_alu 0xfffe
	s_or_b32 s1, s0, s1
	s_and_not1_b32 s0, s2, exec_lo
	s_and_b32 s2, s7, exec_lo
	s_wait_alu 0xfffe
	s_or_b32 s2, s0, s2
	s_and_not1_b32 exec_lo, exec_lo, s1
	s_cbranch_execz .LBB115_270
.LBB115_268:                            ; =>This Inner Loop Header: Depth=1
	v_lshlrev_b64_e32 v[1:2], 3, v[11:12]
	s_wait_alu 0xfffe
	s_or_b32 s7, s7, exec_lo
	s_or_b32 s8, s8, exec_lo
	s_delay_alu instid0(VALU_DEP_1)
	v_add_co_u32 v1, vcc_lo, s36, v1
	s_wait_alu 0xfffd
	v_add_co_ci_u32_e64 v2, null, s37, v2, vcc_lo
	global_load_b64 v[1:2], v[1:2], off
	s_wait_loadcnt 0x0
	v_cmp_o_f64_e32 vcc_lo, v[1:2], v[1:2]
	v_cmp_neq_f64_e64 s0, v[1:2], v[5:6]
	v_mov_b32_e32 v1, v0
                                        ; implicit-def: $vgpr0
	s_or_b32 s9, vcc_lo, s6
	s_wait_alu 0xfffe
	s_and_b32 s9, s0, s9
	s_wait_alu 0xfffe
	s_and_saveexec_b32 s0, s9
	s_cbranch_execz .LBB115_267
; %bb.269:                              ;   in Loop: Header=BB115_268 Depth=1
	v_add_nc_u32_e32 v0, s29, v1
	v_add_nc_u32_e32 v11, s54, v11
	s_and_not1_b32 s8, s8, exec_lo
	s_and_not1_b32 s7, s7, exec_lo
	s_delay_alu instid0(VALU_DEP_2)
	v_cmp_le_u32_e32 vcc_lo, s28, v0
	s_and_b32 s9, vcc_lo, exec_lo
	s_wait_alu 0xfffe
	s_or_b32 s8, s8, s9
	s_branch .LBB115_267
.LBB115_270:
	s_or_b32 exec_lo, exec_lo, s1
	s_wait_alu 0xfffe
	s_and_saveexec_b32 s0, s2
	s_wait_alu 0xfffe
	s_xor_b32 s0, exec_lo, s0
	s_cbranch_execz .LBB115_272
; %bb.271:
	s_mul_i32 s0, s50, s33
	s_mov_b32 s1, 0
	s_wait_alu 0xfffe
	s_add_co_i32 s0, s0, s27
	v_mov_b32_e32 v2, 0
	s_wait_alu 0xfffe
	s_lshl_b64 s[0:1], s[0:1], 3
	s_wait_alu 0xfffe
	s_add_nc_u64 s[0:1], s[38:39], s[0:1]
	global_store_b64 v2, v[1:2], s[0:1]
.LBB115_272:
	s_wait_alu 0xfffe
	s_or_b32 exec_lo, exec_lo, s5
.LBB115_273:
	s_wait_alu 0xfffe
	s_or_saveexec_b32 s0, s4
	s_mov_b32 s1, 0
	s_wait_alu 0xfffe
	s_xor_b32 exec_lo, exec_lo, s0
	s_cbranch_execnz .LBB115_276
.LBB115_274:
	s_or_b32 exec_lo, exec_lo, s0
	s_wait_alu 0xfffe
	s_and_b32 s0, s1, exec_lo
	s_and_not1_saveexec_b32 s1, s3
	s_cbranch_execz .LBB115_259
.LBB115_275:
	s_wait_alu 0xfffe
	s_or_b32 s0, s0, exec_lo
	s_trap 2
	s_or_b32 exec_lo, exec_lo, s1
	s_wait_alu 0xfffe
	s_and_saveexec_b32 s1, s0
	s_cbranch_execnz .LBB115_260
	s_branch .LBB115_261
.LBB115_276:
	s_mov_b32 s1, exec_lo
	s_trap 2
	s_branch .LBB115_274
	.section	.rodata,"a",@progbits
	.p2align	6, 0x0
	.amdhsa_kernel _ZN2at6native12_GLOBAL__N_112gatherMedianIdjLin1EEEvNS_4cuda6detail10TensorInfoIT_T0_EENS5_IlS7_EENS5_IKS6_S7_EES7_S7_S7_b
		.amdhsa_group_segment_fixed_size 4120
		.amdhsa_private_segment_fixed_size 0
		.amdhsa_kernarg_size 920
		.amdhsa_user_sgpr_count 2
		.amdhsa_user_sgpr_dispatch_ptr 0
		.amdhsa_user_sgpr_queue_ptr 0
		.amdhsa_user_sgpr_kernarg_segment_ptr 1
		.amdhsa_user_sgpr_dispatch_id 0
		.amdhsa_user_sgpr_private_segment_size 0
		.amdhsa_wavefront_size32 1
		.amdhsa_uses_dynamic_stack 0
		.amdhsa_enable_private_segment 0
		.amdhsa_system_sgpr_workgroup_id_x 1
		.amdhsa_system_sgpr_workgroup_id_y 1
		.amdhsa_system_sgpr_workgroup_id_z 1
		.amdhsa_system_sgpr_workgroup_info 0
		.amdhsa_system_vgpr_workitem_id 0
		.amdhsa_next_free_vgpr 56
		.amdhsa_next_free_sgpr 81
		.amdhsa_reserve_vcc 1
		.amdhsa_float_round_mode_32 0
		.amdhsa_float_round_mode_16_64 0
		.amdhsa_float_denorm_mode_32 3
		.amdhsa_float_denorm_mode_16_64 3
		.amdhsa_fp16_overflow 0
		.amdhsa_workgroup_processor_mode 1
		.amdhsa_memory_ordered 1
		.amdhsa_forward_progress 1
		.amdhsa_inst_pref_size 99
		.amdhsa_round_robin_scheduling 0
		.amdhsa_exception_fp_ieee_invalid_op 0
		.amdhsa_exception_fp_denorm_src 0
		.amdhsa_exception_fp_ieee_div_zero 0
		.amdhsa_exception_fp_ieee_overflow 0
		.amdhsa_exception_fp_ieee_underflow 0
		.amdhsa_exception_fp_ieee_inexact 0
		.amdhsa_exception_int_div_zero 0
	.end_amdhsa_kernel
	.section	.text._ZN2at6native12_GLOBAL__N_112gatherMedianIdjLin1EEEvNS_4cuda6detail10TensorInfoIT_T0_EENS5_IlS7_EENS5_IKS6_S7_EES7_S7_S7_b,"axG",@progbits,_ZN2at6native12_GLOBAL__N_112gatherMedianIdjLin1EEEvNS_4cuda6detail10TensorInfoIT_T0_EENS5_IlS7_EENS5_IKS6_S7_EES7_S7_S7_b,comdat
.Lfunc_end115:
	.size	_ZN2at6native12_GLOBAL__N_112gatherMedianIdjLin1EEEvNS_4cuda6detail10TensorInfoIT_T0_EENS5_IlS7_EENS5_IKS6_S7_EES7_S7_S7_b, .Lfunc_end115-_ZN2at6native12_GLOBAL__N_112gatherMedianIdjLin1EEEvNS_4cuda6detail10TensorInfoIT_T0_EENS5_IlS7_EENS5_IKS6_S7_EES7_S7_S7_b
                                        ; -- End function
	.set _ZN2at6native12_GLOBAL__N_112gatherMedianIdjLin1EEEvNS_4cuda6detail10TensorInfoIT_T0_EENS5_IlS7_EENS5_IKS6_S7_EES7_S7_S7_b.num_vgpr, 56
	.set _ZN2at6native12_GLOBAL__N_112gatherMedianIdjLin1EEEvNS_4cuda6detail10TensorInfoIT_T0_EENS5_IlS7_EENS5_IKS6_S7_EES7_S7_S7_b.num_agpr, 0
	.set _ZN2at6native12_GLOBAL__N_112gatherMedianIdjLin1EEEvNS_4cuda6detail10TensorInfoIT_T0_EENS5_IlS7_EENS5_IKS6_S7_EES7_S7_S7_b.numbered_sgpr, 81
	.set _ZN2at6native12_GLOBAL__N_112gatherMedianIdjLin1EEEvNS_4cuda6detail10TensorInfoIT_T0_EENS5_IlS7_EENS5_IKS6_S7_EES7_S7_S7_b.num_named_barrier, 0
	.set _ZN2at6native12_GLOBAL__N_112gatherMedianIdjLin1EEEvNS_4cuda6detail10TensorInfoIT_T0_EENS5_IlS7_EENS5_IKS6_S7_EES7_S7_S7_b.private_seg_size, 0
	.set _ZN2at6native12_GLOBAL__N_112gatherMedianIdjLin1EEEvNS_4cuda6detail10TensorInfoIT_T0_EENS5_IlS7_EENS5_IKS6_S7_EES7_S7_S7_b.uses_vcc, 1
	.set _ZN2at6native12_GLOBAL__N_112gatherMedianIdjLin1EEEvNS_4cuda6detail10TensorInfoIT_T0_EENS5_IlS7_EENS5_IKS6_S7_EES7_S7_S7_b.uses_flat_scratch, 0
	.set _ZN2at6native12_GLOBAL__N_112gatherMedianIdjLin1EEEvNS_4cuda6detail10TensorInfoIT_T0_EENS5_IlS7_EENS5_IKS6_S7_EES7_S7_S7_b.has_dyn_sized_stack, 0
	.set _ZN2at6native12_GLOBAL__N_112gatherMedianIdjLin1EEEvNS_4cuda6detail10TensorInfoIT_T0_EENS5_IlS7_EENS5_IKS6_S7_EES7_S7_S7_b.has_recursion, 0
	.set _ZN2at6native12_GLOBAL__N_112gatherMedianIdjLin1EEEvNS_4cuda6detail10TensorInfoIT_T0_EENS5_IlS7_EENS5_IKS6_S7_EES7_S7_S7_b.has_indirect_call, 0
	.section	.AMDGPU.csdata,"",@progbits
; Kernel info:
; codeLenInByte = 12648
; TotalNumSgprs: 83
; NumVgprs: 56
; ScratchSize: 0
; MemoryBound: 0
; FloatMode: 240
; IeeeMode: 1
; LDSByteSize: 4120 bytes/workgroup (compile time only)
; SGPRBlocks: 0
; VGPRBlocks: 6
; NumSGPRsForWavesPerEU: 83
; NumVGPRsForWavesPerEU: 56
; Occupancy: 16
; WaveLimiterHint : 1
; COMPUTE_PGM_RSRC2:SCRATCH_EN: 0
; COMPUTE_PGM_RSRC2:USER_SGPR: 2
; COMPUTE_PGM_RSRC2:TRAP_HANDLER: 0
; COMPUTE_PGM_RSRC2:TGID_X_EN: 1
; COMPUTE_PGM_RSRC2:TGID_Y_EN: 1
; COMPUTE_PGM_RSRC2:TGID_Z_EN: 1
; COMPUTE_PGM_RSRC2:TIDIG_COMP_CNT: 0
	.section	.text._ZN2at6native12_GLOBAL__N_112gatherMedianIdmLi1EEEvNS_4cuda6detail10TensorInfoIT_T0_EENS5_IlS7_EENS5_IKS6_S7_EES7_S7_S7_b,"axG",@progbits,_ZN2at6native12_GLOBAL__N_112gatherMedianIdmLi1EEEvNS_4cuda6detail10TensorInfoIT_T0_EENS5_IlS7_EENS5_IKS6_S7_EES7_S7_S7_b,comdat
	.globl	_ZN2at6native12_GLOBAL__N_112gatherMedianIdmLi1EEEvNS_4cuda6detail10TensorInfoIT_T0_EENS5_IlS7_EENS5_IKS6_S7_EES7_S7_S7_b ; -- Begin function _ZN2at6native12_GLOBAL__N_112gatherMedianIdmLi1EEEvNS_4cuda6detail10TensorInfoIT_T0_EENS5_IlS7_EENS5_IKS6_S7_EES7_S7_S7_b
	.p2align	8
	.type	_ZN2at6native12_GLOBAL__N_112gatherMedianIdmLi1EEEvNS_4cuda6detail10TensorInfoIT_T0_EENS5_IlS7_EENS5_IKS6_S7_EES7_S7_S7_b,@function
_ZN2at6native12_GLOBAL__N_112gatherMedianIdmLi1EEEvNS_4cuda6detail10TensorInfoIT_T0_EENS5_IlS7_EENS5_IKS6_S7_EES7_S7_S7_b: ; @_ZN2at6native12_GLOBAL__N_112gatherMedianIdmLi1EEEvNS_4cuda6detail10TensorInfoIT_T0_EENS5_IlS7_EENS5_IKS6_S7_EES7_S7_S7_b
; %bb.0:
	s_clause 0x1
	s_load_b64 s[8:9], s[0:1], 0x500
	s_load_b128 s[24:27], s[0:1], 0x4e0
	s_lshr_b32 s2, ttmp7, 16
	s_and_b32 s3, ttmp7, 0xffff
	s_mov_b32 s29, 0
	s_wait_kmcnt 0x0
	s_mul_i32 s2, s9, s2
	s_delay_alu instid0(SALU_CYCLE_1) | instskip(NEXT) | instid1(SALU_CYCLE_1)
	s_add_co_i32 s2, s2, s3
	s_mul_i32 s2, s2, s8
	s_delay_alu instid0(SALU_CYCLE_1) | instskip(NEXT) | instid1(SALU_CYCLE_1)
	s_add_co_i32 s28, s2, ttmp9
	v_cmp_le_u64_e64 s2, s[26:27], s[28:29]
	s_and_b32 vcc_lo, exec_lo, s2
	s_cbranch_vccnz .LBB116_289
; %bb.1:
	s_clause 0x2
	s_load_b64 s[10:11], s[0:1], 0x410
	s_load_b64 s[34:35], s[0:1], 0x4f0
	s_load_b64 s[4:5], s[0:1], 0x340
	v_dual_mov_b32 v1, 0 :: v_dual_mov_b32 v2, 0
	v_mov_b32_e32 v3, 0
	s_add_nc_u64 s[6:7], s[0:1], 0x500
	s_delay_alu instid0(VALU_DEP_2)
	v_cmp_gt_u64_e64 s2, s[24:25], v[0:1]
	s_wait_kmcnt 0x0
	s_mul_u64 s[10:11], s[10:11], s[28:29]
	s_and_saveexec_b32 s9, s2
	s_cbranch_execz .LBB116_5
; %bb.2:
	v_mad_co_u64_u32 v[2:3], null, s34, v0, 0
	s_load_b32 s3, s[6:7], 0xc
	s_lshl_b64 s[14:15], s[10:11], 3
	s_mov_b32 s13, 0
	s_add_nc_u64 s[14:15], s[4:5], s[14:15]
	v_dual_mov_b32 v7, v1 :: v_dual_mov_b32 v6, v0
	v_mad_co_u64_u32 v[3:4], null, s35, v0, v[3:4]
	s_delay_alu instid0(VALU_DEP_1) | instskip(SKIP_4) | instid1(VALU_DEP_3)
	v_lshlrev_b64_e32 v[4:5], 3, v[2:3]
	v_mov_b32_e32 v2, 0
	v_mov_b32_e32 v3, 0
	s_wait_kmcnt 0x0
	s_and_b32 s12, s3, 0xffff
	v_add_co_u32 v4, vcc_lo, s14, v4
	s_delay_alu instid0(VALU_DEP_1)
	v_add_co_ci_u32_e64 v5, null, s15, v5, vcc_lo
	s_mul_u64 s[14:15], s[34:35], s[12:13]
	s_wait_alu 0xfffe
	s_lshl_b64 s[14:15], s[14:15], 3
.LBB116_3:                              ; =>This Inner Loop Header: Depth=1
	global_load_b64 v[8:9], v[4:5], off
	v_add_co_u32 v6, vcc_lo, v6, s12
	s_wait_alu 0xfffd
	v_add_co_ci_u32_e64 v7, null, 0, v7, vcc_lo
	s_wait_alu 0xfffe
	v_add_co_u32 v4, vcc_lo, v4, s14
	s_wait_alu 0xfffd
	v_add_co_ci_u32_e64 v5, null, s15, v5, vcc_lo
	s_wait_loadcnt 0x0
	v_cmp_u_f64_e32 vcc_lo, v[8:9], v[8:9]
	s_wait_alu 0xfffd
	v_cndmask_b32_e64 v8, 0, 1, vcc_lo
	v_cmp_le_u64_e32 vcc_lo, s[24:25], v[6:7]
	s_delay_alu instid0(VALU_DEP_2)
	v_add_co_u32 v2, s3, v2, v8
	s_wait_alu 0xf1ff
	v_add_co_ci_u32_e64 v3, null, 0, v3, s3
	s_or_b32 s13, vcc_lo, s13
	s_wait_alu 0xfffe
	s_and_not1_b32 exec_lo, exec_lo, s13
	s_cbranch_execnz .LBB116_3
; %bb.4:
	s_or_b32 exec_lo, exec_lo, s13
.LBB116_5:
	s_delay_alu instid0(SALU_CYCLE_1)
	s_or_b32 exec_lo, exec_lo, s9
	s_clause 0x3
	s_load_b64 s[30:31], s[0:1], 0x270
	s_load_b64 s[26:27], s[0:1], 0x1a0
	;; [unrolled: 1-line block ×4, first 2 shown]
	v_cmp_eq_u32_e64 s3, 0, v0
	s_and_saveexec_b32 s9, s3
; %bb.6:
	v_mov_b32_e32 v4, 0
	s_delay_alu instid0(VALU_DEP_1)
	v_mov_b32_e32 v5, v4
	ds_store_b64 v4, v[4:5] offset:5136
; %bb.7:
	s_or_b32 exec_lo, exec_lo, s9
	s_mov_b64 s[12:13], 0
	s_mov_b32 s9, exec_lo
	s_wait_dscnt 0x0
	s_barrier_signal -1
	s_barrier_wait -1
	global_inv scope:SCOPE_SE
	v_cmpx_ne_u64_e32 0, v[2:3]
	s_cbranch_execz .LBB116_12
; %bb.8:
	s_mov_b32 s14, exec_lo
.LBB116_9:                              ; =>This Inner Loop Header: Depth=1
	s_wait_alu 0xfffe
	s_ctz_i32_b32 s15, s14
	s_wait_alu 0xfffe
	v_readlane_b32 s17, v3, s15
	v_readlane_b32 s16, v2, s15
	s_lshl_b32 s15, 1, s15
	s_wait_alu 0xfffe
	s_and_not1_b32 s14, s14, s15
	s_wait_alu 0xfffe
	s_cmp_lg_u32 s14, 0
	s_add_nc_u64 s[12:13], s[12:13], s[16:17]
	s_cbranch_scc1 .LBB116_9
; %bb.10:
	v_mbcnt_lo_u32_b32 v2, exec_lo, 0
	s_mov_b32 s14, exec_lo
	s_delay_alu instid0(VALU_DEP_1)
	v_cmpx_eq_u32_e32 0, v2
	s_wait_alu 0xfffe
	s_xor_b32 s14, exec_lo, s14
; %bb.11:
	v_mov_b32_e32 v2, s12
	v_dual_mov_b32 v4, 0 :: v_dual_mov_b32 v3, s13
	ds_add_u64 v4, v[2:3] offset:5136
.LBB116_12:
	s_or_b32 exec_lo, exec_lo, s9
	v_mov_b32_e32 v2, 0
	v_mov_b32_e32 v34, s25
	s_wait_loadcnt_dscnt 0x0
	s_barrier_signal -1
	s_barrier_wait -1
	global_inv scope:SCOPE_SE
	v_mov_b32_e32 v33, s24
	ds_load_b64 v[2:3], v2 offset:5136
	s_load_b32 s0, s[0:1], 0x4f8
	s_wait_dscnt 0x0
	v_cmp_gt_i64_e32 vcc_lo, 1, v[2:3]
	s_wait_kmcnt 0x0
	s_bitcmp1_b32 s0, 0
	s_cselect_b32 s0, -1, 0
	s_delay_alu instid0(SALU_CYCLE_1) | instskip(NEXT) | instid1(SALU_CYCLE_1)
	s_or_b32 s0, s0, vcc_lo
	s_and_not1_b32 vcc_lo, exec_lo, s0
	s_wait_alu 0xfffe
	s_cbranch_vccnz .LBB116_14
; %bb.13:
	v_not_b32_e32 v2, v2
	v_not_b32_e32 v3, v3
	s_delay_alu instid0(VALU_DEP_2) | instskip(SKIP_1) | instid1(VALU_DEP_2)
	v_add_co_u32 v2, vcc_lo, s24, v2
	s_wait_alu 0xfffd
	v_add_co_ci_u32_e64 v3, null, s25, v3, vcc_lo
	s_delay_alu instid0(VALU_DEP_1) | instskip(NEXT) | instid1(VALU_DEP_1)
	v_lshrrev_b64 v[2:3], 1, v[2:3]
	v_add_co_u32 v33, vcc_lo, v2, 1
	s_wait_alu 0xfffd
	s_delay_alu instid0(VALU_DEP_2)
	v_add_co_ci_u32_e64 v34, null, 0, v3, vcc_lo
.LBB116_14:
	s_and_saveexec_b32 s0, s3
	s_cbranch_execz .LBB116_16
; %bb.15:
	v_dual_mov_b32 v2, 0 :: v_dual_mov_b32 v5, s25
	s_delay_alu instid0(VALU_DEP_1)
	v_dual_mov_b32 v4, s24 :: v_dual_mov_b32 v3, v2
	ds_store_b32 v2, v2 offset:5144
	ds_store_b128 v2, v[2:5] offset:5120
.LBB116_16:
	s_or_b32 exec_lo, exec_lo, s0
	v_mad_co_u64_u32 v[2:3], null, s34, v0, 0
	v_mbcnt_lo_u32_b32 v39, -1, 0
	s_lshl_b64 s[10:11], s[10:11], 3
	s_wait_loadcnt_dscnt 0x0
	s_barrier_signal -1
	s_barrier_wait -1
	global_inv scope:SCOPE_SE
	v_mad_co_u64_u32 v[3:4], null, s35, v0, v[3:4]
	v_lshlrev_b64_e64 v[4:5], v39, -1
	v_cmp_gt_u32_e32 vcc_lo, 32, v0
	s_load_b32 s9, s[6:7], 0xc
	s_add_nc_u64 s[46:47], s[4:5], s[10:11]
	v_cmp_gt_i32_e64 s4, 4, v39
	v_dual_mov_b32 v21, 0 :: v_dual_lshlrev_b32 v40, 3, v0
	v_not_b32_e32 v42, v4
	v_lshlrev_b32_e32 v4, 5, v0
	v_lshlrev_b64_e32 v[5:6], 3, v[2:3]
	s_and_b32 s72, vcc_lo, s4
	s_mov_b32 s45, 0
	v_cmp_lt_u64_e64 s33, 0x180, s[24:25]
	v_or_b32_e32 v9, 16, v4
	s_mov_b32 s41, s45
	v_add_co_u32 v16, vcc_lo, s46, v5
	s_wait_alu 0xfffd
	v_add_co_ci_u32_e64 v17, null, s47, v6, vcc_lo
	v_mad_co_u64_u32 v[24:25], null, s34, v9, 0
	v_lshlrev_b64_e32 v[29:30], 5, v[2:3]
	s_wait_kmcnt 0x0
	s_and_b32 s40, s9, 0xffff
	s_bfe_u32 s4, s9, 0xb0005
	s_cmp_gt_u32 s40, 31
	v_mov_b32_e32 v31, 0
	s_cselect_b32 s73, -1, 0
	v_mov_b32_e32 v5, v25
	v_or_b32_e32 v7, 24, v4
	v_or_b32_e32 v10, 8, v4
	s_cmp_lt_u32 ttmp9, s8
	v_cmp_gt_u32_e64 s0, 2, v0
	s_cselect_b32 s44, 12, 18
	v_mad_co_u64_u32 v[22:23], null, s34, v7, 0
	v_add_nc_u32_e32 v41, 0xc00, v40
	v_mad_co_u64_u32 v[26:27], null, s34, v10, 0
	s_add_co_i32 s5, s4, -1
	s_bfe_u32 s74, s40, 0x30005
	s_and_b32 s5, s5, 0xffff
	v_mov_b32_e32 v4, v23
	s_cmp_gt_u32 s5, 6
	s_movk_i32 s5, 0x3e0
	s_cselect_b32 s75, -1, 0
	s_and_b32 s76, s4, 0x7f8
	v_mad_co_u64_u32 v[7:8], null, s35, v7, v[4:5]
	v_mov_b32_e32 v6, v27
	s_cmp_lg_u32 s74, 0
	v_mov_b32_e32 v27, 0
	s_cselect_b32 s77, -1, 0
	s_lshl_b64 s[52:53], s[34:35], 3
	s_lshl_b64 s[54:55], s[34:35], 5
	s_delay_alu instid0(VALU_DEP_3)
	v_mov_b32_e32 v25, v7
	v_mad_co_u64_u32 v[4:5], null, s35, v9, v[5:6]
	v_mad_co_u64_u32 v[5:6], null, s35, v10, v[6:7]
	v_mul_lo_u32 v47, 0, s52
	v_mul_lo_u32 v48, 0, s54
	v_mov_b32_e32 v6, 0
	v_dual_mov_b32 v19, v21 :: v_dual_lshlrev_b32 v18, 2, v0
	v_cmp_eq_u32_e64 s1, 0, v39
	v_and_or_b32 v23, v0, s5, 0xc00
	v_dual_mov_b32 v43, v4 :: v_dual_mov_b32 v44, v5
	v_dual_mov_b32 v28, 0 :: v_dual_lshlrev_b32 v45, 5, v0
	v_lshl_or_b32 v46, v39, 3, 0xc00
	v_dual_mov_b32 v7, 0 :: v_dual_mov_b32 v32, 0
	v_mov_b32_e32 v3, 0x3ff00000
	s_add_nc_u64 s[48:49], s[40:41], -1
	s_mul_u64 s[4:5], s[34:35], s[40:41]
	s_add_nc_u64 s[50:51], s[48:49], s[24:25]
	s_lshl_b32 s78, s40, 3
	s_wait_alu 0xfffe
	s_lshl_b64 s[42:43], s[4:5], 3
	s_mov_b32 s79, 62
	s_add_nc_u64 s[56:57], s[6:7], s[44:45]
	s_mov_b32 s81, 0x4f800000
	s_mov_b32 s80, 0
	;; [unrolled: 1-line block ×3, first 2 shown]
                                        ; implicit-def: $sgpr86
                                        ; implicit-def: $sgpr88
                                        ; implicit-def: $sgpr83
                                        ; implicit-def: $sgpr85
                                        ; implicit-def: $sgpr87
                                        ; implicit-def: $sgpr84
	s_branch .LBB116_20
.LBB116_17:                             ;   in Loop: Header=BB116_20 Depth=1
	s_wait_alu 0xfffe
	s_or_b32 exec_lo, exec_lo, s7
	s_delay_alu instid0(SALU_CYCLE_1)
	s_and_b32 s5, s5, exec_lo
	s_and_not1_b32 s22, s22, exec_lo
	s_and_not1_b32 s21, s21, exec_lo
	s_or_not1_b32 s19, s6, exec_lo
.LBB116_18:                             ;   in Loop: Header=BB116_20 Depth=1
	s_wait_alu 0xfffe
	s_or_b32 exec_lo, exec_lo, s4
	s_delay_alu instid0(SALU_CYCLE_1)
	s_and_not1_b32 s4, s84, exec_lo
	s_and_b32 s5, s5, exec_lo
	s_and_not1_b32 s6, s85, exec_lo
	s_wait_alu 0xfffe
	s_or_b32 s84, s4, s5
	s_and_not1_b32 s4, s87, exec_lo
	s_and_b32 s5, s22, exec_lo
	s_and_b32 s7, s21, exec_lo
	s_wait_alu 0xfffe
	s_or_b32 s87, s4, s5
	s_or_b32 s85, s6, s7
	s_or_not1_b32 s19, s19, exec_lo
.LBB116_19:                             ;   in Loop: Header=BB116_20 Depth=1
	s_or_b32 exec_lo, exec_lo, s18
	s_delay_alu instid0(SALU_CYCLE_1)
	s_and_b32 s4, exec_lo, s19
	v_dual_mov_b32 v34, v13 :: v_dual_mov_b32 v33, v12
	s_wait_alu 0xfffe
	s_or_b32 s80, s4, s80
	s_and_not1_b32 s4, s83, exec_lo
	s_and_b32 s5, s84, exec_lo
	s_and_not1_b32 s6, s88, exec_lo
	s_wait_alu 0xfffe
	s_or_b32 s83, s4, s5
	s_and_b32 s4, s87, exec_lo
	s_and_not1_b32 s5, s86, exec_lo
	s_and_b32 s7, s85, exec_lo
	s_wait_alu 0xfffe
	s_or_b32 s88, s6, s4
	s_or_b32 s86, s5, s7
	s_and_not1_b32 exec_lo, exec_lo, s80
	s_cbranch_execz .LBB116_285
.LBB116_20:                             ; =>This Loop Header: Depth=1
                                        ;     Child Loop BB116_26 Depth 2
                                        ;     Child Loop BB116_39 Depth 2
	;; [unrolled: 1-line block ×16, first 2 shown]
	ds_load_b128 v[8:11], v21 offset:5120
	s_wait_dscnt 0x0
	v_readfirstlane_b32 s59, v9
	v_readfirstlane_b32 s58, v8
	s_cmp_lg_u64 s[58:59], 0
	s_cbranch_scc1 .LBB116_47
; %bb.21:                               ;   in Loop: Header=BB116_20 Depth=1
	s_and_b32 vcc_lo, exec_lo, s33
	s_wait_alu 0xfffe
	s_cbranch_vccz .LBB116_34
; %bb.22:                               ;   in Loop: Header=BB116_20 Depth=1
	v_cmp_gt_u64_e32 vcc_lo, 0x181, v[10:11]
	s_mov_b32 s6, 0
	s_mov_b32 s4, 0
	s_cbranch_vccz .LBB116_35
; %bb.23:                               ;   in Loop: Header=BB116_20 Depth=1
	s_and_saveexec_b32 s7, s2
	s_cbranch_execz .LBB116_147
; %bb.24:                               ;   in Loop: Header=BB116_20 Depth=1
	global_load_u16 v2, v21, s[56:57]
	global_load_b64 v[8:9], v[16:17], off
	s_mov_b32 s8, 0
	s_wait_loadcnt 0x1
	v_and_b32_e32 v2, 0xffff, v2
	s_delay_alu instid0(VALU_DEP_1) | instskip(SKIP_2) | instid1(VALU_DEP_3)
	v_add_nc_u32_e32 v10, v0, v2
	v_mul_lo_u32 v12, v2, s53
	v_mul_hi_u32 v13, v2, s52
	v_mad_co_u64_u32 v[4:5], null, s52, v10, s[46:47]
	s_delay_alu instid0(VALU_DEP_1) | instskip(NEXT) | instid1(VALU_DEP_4)
	v_mad_co_u64_u32 v[10:11], null, s53, v10, v[5:6]
	v_add_nc_u32_e32 v5, v12, v47
	s_delay_alu instid0(VALU_DEP_1) | instskip(NEXT) | instid1(VALU_DEP_3)
	v_add_nc_u32_e32 v15, v5, v13
	v_mov_b32_e32 v5, v10
	v_mul_lo_u32 v14, v2, s52
	v_dual_mov_b32 v11, v1 :: v_dual_mov_b32 v10, v0
	s_branch .LBB116_26
.LBB116_25:                             ;   in Loop: Header=BB116_26 Depth=2
	s_wait_alu 0xfffe
	s_or_b32 exec_lo, exec_lo, s5
	v_add_co_u32 v4, vcc_lo, v4, v14
	s_wait_alu 0xfffd
	v_add_co_ci_u32_e64 v5, null, v5, v15, vcc_lo
	v_dual_mov_b32 v8, v12 :: v_dual_mov_b32 v9, v13
	s_and_not1_b32 exec_lo, exec_lo, s8
	s_cbranch_execz .LBB116_147
.LBB116_26:                             ;   Parent Loop BB116_20 Depth=1
                                        ; =>  This Inner Loop Header: Depth=2
	s_delay_alu instid0(VALU_DEP_1)
	v_add_co_u32 v10, vcc_lo, v10, v2
	v_mov_b32_e32 v12, 0
	s_wait_alu 0xfffd
	v_add_co_ci_u32_e64 v11, null, 0, v11, vcc_lo
	v_mov_b32_e32 v13, 0
	s_mov_b32 s5, exec_lo
	s_delay_alu instid0(VALU_DEP_2)
	v_cmp_le_u64_e32 vcc_lo, s[24:25], v[10:11]
	v_cmpx_gt_u64_e64 s[24:25], v[10:11]
	s_cbranch_execz .LBB116_28
; %bb.27:                               ;   in Loop: Header=BB116_26 Depth=2
	global_load_b64 v[12:13], v[4:5], off
.LBB116_28:                             ;   in Loop: Header=BB116_26 Depth=2
	s_wait_alu 0xfffe
	s_or_b32 exec_lo, exec_lo, s5
	s_wait_loadcnt 0x0
	v_cmp_o_f64_e64 s4, v[8:9], v[8:9]
	s_wait_dscnt 0x0
	v_ashrrev_i32_e32 v20, 31, v9
	s_delay_alu instid0(VALU_DEP_1) | instskip(SKIP_1) | instid1(VALU_DEP_2)
	v_or_b32_e32 v35, 0x80000000, v20
	v_xor_b32_e32 v20, v20, v8
	v_xor_b32_e32 v35, v35, v9
	s_wait_alu 0xf1ff
	s_delay_alu instid0(VALU_DEP_1) | instskip(NEXT) | instid1(VALU_DEP_3)
	v_cndmask_b32_e64 v35, -1, v35, s4
	v_cndmask_b32_e64 v20, -1, v20, s4
	s_delay_alu instid0(VALU_DEP_2) | instskip(NEXT) | instid1(VALU_DEP_2)
	v_and_b32_e32 v36, v35, v32
	v_dual_mov_b32 v20, 0 :: v_dual_and_b32 v35, v20, v31
	s_delay_alu instid0(VALU_DEP_1)
	v_cmp_eq_u64_e64 s4, v[35:36], v[27:28]
	s_cmp_lg_u32 s4, 0
	s_cselect_b32 s5, -1, 0
	s_wait_alu 0xfffe
	s_and_b32 s5, s1, s5
	s_wait_alu 0xfffe
	s_and_saveexec_b32 s9, s5
	s_cbranch_execz .LBB116_32
; %bb.29:                               ;   in Loop: Header=BB116_26 Depth=2
	s_mov_b32 s12, exec_lo
	s_bcnt1_i32_b32 s10, s4
	s_wait_alu 0xfffe
	v_mbcnt_lo_u32_b32 v20, s12, 0
	s_mov_b32 s11, exec_lo
                                        ; implicit-def: $vgpr35
	s_delay_alu instid0(VALU_DEP_1)
	v_cmpx_eq_u32_e32 0, v20
; %bb.30:                               ;   in Loop: Header=BB116_26 Depth=2
	s_bcnt1_i32_b32 s5, s12
	s_wait_alu 0xfffe
	s_mul_i32 s5, s10, s5
	s_wait_alu 0xfffe
	v_mov_b32_e32 v35, s5
	ds_add_rtn_u32 v35, v21, v35 offset:5144
; %bb.31:                               ;   in Loop: Header=BB116_26 Depth=2
	s_or_b32 exec_lo, exec_lo, s11
	s_wait_dscnt 0x0
	v_readfirstlane_b32 s5, v35
	s_wait_alu 0xf1ff
	s_delay_alu instid0(VALU_DEP_1)
	v_mad_u32_u24 v20, s10, v20, s5
.LBB116_32:                             ;   in Loop: Header=BB116_26 Depth=2
	s_wait_alu 0xfffe
	s_or_b32 exec_lo, exec_lo, s9
	ds_bpermute_b32 v20, v21, v20
	s_and_b32 s5, exec_lo, vcc_lo
	s_wait_alu 0xfffe
	s_or_b32 s8, s5, s8
	s_and_saveexec_b32 s5, s4
	s_cbranch_execz .LBB116_25
; %bb.33:                               ;   in Loop: Header=BB116_26 Depth=2
	v_and_b32_e32 v35, s4, v42
	s_delay_alu instid0(VALU_DEP_1) | instskip(NEXT) | instid1(VALU_DEP_1)
	v_bcnt_u32_b32 v35, v35, 0
	v_lshlrev_b32_e32 v35, 3, v35
	s_wait_dscnt 0x0
	s_delay_alu instid0(VALU_DEP_1)
	v_lshl_add_u32 v20, v20, 3, v35
	ds_store_b64 v20, v[8:9]
	s_branch .LBB116_25
.LBB116_34:                             ;   in Loop: Header=BB116_20 Depth=1
	s_mov_b32 s6, -1
	s_mov_b32 s4, 0
.LBB116_35:                             ;   in Loop: Header=BB116_20 Depth=1
	s_wait_alu 0xfffe
	s_and_b32 vcc_lo, exec_lo, s6
	s_wait_alu 0xfffe
	s_cbranch_vccz .LBB116_45
.LBB116_36:                             ;   in Loop: Header=BB116_20 Depth=1
	s_and_saveexec_b32 s5, s2
	s_cbranch_execz .LBB116_42
; %bb.37:                               ;   in Loop: Header=BB116_20 Depth=1
	global_load_u16 v2, v21, s[56:57]
	global_load_b64 v[4:5], v[16:17], off
	v_mov_b32_e32 v8, v0
	s_mov_b32 s6, exec_lo
	s_wait_loadcnt 0x1
	v_and_b32_e32 v2, 0xffff, v2
	s_delay_alu instid0(VALU_DEP_1) | instskip(NEXT) | instid1(VALU_DEP_1)
	v_add_nc_u32_e32 v20, v2, v0
	v_cmpx_gt_u64_e64 s[24:25], v[20:21]
	s_cbranch_execz .LBB116_41
; %bb.38:                               ;   in Loop: Header=BB116_20 Depth=1
	v_mul_lo_u32 v11, v2, s53
	v_mad_co_u64_u32 v[8:9], null, s52, v20, s[46:47]
	v_mul_hi_u32 v12, v2, s52
	v_mul_lo_u32 v35, v2, s52
	v_mov_b32_e32 v15, v1
	s_mov_b32 s7, 0
	v_dual_mov_b32 v14, v0 :: v_dual_add_nc_u32 v13, v11, v47
	v_mad_co_u64_u32 v[9:10], null, s53, v20, v[9:10]
	v_dual_mov_b32 v10, v20 :: v_dual_mov_b32 v11, v21
	s_delay_alu instid0(VALU_DEP_3)
	v_add_nc_u32_e32 v20, v13, v12
.LBB116_39:                             ;   Parent Loop BB116_20 Depth=1
                                        ; =>  This Inner Loop Header: Depth=2
	global_load_b64 v[12:13], v[8:9], off
	v_dual_mov_b32 v37, v11 :: v_dual_mov_b32 v36, v10
	v_lshlrev_b32_e32 v14, 3, v14
	s_delay_alu instid0(VALU_DEP_2) | instskip(SKIP_1) | instid1(VALU_DEP_3)
	v_add_co_u32 v10, vcc_lo, v36, v2
	s_wait_alu 0xfffd
	v_add_co_ci_u32_e64 v11, null, 0, v37, vcc_lo
	v_add_co_u32 v8, vcc_lo, v8, v35
	s_wait_loadcnt 0x1
	ds_store_b64 v14, v[4:5]
	v_cmp_le_u64_e64 s4, s[24:25], v[10:11]
	s_wait_alu 0xfffd
	v_add_co_ci_u32_e64 v9, null, v9, v20, vcc_lo
	v_dual_mov_b32 v14, v36 :: v_dual_mov_b32 v15, v37
	s_wait_alu 0xfffe
	s_delay_alu instid0(VALU_DEP_3)
	s_or_b32 s7, s4, s7
	s_wait_loadcnt 0x0
	v_dual_mov_b32 v4, v12 :: v_dual_mov_b32 v5, v13
	s_wait_alu 0xfffe
	s_and_not1_b32 exec_lo, exec_lo, s7
	s_cbranch_execnz .LBB116_39
; %bb.40:                               ;   in Loop: Header=BB116_20 Depth=1
	s_or_b32 exec_lo, exec_lo, s7
	v_sub_nc_u32_e32 v8, v10, v2
	v_dual_mov_b32 v4, v12 :: v_dual_mov_b32 v5, v13
.LBB116_41:                             ;   in Loop: Header=BB116_20 Depth=1
	s_wait_alu 0xfffe
	s_or_b32 exec_lo, exec_lo, s6
	s_delay_alu instid0(VALU_DEP_2)
	v_lshlrev_b32_e32 v2, 3, v8
	s_wait_loadcnt 0x0
	ds_store_b64 v2, v[4:5]
.LBB116_42:                             ;   in Loop: Header=BB116_20 Depth=1
	s_wait_alu 0xfffe
	s_or_b32 exec_lo, exec_lo, s5
	s_wait_loadcnt_dscnt 0x0
	s_barrier_signal -1
	s_barrier_wait -1
	global_inv scope:SCOPE_SE
	s_and_saveexec_b32 s4, s3
; %bb.43:                               ;   in Loop: Header=BB116_20 Depth=1
	v_dual_mov_b32 v4, s24 :: v_dual_mov_b32 v5, s25
	ds_store_b64 v21, v[4:5] offset:5120
; %bb.44:                               ;   in Loop: Header=BB116_20 Depth=1
	s_wait_alu 0xfffe
	s_or_b32 exec_lo, exec_lo, s4
	s_mov_b32 s4, -1
	s_wait_loadcnt_dscnt 0x0
	s_barrier_signal -1
	s_barrier_wait -1
.LBB116_45:                             ;   in Loop: Header=BB116_20 Depth=1
	s_wait_alu 0xfffe
	s_and_b32 vcc_lo, exec_lo, s4
	s_mov_b64 s[58:59], 0
	s_wait_alu 0xfffe
	s_cbranch_vccz .LBB116_47
; %bb.46:                               ;   in Loop: Header=BB116_20 Depth=1
	s_wait_loadcnt 0x0
	global_inv scope:SCOPE_SE
	ds_load_b64 v[4:5], v21 offset:5120
	s_wait_dscnt 0x0
	v_readfirstlane_b32 s58, v4
.LBB116_47:                             ;   in Loop: Header=BB116_20 Depth=1
	s_delay_alu instid0(VALU_DEP_1)
	s_cmp_lt_i32 s58, 1
	s_mov_b32 s4, -1
                                        ; implicit-def: $vgpr8_vgpr9
                                        ; implicit-def: $vgpr12_vgpr13
	s_cbranch_scc1 .LBB116_57
; %bb.48:                               ;   in Loop: Header=BB116_20 Depth=1
	s_wait_alu 0xfffe
	s_and_b32 vcc_lo, exec_lo, s4
	s_wait_alu 0xfffe
	s_cbranch_vccnz .LBB116_71
.LBB116_49:                             ;   in Loop: Header=BB116_20 Depth=1
	s_lshl_b32 s4, s82, 7
	s_and_saveexec_b32 s5, s1
	s_cbranch_execz .LBB116_51
.LBB116_50:                             ;   in Loop: Header=BB116_20 Depth=1
	s_wait_alu 0xfffe
	v_lshl_add_u32 v2, s4, 3, v23
	ds_store_b128 v2, v[8:11]
	ds_store_b128 v2, v[12:15] offset:16
.LBB116_51:                             ;   in Loop: Header=BB116_20 Depth=1
	s_wait_alu 0xfffe
	s_or_b32 exec_lo, exec_lo, s5
	s_wait_loadcnt_dscnt 0x0
	s_barrier_signal -1
	s_barrier_wait -1
	global_inv scope:SCOPE_SE
	s_and_saveexec_b32 s5, s72
	s_cbranch_execz .LBB116_85
; %bb.52:                               ;   in Loop: Header=BB116_20 Depth=1
	v_mov_b32_e32 v4, 0
	v_mov_b32_e32 v5, 0
	s_and_not1_b32 vcc_lo, exec_lo, s73
	s_wait_alu 0xfffe
	s_cbranch_vccnz .LBB116_84
; %bb.53:                               ;   in Loop: Header=BB116_20 Depth=1
	v_mov_b32_e32 v4, 0
	v_mov_b32_e32 v5, 0
	s_and_not1_b32 vcc_lo, exec_lo, s75
	s_wait_alu 0xfffe
	s_cbranch_vccnz .LBB116_81
; %bb.54:                               ;   in Loop: Header=BB116_20 Depth=1
	v_lshl_add_u32 v2, s82, 10, v46
	s_mov_b32 s6, 0
.LBB116_55:                             ;   Parent Loop BB116_20 Depth=1
                                        ; =>  This Inner Loop Header: Depth=2
	ds_load_2addr_b64 v[8:11], v2 offset1:4
	ds_load_2addr_b64 v[12:15], v2 offset0:8 offset1:12
	ds_load_2addr_b64 v[35:38], v2 offset0:16 offset1:20
	s_wait_alu 0xfffe
	s_add_co_i32 s6, s6, 8
	s_wait_alu 0xfffe
	s_cmp_eq_u32 s76, s6
	s_wait_dscnt 0x2
	v_add_co_u32 v4, vcc_lo, v8, v4
	s_wait_alu 0xfffd
	v_add_co_ci_u32_e64 v5, null, v9, v5, vcc_lo
	s_delay_alu instid0(VALU_DEP_2) | instskip(SKIP_1) | instid1(VALU_DEP_2)
	v_add_co_u32 v4, vcc_lo, v10, v4
	s_wait_alu 0xfffd
	v_add_co_ci_u32_e64 v5, null, v11, v5, vcc_lo
	ds_load_2addr_b64 v[8:11], v2 offset0:24 offset1:28
	s_wait_dscnt 0x2
	v_add_co_u32 v4, vcc_lo, v12, v4
	s_wait_alu 0xfffd
	v_add_co_ci_u32_e64 v5, null, v13, v5, vcc_lo
	v_add_nc_u32_e32 v2, 0x100, v2
	s_delay_alu instid0(VALU_DEP_3) | instskip(SKIP_1) | instid1(VALU_DEP_3)
	v_add_co_u32 v4, vcc_lo, v14, v4
	s_wait_alu 0xfffd
	v_add_co_ci_u32_e64 v5, null, v15, v5, vcc_lo
	s_wait_dscnt 0x1
	s_delay_alu instid0(VALU_DEP_2) | instskip(SKIP_1) | instid1(VALU_DEP_2)
	v_add_co_u32 v4, vcc_lo, v35, v4
	s_wait_alu 0xfffd
	v_add_co_ci_u32_e64 v5, null, v36, v5, vcc_lo
	s_delay_alu instid0(VALU_DEP_2) | instskip(SKIP_1) | instid1(VALU_DEP_2)
	v_add_co_u32 v4, vcc_lo, v37, v4
	s_wait_alu 0xfffd
	v_add_co_ci_u32_e64 v5, null, v38, v5, vcc_lo
	s_wait_dscnt 0x0
	s_delay_alu instid0(VALU_DEP_2) | instskip(SKIP_1) | instid1(VALU_DEP_2)
	v_add_co_u32 v4, vcc_lo, v8, v4
	s_wait_alu 0xfffd
	v_add_co_ci_u32_e64 v5, null, v9, v5, vcc_lo
	s_delay_alu instid0(VALU_DEP_2) | instskip(SKIP_1) | instid1(VALU_DEP_2)
	v_add_co_u32 v4, vcc_lo, v10, v4
	s_wait_alu 0xfffd
	v_add_co_ci_u32_e64 v5, null, v11, v5, vcc_lo
	s_cbranch_scc0 .LBB116_55
; %bb.56:                               ;   in Loop: Header=BB116_20 Depth=1
	s_mov_b32 s6, s76
	s_and_not1_b32 vcc_lo, exec_lo, s77
	s_wait_alu 0xfffe
	s_cbranch_vccz .LBB116_82
	s_branch .LBB116_84
.LBB116_57:                             ;   in Loop: Header=BB116_20 Depth=1
	global_load_u16 v2, v21, s[56:57]
	s_mov_b32 s5, s25
	s_wait_loadcnt 0x0
	v_readfirstlane_b32 s4, v2
	s_wait_alu 0xfffe
	s_and_b32 s6, 0xffff, s4
	s_mov_b32 s4, s45
	s_wait_alu 0xfffe
	s_lshl_b32 s60, s6, 2
	s_cmp_lg_u64 s[4:5], 0
	s_cbranch_scc0 .LBB116_80
; %bb.58:                               ;   in Loop: Header=BB116_20 Depth=1
	s_wait_alu 0xfffe
	s_cvt_f32_u32 s4, s60
	s_mov_b32 s61, s45
	s_wait_alu 0xfffe
	s_sub_nc_u64 s[6:7], 0, s[60:61]
	s_fmamk_f32 s4, s81, 0x0, s4
	s_wait_alu 0xfffe
	s_delay_alu instid0(SALU_CYCLE_2) | instskip(NEXT) | instid1(TRANS32_DEP_1)
	v_s_rcp_f32 s4, s4
	s_mul_f32 s4, s4, 0x5f7ffffc
	s_wait_alu 0xfffe
	s_delay_alu instid0(SALU_CYCLE_2) | instskip(SKIP_1) | instid1(SALU_CYCLE_2)
	s_mul_f32 s5, s4, 0x2f800000
	s_wait_alu 0xfffe
	s_trunc_f32 s5, s5
	s_wait_alu 0xfffe
	s_delay_alu instid0(SALU_CYCLE_2) | instskip(SKIP_2) | instid1(SALU_CYCLE_1)
	s_fmamk_f32 s4, s5, 0xcf800000, s4
	s_cvt_u32_f32 s5, s5
	s_wait_alu 0xfffe
	s_cvt_u32_f32 s4, s4
	s_wait_alu 0xfffe
	s_delay_alu instid0(SALU_CYCLE_2)
	s_mul_u64 s[8:9], s[6:7], s[4:5]
	s_wait_alu 0xfffe
	s_mul_hi_u32 s11, s4, s9
	s_mul_i32 s10, s4, s9
	s_mul_hi_u32 s44, s4, s8
	s_mul_i32 s13, s5, s8
	s_wait_alu 0xfffe
	s_add_nc_u64 s[10:11], s[44:45], s[10:11]
	s_mul_hi_u32 s12, s5, s8
	s_mul_hi_u32 s14, s5, s9
	s_mul_i32 s8, s5, s9
	s_wait_alu 0xfffe
	s_add_co_u32 s9, s10, s13
	s_add_co_ci_u32 s44, s11, s12
	s_add_co_ci_u32 s9, s14, 0
	s_wait_alu 0xfffe
	s_add_nc_u64 s[8:9], s[44:45], s[8:9]
	s_wait_alu 0xfffe
	s_add_co_u32 s4, s4, s8
	s_cselect_b32 s8, -1, 0
	s_wait_alu 0xfffe
	s_cmp_lg_u32 s8, 0
	s_add_co_ci_u32 s5, s5, s9
	s_wait_alu 0xfffe
	s_mul_u64 s[6:7], s[6:7], s[4:5]
	s_wait_alu 0xfffe
	s_mul_hi_u32 s9, s4, s7
	s_mul_i32 s8, s4, s7
	s_mul_hi_u32 s44, s4, s6
	s_mul_i32 s11, s5, s6
	s_wait_alu 0xfffe
	s_add_nc_u64 s[8:9], s[44:45], s[8:9]
	s_mul_hi_u32 s10, s5, s6
	s_mul_hi_u32 s12, s5, s7
	s_mul_i32 s6, s5, s7
	s_wait_alu 0xfffe
	s_add_co_u32 s7, s8, s11
	s_add_co_ci_u32 s44, s9, s10
	s_add_co_ci_u32 s7, s12, 0
	s_wait_alu 0xfffe
	s_add_nc_u64 s[6:7], s[44:45], s[6:7]
	s_wait_alu 0xfffe
	s_add_co_u32 s4, s4, s6
	s_cselect_b32 s6, -1, 0
	s_wait_alu 0xfffe
	s_mul_hi_u32 s44, s24, s4
	s_cmp_lg_u32 s6, 0
	s_mul_hi_u32 s8, s25, s4
	s_add_co_ci_u32 s6, s5, s7
	s_mul_i32 s7, s25, s4
	s_wait_alu 0xfffe
	s_mul_hi_u32 s5, s24, s6
	s_mul_i32 s4, s24, s6
	s_mul_hi_u32 s9, s25, s6
	s_wait_alu 0xfffe
	s_add_nc_u64 s[4:5], s[44:45], s[4:5]
	s_mul_i32 s6, s25, s6
	s_wait_alu 0xfffe
	s_add_co_u32 s4, s4, s7
	s_add_co_ci_u32 s44, s5, s8
	s_add_co_ci_u32 s7, s9, 0
	s_wait_alu 0xfffe
	s_add_nc_u64 s[4:5], s[44:45], s[6:7]
	s_wait_alu 0xfffe
	s_mul_u64 s[4:5], s[60:61], s[4:5]
	s_wait_alu 0xfffe
	s_sub_co_u32 s4, s24, s4
	s_cselect_b32 s6, -1, 0
	s_wait_alu 0xfffe
	s_cmp_lg_u32 s6, 0
	s_sub_co_ci_u32 s5, s25, s5
	s_sub_co_u32 s6, s4, s60
	s_cselect_b32 s7, -1, 0
	s_wait_alu 0xfffe
	s_cmp_lg_u32 s7, 0
	s_sub_co_ci_u32 s7, s5, 0
	;; [unrolled: 5-line block ×3, first 2 shown]
	s_cmp_ge_u32 s6, s60
	s_cselect_b32 s10, -1, 0
	s_cmp_eq_u32 s7, 0
	s_wait_alu 0xfffe
	s_cselect_b32 s10, s10, -1
	s_wait_alu 0xfffe
	s_cmp_lg_u32 s10, 0
	s_cselect_b32 s7, s9, s7
	s_cselect_b32 s6, s8, s6
	s_cmp_ge_u32 s4, s60
	s_cselect_b32 s8, -1, 0
	s_cmp_eq_u32 s5, 0
	s_wait_alu 0xfffe
	s_cselect_b32 s8, s8, -1
	s_wait_alu 0xfffe
	s_cmp_lg_u32 s8, 0
	s_cselect_b32 s5, s7, s5
	s_cselect_b32 s4, s6, s4
	s_cbranch_execnz .LBB116_60
.LBB116_59:                             ;   in Loop: Header=BB116_20 Depth=1
	s_wait_alu 0xfffe
	v_cvt_f32_u32_e32 v4, s60
	s_sub_co_i32 s5, 0, s60
	s_delay_alu instid0(VALU_DEP_1) | instskip(NEXT) | instid1(TRANS32_DEP_1)
	v_rcp_iflag_f32_e32 v4, v4
	v_mul_f32_e32 v4, 0x4f7ffffe, v4
	s_delay_alu instid0(VALU_DEP_1) | instskip(NEXT) | instid1(VALU_DEP_1)
	v_cvt_u32_f32_e32 v4, v4
	v_readfirstlane_b32 s4, v4
	s_wait_alu 0xfffe
	s_mul_i32 s5, s5, s4
	s_wait_alu 0xfffe
	s_mul_hi_u32 s5, s4, s5
	s_wait_alu 0xfffe
	s_add_co_i32 s4, s4, s5
	s_wait_alu 0xfffe
	s_mul_hi_u32 s4, s24, s4
	s_wait_alu 0xfffe
	s_mul_i32 s4, s4, s60
	s_wait_alu 0xfffe
	s_sub_co_i32 s4, s24, s4
	s_wait_alu 0xfffe
	s_sub_co_i32 s5, s4, s60
	s_cmp_ge_u32 s4, s60
	s_wait_alu 0xfffe
	s_cselect_b32 s4, s5, s4
	s_wait_alu 0xfffe
	s_sub_co_i32 s5, s4, s60
	s_cmp_ge_u32 s4, s60
	s_wait_alu 0xfffe
	s_cselect_b32 s44, s5, s4
	s_wait_alu 0xfffe
	s_mov_b64 s[4:5], s[44:45]
.LBB116_60:                             ;   in Loop: Header=BB116_20 Depth=1
	v_mov_b32_e32 v8, 0
	v_dual_mov_b32 v12, 0 :: v_dual_mov_b32 v9, 0
	v_dual_mov_b32 v10, 0 :: v_dual_mov_b32 v13, 0
	;; [unrolled: 1-line block ×3, first 2 shown]
	v_dual_mov_b32 v15, 0 :: v_dual_and_b32 v2, 0xffff, v2
	s_wait_alu 0xfffe
	s_sub_nc_u64 s[62:63], s[24:25], s[4:5]
	s_mov_b32 s59, exec_lo
	s_wait_alu 0xfffe
	v_cmpx_gt_u64_e64 s[62:63], v[18:19]
	s_cbranch_execz .LBB116_64
; %bb.61:                               ;   in Loop: Header=BB116_20 Depth=1
	v_mul_lo_u32 v4, v2, s55
	v_mul_hi_u32 v8, v2, s54
	v_mul_lo_u32 v37, v2, s54
	v_dual_mov_b32 v36, v19 :: v_dual_mov_b32 v35, v18
	s_mov_b64 s[64:65], 0
	s_mov_b32 s61, 0
	s_mov_b64 s[66:67], 0
	s_delay_alu instid0(VALU_DEP_4) | instskip(SKIP_3) | instid1(VALU_DEP_2)
	v_dual_mov_b32 v4, s46 :: v_dual_add_nc_u32 v9, v4, v48
	v_mov_b32_e32 v5, s47
	s_mov_b64 s[68:69], 0
	s_mov_b64 s[70:71], 0
	v_add_nc_u32_e32 v38, v9, v8
.LBB116_62:                             ;   Parent Loop BB116_20 Depth=1
                                        ; =>  This Inner Loop Header: Depth=2
	v_add_co_u32 v8, vcc_lo, v4, v29
	s_wait_alu 0xfffd
	v_add_co_ci_u32_e64 v9, null, v5, v30, vcc_lo
	v_add_co_u32 v10, vcc_lo, v4, v26
	s_wait_alu 0xfffd
	v_add_co_ci_u32_e64 v11, null, v5, v44, vcc_lo
	;; [unrolled: 3-line block ×4, first 2 shown]
	s_clause 0x3
	global_load_b64 v[8:9], v[8:9], off
	global_load_b64 v[10:11], v[10:11], off
	;; [unrolled: 1-line block ×4, first 2 shown]
	v_add_co_u32 v35, vcc_lo, v35, s60
	s_wait_alu 0xfffd
	v_add_co_ci_u32_e64 v36, null, 0, v36, vcc_lo
	v_add_co_u32 v4, vcc_lo, v4, v37
	s_wait_alu 0xfffd
	v_add_co_ci_u32_e64 v5, null, v5, v38, vcc_lo
	s_delay_alu instid0(VALU_DEP_3)
	v_cmp_le_u64_e32 vcc_lo, s[62:63], v[35:36]
	s_wait_loadcnt 0x3
	v_cmp_o_f64_e64 s4, v[8:9], v[8:9]
	s_wait_loadcnt 0x2
	v_cmp_o_f64_e64 s5, v[10:11], v[10:11]
	;; [unrolled: 2-line block ×4, first 2 shown]
	v_ashrrev_i32_e32 v20, 31, v9
	v_ashrrev_i32_e32 v49, 31, v11
	;; [unrolled: 1-line block ×4, first 2 shown]
	s_delay_alu instid0(VALU_DEP_4) | instskip(NEXT) | instid1(VALU_DEP_4)
	v_or_b32_e32 v55, 0x80000000, v20
	v_or_b32_e32 v56, 0x80000000, v49
	s_delay_alu instid0(VALU_DEP_4) | instskip(NEXT) | instid1(VALU_DEP_4)
	v_or_b32_e32 v57, 0x80000000, v51
	v_or_b32_e32 v58, 0x80000000, v53
	v_xor_b32_e32 v20, v20, v8
	v_xor_b32_e32 v55, v55, v9
	;; [unrolled: 1-line block ×8, first 2 shown]
	s_wait_alu 0xf1ff
	v_cndmask_b32_e64 v9, -1, v55, s4
	v_cndmask_b32_e64 v11, -1, v8, s5
	;; [unrolled: 1-line block ×7, first 2 shown]
	v_dual_mov_b32 v50, v21 :: v_dual_and_b32 v55, v8, v31
	v_and_b32_e32 v56, v9, v32
	v_lshrrev_b64 v[8:9], s79, v[8:9]
	v_cndmask_b32_e64 v14, -1, v53, s7
	v_dual_mov_b32 v52, v21 :: v_dual_and_b32 v57, v10, v31
	v_lshrrev_b64 v[9:10], s79, v[10:11]
	v_and_b32_e32 v58, v11, v32
	v_lshrrev_b64 v[10:11], s79, v[12:13]
	v_dual_mov_b32 v54, v21 :: v_dual_and_b32 v59, v12, v31
	v_lshrrev_b64 v[11:12], s79, v[14:15]
	v_and_b32_e32 v20, 3, v8
	v_and_b32_e32 v49, 3, v9
	;; [unrolled: 1-line block ×4, first 2 shown]
	v_cmp_eq_u64_e64 s4, v[55:56], v[27:28]
	v_cmp_eq_u64_e64 s8, 0, v[20:21]
	v_and_b32_e32 v62, v15, v32
	v_and_b32_e32 v61, v14, v31
	v_and_b32_e32 v53, 3, v11
	v_cmp_eq_u64_e64 s5, v[57:58], v[27:28]
	v_cmp_eq_u64_e64 s9, 0, v[49:50]
	;; [unrolled: 1-line block ×6, first 2 shown]
	s_and_b32 s8, s4, s8
	v_cmp_eq_u64_e64 s12, 1, v[20:21]
	s_wait_alu 0xfffe
	v_cndmask_b32_e64 v8, 0, 1, s8
	s_and_b32 s8, s5, s9
	v_cmp_eq_u64_e64 s13, 1, v[49:50]
	s_wait_alu 0xfffe
	v_cndmask_b32_e64 v9, 0, 1, s8
	;; [unrolled: 4-line block ×4, first 2 shown]
	s_and_b32 s8, s4, s12
	v_cmp_eq_u64_e64 s16, 2, v[20:21]
	v_cmp_eq_u64_e64 s20, 3, v[20:21]
	s_wait_alu 0xfffe
	v_cndmask_b32_e64 v12, 0, 1, s8
	s_and_b32 s8, s5, s13
	v_cmp_eq_u64_e64 s21, 3, v[49:50]
	s_wait_alu 0xfffe
	v_cndmask_b32_e64 v13, 0, 1, s8
	s_and_b32 s8, s6, s14
	v_cmp_eq_u64_e64 s17, 2, v[49:50]
	v_cmp_eq_u64_e64 s22, 3, v[51:52]
	s_wait_alu 0xfffe
	v_cndmask_b32_e64 v14, 0, 1, s8
	s_and_b32 s8, s7, s15
	v_cmp_eq_u64_e64 s18, 2, v[51:52]
	v_cmp_eq_u64_e64 s23, 3, v[53:54]
	s_wait_alu 0xfffe
	v_cndmask_b32_e64 v15, 0, 1, s8
	s_and_b32 s8, s4, s16
	s_and_b32 s4, s4, s20
	v_cmp_eq_u64_e64 s19, 2, v[53:54]
	s_wait_alu 0xfffe
	v_cndmask_b32_e64 v52, 0, 1, s4
	s_and_b32 s4, s5, s21
	v_cndmask_b32_e64 v20, 0, 1, s8
	s_and_b32 s8, s5, s17
	s_wait_alu 0xfffe
	v_cndmask_b32_e64 v53, 0, 1, s4
	s_and_b32 s4, s6, s22
	v_cndmask_b32_e64 v49, 0, 1, s8
	s_and_b32 s8, s6, s18
	;; [unrolled: 5-line block ×3, first 2 shown]
	s_wait_alu 0xfffe
	v_cndmask_b32_e64 v55, 0, 1, s4
	v_cmp_ne_u32_e64 s4, 0, v8
	v_cmp_ne_u32_e64 s5, 0, v9
	v_cndmask_b32_e64 v51, 0, 1, s8
	v_cmp_ne_u32_e64 s6, 0, v10
	v_cmp_ne_u32_e64 s8, 0, v12
	;; [unrolled: 1-line block ×7, first 2 shown]
	s_bcnt1_i32_b32 s4, s4
	s_bcnt1_i32_b32 s5, s5
	v_cmp_ne_u32_e64 s11, 0, v15
	v_cmp_ne_u32_e64 s14, 0, v50
	;; [unrolled: 1-line block ×4, first 2 shown]
	s_bcnt1_i32_b32 s6, s6
	s_bcnt1_i32_b32 s8, s8
	;; [unrolled: 1-line block ×3, first 2 shown]
	s_wait_alu 0xfffe
	s_add_co_i32 s4, s5, s4
	v_cmp_ne_u32_e64 s15, 0, v51
	v_cmp_ne_u32_e64 s18, 0, v54
	s_bcnt1_i32_b32 s7, s7
	s_bcnt1_i32_b32 s10, s10
	;; [unrolled: 1-line block ×4, first 2 shown]
	s_add_co_i32 s5, s9, s8
	s_wait_alu 0xfffe
	s_add_co_i32 s4, s4, s6
	v_cmp_ne_u32_e64 s19, 0, v55
	s_bcnt1_i32_b32 s11, s11
	s_bcnt1_i32_b32 s14, s14
	;; [unrolled: 1-line block ×4, first 2 shown]
	s_add_co_i32 s8, s13, s12
	s_add_co_i32 s5, s5, s10
	s_wait_alu 0xfffe
	s_add_co_i32 s44, s4, s7
	s_bcnt1_i32_b32 s15, s15
	s_bcnt1_i32_b32 s18, s18
	s_add_co_i32 s9, s17, s16
	s_add_co_i32 s6, s8, s14
	s_wait_alu 0xfffe
	s_add_nc_u64 s[70:71], s[70:71], s[44:45]
	s_add_co_i32 s44, s5, s11
	s_bcnt1_i32_b32 s19, s19
	s_add_co_i32 s8, s9, s18
	s_wait_alu 0xfffe
	s_add_nc_u64 s[68:69], s[68:69], s[44:45]
	s_add_co_i32 s44, s6, s15
	v_mov_b32_e32 v8, s70
	s_wait_alu 0xfffe
	s_add_nc_u64 s[66:67], s[66:67], s[44:45]
	s_add_co_i32 s44, s8, s19
	v_mov_b32_e32 v10, s68
	s_wait_alu 0xfffe
	s_add_nc_u64 s[64:65], s[64:65], s[44:45]
	v_mov_b32_e32 v12, s66
	s_wait_alu 0xfffe
	v_dual_mov_b32 v14, s64 :: v_dual_mov_b32 v9, s71
	v_mov_b32_e32 v11, s69
	v_mov_b32_e32 v13, s67
	;; [unrolled: 1-line block ×3, first 2 shown]
	s_or_b32 s61, vcc_lo, s61
	s_wait_alu 0xfffe
	s_and_not1_b32 exec_lo, exec_lo, s61
	s_cbranch_execnz .LBB116_62
; %bb.63:                               ;   in Loop: Header=BB116_20 Depth=1
	s_or_b32 exec_lo, exec_lo, s61
.LBB116_64:                             ;   in Loop: Header=BB116_20 Depth=1
	s_delay_alu instid0(SALU_CYCLE_1)
	s_or_b32 exec_lo, exec_lo, s59
	v_add_co_u32 v4, s4, s62, v0
	s_wait_alu 0xf1ff
	v_add_co_ci_u32_e64 v5, null, s63, 0, s4
	s_mov_b32 s8, exec_lo
	v_cmpx_gt_u64_e64 s[24:25], v[4:5]
	s_cbranch_execz .LBB116_70
; %bb.65:                               ;   in Loop: Header=BB116_20 Depth=1
	v_mul_lo_u32 v20, v5, s34
	v_mul_lo_u32 v37, v4, s35
	v_mad_co_u64_u32 v[35:36], null, v4, s34, 0
	s_mov_b32 s9, 0
	v_add3_u32 v36, v36, v37, v20
	s_delay_alu instid0(VALU_DEP_1) | instskip(NEXT) | instid1(VALU_DEP_1)
	v_lshlrev_b64_e32 v[35:36], 3, v[35:36]
	v_add_co_u32 v35, vcc_lo, s46, v35
	s_wait_alu 0xfffd
	s_delay_alu instid0(VALU_DEP_2)
	v_add_co_ci_u32_e64 v36, null, s47, v36, vcc_lo
	global_load_b64 v[37:38], v[35:36], off
	s_branch .LBB116_67
.LBB116_66:                             ;   in Loop: Header=BB116_67 Depth=2
	s_wait_alu 0xfffe
	s_or_b32 exec_lo, exec_lo, s5
	s_wait_loadcnt 0x0
	v_cmp_o_f64_e64 s4, v[37:38], v[37:38]
	v_ashrrev_i32_e32 v20, 31, v38
	s_and_b32 s6, exec_lo, vcc_lo
	s_wait_alu 0xfffe
	s_or_b32 s9, s6, s9
	s_delay_alu instid0(VALU_DEP_1) | instskip(SKIP_1) | instid1(VALU_DEP_2)
	v_or_b32_e32 v49, 0x80000000, v20
	v_xor_b32_e32 v20, v20, v37
	v_xor_b32_e32 v49, v49, v38
	s_delay_alu instid0(VALU_DEP_1) | instskip(NEXT) | instid1(VALU_DEP_3)
	v_cndmask_b32_e64 v38, -1, v49, s4
	v_cndmask_b32_e64 v37, -1, v20, s4
	s_delay_alu instid0(VALU_DEP_1) | instskip(SKIP_2) | instid1(VALU_DEP_3)
	v_lshrrev_b64 v[49:50], s79, v[37:38]
	v_and_b32_e32 v38, v38, v32
	v_and_b32_e32 v37, v37, v31
	v_and_b32_e32 v20, 3, v49
	s_delay_alu instid0(VALU_DEP_2) | instskip(NEXT) | instid1(VALU_DEP_2)
	v_cmp_eq_u64_e64 s4, v[37:38], v[27:28]
	v_cmp_eq_u64_e64 s5, 0, v[20:21]
	v_cmp_eq_u64_e32 vcc_lo, 1, v[20:21]
	v_cmp_eq_u64_e64 s6, 2, v[20:21]
	v_cmp_eq_u64_e64 s7, 3, v[20:21]
	s_and_b32 s5, s4, s5
	s_wait_alu 0xfffe
	v_cndmask_b32_e64 v20, 0, 1, s5
	s_and_b32 s5, s4, vcc_lo
	s_wait_alu 0xfffe
	v_cndmask_b32_e64 v37, 0, 1, s5
	s_and_b32 s5, s4, s6
	s_and_b32 s4, s4, s7
	s_wait_alu 0xfffe
	v_cndmask_b32_e64 v38, 0, 1, s5
	v_cmp_ne_u32_e32 vcc_lo, 0, v20
	v_cndmask_b32_e64 v49, 0, 1, s4
	v_cmp_ne_u32_e64 s4, 0, v37
	s_delay_alu instid0(VALU_DEP_4)
	v_cmp_ne_u32_e64 s5, 0, v38
	s_bcnt1_i32_b32 s7, vcc_lo
	v_cmp_ne_u32_e64 s6, 0, v49
	s_bcnt1_i32_b32 s4, s4
	s_wait_alu 0xfffe
	v_add_co_u32 v8, vcc_lo, v8, s7
	s_bcnt1_i32_b32 s5, s5
	s_wait_alu 0xfffd
	v_add_co_ci_u32_e64 v9, null, 0, v9, vcc_lo
	v_add_co_u32 v10, vcc_lo, v10, s4
	s_bcnt1_i32_b32 s6, s6
	s_wait_alu 0xfffd
	v_add_co_ci_u32_e64 v11, null, 0, v11, vcc_lo
	s_wait_alu 0xfffe
	v_add_co_u32 v12, vcc_lo, v12, s5
	s_wait_alu 0xfffd
	v_add_co_ci_u32_e64 v13, null, 0, v13, vcc_lo
	v_add_co_u32 v14, vcc_lo, v14, s6
	v_mov_b32_e32 v38, v36
	s_wait_alu 0xfffd
	v_add_co_ci_u32_e64 v15, null, 0, v15, vcc_lo
	v_mov_b32_e32 v37, v35
	s_and_not1_b32 exec_lo, exec_lo, s9
	s_cbranch_execz .LBB116_69
.LBB116_67:                             ;   Parent Loop BB116_20 Depth=1
                                        ; =>  This Inner Loop Header: Depth=2
	v_add_co_u32 v4, vcc_lo, v4, v2
	v_mov_b32_e32 v35, 0
	s_wait_alu 0xfffd
	v_add_co_ci_u32_e64 v5, null, 0, v5, vcc_lo
	v_mov_b32_e32 v36, 0
	s_mov_b32 s5, exec_lo
	s_delay_alu instid0(VALU_DEP_2)
	v_cmp_le_u64_e32 vcc_lo, s[24:25], v[4:5]
	v_cmpx_gt_u64_e64 s[24:25], v[4:5]
	s_cbranch_execz .LBB116_66
; %bb.68:                               ;   in Loop: Header=BB116_67 Depth=2
	v_mul_lo_u32 v20, v5, s34
	v_mul_lo_u32 v49, v4, s35
	v_mad_co_u64_u32 v[35:36], null, v4, s34, 0
	s_delay_alu instid0(VALU_DEP_1) | instskip(NEXT) | instid1(VALU_DEP_1)
	v_add3_u32 v36, v36, v49, v20
	v_lshlrev_b64_e32 v[35:36], 3, v[35:36]
	s_delay_alu instid0(VALU_DEP_1) | instskip(SKIP_1) | instid1(VALU_DEP_2)
	v_add_co_u32 v35, s4, s46, v35
	s_wait_alu 0xf1ff
	v_add_co_ci_u32_e64 v36, null, s47, v36, s4
	global_load_b64 v[35:36], v[35:36], off
	s_branch .LBB116_66
.LBB116_69:                             ;   in Loop: Header=BB116_20 Depth=1
	s_or_b32 exec_lo, exec_lo, s9
.LBB116_70:                             ;   in Loop: Header=BB116_20 Depth=1
	s_wait_alu 0xfffe
	s_or_b32 exec_lo, exec_lo, s8
	s_branch .LBB116_49
.LBB116_71:                             ;   in Loop: Header=BB116_20 Depth=1
	global_load_u16 v2, v21, s[56:57]
	v_mov_b32_e32 v8, 0
	v_mov_b32_e32 v10, 0
	;; [unrolled: 1-line block ×3, first 2 shown]
	v_dual_mov_b32 v14, 0 :: v_dual_mov_b32 v11, 0
	v_mov_b32_e32 v13, 0
	v_mov_b32_e32 v15, 0
	s_mov_b32 s70, exec_lo
	v_mov_b32_e32 v9, 0
	s_wait_loadcnt 0x0
	v_readfirstlane_b32 s4, v2
	v_and_b32_e32 v2, 0xffff, v2
	s_and_b32 s59, 0xffff, s4
	s_delay_alu instid0(SALU_CYCLE_1) | instskip(SKIP_4) | instid1(SALU_CYCLE_1)
	s_lshl_b32 s69, s59, 2
	s_wait_alu 0xfffe
	s_cvt_f32_u32 s4, s69
	s_sub_co_i32 s5, 0, s69
	s_wait_alu 0xfffe
	v_rcp_iflag_f32_e32 v4, s4
	s_delay_alu instid0(TRANS32_DEP_1) | instskip(SKIP_2) | instid1(SALU_CYCLE_2)
	v_readfirstlane_b32 s4, v4
	s_mul_f32 s4, s4, 0x4f7ffffe
	s_wait_alu 0xfffe
	s_cvt_u32_f32 s4, s4
	s_wait_alu 0xfffe
	s_delay_alu instid0(SALU_CYCLE_2)
	s_mul_i32 s5, s5, s4
	s_wait_alu 0xfffe
	s_mul_hi_u32 s5, s4, s5
	s_wait_alu 0xfffe
	s_add_co_i32 s4, s4, s5
	s_wait_alu 0xfffe
	s_mul_hi_u32 s4, s58, s4
	s_wait_alu 0xfffe
	s_mul_i32 s5, s4, s69
	s_add_co_i32 s6, s4, 1
	s_wait_alu 0xfffe
	s_sub_co_i32 s5, s58, s5
	s_wait_alu 0xfffe
	s_sub_co_i32 s7, s5, s69
	s_cmp_ge_u32 s5, s69
	s_cselect_b32 s4, s6, s4
	s_wait_alu 0xfffe
	s_cselect_b32 s5, s7, s5
	s_add_co_i32 s6, s4, 1
	s_wait_alu 0xfffe
	s_cmp_ge_u32 s5, s69
	s_cselect_b32 s68, s6, s4
	s_wait_alu 0xfffe
	v_mul_hi_u32 v5, s68, v2
	v_mul_lo_u32 v4, s68, v2
	s_delay_alu instid0(VALU_DEP_1) | instskip(NEXT) | instid1(VALU_DEP_1)
	v_lshlrev_b64_e32 v[4:5], 2, v[4:5]
	v_cmpx_gt_u64_e64 v[4:5], v[18:19]
	s_cbranch_execz .LBB116_75
; %bb.72:                               ;   in Loop: Header=BB116_20 Depth=1
	v_dual_mov_b32 v37, v45 :: v_dual_mov_b32 v36, v19
	v_mov_b32_e32 v35, v18
	s_lshl_b32 s71, s59, 5
	s_mov_b64 s[60:61], 0
	s_mov_b32 s89, 0
	s_mov_b64 s[62:63], 0
	s_mov_b64 s[64:65], 0
	;; [unrolled: 1-line block ×3, first 2 shown]
.LBB116_73:                             ;   Parent Loop BB116_20 Depth=1
                                        ; =>  This Inner Loop Header: Depth=2
	ds_load_b128 v[8:11], v37
	ds_load_b128 v[12:15], v37 offset:16
	s_wait_alu 0xfffe
	v_dual_mov_b32 v50, v21 :: v_dual_add_nc_u32 v37, s71, v37
	v_add_co_u32 v35, vcc_lo, v35, s69
	s_wait_alu 0xfffd
	v_add_co_ci_u32_e64 v36, null, 0, v36, vcc_lo
	s_delay_alu instid0(VALU_DEP_1)
	v_cmp_ge_u64_e32 vcc_lo, v[35:36], v[4:5]
	s_wait_dscnt 0x1
	v_cmp_o_f64_e64 s4, v[8:9], v[8:9]
	v_cmp_o_f64_e64 s5, v[10:11], v[10:11]
	s_wait_dscnt 0x0
	v_cmp_o_f64_e64 s6, v[12:13], v[12:13]
	v_cmp_o_f64_e64 s7, v[14:15], v[14:15]
	v_ashrrev_i32_e32 v20, 31, v9
	v_ashrrev_i32_e32 v38, 31, v11
	;; [unrolled: 1-line block ×4, first 2 shown]
	s_delay_alu instid0(VALU_DEP_4) | instskip(NEXT) | instid1(VALU_DEP_4)
	v_or_b32_e32 v53, 0x80000000, v20
	v_or_b32_e32 v55, 0x80000000, v38
	s_delay_alu instid0(VALU_DEP_4) | instskip(NEXT) | instid1(VALU_DEP_4)
	v_or_b32_e32 v56, 0x80000000, v49
	v_or_b32_e32 v57, 0x80000000, v51
	v_xor_b32_e32 v20, v20, v8
	v_xor_b32_e32 v53, v53, v9
	;; [unrolled: 1-line block ×8, first 2 shown]
	s_wait_alu 0xf1ff
	v_cndmask_b32_e64 v9, -1, v53, s4
	v_cndmask_b32_e64 v11, -1, v8, s5
	;; [unrolled: 1-line block ×7, first 2 shown]
	v_dual_mov_b32 v52, v21 :: v_dual_and_b32 v55, v8, v31
	v_and_b32_e32 v56, v9, v32
	v_lshrrev_b64 v[8:9], s79, v[8:9]
	v_cndmask_b32_e64 v14, -1, v51, s7
	v_dual_mov_b32 v54, v21 :: v_dual_and_b32 v57, v10, v31
	v_lshrrev_b64 v[9:10], s79, v[10:11]
	v_and_b32_e32 v58, v11, v32
	v_lshrrev_b64 v[10:11], s79, v[12:13]
	v_and_b32_e32 v59, v12, v31
	;; [unrolled: 2-line block ×3, first 2 shown]
	v_and_b32_e32 v49, 3, v9
	v_and_b32_e32 v60, v13, v32
	;; [unrolled: 1-line block ×3, first 2 shown]
	v_cmp_eq_u64_e64 s4, v[55:56], v[27:28]
	v_cmp_eq_u64_e64 s8, 0, v[20:21]
	v_and_b32_e32 v62, v15, v32
	v_and_b32_e32 v61, v14, v31
	;; [unrolled: 1-line block ×3, first 2 shown]
	v_cmp_eq_u64_e64 s5, v[57:58], v[27:28]
	v_cmp_eq_u64_e64 s9, 0, v[49:50]
	v_cmp_eq_u64_e64 s6, v[59:60], v[27:28]
	v_cmp_eq_u64_e64 s10, 0, v[51:52]
	v_cmp_eq_u64_e64 s7, v[61:62], v[27:28]
	v_cmp_eq_u64_e64 s11, 0, v[53:54]
	s_and_b32 s8, s4, s8
	v_cmp_eq_u64_e64 s12, 1, v[20:21]
	s_wait_alu 0xfffe
	v_cndmask_b32_e64 v8, 0, 1, s8
	s_and_b32 s8, s5, s9
	v_cmp_eq_u64_e64 s13, 1, v[49:50]
	s_wait_alu 0xfffe
	v_cndmask_b32_e64 v9, 0, 1, s8
	;; [unrolled: 4-line block ×4, first 2 shown]
	s_and_b32 s8, s4, s12
	v_cmp_eq_u64_e64 s16, 2, v[20:21]
	v_cmp_eq_u64_e64 s20, 3, v[20:21]
	s_wait_alu 0xfffe
	v_cndmask_b32_e64 v12, 0, 1, s8
	s_and_b32 s8, s5, s13
	v_cmp_eq_u64_e64 s21, 3, v[49:50]
	s_wait_alu 0xfffe
	v_cndmask_b32_e64 v13, 0, 1, s8
	s_and_b32 s8, s6, s14
	v_cmp_eq_u64_e64 s17, 2, v[49:50]
	v_cmp_eq_u64_e64 s22, 3, v[51:52]
	s_wait_alu 0xfffe
	v_cndmask_b32_e64 v14, 0, 1, s8
	s_and_b32 s8, s7, s15
	v_cmp_eq_u64_e64 s18, 2, v[51:52]
	v_cmp_eq_u64_e64 s23, 3, v[53:54]
	s_wait_alu 0xfffe
	v_cndmask_b32_e64 v15, 0, 1, s8
	s_and_b32 s8, s4, s16
	s_and_b32 s4, s4, s20
	v_cmp_eq_u64_e64 s19, 2, v[53:54]
	s_wait_alu 0xfffe
	v_cndmask_b32_e64 v51, 0, 1, s4
	s_and_b32 s4, s5, s21
	v_cndmask_b32_e64 v20, 0, 1, s8
	s_and_b32 s8, s5, s17
	s_wait_alu 0xfffe
	v_cndmask_b32_e64 v52, 0, 1, s4
	s_and_b32 s4, s6, s22
	v_cndmask_b32_e64 v38, 0, 1, s8
	s_and_b32 s8, s6, s18
	;; [unrolled: 5-line block ×3, first 2 shown]
	s_wait_alu 0xfffe
	v_cndmask_b32_e64 v54, 0, 1, s4
	v_cmp_ne_u32_e64 s4, 0, v8
	v_cmp_ne_u32_e64 s5, 0, v9
	v_cndmask_b32_e64 v50, 0, 1, s8
	v_cmp_ne_u32_e64 s6, 0, v10
	v_cmp_ne_u32_e64 s8, 0, v12
	;; [unrolled: 1-line block ×7, first 2 shown]
	s_bcnt1_i32_b32 s4, s4
	s_bcnt1_i32_b32 s5, s5
	v_cmp_ne_u32_e64 s11, 0, v15
	v_cmp_ne_u32_e64 s14, 0, v49
	v_cmp_ne_u32_e64 s16, 0, v51
	v_cmp_ne_u32_e64 s17, 0, v52
	s_bcnt1_i32_b32 s6, s6
	s_bcnt1_i32_b32 s8, s8
	s_bcnt1_i32_b32 s9, s9
	s_wait_alu 0xfffe
	s_add_co_i32 s4, s5, s4
	v_cmp_ne_u32_e64 s15, 0, v50
	v_cmp_ne_u32_e64 s18, 0, v53
	s_bcnt1_i32_b32 s7, s7
	s_bcnt1_i32_b32 s10, s10
	s_bcnt1_i32_b32 s12, s12
	s_bcnt1_i32_b32 s13, s13
	s_add_co_i32 s5, s9, s8
	s_wait_alu 0xfffe
	s_add_co_i32 s4, s4, s6
	v_cmp_ne_u32_e64 s19, 0, v54
	s_bcnt1_i32_b32 s11, s11
	s_bcnt1_i32_b32 s14, s14
	;; [unrolled: 1-line block ×4, first 2 shown]
	s_add_co_i32 s8, s13, s12
	s_add_co_i32 s5, s5, s10
	s_wait_alu 0xfffe
	s_add_co_i32 s44, s4, s7
	s_bcnt1_i32_b32 s15, s15
	s_bcnt1_i32_b32 s18, s18
	s_add_co_i32 s9, s17, s16
	s_add_co_i32 s6, s8, s14
	s_wait_alu 0xfffe
	s_add_nc_u64 s[66:67], s[66:67], s[44:45]
	s_add_co_i32 s44, s5, s11
	s_bcnt1_i32_b32 s19, s19
	s_add_co_i32 s8, s9, s18
	s_wait_alu 0xfffe
	s_add_nc_u64 s[64:65], s[64:65], s[44:45]
	s_add_co_i32 s44, s6, s15
	v_mov_b32_e32 v8, s66
	s_wait_alu 0xfffe
	s_add_nc_u64 s[62:63], s[62:63], s[44:45]
	s_add_co_i32 s44, s8, s19
	v_mov_b32_e32 v10, s64
	s_wait_alu 0xfffe
	s_add_nc_u64 s[60:61], s[60:61], s[44:45]
	v_mov_b32_e32 v12, s62
	s_wait_alu 0xfffe
	v_dual_mov_b32 v14, s60 :: v_dual_mov_b32 v9, s67
	v_mov_b32_e32 v11, s65
	v_mov_b32_e32 v13, s63
	;; [unrolled: 1-line block ×3, first 2 shown]
	s_or_b32 s89, vcc_lo, s89
	s_delay_alu instid0(SALU_CYCLE_1)
	s_and_not1_b32 exec_lo, exec_lo, s89
	s_cbranch_execnz .LBB116_73
; %bb.74:                               ;   in Loop: Header=BB116_20 Depth=1
	s_or_b32 exec_lo, exec_lo, s89
.LBB116_75:                             ;   in Loop: Header=BB116_20 Depth=1
	s_delay_alu instid0(SALU_CYCLE_1)
	s_or_b32 exec_lo, exec_lo, s70
	v_add_co_u32 v4, vcc_lo, v4, v0
	s_wait_alu 0xfffd
	v_add_co_ci_u32_e64 v5, null, 0, v5, vcc_lo
	s_and_b32 s44, s58, 0x7fffffff
	s_mov_b32 s9, exec_lo
	s_wait_alu 0xfffe
	v_cmpx_gt_u64_e64 s[44:45], v[4:5]
	s_cbranch_execz .LBB116_79
; %bb.76:                               ;   in Loop: Header=BB116_20 Depth=1
	s_mul_i32 s68, s68, s59
	s_lshl_b32 s11, s59, 3
	s_wait_alu 0xfffe
	v_lshl_add_u32 v35, s68, 5, v40
	s_mov_b32 s10, 0
.LBB116_77:                             ;   Parent Loop BB116_20 Depth=1
                                        ; =>  This Inner Loop Header: Depth=2
	ds_load_b64 v[36:37], v35
	v_add_co_u32 v4, s4, v4, v2
	s_wait_alu 0xf1ff
	v_add_co_ci_u32_e64 v5, null, 0, v5, s4
	s_delay_alu instid0(VALU_DEP_1) | instskip(SKIP_3) | instid1(VALU_DEP_1)
	v_cmp_le_u64_e64 s4, s[44:45], v[4:5]
	s_wait_dscnt 0x0
	v_cmp_o_f64_e32 vcc_lo, v[36:37], v[36:37]
	v_ashrrev_i32_e32 v20, 31, v37
	v_or_b32_e32 v38, 0x80000000, v20
	v_xor_b32_e32 v20, v20, v36
	v_add_nc_u32_e32 v35, s11, v35
	s_delay_alu instid0(VALU_DEP_3) | instskip(SKIP_1) | instid1(VALU_DEP_1)
	v_xor_b32_e32 v38, v38, v37
	s_wait_alu 0xfffd
	v_dual_cndmask_b32 v37, -1, v38 :: v_dual_cndmask_b32 v36, -1, v20
	s_delay_alu instid0(VALU_DEP_1) | instskip(NEXT) | instid1(VALU_DEP_2)
	v_and_b32_e32 v50, v37, v32
	v_and_b32_e32 v49, v36, v31
	v_lshrrev_b64 v[36:37], s79, v[36:37]
	s_delay_alu instid0(VALU_DEP_2) | instskip(NEXT) | instid1(VALU_DEP_2)
	v_cmp_eq_u64_e32 vcc_lo, v[49:50], v[27:28]
	v_and_b32_e32 v20, 3, v36
	s_delay_alu instid0(VALU_DEP_1)
	v_cmp_eq_u64_e64 s5, 0, v[20:21]
	v_cmp_eq_u64_e64 s6, 1, v[20:21]
	;; [unrolled: 1-line block ×4, first 2 shown]
	s_and_b32 s5, vcc_lo, s5
	s_wait_alu 0xfffe
	v_cndmask_b32_e64 v20, 0, 1, s5
	s_and_b32 s5, vcc_lo, s6
	s_wait_alu 0xfffe
	v_cndmask_b32_e64 v36, 0, 1, s5
	;; [unrolled: 3-line block ×3, first 2 shown]
	s_and_b32 s5, vcc_lo, s8
	v_cmp_ne_u32_e32 vcc_lo, 0, v20
	s_wait_alu 0xfffe
	v_cndmask_b32_e64 v38, 0, 1, s5
	v_cmp_ne_u32_e64 s5, 0, v36
	v_cmp_ne_u32_e64 s6, 0, v37
	s_bcnt1_i32_b32 s8, vcc_lo
	v_cmp_ne_u32_e64 s7, 0, v38
	s_bcnt1_i32_b32 s5, s5
	s_wait_alu 0xfffe
	v_add_co_u32 v8, vcc_lo, v8, s8
	s_bcnt1_i32_b32 s6, s6
	s_wait_alu 0xfffd
	v_add_co_ci_u32_e64 v9, null, 0, v9, vcc_lo
	v_add_co_u32 v10, vcc_lo, v10, s5
	s_bcnt1_i32_b32 s7, s7
	s_wait_alu 0xfffd
	v_add_co_ci_u32_e64 v11, null, 0, v11, vcc_lo
	s_wait_alu 0xfffe
	v_add_co_u32 v12, vcc_lo, v12, s6
	s_wait_alu 0xfffd
	v_add_co_ci_u32_e64 v13, null, 0, v13, vcc_lo
	v_add_co_u32 v14, vcc_lo, v14, s7
	s_wait_alu 0xfffd
	v_add_co_ci_u32_e64 v15, null, 0, v15, vcc_lo
	s_or_b32 s10, s4, s10
	s_wait_alu 0xfffe
	s_and_not1_b32 exec_lo, exec_lo, s10
	s_cbranch_execnz .LBB116_77
; %bb.78:                               ;   in Loop: Header=BB116_20 Depth=1
	s_or_b32 exec_lo, exec_lo, s10
.LBB116_79:                             ;   in Loop: Header=BB116_20 Depth=1
	s_wait_alu 0xfffe
	s_or_b32 exec_lo, exec_lo, s9
	s_lshl_b32 s4, s82, 7
	s_and_saveexec_b32 s5, s1
	s_cbranch_execnz .LBB116_50
	s_branch .LBB116_51
.LBB116_80:                             ;   in Loop: Header=BB116_20 Depth=1
                                        ; implicit-def: $sgpr4_sgpr5
	s_branch .LBB116_59
.LBB116_81:                             ;   in Loop: Header=BB116_20 Depth=1
	s_mov_b32 s6, 0
	s_and_not1_b32 vcc_lo, exec_lo, s77
	s_wait_alu 0xfffe
	s_cbranch_vccnz .LBB116_84
.LBB116_82:                             ;   in Loop: Header=BB116_20 Depth=1
	s_lshl_b32 s7, s82, 10
	s_lshl_b32 s6, s6, 5
	s_wait_alu 0xfffe
	v_add3_u32 v2, s7, s6, v46
	s_mov_b32 s6, s74
.LBB116_83:                             ;   Parent Loop BB116_20 Depth=1
                                        ; =>  This Inner Loop Header: Depth=2
	ds_load_b64 v[8:9], v2
	v_add_nc_u32_e32 v2, 32, v2
	s_wait_alu 0xfffe
	s_add_co_i32 s6, s6, -1
	s_wait_alu 0xfffe
	s_cmp_lg_u32 s6, 0
	s_wait_dscnt 0x0
	v_add_co_u32 v4, vcc_lo, v8, v4
	s_wait_alu 0xfffd
	v_add_co_ci_u32_e64 v5, null, v9, v5, vcc_lo
	s_cbranch_scc1 .LBB116_83
.LBB116_84:                             ;   in Loop: Header=BB116_20 Depth=1
	v_add_lshl_u32 v2, s4, v39, 3
	ds_store_b64 v2, v[4:5] offset:3072
.LBB116_85:                             ;   in Loop: Header=BB116_20 Depth=1
	s_wait_alu 0xfffe
	s_or_b32 exec_lo, exec_lo, s5
	s_lshl_b32 s4, s4, 3
	s_wait_loadcnt_dscnt 0x0
	s_wait_alu 0xfffe
	v_mov_b32_e32 v2, s4
	s_barrier_signal -1
	s_barrier_wait -1
	global_inv scope:SCOPE_SE
	v_cmp_eq_u64_e32 vcc_lo, 1, v[33:34]
	ds_load_b128 v[8:11], v2 offset:3072
	ds_load_b128 v[12:15], v2 offset:3088
	s_lshl_b64 s[8:9], 3, s79
	s_mov_b32 s19, -1
	s_wait_alu 0xfffe
	s_not_b64 s[12:13], s[8:9]
                                        ; implicit-def: $sgpr22
                                        ; implicit-def: $sgpr21
	s_wait_dscnt 0x1
	v_cmp_eq_u64_e64 s4, 1, v[8:9]
	s_wait_dscnt 0x0
	v_readfirstlane_b32 s10, v12
	v_readfirstlane_b32 s11, v13
	;; [unrolled: 1-line block ×4, first 2 shown]
	s_and_b32 s20, s4, vcc_lo
	s_mov_b32 s4, -1
	s_and_saveexec_b32 s18, s20
	s_cbranch_execz .LBB116_119
; %bb.86:                               ;   in Loop: Header=BB116_20 Depth=1
	ds_load_b64 v[4:5], v21 offset:5120
	s_wait_loadcnt_dscnt 0x0
	s_barrier_signal -1
	s_barrier_wait -1
	global_inv scope:SCOPE_SE
	v_readfirstlane_b32 s4, v4
	v_readfirstlane_b32 s5, v5
	s_and_saveexec_b32 s14, s0
; %bb.87:                               ;   in Loop: Header=BB116_20 Depth=1
	v_mov_b32_e32 v20, v21
	ds_store_b64 v41, v[20:21]
; %bb.88:                               ;   in Loop: Header=BB116_20 Depth=1
	s_wait_alu 0xfffe
	s_or_b32 exec_lo, exec_lo, s14
	v_and_b32_e32 v28, s13, v28
	v_and_b32_e32 v27, s12, v27
	v_or_b32_e32 v32, s9, v32
	v_or_b32_e32 v31, s8, v31
	s_mov_b32 s21, -1
	s_mov_b32 s22, 0
	s_cmp_eq_u64 s[4:5], 0
	s_mov_b32 s16, 0
	s_mov_b32 s17, -1
	s_wait_loadcnt_dscnt 0x0
	s_barrier_signal -1
	s_barrier_wait -1
	global_inv scope:SCOPE_SE
                                        ; implicit-def: $vgpr6_vgpr7
	s_cbranch_scc1 .LBB116_103
; %bb.89:                               ;   in Loop: Header=BB116_20 Depth=1
	s_add_nc_u64 s[14:15], s[4:5], s[48:49]
	s_mov_b32 s16, s45
	s_wait_alu 0xfffe
	s_mov_b32 s17, s15
	s_wait_alu 0xfffe
	s_cmp_lg_u64 s[16:17], 0
	s_cbranch_scc0 .LBB116_146
; %bb.90:                               ;   in Loop: Header=BB116_20 Depth=1
	s_cvt_f32_u32 s16, s40
	s_sub_nc_u64 s[58:59], 0, s[40:41]
	s_wait_alu 0xfffe
	s_delay_alu instid0(SALU_CYCLE_1) | instskip(SKIP_1) | instid1(SALU_CYCLE_2)
	s_fmamk_f32 s16, s81, 0x0, s16
	s_wait_alu 0xfffe
	v_s_rcp_f32 s16, s16
	s_delay_alu instid0(TRANS32_DEP_1) | instskip(SKIP_1) | instid1(SALU_CYCLE_2)
	s_mul_f32 s16, s16, 0x5f7ffffc
	s_wait_alu 0xfffe
	s_mul_f32 s17, s16, 0x2f800000
	s_wait_alu 0xfffe
	s_delay_alu instid0(SALU_CYCLE_2) | instskip(SKIP_1) | instid1(SALU_CYCLE_2)
	s_trunc_f32 s17, s17
	s_wait_alu 0xfffe
	s_fmamk_f32 s16, s17, 0xcf800000, s16
	s_cvt_u32_f32 s17, s17
	s_wait_alu 0xfffe
	s_delay_alu instid0(SALU_CYCLE_1) | instskip(SKIP_1) | instid1(SALU_CYCLE_2)
	s_cvt_u32_f32 s16, s16
	s_wait_alu 0xfffe
	s_mul_u64 s[60:61], s[58:59], s[16:17]
	s_wait_alu 0xfffe
	s_mul_hi_u32 s63, s16, s61
	s_mul_i32 s62, s16, s61
	s_mul_hi_u32 s44, s16, s60
	s_mul_i32 s64, s17, s60
	s_wait_alu 0xfffe
	s_add_nc_u64 s[62:63], s[44:45], s[62:63]
	s_mul_hi_u32 s23, s17, s60
	s_mul_hi_u32 s65, s17, s61
	s_wait_alu 0xfffe
	s_add_co_u32 s44, s62, s64
	s_add_co_ci_u32 s44, s63, s23
	s_mul_i32 s60, s17, s61
	s_add_co_ci_u32 s61, s65, 0
	s_wait_alu 0xfffe
	s_add_nc_u64 s[60:61], s[44:45], s[60:61]
	s_wait_alu 0xfffe
	s_add_co_u32 s16, s16, s60
	s_cselect_b32 s23, -1, 0
	s_delay_alu instid0(SALU_CYCLE_1) | instskip(SKIP_3) | instid1(SALU_CYCLE_1)
	s_cmp_lg_u32 s23, 0
	s_add_co_ci_u32 s17, s17, s61
	s_wait_alu 0xfffe
	s_mul_u64 s[58:59], s[58:59], s[16:17]
	s_mul_hi_u32 s61, s16, s59
	s_mul_i32 s60, s16, s59
	s_mul_hi_u32 s44, s16, s58
	s_mul_i32 s62, s17, s58
	s_wait_alu 0xfffe
	s_add_nc_u64 s[60:61], s[44:45], s[60:61]
	s_mul_hi_u32 s23, s17, s58
	s_mul_hi_u32 s63, s17, s59
	s_wait_alu 0xfffe
	s_add_co_u32 s44, s60, s62
	s_add_co_ci_u32 s44, s61, s23
	s_mul_i32 s58, s17, s59
	s_add_co_ci_u32 s59, s63, 0
	s_wait_alu 0xfffe
	s_add_nc_u64 s[58:59], s[44:45], s[58:59]
	s_delay_alu instid0(SALU_CYCLE_1)
	s_add_co_u32 s16, s16, s58
	s_cselect_b32 s23, -1, 0
	s_wait_alu 0xfffe
	s_mul_hi_u32 s44, s14, s16
	s_cmp_lg_u32 s23, 0
	s_mul_hi_u32 s23, s15, s16
	s_add_co_ci_u32 s58, s17, s59
	s_mul_i32 s59, s15, s16
	s_mul_hi_u32 s17, s14, s58
	s_mul_i32 s16, s14, s58
	s_mul_hi_u32 s60, s15, s58
	s_wait_alu 0xfffe
	s_add_nc_u64 s[16:17], s[44:45], s[16:17]
	s_mul_i32 s58, s15, s58
	s_wait_alu 0xfffe
	s_add_co_u32 s16, s16, s59
	s_add_co_ci_u32 s44, s17, s23
	s_add_co_ci_u32 s59, s60, 0
	s_wait_alu 0xfffe
	s_add_nc_u64 s[16:17], s[44:45], s[58:59]
	s_wait_alu 0xfffe
	s_mul_u64 s[16:17], s[40:41], s[16:17]
	s_wait_alu 0xfffe
	s_sub_co_u32 s16, s14, s16
	s_cselect_b32 s23, -1, 0
	s_delay_alu instid0(SALU_CYCLE_1)
	s_cmp_lg_u32 s23, 0
	s_sub_co_ci_u32 s17, s15, s17
	s_wait_alu 0xfffe
	s_sub_co_u32 s23, s16, s40
	s_cselect_b32 s44, -1, 0
	s_wait_alu 0xfffe
	s_cmp_lg_u32 s44, 0
	s_sub_co_ci_u32 s44, s17, 0
	s_sub_co_u32 s58, s23, s40
	s_cselect_b32 s59, -1, 0
	s_delay_alu instid0(SALU_CYCLE_1)
	s_cmp_lg_u32 s59, 0
	s_wait_alu 0xfffe
	s_sub_co_ci_u32 s59, s44, 0
	s_cmp_ge_u32 s23, s40
	s_cselect_b32 s60, -1, 0
	s_cmp_eq_u32 s44, 0
	s_wait_alu 0xfffe
	s_cselect_b32 s60, s60, -1
	s_wait_alu 0xfffe
	s_cmp_lg_u32 s60, 0
	s_cselect_b32 s44, s59, s44
	s_cselect_b32 s23, s58, s23
	s_cmp_ge_u32 s16, s40
	s_cselect_b32 s58, -1, 0
	s_cmp_eq_u32 s17, 0
	s_cselect_b32 s58, s58, -1
	s_delay_alu instid0(SALU_CYCLE_1)
	s_cmp_lg_u32 s58, 0
	s_wait_alu 0xfffe
	s_cselect_b32 s17, s44, s17
	s_cselect_b32 s16, s23, s16
	s_cbranch_execnz .LBB116_92
.LBB116_91:                             ;   in Loop: Header=BB116_20 Depth=1
	v_cvt_f32_u32_e32 v2, s40
	s_sub_co_i32 s17, 0, s40
	s_delay_alu instid0(VALU_DEP_1) | instskip(NEXT) | instid1(TRANS32_DEP_1)
	v_rcp_iflag_f32_e32 v2, v2
	v_mul_f32_e32 v2, 0x4f7ffffe, v2
	s_delay_alu instid0(VALU_DEP_1) | instskip(NEXT) | instid1(VALU_DEP_1)
	v_cvt_u32_f32_e32 v2, v2
	v_readfirstlane_b32 s16, v2
	s_wait_alu 0xfffe
	s_mul_i32 s17, s17, s16
	s_wait_alu 0xfffe
	s_mul_hi_u32 s17, s16, s17
	s_wait_alu 0xfffe
	s_add_co_i32 s16, s16, s17
	s_wait_alu 0xfffe
	s_mul_hi_u32 s16, s14, s16
	s_wait_alu 0xfffe
	s_mul_i32 s16, s16, s40
	s_wait_alu 0xfffe
	s_sub_co_i32 s16, s14, s16
	s_wait_alu 0xfffe
	s_sub_co_i32 s17, s16, s40
	s_cmp_ge_u32 s16, s40
	s_wait_alu 0xfffe
	s_cselect_b32 s16, s17, s16
	s_wait_alu 0xfffe
	s_sub_co_i32 s17, s16, s40
	s_cmp_ge_u32 s16, s40
	s_wait_alu 0xfffe
	s_cselect_b32 s44, s17, s16
	s_wait_alu 0xfffe
	s_mov_b64 s[16:17], s[44:45]
.LBB116_92:                             ;   in Loop: Header=BB116_20 Depth=1
	s_wait_alu 0xfffe
	s_sub_nc_u64 s[14:15], s[14:15], s[16:17]
	s_mov_b32 s17, 0
	s_mov_b32 s16, 0
	s_mov_b32 s23, exec_lo
                                        ; implicit-def: $vgpr6_vgpr7
	s_wait_alu 0xfffe
	v_cmpx_gt_u64_e64 s[14:15], v[0:1]
	s_cbranch_execz .LBB116_102
; %bb.93:                               ;   in Loop: Header=BB116_20 Depth=1
	v_dual_mov_b32 v14, v40 :: v_dual_mov_b32 v13, v1
	v_mov_b32_e32 v12, v0
                                        ; implicit-def: $sgpr44
	s_branch .LBB116_97
.LBB116_94:                             ;   in Loop: Header=BB116_97 Depth=2
	s_or_b32 exec_lo, exec_lo, s58
	s_wait_loadcnt_dscnt 0x0
	s_barrier_signal -1
	s_barrier_wait -1
	global_inv scope:SCOPE_SE
	ds_load_b128 v[4:7], v21 offset:3072
	s_wait_loadcnt_dscnt 0x0
	s_barrier_signal -1
	s_barrier_wait -1
	global_inv scope:SCOPE_SE
	v_cmp_neq_f64_e32 vcc_lo, 0, v[4:5]
	s_cbranch_vccnz .LBB116_100
; %bb.95:                               ;   in Loop: Header=BB116_97 Depth=2
	v_add_co_u32 v12, vcc_lo, v12, s40
	s_wait_alu 0xfffd
	v_add_co_ci_u32_e64 v13, null, 0, v13, vcc_lo
	v_add_nc_u32_e32 v14, s78, v14
	s_mov_b32 s58, 0
	s_delay_alu instid0(VALU_DEP_2)
	v_cmp_le_u64_e32 vcc_lo, s[14:15], v[12:13]
	s_or_not1_b32 s59, vcc_lo, exec_lo
.LBB116_96:                             ;   in Loop: Header=BB116_97 Depth=2
	s_delay_alu instid0(SALU_CYCLE_1) | instskip(NEXT) | instid1(SALU_CYCLE_1)
	s_and_b32 s59, exec_lo, s59
	s_or_b32 s16, s59, s16
	s_wait_alu 0xfffe
	s_and_not1_b32 s44, s44, exec_lo
	s_and_b32 s58, s58, exec_lo
	s_wait_alu 0xfffe
	s_or_b32 s44, s44, s58
	s_and_not1_b32 exec_lo, exec_lo, s16
	s_cbranch_execz .LBB116_101
.LBB116_97:                             ;   Parent Loop BB116_20 Depth=1
                                        ; =>  This Inner Loop Header: Depth=2
	s_mov_b32 s58, exec_lo
	s_delay_alu instid0(VALU_DEP_1)
	v_cmpx_gt_u64_e64 s[4:5], v[12:13]
	s_cbranch_execz .LBB116_94
; %bb.98:                               ;   in Loop: Header=BB116_97 Depth=2
	ds_load_b64 v[4:5], v14
	s_wait_dscnt 0x0
	v_cmp_o_f64_e32 vcc_lo, v[4:5], v[4:5]
	v_ashrrev_i32_e32 v2, 31, v5
	s_delay_alu instid0(VALU_DEP_1) | instskip(SKIP_1) | instid1(VALU_DEP_2)
	v_or_b32_e32 v6, 0x80000000, v2
	v_xor_b32_e32 v2, v2, v4
	v_xor_b32_e32 v6, v6, v5
	s_wait_alu 0xfffd
	s_delay_alu instid0(VALU_DEP_1) | instskip(NEXT) | instid1(VALU_DEP_1)
	v_cndmask_b32_e32 v6, -1, v6, vcc_lo
	v_dual_cndmask_b32 v2, -1, v2 :: v_dual_and_b32 v7, v6, v32
	s_delay_alu instid0(VALU_DEP_1) | instskip(NEXT) | instid1(VALU_DEP_1)
	v_and_b32_e32 v6, v2, v31
	v_cmp_eq_u64_e32 vcc_lo, v[6:7], v[27:28]
	s_and_b32 exec_lo, exec_lo, vcc_lo
	s_cbranch_execz .LBB116_94
; %bb.99:                               ;   in Loop: Header=BB116_97 Depth=2
	v_mov_b32_e32 v2, v21
	ds_store_b128 v21, v[2:5] offset:3072
	s_branch .LBB116_94
.LBB116_100:                            ;   in Loop: Header=BB116_97 Depth=2
	s_mov_b32 s59, -1
	s_mov_b32 s58, -1
                                        ; implicit-def: $vgpr12_vgpr13
                                        ; implicit-def: $vgpr14
	s_branch .LBB116_96
.LBB116_101:                            ;   in Loop: Header=BB116_20 Depth=1
	s_or_b32 exec_lo, exec_lo, s16
	s_wait_alu 0xfffe
	s_and_b32 s16, s44, exec_lo
.LBB116_102:                            ;   in Loop: Header=BB116_20 Depth=1
	s_or_b32 exec_lo, exec_lo, s23
.LBB116_103:                            ;   in Loop: Header=BB116_20 Depth=1
	s_wait_alu 0xfffe
	s_and_b32 vcc_lo, exec_lo, s17
	s_wait_alu 0xfffe
	s_cbranch_vccz .LBB116_118
; %bb.104:                              ;   in Loop: Header=BB116_20 Depth=1
	s_mov_b32 s4, s45
	s_mov_b32 s5, s51
	s_wait_alu 0xfffe
	s_cmp_lg_u64 s[4:5], 0
	s_cbranch_scc0 .LBB116_150
; %bb.105:                              ;   in Loop: Header=BB116_20 Depth=1
	s_cvt_f32_u32 s4, s40
	s_sub_nc_u64 s[14:15], 0, s[40:41]
	s_wait_alu 0xfffe
	s_delay_alu instid0(SALU_CYCLE_1) | instskip(SKIP_1) | instid1(SALU_CYCLE_2)
	s_fmamk_f32 s4, s81, 0x0, s4
	s_wait_alu 0xfffe
	v_s_rcp_f32 s4, s4
	s_delay_alu instid0(TRANS32_DEP_1) | instskip(SKIP_1) | instid1(SALU_CYCLE_2)
	s_mul_f32 s4, s4, 0x5f7ffffc
	s_wait_alu 0xfffe
	s_mul_f32 s5, s4, 0x2f800000
	s_wait_alu 0xfffe
	s_delay_alu instid0(SALU_CYCLE_2) | instskip(SKIP_1) | instid1(SALU_CYCLE_2)
	s_trunc_f32 s5, s5
	s_wait_alu 0xfffe
	s_fmamk_f32 s4, s5, 0xcf800000, s4
	s_cvt_u32_f32 s5, s5
	s_wait_alu 0xfffe
	s_delay_alu instid0(SALU_CYCLE_1) | instskip(SKIP_1) | instid1(SALU_CYCLE_2)
	s_cvt_u32_f32 s4, s4
	s_wait_alu 0xfffe
	s_mul_u64 s[22:23], s[14:15], s[4:5]
	s_delay_alu instid0(SALU_CYCLE_1)
	s_mul_hi_u32 s59, s4, s23
	s_mul_i32 s58, s4, s23
	s_mul_hi_u32 s44, s4, s22
	s_mul_i32 s21, s5, s22
	s_wait_alu 0xfffe
	s_add_nc_u64 s[58:59], s[44:45], s[58:59]
	s_mul_hi_u32 s17, s5, s22
	s_mul_hi_u32 s60, s5, s23
	s_add_co_u32 s21, s58, s21
	s_wait_alu 0xfffe
	s_add_co_ci_u32 s44, s59, s17
	s_mul_i32 s22, s5, s23
	s_add_co_ci_u32 s23, s60, 0
	s_wait_alu 0xfffe
	s_add_nc_u64 s[22:23], s[44:45], s[22:23]
	s_delay_alu instid0(SALU_CYCLE_1)
	s_add_co_u32 s4, s4, s22
	s_cselect_b32 s17, -1, 0
	s_wait_alu 0xfffe
	s_cmp_lg_u32 s17, 0
	s_add_co_ci_u32 s5, s5, s23
	s_wait_alu 0xfffe
	s_mul_u64 s[14:15], s[14:15], s[4:5]
	s_wait_alu 0xfffe
	s_mul_hi_u32 s23, s4, s15
	s_mul_i32 s22, s4, s15
	s_mul_hi_u32 s44, s4, s14
	s_mul_i32 s21, s5, s14
	s_wait_alu 0xfffe
	s_add_nc_u64 s[22:23], s[44:45], s[22:23]
	s_mul_hi_u32 s17, s5, s14
	s_mul_hi_u32 s58, s5, s15
	s_mul_i32 s14, s5, s15
	s_add_co_u32 s15, s22, s21
	s_wait_alu 0xfffe
	s_add_co_ci_u32 s44, s23, s17
	s_add_co_ci_u32 s15, s58, 0
	s_wait_alu 0xfffe
	s_add_nc_u64 s[14:15], s[44:45], s[14:15]
	s_wait_alu 0xfffe
	s_add_co_u32 s4, s4, s14
	s_cselect_b32 s14, -1, 0
	s_wait_alu 0xfffe
	s_mul_hi_u32 s44, s50, s4
	s_cmp_lg_u32 s14, 0
	s_mul_hi_u32 s17, s51, s4
	s_add_co_ci_u32 s14, s5, s15
	s_mul_i32 s15, s51, s4
	s_wait_alu 0xfffe
	s_mul_hi_u32 s5, s50, s14
	s_mul_i32 s4, s50, s14
	s_mul_hi_u32 s21, s51, s14
	s_wait_alu 0xfffe
	s_add_nc_u64 s[4:5], s[44:45], s[4:5]
	s_mul_i32 s14, s51, s14
	s_wait_alu 0xfffe
	s_add_co_u32 s4, s4, s15
	s_add_co_ci_u32 s44, s5, s17
	s_add_co_ci_u32 s15, s21, 0
	s_wait_alu 0xfffe
	s_add_nc_u64 s[4:5], s[44:45], s[14:15]
	s_wait_alu 0xfffe
	s_mul_u64 s[4:5], s[40:41], s[4:5]
	s_wait_alu 0xfffe
	s_sub_co_u32 s4, s50, s4
	s_cselect_b32 s14, -1, 0
	s_wait_alu 0xfffe
	s_cmp_lg_u32 s14, 0
	s_sub_co_ci_u32 s5, s51, s5
	s_sub_co_u32 s14, s4, s40
	s_cselect_b32 s15, -1, 0
	s_wait_alu 0xfffe
	s_cmp_lg_u32 s15, 0
	s_sub_co_ci_u32 s15, s5, 0
	s_sub_co_u32 s17, s14, s40
	s_cselect_b32 s21, -1, 0
	s_delay_alu instid0(SALU_CYCLE_1)
	s_cmp_lg_u32 s21, 0
	s_wait_alu 0xfffe
	s_sub_co_ci_u32 s21, s15, 0
	s_cmp_ge_u32 s14, s40
	s_cselect_b32 s22, -1, 0
	s_cmp_eq_u32 s15, 0
	s_cselect_b32 s22, s22, -1
	s_delay_alu instid0(SALU_CYCLE_1)
	s_cmp_lg_u32 s22, 0
	s_cselect_b32 s15, s21, s15
	s_cselect_b32 s14, s17, s14
	s_cmp_ge_u32 s4, s40
	s_cselect_b32 s17, -1, 0
	s_cmp_eq_u32 s5, 0
	s_wait_alu 0xfffe
	s_cselect_b32 s17, s17, -1
	s_wait_alu 0xfffe
	s_cmp_lg_u32 s17, 0
	s_cselect_b32 s5, s15, s5
	s_cselect_b32 s4, s14, s4
	s_cbranch_execnz .LBB116_107
.LBB116_106:                            ;   in Loop: Header=BB116_20 Depth=1
	v_cvt_f32_u32_e32 v2, s40
	s_sub_co_i32 s5, 0, s40
	s_delay_alu instid0(VALU_DEP_1) | instskip(NEXT) | instid1(TRANS32_DEP_1)
	v_rcp_iflag_f32_e32 v2, v2
	v_mul_f32_e32 v2, 0x4f7ffffe, v2
	s_delay_alu instid0(VALU_DEP_1) | instskip(NEXT) | instid1(VALU_DEP_1)
	v_cvt_u32_f32_e32 v2, v2
	v_readfirstlane_b32 s4, v2
	s_wait_alu 0xfffe
	s_mul_i32 s5, s5, s4
	s_wait_alu 0xfffe
	s_mul_hi_u32 s5, s4, s5
	s_wait_alu 0xfffe
	s_add_co_i32 s4, s4, s5
	s_wait_alu 0xfffe
	s_mul_hi_u32 s4, s50, s4
	s_wait_alu 0xfffe
	s_mul_i32 s4, s4, s40
	s_wait_alu 0xfffe
	s_sub_co_i32 s4, s50, s4
	s_wait_alu 0xfffe
	s_sub_co_i32 s5, s4, s40
	s_cmp_ge_u32 s4, s40
	s_wait_alu 0xfffe
	s_cselect_b32 s4, s5, s4
	s_wait_alu 0xfffe
	s_sub_co_i32 s5, s4, s40
	s_cmp_ge_u32 s4, s40
	s_wait_alu 0xfffe
	s_cselect_b32 s44, s5, s4
	s_wait_alu 0xfffe
	s_mov_b64 s[4:5], s[44:45]
.LBB116_107:                            ;   in Loop: Header=BB116_20 Depth=1
	s_wait_alu 0xfffe
	s_sub_nc_u64 s[14:15], s[50:51], s[4:5]
	s_mov_b32 s5, exec_lo
                                        ; implicit-def: $vgpr6_vgpr7
	s_wait_alu 0xfffe
	v_cmpx_gt_u64_e64 s[14:15], v[0:1]
	s_cbranch_execz .LBB116_117
; %bb.108:                              ;   in Loop: Header=BB116_20 Depth=1
	v_dual_mov_b32 v12, v16 :: v_dual_mov_b32 v13, v17
	v_dual_mov_b32 v15, v1 :: v_dual_mov_b32 v14, v0
	s_mov_b32 s21, 0
                                        ; implicit-def: $sgpr17
	s_branch .LBB116_112
.LBB116_109:                            ;   in Loop: Header=BB116_112 Depth=2
	s_wait_alu 0xfffe
	s_or_b32 exec_lo, exec_lo, s4
	s_wait_loadcnt_dscnt 0x0
	s_barrier_signal -1
	s_barrier_wait -1
	global_inv scope:SCOPE_SE
	ds_load_b128 v[4:7], v21 offset:3072
	s_wait_loadcnt_dscnt 0x0
	s_barrier_signal -1
	s_barrier_wait -1
	global_inv scope:SCOPE_SE
	v_cmp_neq_f64_e32 vcc_lo, 0, v[4:5]
	s_cbranch_vccnz .LBB116_115
; %bb.110:                              ;   in Loop: Header=BB116_112 Depth=2
	v_add_co_u32 v14, vcc_lo, v14, s40
	s_wait_alu 0xfffd
	v_add_co_ci_u32_e64 v15, null, 0, v15, vcc_lo
	v_add_co_u32 v12, s4, v12, s42
	s_wait_alu 0xf1ff
	v_add_co_ci_u32_e64 v13, null, s43, v13, s4
	s_delay_alu instid0(VALU_DEP_3)
	v_cmp_le_u64_e32 vcc_lo, s[14:15], v[14:15]
	s_mov_b32 s4, 0
	s_or_not1_b32 s22, vcc_lo, exec_lo
.LBB116_111:                            ;   in Loop: Header=BB116_112 Depth=2
	s_delay_alu instid0(SALU_CYCLE_1) | instskip(NEXT) | instid1(SALU_CYCLE_1)
	s_and_b32 s22, exec_lo, s22
	s_or_b32 s21, s22, s21
	s_and_not1_b32 s17, s17, exec_lo
	s_wait_alu 0xfffe
	s_and_b32 s4, s4, exec_lo
	s_wait_alu 0xfffe
	s_or_b32 s17, s17, s4
	s_and_not1_b32 exec_lo, exec_lo, s21
	s_cbranch_execz .LBB116_116
.LBB116_112:                            ;   Parent Loop BB116_20 Depth=1
                                        ; =>  This Inner Loop Header: Depth=2
	s_mov_b32 s4, exec_lo
	s_delay_alu instid0(VALU_DEP_1)
	v_cmpx_gt_u64_e64 s[24:25], v[14:15]
	s_cbranch_execz .LBB116_109
; %bb.113:                              ;   in Loop: Header=BB116_112 Depth=2
	global_load_b64 v[4:5], v[12:13], off
	s_wait_loadcnt 0x0
	v_cmp_o_f64_e32 vcc_lo, v[4:5], v[4:5]
	v_ashrrev_i32_e32 v2, 31, v5
	s_delay_alu instid0(VALU_DEP_1) | instskip(SKIP_1) | instid1(VALU_DEP_2)
	v_or_b32_e32 v6, 0x80000000, v2
	v_xor_b32_e32 v2, v2, v4
	v_xor_b32_e32 v6, v6, v5
	s_wait_alu 0xfffd
	s_delay_alu instid0(VALU_DEP_1) | instskip(NEXT) | instid1(VALU_DEP_1)
	v_cndmask_b32_e32 v6, -1, v6, vcc_lo
	v_dual_cndmask_b32 v2, -1, v2 :: v_dual_and_b32 v7, v6, v32
	s_delay_alu instid0(VALU_DEP_1) | instskip(NEXT) | instid1(VALU_DEP_1)
	v_and_b32_e32 v6, v2, v31
	v_cmp_eq_u64_e32 vcc_lo, v[6:7], v[27:28]
	s_and_b32 exec_lo, exec_lo, vcc_lo
	s_cbranch_execz .LBB116_109
; %bb.114:                              ;   in Loop: Header=BB116_112 Depth=2
	v_mov_b32_e32 v2, v21
	ds_store_b128 v21, v[2:5] offset:3072
	s_branch .LBB116_109
.LBB116_115:                            ;   in Loop: Header=BB116_112 Depth=2
	s_mov_b32 s22, -1
	s_mov_b32 s4, -1
                                        ; implicit-def: $vgpr14_vgpr15
                                        ; implicit-def: $vgpr12_vgpr13
	s_branch .LBB116_111
.LBB116_116:                            ;   in Loop: Header=BB116_20 Depth=1
	s_or_b32 exec_lo, exec_lo, s21
	s_delay_alu instid0(SALU_CYCLE_1)
	s_and_not1_b32 s4, s16, exec_lo
	s_wait_alu 0xfffe
	s_and_b32 s14, s17, exec_lo
	s_wait_alu 0xfffe
	s_or_b32 s16, s4, s14
.LBB116_117:                            ;   in Loop: Header=BB116_20 Depth=1
	s_or_b32 exec_lo, exec_lo, s5
	s_mov_b32 s21, 0
	s_mov_b32 s22, -1
.LBB116_118:                            ;   in Loop: Header=BB116_20 Depth=1
	s_wait_alu 0xfffe
	s_or_not1_b32 s4, s16, exec_lo
.LBB116_119:                            ;   in Loop: Header=BB116_20 Depth=1
	s_or_b32 exec_lo, exec_lo, s18
	s_delay_alu instid0(SALU_CYCLE_1)
	s_and_not1_b32 s5, s87, exec_lo
	s_and_b32 s14, s22, exec_lo
	s_and_not1_b32 s15, s85, exec_lo
	s_and_b32 s16, s21, exec_lo
	s_and_not1_b32 s84, s84, exec_lo
	s_wait_alu 0xfffe
	s_or_b32 s87, s5, s14
	s_or_b32 s85, s15, s16
                                        ; implicit-def: $vgpr12_vgpr13
	s_and_saveexec_b32 s18, s4
	s_cbranch_execz .LBB116_19
; %bb.120:                              ;   in Loop: Header=BB116_20 Depth=1
	v_dual_mov_b32 v12, 1 :: v_dual_mov_b32 v35, 1
	v_mov_b32_e32 v13, 0
	s_xor_b32 s14, s20, -1
	s_mov_b32 s5, 0
	s_wait_alu 0xfffe
	s_and_saveexec_b32 s4, s14
	s_cbranch_execz .LBB116_129
; %bb.121:                              ;   in Loop: Header=BB116_20 Depth=1
	s_mov_b32 s5, exec_lo
	v_cmpx_le_u64_e64 v[33:34], v[8:9]
	s_wait_alu 0xfffe
	s_xor_b32 s5, exec_lo, s5
	s_cbranch_execz .LBB116_126
; %bb.122:                              ;   in Loop: Header=BB116_20 Depth=1
	ds_load_b64 v[4:5], v21 offset:5120
	v_and_b32_e32 v28, s13, v28
	v_and_b32_e32 v27, s12, v27
	v_or_b32_e32 v32, s9, v32
	v_or_b32_e32 v31, s8, v31
	s_wait_dscnt 0x0
	v_cmp_ne_u64_e32 vcc_lo, 0, v[4:5]
	s_cbranch_vccnz .LBB116_126
; %bb.123:                              ;   in Loop: Header=BB116_20 Depth=1
	s_and_saveexec_b32 s14, s3
; %bb.124:                              ;   in Loop: Header=BB116_20 Depth=1
	ds_store_b64 v21, v[8:9] offset:5128
; %bb.125:                              ;   in Loop: Header=BB116_20 Depth=1
	s_wait_alu 0xfffe
	s_or_b32 exec_lo, exec_lo, s14
	s_wait_loadcnt_dscnt 0x0
	s_barrier_signal -1
	s_barrier_wait -1
	global_inv scope:SCOPE_SE
.LBB116_126:                            ;   in Loop: Header=BB116_20 Depth=1
	s_wait_alu 0xfffe
	s_or_saveexec_b32 s5, s5
	v_mov_b32_e32 v35, 8
	s_mov_b32 s14, 0
	s_wait_alu 0xfffe
	s_xor_b32 exec_lo, exec_lo, s5
; %bb.127:                              ;   in Loop: Header=BB116_20 Depth=1
	v_sub_co_u32 v33, vcc_lo, v33, v8
	s_wait_alu 0xfffd
	v_sub_co_ci_u32_e64 v34, null, v34, v9, vcc_lo
	v_mov_b32_e32 v35, 0
	s_mov_b32 s14, exec_lo
; %bb.128:                              ;   in Loop: Header=BB116_20 Depth=1
	s_or_b32 exec_lo, exec_lo, s5
	s_delay_alu instid0(VALU_DEP_2)
	v_dual_mov_b32 v12, v33 :: v_dual_mov_b32 v13, v34
	s_wait_alu 0xfffe
	s_and_b32 s5, s14, exec_lo
.LBB116_129:                            ;   in Loop: Header=BB116_20 Depth=1
	s_wait_alu 0xfffe
	s_or_b32 exec_lo, exec_lo, s4
	s_mov_b32 s19, -1
	s_mov_b32 s4, -1
                                        ; implicit-def: $sgpr21
                                        ; implicit-def: $sgpr22
	s_and_saveexec_b32 s14, s5
	s_wait_alu 0xfffe
	s_xor_b32 s20, exec_lo, s14
	s_cbranch_execz .LBB116_280
; %bb.130:                              ;   in Loop: Header=BB116_20 Depth=1
	v_cmp_eq_u64_e32 vcc_lo, 1, v[10:11]
	v_cmp_eq_u64_e64 s4, 1, v[12:13]
                                        ; implicit-def: $sgpr22
                                        ; implicit-def: $sgpr21
	s_and_b32 s58, vcc_lo, s4
	s_mov_b32 s4, -1
	s_and_saveexec_b32 s23, s58
	s_cbranch_execz .LBB116_169
; %bb.131:                              ;   in Loop: Header=BB116_20 Depth=1
	ds_load_b64 v[4:5], v21 offset:5120
	s_wait_loadcnt_dscnt 0x0
	s_barrier_signal -1
	s_barrier_wait -1
	global_inv scope:SCOPE_SE
	v_readfirstlane_b32 s4, v4
	v_readfirstlane_b32 s5, v5
	s_and_saveexec_b32 s14, s0
; %bb.132:                              ;   in Loop: Header=BB116_20 Depth=1
	v_mov_b32_e32 v20, v21
	ds_store_b64 v41, v[20:21]
; %bb.133:                              ;   in Loop: Header=BB116_20 Depth=1
	s_wait_alu 0xfffe
	s_or_b32 exec_lo, exec_lo, s14
	v_and_b32_e32 v2, s13, v28
	v_and_b32_e32 v4, s12, v27
	s_lshl_b64 s[14:15], 1, s79
	v_or_b32_e32 v32, s9, v32
	v_or_b32_e32 v31, s8, v31
	s_wait_alu 0xfffe
	v_or_b32_e32 v28, s15, v2
	v_or_b32_e32 v27, s14, v4
	s_mov_b32 s21, -1
	s_mov_b32 s22, 0
	s_cmp_eq_u64 s[4:5], 0
	s_mov_b32 s16, 0
	s_mov_b32 s17, -1
	s_wait_loadcnt_dscnt 0x0
	s_barrier_signal -1
	s_barrier_wait -1
	global_inv scope:SCOPE_SE
                                        ; implicit-def: $vgpr6_vgpr7
	s_cbranch_scc1 .LBB116_153
; %bb.134:                              ;   in Loop: Header=BB116_20 Depth=1
	s_add_nc_u64 s[14:15], s[4:5], s[48:49]
	s_mov_b32 s16, s45
	s_wait_alu 0xfffe
	s_mov_b32 s17, s15
	s_wait_alu 0xfffe
	s_cmp_lg_u64 s[16:17], 0
	s_cbranch_scc0 .LBB116_197
; %bb.135:                              ;   in Loop: Header=BB116_20 Depth=1
	s_cvt_f32_u32 s16, s40
	s_sub_nc_u64 s[60:61], 0, s[40:41]
	s_wait_alu 0xfffe
	s_delay_alu instid0(SALU_CYCLE_1) | instskip(SKIP_1) | instid1(SALU_CYCLE_2)
	s_fmamk_f32 s16, s81, 0x0, s16
	s_wait_alu 0xfffe
	v_s_rcp_f32 s16, s16
	s_delay_alu instid0(TRANS32_DEP_1) | instskip(SKIP_1) | instid1(SALU_CYCLE_2)
	s_mul_f32 s16, s16, 0x5f7ffffc
	s_wait_alu 0xfffe
	s_mul_f32 s17, s16, 0x2f800000
	s_wait_alu 0xfffe
	s_delay_alu instid0(SALU_CYCLE_2) | instskip(SKIP_1) | instid1(SALU_CYCLE_2)
	s_trunc_f32 s17, s17
	s_wait_alu 0xfffe
	s_fmamk_f32 s16, s17, 0xcf800000, s16
	s_cvt_u32_f32 s17, s17
	s_wait_alu 0xfffe
	s_delay_alu instid0(SALU_CYCLE_1) | instskip(SKIP_1) | instid1(SALU_CYCLE_2)
	s_cvt_u32_f32 s16, s16
	s_wait_alu 0xfffe
	s_mul_u64 s[62:63], s[60:61], s[16:17]
	s_wait_alu 0xfffe
	s_mul_hi_u32 s65, s16, s63
	s_mul_i32 s64, s16, s63
	s_mul_hi_u32 s44, s16, s62
	s_mul_i32 s66, s17, s62
	s_wait_alu 0xfffe
	s_add_nc_u64 s[64:65], s[44:45], s[64:65]
	s_mul_hi_u32 s59, s17, s62
	s_mul_hi_u32 s67, s17, s63
	s_wait_alu 0xfffe
	s_add_co_u32 s44, s64, s66
	s_add_co_ci_u32 s44, s65, s59
	s_mul_i32 s62, s17, s63
	s_add_co_ci_u32 s63, s67, 0
	s_wait_alu 0xfffe
	s_add_nc_u64 s[62:63], s[44:45], s[62:63]
	s_wait_alu 0xfffe
	s_add_co_u32 s16, s16, s62
	s_cselect_b32 s44, -1, 0
	s_wait_alu 0xfffe
	s_cmp_lg_u32 s44, 0
	s_add_co_ci_u32 s17, s17, s63
	s_wait_alu 0xfffe
	s_mul_u64 s[60:61], s[60:61], s[16:17]
	s_wait_alu 0xfffe
	s_mul_hi_u32 s63, s16, s61
	s_mul_i32 s62, s16, s61
	s_mul_hi_u32 s44, s16, s60
	s_mul_i32 s64, s17, s60
	s_wait_alu 0xfffe
	s_add_nc_u64 s[62:63], s[44:45], s[62:63]
	s_mul_hi_u32 s59, s17, s60
	s_mul_hi_u32 s65, s17, s61
	s_wait_alu 0xfffe
	s_add_co_u32 s44, s62, s64
	s_add_co_ci_u32 s44, s63, s59
	s_mul_i32 s60, s17, s61
	s_add_co_ci_u32 s61, s65, 0
	s_wait_alu 0xfffe
	s_add_nc_u64 s[60:61], s[44:45], s[60:61]
	s_wait_alu 0xfffe
	s_add_co_u32 s16, s16, s60
	s_cselect_b32 s59, -1, 0
	s_wait_alu 0xfffe
	s_mul_hi_u32 s44, s14, s16
	s_cmp_lg_u32 s59, 0
	s_mul_hi_u32 s59, s15, s16
	s_add_co_ci_u32 s60, s17, s61
	s_mul_i32 s61, s15, s16
	s_wait_alu 0xfffe
	s_mul_hi_u32 s17, s14, s60
	s_mul_i32 s16, s14, s60
	s_mul_hi_u32 s62, s15, s60
	s_wait_alu 0xfffe
	s_add_nc_u64 s[16:17], s[44:45], s[16:17]
	s_mul_i32 s60, s15, s60
	s_wait_alu 0xfffe
	s_add_co_u32 s16, s16, s61
	s_add_co_ci_u32 s44, s17, s59
	s_add_co_ci_u32 s61, s62, 0
	s_wait_alu 0xfffe
	s_add_nc_u64 s[16:17], s[44:45], s[60:61]
	s_wait_alu 0xfffe
	s_mul_u64 s[16:17], s[40:41], s[16:17]
	s_wait_alu 0xfffe
	s_sub_co_u32 s16, s14, s16
	s_cselect_b32 s44, -1, 0
	s_wait_alu 0xfffe
	s_cmp_lg_u32 s44, 0
	s_sub_co_ci_u32 s17, s15, s17
	s_sub_co_u32 s44, s16, s40
	s_cselect_b32 s59, -1, 0
	s_delay_alu instid0(SALU_CYCLE_1)
	s_cmp_lg_u32 s59, 0
	s_wait_alu 0xfffe
	s_sub_co_ci_u32 s59, s17, 0
	s_sub_co_u32 s60, s44, s40
	s_cselect_b32 s61, -1, 0
	s_wait_alu 0xfffe
	s_cmp_lg_u32 s61, 0
	s_sub_co_ci_u32 s61, s59, 0
	s_cmp_ge_u32 s44, s40
	s_cselect_b32 s62, -1, 0
	s_cmp_eq_u32 s59, 0
	s_wait_alu 0xfffe
	s_cselect_b32 s62, s62, -1
	s_wait_alu 0xfffe
	s_cmp_lg_u32 s62, 0
	s_cselect_b32 s59, s61, s59
	s_cselect_b32 s44, s60, s44
	s_cmp_ge_u32 s16, s40
	s_cselect_b32 s60, -1, 0
	s_cmp_eq_u32 s17, 0
	s_wait_alu 0xfffe
	s_cselect_b32 s60, s60, -1
	s_wait_alu 0xfffe
	s_cmp_lg_u32 s60, 0
	s_cselect_b32 s17, s59, s17
	s_cselect_b32 s16, s44, s16
	s_cbranch_execnz .LBB116_137
.LBB116_136:                            ;   in Loop: Header=BB116_20 Depth=1
	v_cvt_f32_u32_e32 v2, s40
	s_sub_co_i32 s17, 0, s40
	s_delay_alu instid0(VALU_DEP_1) | instskip(NEXT) | instid1(TRANS32_DEP_1)
	v_rcp_iflag_f32_e32 v2, v2
	v_mul_f32_e32 v2, 0x4f7ffffe, v2
	s_delay_alu instid0(VALU_DEP_1) | instskip(NEXT) | instid1(VALU_DEP_1)
	v_cvt_u32_f32_e32 v2, v2
	v_readfirstlane_b32 s16, v2
	s_wait_alu 0xfffe
	s_mul_i32 s17, s17, s16
	s_wait_alu 0xfffe
	s_mul_hi_u32 s17, s16, s17
	s_wait_alu 0xfffe
	s_add_co_i32 s16, s16, s17
	s_wait_alu 0xfffe
	s_mul_hi_u32 s16, s14, s16
	s_wait_alu 0xfffe
	s_mul_i32 s16, s16, s40
	s_wait_alu 0xfffe
	s_sub_co_i32 s16, s14, s16
	s_wait_alu 0xfffe
	s_sub_co_i32 s17, s16, s40
	s_cmp_ge_u32 s16, s40
	s_wait_alu 0xfffe
	s_cselect_b32 s16, s17, s16
	s_wait_alu 0xfffe
	s_sub_co_i32 s17, s16, s40
	s_cmp_ge_u32 s16, s40
	s_wait_alu 0xfffe
	s_cselect_b32 s44, s17, s16
	s_wait_alu 0xfffe
	s_mov_b64 s[16:17], s[44:45]
.LBB116_137:                            ;   in Loop: Header=BB116_20 Depth=1
	s_wait_alu 0xfffe
	s_sub_nc_u64 s[14:15], s[14:15], s[16:17]
	s_mov_b32 s17, 0
	s_mov_b32 s16, 0
	s_mov_b32 s44, exec_lo
                                        ; implicit-def: $vgpr6_vgpr7
	s_wait_alu 0xfffe
	v_cmpx_gt_u64_e64 s[14:15], v[0:1]
	s_cbranch_execz .LBB116_152
; %bb.138:                              ;   in Loop: Header=BB116_20 Depth=1
	v_dual_mov_b32 v14, v40 :: v_dual_mov_b32 v9, v1
	v_mov_b32_e32 v8, v0
                                        ; implicit-def: $sgpr59
	s_branch .LBB116_142
.LBB116_139:                            ;   in Loop: Header=BB116_142 Depth=2
	s_wait_alu 0xfffe
	s_or_b32 exec_lo, exec_lo, s60
	s_wait_loadcnt_dscnt 0x0
	s_barrier_signal -1
	s_barrier_wait -1
	global_inv scope:SCOPE_SE
	ds_load_b128 v[4:7], v21 offset:3072
	s_wait_loadcnt_dscnt 0x0
	s_barrier_signal -1
	s_barrier_wait -1
	global_inv scope:SCOPE_SE
	v_cmp_neq_f64_e32 vcc_lo, 0, v[4:5]
	s_cbranch_vccnz .LBB116_145
; %bb.140:                              ;   in Loop: Header=BB116_142 Depth=2
	v_add_co_u32 v8, vcc_lo, v8, s40
	s_wait_alu 0xfffd
	v_add_co_ci_u32_e64 v9, null, 0, v9, vcc_lo
	v_add_nc_u32_e32 v14, s78, v14
	s_mov_b32 s60, 0
	s_delay_alu instid0(VALU_DEP_2)
	v_cmp_le_u64_e32 vcc_lo, s[14:15], v[8:9]
	s_or_not1_b32 s61, vcc_lo, exec_lo
.LBB116_141:                            ;   in Loop: Header=BB116_142 Depth=2
	s_wait_alu 0xfffe
	s_and_b32 s61, exec_lo, s61
	s_wait_alu 0xfffe
	s_or_b32 s16, s61, s16
	s_and_not1_b32 s59, s59, exec_lo
	s_and_b32 s60, s60, exec_lo
	s_wait_alu 0xfffe
	s_or_b32 s59, s59, s60
	s_and_not1_b32 exec_lo, exec_lo, s16
	s_cbranch_execz .LBB116_151
.LBB116_142:                            ;   Parent Loop BB116_20 Depth=1
                                        ; =>  This Inner Loop Header: Depth=2
	s_mov_b32 s60, exec_lo
	s_delay_alu instid0(VALU_DEP_1)
	v_cmpx_gt_u64_e64 s[4:5], v[8:9]
	s_cbranch_execz .LBB116_139
; %bb.143:                              ;   in Loop: Header=BB116_142 Depth=2
	ds_load_b64 v[4:5], v14
	s_wait_dscnt 0x0
	v_cmp_o_f64_e32 vcc_lo, v[4:5], v[4:5]
	v_ashrrev_i32_e32 v2, 31, v5
	s_delay_alu instid0(VALU_DEP_1) | instskip(SKIP_1) | instid1(VALU_DEP_2)
	v_or_b32_e32 v6, 0x80000000, v2
	v_xor_b32_e32 v2, v2, v4
	v_xor_b32_e32 v6, v6, v5
	s_wait_alu 0xfffd
	s_delay_alu instid0(VALU_DEP_1) | instskip(NEXT) | instid1(VALU_DEP_1)
	v_cndmask_b32_e32 v6, -1, v6, vcc_lo
	v_dual_cndmask_b32 v2, -1, v2 :: v_dual_and_b32 v7, v6, v32
	s_delay_alu instid0(VALU_DEP_1) | instskip(NEXT) | instid1(VALU_DEP_1)
	v_and_b32_e32 v6, v2, v31
	v_cmp_eq_u64_e32 vcc_lo, v[6:7], v[27:28]
	s_and_b32 exec_lo, exec_lo, vcc_lo
	s_cbranch_execz .LBB116_139
; %bb.144:                              ;   in Loop: Header=BB116_142 Depth=2
	v_mov_b32_e32 v2, v21
	ds_store_b128 v21, v[2:5] offset:3072
	s_branch .LBB116_139
.LBB116_145:                            ;   in Loop: Header=BB116_142 Depth=2
	s_mov_b32 s61, -1
	s_mov_b32 s60, -1
                                        ; implicit-def: $vgpr8_vgpr9
                                        ; implicit-def: $vgpr14
	s_branch .LBB116_141
.LBB116_146:                            ;   in Loop: Header=BB116_20 Depth=1
                                        ; implicit-def: $sgpr16_sgpr17
	s_branch .LBB116_91
.LBB116_147:                            ;   in Loop: Header=BB116_20 Depth=1
	s_wait_alu 0xfffe
	s_or_b32 exec_lo, exec_lo, s7
	s_wait_loadcnt_dscnt 0x0
	s_barrier_signal -1
	s_barrier_wait -1
	global_inv scope:SCOPE_SE
	s_and_saveexec_b32 s4, s3
	s_cbranch_execz .LBB116_149
; %bb.148:                              ;   in Loop: Header=BB116_20 Depth=1
	ds_load_b32 v4, v21 offset:5144
	s_wait_dscnt 0x0
	v_ashrrev_i32_e32 v5, 31, v4
	ds_store_b64 v21, v[4:5] offset:5120
.LBB116_149:                            ;   in Loop: Header=BB116_20 Depth=1
	s_wait_alu 0xfffe
	s_or_b32 exec_lo, exec_lo, s4
	s_wait_loadcnt_dscnt 0x0
	s_barrier_signal -1
	s_mov_b32 s4, -1
	s_barrier_wait -1
	s_and_b32 vcc_lo, exec_lo, s6
	s_wait_alu 0xfffe
	s_cbranch_vccnz .LBB116_36
	s_branch .LBB116_45
.LBB116_150:                            ;   in Loop: Header=BB116_20 Depth=1
                                        ; implicit-def: $sgpr4_sgpr5
	s_branch .LBB116_106
.LBB116_151:                            ;   in Loop: Header=BB116_20 Depth=1
	s_or_b32 exec_lo, exec_lo, s16
	s_delay_alu instid0(SALU_CYCLE_1)
	s_and_b32 s16, s59, exec_lo
.LBB116_152:                            ;   in Loop: Header=BB116_20 Depth=1
	s_or_b32 exec_lo, exec_lo, s44
.LBB116_153:                            ;   in Loop: Header=BB116_20 Depth=1
	s_wait_alu 0xfffe
	s_and_b32 vcc_lo, exec_lo, s17
	s_wait_alu 0xfffe
	s_cbranch_vccz .LBB116_168
; %bb.154:                              ;   in Loop: Header=BB116_20 Depth=1
	s_mov_b32 s4, s45
	s_mov_b32 s5, s51
	s_wait_alu 0xfffe
	s_cmp_lg_u64 s[4:5], 0
	s_cbranch_scc0 .LBB116_198
; %bb.155:                              ;   in Loop: Header=BB116_20 Depth=1
	s_cvt_f32_u32 s4, s40
	s_sub_nc_u64 s[14:15], 0, s[40:41]
	s_wait_alu 0xfffe
	s_delay_alu instid0(SALU_CYCLE_1) | instskip(SKIP_1) | instid1(SALU_CYCLE_2)
	s_fmamk_f32 s4, s81, 0x0, s4
	s_wait_alu 0xfffe
	v_s_rcp_f32 s4, s4
	s_delay_alu instid0(TRANS32_DEP_1) | instskip(SKIP_1) | instid1(SALU_CYCLE_2)
	s_mul_f32 s4, s4, 0x5f7ffffc
	s_wait_alu 0xfffe
	s_mul_f32 s5, s4, 0x2f800000
	s_wait_alu 0xfffe
	s_delay_alu instid0(SALU_CYCLE_2) | instskip(SKIP_1) | instid1(SALU_CYCLE_2)
	s_trunc_f32 s5, s5
	s_wait_alu 0xfffe
	s_fmamk_f32 s4, s5, 0xcf800000, s4
	s_cvt_u32_f32 s5, s5
	s_wait_alu 0xfffe
	s_delay_alu instid0(SALU_CYCLE_1) | instskip(SKIP_1) | instid1(SALU_CYCLE_2)
	s_cvt_u32_f32 s4, s4
	s_wait_alu 0xfffe
	s_mul_u64 s[60:61], s[14:15], s[4:5]
	s_wait_alu 0xfffe
	s_mul_hi_u32 s63, s4, s61
	s_mul_i32 s62, s4, s61
	s_mul_hi_u32 s44, s4, s60
	s_mul_i32 s21, s5, s60
	s_wait_alu 0xfffe
	s_add_nc_u64 s[62:63], s[44:45], s[62:63]
	s_mul_hi_u32 s17, s5, s60
	s_mul_hi_u32 s22, s5, s61
	s_wait_alu 0xfffe
	s_add_co_u32 s21, s62, s21
	s_add_co_ci_u32 s44, s63, s17
	s_mul_i32 s60, s5, s61
	s_add_co_ci_u32 s61, s22, 0
	s_wait_alu 0xfffe
	s_add_nc_u64 s[60:61], s[44:45], s[60:61]
	s_wait_alu 0xfffe
	s_add_co_u32 s4, s4, s60
	s_cselect_b32 s17, -1, 0
	s_wait_alu 0xfffe
	s_cmp_lg_u32 s17, 0
	s_add_co_ci_u32 s5, s5, s61
	s_wait_alu 0xfffe
	s_mul_u64 s[14:15], s[14:15], s[4:5]
	s_wait_alu 0xfffe
	s_mul_hi_u32 s61, s4, s15
	s_mul_i32 s60, s4, s15
	s_mul_hi_u32 s44, s4, s14
	s_mul_i32 s21, s5, s14
	s_wait_alu 0xfffe
	s_add_nc_u64 s[60:61], s[44:45], s[60:61]
	s_mul_hi_u32 s17, s5, s14
	s_mul_hi_u32 s22, s5, s15
	s_mul_i32 s14, s5, s15
	s_wait_alu 0xfffe
	s_add_co_u32 s15, s60, s21
	s_add_co_ci_u32 s44, s61, s17
	s_add_co_ci_u32 s15, s22, 0
	s_wait_alu 0xfffe
	s_add_nc_u64 s[14:15], s[44:45], s[14:15]
	s_wait_alu 0xfffe
	s_add_co_u32 s4, s4, s14
	s_cselect_b32 s14, -1, 0
	s_wait_alu 0xfffe
	s_mul_hi_u32 s44, s50, s4
	s_cmp_lg_u32 s14, 0
	s_mul_hi_u32 s17, s51, s4
	s_add_co_ci_u32 s14, s5, s15
	s_mul_i32 s15, s51, s4
	s_wait_alu 0xfffe
	s_mul_hi_u32 s5, s50, s14
	s_mul_i32 s4, s50, s14
	s_mul_hi_u32 s21, s51, s14
	s_wait_alu 0xfffe
	s_add_nc_u64 s[4:5], s[44:45], s[4:5]
	s_mul_i32 s14, s51, s14
	s_wait_alu 0xfffe
	s_add_co_u32 s4, s4, s15
	s_add_co_ci_u32 s44, s5, s17
	s_add_co_ci_u32 s15, s21, 0
	s_wait_alu 0xfffe
	s_add_nc_u64 s[4:5], s[44:45], s[14:15]
	s_wait_alu 0xfffe
	s_mul_u64 s[4:5], s[40:41], s[4:5]
	s_wait_alu 0xfffe
	s_sub_co_u32 s4, s50, s4
	s_cselect_b32 s14, -1, 0
	s_wait_alu 0xfffe
	s_cmp_lg_u32 s14, 0
	s_sub_co_ci_u32 s5, s51, s5
	s_sub_co_u32 s14, s4, s40
	s_cselect_b32 s15, -1, 0
	s_wait_alu 0xfffe
	s_cmp_lg_u32 s15, 0
	s_sub_co_ci_u32 s15, s5, 0
	s_sub_co_u32 s17, s14, s40
	s_cselect_b32 s21, -1, 0
	s_delay_alu instid0(SALU_CYCLE_1)
	s_cmp_lg_u32 s21, 0
	s_wait_alu 0xfffe
	s_sub_co_ci_u32 s21, s15, 0
	s_cmp_ge_u32 s14, s40
	s_cselect_b32 s22, -1, 0
	s_cmp_eq_u32 s15, 0
	s_cselect_b32 s22, s22, -1
	s_delay_alu instid0(SALU_CYCLE_1)
	s_cmp_lg_u32 s22, 0
	s_cselect_b32 s15, s21, s15
	s_cselect_b32 s14, s17, s14
	s_cmp_ge_u32 s4, s40
	s_cselect_b32 s17, -1, 0
	s_cmp_eq_u32 s5, 0
	s_wait_alu 0xfffe
	s_cselect_b32 s17, s17, -1
	s_wait_alu 0xfffe
	s_cmp_lg_u32 s17, 0
	s_cselect_b32 s5, s15, s5
	s_cselect_b32 s4, s14, s4
	s_cbranch_execnz .LBB116_157
.LBB116_156:                            ;   in Loop: Header=BB116_20 Depth=1
	v_cvt_f32_u32_e32 v2, s40
	s_sub_co_i32 s5, 0, s40
	s_delay_alu instid0(VALU_DEP_1) | instskip(NEXT) | instid1(TRANS32_DEP_1)
	v_rcp_iflag_f32_e32 v2, v2
	v_mul_f32_e32 v2, 0x4f7ffffe, v2
	s_delay_alu instid0(VALU_DEP_1) | instskip(NEXT) | instid1(VALU_DEP_1)
	v_cvt_u32_f32_e32 v2, v2
	v_readfirstlane_b32 s4, v2
	s_wait_alu 0xfffe
	s_mul_i32 s5, s5, s4
	s_wait_alu 0xfffe
	s_mul_hi_u32 s5, s4, s5
	s_wait_alu 0xfffe
	s_add_co_i32 s4, s4, s5
	s_wait_alu 0xfffe
	s_mul_hi_u32 s4, s50, s4
	s_wait_alu 0xfffe
	s_mul_i32 s4, s4, s40
	s_wait_alu 0xfffe
	s_sub_co_i32 s4, s50, s4
	s_wait_alu 0xfffe
	s_sub_co_i32 s5, s4, s40
	s_cmp_ge_u32 s4, s40
	s_wait_alu 0xfffe
	s_cselect_b32 s4, s5, s4
	s_wait_alu 0xfffe
	s_sub_co_i32 s5, s4, s40
	s_cmp_ge_u32 s4, s40
	s_wait_alu 0xfffe
	s_cselect_b32 s44, s5, s4
	s_wait_alu 0xfffe
	s_mov_b64 s[4:5], s[44:45]
.LBB116_157:                            ;   in Loop: Header=BB116_20 Depth=1
	s_wait_alu 0xfffe
	s_sub_nc_u64 s[14:15], s[50:51], s[4:5]
	s_mov_b32 s5, exec_lo
                                        ; implicit-def: $vgpr6_vgpr7
	s_wait_alu 0xfffe
	v_cmpx_gt_u64_e64 s[14:15], v[0:1]
	s_cbranch_execz .LBB116_167
; %bb.158:                              ;   in Loop: Header=BB116_20 Depth=1
	v_dual_mov_b32 v8, v16 :: v_dual_mov_b32 v9, v17
	v_dual_mov_b32 v15, v1 :: v_dual_mov_b32 v14, v0
	s_mov_b32 s17, 0
                                        ; implicit-def: $sgpr21
	s_branch .LBB116_162
.LBB116_159:                            ;   in Loop: Header=BB116_162 Depth=2
	s_wait_alu 0xfffe
	s_or_b32 exec_lo, exec_lo, s4
	s_wait_loadcnt_dscnt 0x0
	s_barrier_signal -1
	s_barrier_wait -1
	global_inv scope:SCOPE_SE
	ds_load_b128 v[4:7], v21 offset:3072
	s_wait_loadcnt_dscnt 0x0
	s_barrier_signal -1
	s_barrier_wait -1
	global_inv scope:SCOPE_SE
	v_cmp_eq_f64_e32 vcc_lo, 0, v[4:5]
	s_cbranch_vccz .LBB116_165
; %bb.160:                              ;   in Loop: Header=BB116_162 Depth=2
	v_add_co_u32 v14, vcc_lo, v14, s40
	s_wait_alu 0xfffd
	v_add_co_ci_u32_e64 v15, null, 0, v15, vcc_lo
	v_add_co_u32 v8, s4, v8, s42
	s_wait_alu 0xf1ff
	v_add_co_ci_u32_e64 v9, null, s43, v9, s4
	s_delay_alu instid0(VALU_DEP_3)
	v_cmp_le_u64_e32 vcc_lo, s[14:15], v[14:15]
	s_mov_b32 s4, 0
	s_or_not1_b32 s22, vcc_lo, exec_lo
.LBB116_161:                            ;   in Loop: Header=BB116_162 Depth=2
	s_delay_alu instid0(SALU_CYCLE_1) | instskip(NEXT) | instid1(SALU_CYCLE_1)
	s_and_b32 s22, exec_lo, s22
	s_or_b32 s17, s22, s17
	s_and_not1_b32 s21, s21, exec_lo
	s_wait_alu 0xfffe
	s_and_b32 s4, s4, exec_lo
	s_wait_alu 0xfffe
	s_or_b32 s21, s21, s4
	s_and_not1_b32 exec_lo, exec_lo, s17
	s_cbranch_execz .LBB116_166
.LBB116_162:                            ;   Parent Loop BB116_20 Depth=1
                                        ; =>  This Inner Loop Header: Depth=2
	s_mov_b32 s4, exec_lo
	s_delay_alu instid0(VALU_DEP_1)
	v_cmpx_gt_u64_e64 s[24:25], v[14:15]
	s_cbranch_execz .LBB116_159
; %bb.163:                              ;   in Loop: Header=BB116_162 Depth=2
	global_load_b64 v[4:5], v[8:9], off
	s_wait_loadcnt 0x0
	v_cmp_o_f64_e32 vcc_lo, v[4:5], v[4:5]
	v_ashrrev_i32_e32 v2, 31, v5
	s_delay_alu instid0(VALU_DEP_1) | instskip(SKIP_1) | instid1(VALU_DEP_2)
	v_or_b32_e32 v6, 0x80000000, v2
	v_xor_b32_e32 v2, v2, v4
	v_xor_b32_e32 v6, v6, v5
	s_wait_alu 0xfffd
	s_delay_alu instid0(VALU_DEP_1) | instskip(NEXT) | instid1(VALU_DEP_1)
	v_cndmask_b32_e32 v6, -1, v6, vcc_lo
	v_dual_cndmask_b32 v2, -1, v2 :: v_dual_and_b32 v7, v6, v32
	s_delay_alu instid0(VALU_DEP_1) | instskip(NEXT) | instid1(VALU_DEP_1)
	v_and_b32_e32 v6, v2, v31
	v_cmp_eq_u64_e32 vcc_lo, v[6:7], v[27:28]
	s_and_b32 exec_lo, exec_lo, vcc_lo
	s_cbranch_execz .LBB116_159
; %bb.164:                              ;   in Loop: Header=BB116_162 Depth=2
	v_mov_b32_e32 v2, v21
	ds_store_b128 v21, v[2:5] offset:3072
	s_branch .LBB116_159
.LBB116_165:                            ;   in Loop: Header=BB116_162 Depth=2
	s_mov_b32 s22, -1
	s_mov_b32 s4, -1
                                        ; implicit-def: $vgpr14_vgpr15
                                        ; implicit-def: $vgpr8_vgpr9
	s_branch .LBB116_161
.LBB116_166:                            ;   in Loop: Header=BB116_20 Depth=1
	s_or_b32 exec_lo, exec_lo, s17
	s_delay_alu instid0(SALU_CYCLE_1)
	s_and_not1_b32 s4, s16, exec_lo
	s_and_b32 s14, s21, exec_lo
	s_wait_alu 0xfffe
	s_or_b32 s16, s4, s14
.LBB116_167:                            ;   in Loop: Header=BB116_20 Depth=1
	s_or_b32 exec_lo, exec_lo, s5
	s_mov_b32 s21, 0
	s_mov_b32 s22, -1
.LBB116_168:                            ;   in Loop: Header=BB116_20 Depth=1
	s_wait_alu 0xfffe
	s_or_not1_b32 s4, s16, exec_lo
.LBB116_169:                            ;   in Loop: Header=BB116_20 Depth=1
	s_or_b32 exec_lo, exec_lo, s23
	s_mov_b32 s5, 0
	s_wait_alu 0xfffe
	s_and_saveexec_b32 s23, s4
	s_cbranch_execz .LBB116_279
; %bb.170:                              ;   in Loop: Header=BB116_20 Depth=1
	v_dual_mov_b32 v8, 1 :: v_dual_mov_b32 v35, 1
	v_mov_b32_e32 v9, 0
	s_xor_b32 s14, s58, -1
	s_wait_alu 0xfffe
	s_and_saveexec_b32 s4, s14
	s_cbranch_execz .LBB116_180
; %bb.171:                              ;   in Loop: Header=BB116_20 Depth=1
	s_mov_b32 s5, exec_lo
	v_cmpx_le_u64_e64 v[12:13], v[10:11]
	s_wait_alu 0xfffe
	s_xor_b32 s5, exec_lo, s5
	s_cbranch_execz .LBB116_177
; %bb.172:                              ;   in Loop: Header=BB116_20 Depth=1
	ds_load_b64 v[4:5], v21 offset:5120
	v_and_b32_e32 v2, s13, v28
	v_and_b32_e32 v8, s12, v27
	s_lshl_b64 s[14:15], 1, s79
	v_or_b32_e32 v32, s9, v32
	v_or_b32_e32 v31, s8, v31
	s_wait_alu 0xfffe
	v_or_b32_e32 v28, s15, v2
	v_or_b32_e32 v27, s14, v8
	s_wait_dscnt 0x0
	v_cmp_ne_u64_e32 vcc_lo, 0, v[4:5]
	s_cbranch_vccnz .LBB116_176
; %bb.173:                              ;   in Loop: Header=BB116_20 Depth=1
	s_and_saveexec_b32 s14, s3
; %bb.174:                              ;   in Loop: Header=BB116_20 Depth=1
	ds_store_b64 v21, v[10:11] offset:5128
; %bb.175:                              ;   in Loop: Header=BB116_20 Depth=1
	s_wait_alu 0xfffe
	s_or_b32 exec_lo, exec_lo, s14
	s_wait_loadcnt_dscnt 0x0
	s_barrier_signal -1
	s_barrier_wait -1
	global_inv scope:SCOPE_SE
.LBB116_176:                            ;   in Loop: Header=BB116_20 Depth=1
                                        ; implicit-def: $vgpr8_vgpr9_vgpr10_vgpr11
.LBB116_177:                            ;   in Loop: Header=BB116_20 Depth=1
	s_wait_alu 0xfffe
	s_or_saveexec_b32 s5, s5
	v_mov_b32_e32 v35, 8
	s_mov_b32 s14, 0
	s_wait_alu 0xfffe
	s_xor_b32 exec_lo, exec_lo, s5
; %bb.178:                              ;   in Loop: Header=BB116_20 Depth=1
	v_sub_co_u32 v12, vcc_lo, v12, v10
	s_wait_alu 0xfffd
	v_sub_co_ci_u32_e64 v13, null, v13, v11, vcc_lo
	v_mov_b32_e32 v35, 0
	s_mov_b32 s14, exec_lo
; %bb.179:                              ;   in Loop: Header=BB116_20 Depth=1
	s_or_b32 exec_lo, exec_lo, s5
	s_delay_alu instid0(VALU_DEP_2)
	v_dual_mov_b32 v8, v12 :: v_dual_mov_b32 v9, v13
	s_wait_alu 0xfffe
	s_and_b32 s5, s14, exec_lo
.LBB116_180:                            ;   in Loop: Header=BB116_20 Depth=1
	s_wait_alu 0xfffe
	s_or_b32 exec_lo, exec_lo, s4
	s_mov_b32 s4, -1
                                        ; implicit-def: $sgpr59
                                        ; implicit-def: $sgpr60
	s_and_saveexec_b32 s58, s5
	s_cbranch_execz .LBB116_278
; %bb.181:                              ;   in Loop: Header=BB116_20 Depth=1
	v_cmp_eq_u64_e32 vcc_lo, 1, v[8:9]
	s_cmp_eq_u64 s[10:11], 1
                                        ; implicit-def: $sgpr60
                                        ; implicit-def: $sgpr59
	s_cselect_b32 s4, -1, 0
	s_wait_alu 0xfffe
	s_and_b32 s61, s4, vcc_lo
	s_mov_b32 s4, -1
	s_wait_alu 0xfffe
	s_and_saveexec_b32 s62, s61
	s_cbranch_execz .LBB116_217
; %bb.182:                              ;   in Loop: Header=BB116_20 Depth=1
	ds_load_b64 v[4:5], v21 offset:5120
	s_wait_loadcnt_dscnt 0x0
	s_barrier_signal -1
	s_barrier_wait -1
	global_inv scope:SCOPE_SE
	v_readfirstlane_b32 s4, v4
	v_readfirstlane_b32 s5, v5
	s_and_saveexec_b32 s14, s0
; %bb.183:                              ;   in Loop: Header=BB116_20 Depth=1
	v_mov_b32_e32 v20, v21
	ds_store_b64 v41, v[20:21]
; %bb.184:                              ;   in Loop: Header=BB116_20 Depth=1
	s_wait_alu 0xfffe
	s_or_b32 exec_lo, exec_lo, s14
	v_and_b32_e32 v2, s13, v28
	v_and_b32_e32 v4, s12, v27
	s_lshl_b64 s[14:15], 2, s79
	v_or_b32_e32 v32, s9, v32
	v_or_b32_e32 v31, s8, v31
	s_wait_alu 0xfffe
	v_or_b32_e32 v28, s15, v2
	v_or_b32_e32 v27, s14, v4
	s_mov_b32 s59, -1
	s_mov_b32 s60, 0
	s_cmp_eq_u64 s[4:5], 0
	s_mov_b32 s16, 0
	s_mov_b32 s17, -1
	s_wait_loadcnt_dscnt 0x0
	s_barrier_signal -1
	s_barrier_wait -1
	global_inv scope:SCOPE_SE
                                        ; implicit-def: $vgpr6_vgpr7
	s_cbranch_scc1 .LBB116_201
; %bb.185:                              ;   in Loop: Header=BB116_20 Depth=1
	s_add_nc_u64 s[14:15], s[4:5], s[48:49]
	s_mov_b32 s16, s45
	s_wait_alu 0xfffe
	s_mov_b32 s17, s15
	s_wait_alu 0xfffe
	s_cmp_lg_u64 s[16:17], 0
	s_cbranch_scc0 .LBB116_244
; %bb.186:                              ;   in Loop: Header=BB116_20 Depth=1
	s_cvt_f32_u32 s16, s40
	s_sub_nc_u64 s[64:65], 0, s[40:41]
	s_wait_alu 0xfffe
	s_delay_alu instid0(SALU_CYCLE_1) | instskip(SKIP_1) | instid1(SALU_CYCLE_2)
	s_fmamk_f32 s16, s81, 0x0, s16
	s_wait_alu 0xfffe
	v_s_rcp_f32 s16, s16
	s_delay_alu instid0(TRANS32_DEP_1) | instskip(SKIP_1) | instid1(SALU_CYCLE_2)
	s_mul_f32 s16, s16, 0x5f7ffffc
	s_wait_alu 0xfffe
	s_mul_f32 s17, s16, 0x2f800000
	s_wait_alu 0xfffe
	s_delay_alu instid0(SALU_CYCLE_2) | instskip(SKIP_1) | instid1(SALU_CYCLE_2)
	s_trunc_f32 s17, s17
	s_wait_alu 0xfffe
	s_fmamk_f32 s16, s17, 0xcf800000, s16
	s_cvt_u32_f32 s17, s17
	s_wait_alu 0xfffe
	s_delay_alu instid0(SALU_CYCLE_1) | instskip(SKIP_1) | instid1(SALU_CYCLE_2)
	s_cvt_u32_f32 s16, s16
	s_wait_alu 0xfffe
	s_mul_u64 s[66:67], s[64:65], s[16:17]
	s_wait_alu 0xfffe
	s_mul_hi_u32 s69, s16, s67
	s_mul_i32 s68, s16, s67
	s_mul_hi_u32 s44, s16, s66
	s_mul_i32 s70, s17, s66
	s_wait_alu 0xfffe
	s_add_nc_u64 s[68:69], s[44:45], s[68:69]
	s_mul_hi_u32 s63, s17, s66
	s_mul_hi_u32 s71, s17, s67
	s_wait_alu 0xfffe
	s_add_co_u32 s44, s68, s70
	s_add_co_ci_u32 s44, s69, s63
	s_mul_i32 s66, s17, s67
	s_add_co_ci_u32 s67, s71, 0
	s_wait_alu 0xfffe
	s_add_nc_u64 s[66:67], s[44:45], s[66:67]
	s_wait_alu 0xfffe
	s_add_co_u32 s16, s16, s66
	s_cselect_b32 s44, -1, 0
	s_wait_alu 0xfffe
	s_cmp_lg_u32 s44, 0
	s_add_co_ci_u32 s17, s17, s67
	s_wait_alu 0xfffe
	s_mul_u64 s[64:65], s[64:65], s[16:17]
	s_wait_alu 0xfffe
	s_mul_hi_u32 s67, s16, s65
	s_mul_i32 s66, s16, s65
	s_mul_hi_u32 s44, s16, s64
	s_mul_i32 s68, s17, s64
	s_wait_alu 0xfffe
	s_add_nc_u64 s[66:67], s[44:45], s[66:67]
	s_mul_hi_u32 s63, s17, s64
	s_mul_hi_u32 s69, s17, s65
	s_wait_alu 0xfffe
	s_add_co_u32 s44, s66, s68
	s_add_co_ci_u32 s44, s67, s63
	s_mul_i32 s64, s17, s65
	s_add_co_ci_u32 s65, s69, 0
	s_wait_alu 0xfffe
	s_add_nc_u64 s[64:65], s[44:45], s[64:65]
	s_wait_alu 0xfffe
	s_add_co_u32 s16, s16, s64
	s_cselect_b32 s63, -1, 0
	s_wait_alu 0xfffe
	s_mul_hi_u32 s44, s14, s16
	s_cmp_lg_u32 s63, 0
	s_mul_hi_u32 s63, s15, s16
	s_add_co_ci_u32 s64, s17, s65
	s_mul_i32 s65, s15, s16
	s_wait_alu 0xfffe
	s_mul_hi_u32 s17, s14, s64
	s_mul_i32 s16, s14, s64
	s_mul_hi_u32 s66, s15, s64
	s_wait_alu 0xfffe
	s_add_nc_u64 s[16:17], s[44:45], s[16:17]
	s_mul_i32 s64, s15, s64
	s_wait_alu 0xfffe
	s_add_co_u32 s16, s16, s65
	s_add_co_ci_u32 s44, s17, s63
	s_add_co_ci_u32 s65, s66, 0
	s_wait_alu 0xfffe
	s_add_nc_u64 s[16:17], s[44:45], s[64:65]
	s_wait_alu 0xfffe
	s_mul_u64 s[16:17], s[40:41], s[16:17]
	s_wait_alu 0xfffe
	s_sub_co_u32 s16, s14, s16
	s_cselect_b32 s44, -1, 0
	s_wait_alu 0xfffe
	s_cmp_lg_u32 s44, 0
	s_sub_co_ci_u32 s17, s15, s17
	s_sub_co_u32 s44, s16, s40
	s_cselect_b32 s63, -1, 0
	s_wait_alu 0xfffe
	s_cmp_lg_u32 s63, 0
	s_sub_co_ci_u32 s63, s17, 0
	;; [unrolled: 5-line block ×3, first 2 shown]
	s_cmp_ge_u32 s44, s40
	s_cselect_b32 s66, -1, 0
	s_cmp_eq_u32 s63, 0
	s_wait_alu 0xfffe
	s_cselect_b32 s66, s66, -1
	s_wait_alu 0xfffe
	s_cmp_lg_u32 s66, 0
	s_cselect_b32 s63, s65, s63
	s_cselect_b32 s44, s64, s44
	s_cmp_ge_u32 s16, s40
	s_cselect_b32 s64, -1, 0
	s_cmp_eq_u32 s17, 0
	s_wait_alu 0xfffe
	s_cselect_b32 s64, s64, -1
	s_wait_alu 0xfffe
	s_cmp_lg_u32 s64, 0
	s_cselect_b32 s17, s63, s17
	s_cselect_b32 s16, s44, s16
	s_cbranch_execnz .LBB116_188
.LBB116_187:                            ;   in Loop: Header=BB116_20 Depth=1
	v_cvt_f32_u32_e32 v2, s40
	s_sub_co_i32 s17, 0, s40
	s_delay_alu instid0(VALU_DEP_1) | instskip(NEXT) | instid1(TRANS32_DEP_1)
	v_rcp_iflag_f32_e32 v2, v2
	v_mul_f32_e32 v2, 0x4f7ffffe, v2
	s_delay_alu instid0(VALU_DEP_1) | instskip(NEXT) | instid1(VALU_DEP_1)
	v_cvt_u32_f32_e32 v2, v2
	v_readfirstlane_b32 s16, v2
	s_wait_alu 0xfffe
	s_mul_i32 s17, s17, s16
	s_wait_alu 0xfffe
	s_mul_hi_u32 s17, s16, s17
	s_wait_alu 0xfffe
	s_add_co_i32 s16, s16, s17
	s_wait_alu 0xfffe
	s_mul_hi_u32 s16, s14, s16
	s_wait_alu 0xfffe
	s_mul_i32 s16, s16, s40
	s_wait_alu 0xfffe
	s_sub_co_i32 s16, s14, s16
	s_wait_alu 0xfffe
	s_sub_co_i32 s17, s16, s40
	s_cmp_ge_u32 s16, s40
	s_wait_alu 0xfffe
	s_cselect_b32 s16, s17, s16
	s_wait_alu 0xfffe
	s_sub_co_i32 s17, s16, s40
	s_cmp_ge_u32 s16, s40
	s_wait_alu 0xfffe
	s_cselect_b32 s44, s17, s16
	s_wait_alu 0xfffe
	s_mov_b64 s[16:17], s[44:45]
.LBB116_188:                            ;   in Loop: Header=BB116_20 Depth=1
	s_wait_alu 0xfffe
	s_sub_nc_u64 s[14:15], s[14:15], s[16:17]
	s_mov_b32 s17, 0
	s_mov_b32 s16, 0
	s_mov_b32 s44, exec_lo
                                        ; implicit-def: $vgpr6_vgpr7
	s_wait_alu 0xfffe
	v_cmpx_gt_u64_e64 s[14:15], v[0:1]
	s_cbranch_execz .LBB116_200
; %bb.189:                              ;   in Loop: Header=BB116_20 Depth=1
	v_dual_mov_b32 v12, v40 :: v_dual_mov_b32 v11, v1
	v_mov_b32_e32 v10, v0
                                        ; implicit-def: $sgpr63
	s_branch .LBB116_193
.LBB116_190:                            ;   in Loop: Header=BB116_193 Depth=2
	s_wait_alu 0xfffe
	s_or_b32 exec_lo, exec_lo, s64
	s_wait_loadcnt_dscnt 0x0
	s_barrier_signal -1
	s_barrier_wait -1
	global_inv scope:SCOPE_SE
	ds_load_b128 v[4:7], v21 offset:3072
	s_wait_loadcnt_dscnt 0x0
	s_barrier_signal -1
	s_barrier_wait -1
	global_inv scope:SCOPE_SE
	v_cmp_neq_f64_e32 vcc_lo, 0, v[4:5]
	s_cbranch_vccnz .LBB116_196
; %bb.191:                              ;   in Loop: Header=BB116_193 Depth=2
	v_add_co_u32 v10, vcc_lo, v10, s40
	s_wait_alu 0xfffd
	v_add_co_ci_u32_e64 v11, null, 0, v11, vcc_lo
	v_add_nc_u32_e32 v12, s78, v12
	s_mov_b32 s64, 0
	s_delay_alu instid0(VALU_DEP_2)
	v_cmp_le_u64_e32 vcc_lo, s[14:15], v[10:11]
	s_or_not1_b32 s65, vcc_lo, exec_lo
.LBB116_192:                            ;   in Loop: Header=BB116_193 Depth=2
	s_wait_alu 0xfffe
	s_and_b32 s65, exec_lo, s65
	s_wait_alu 0xfffe
	s_or_b32 s16, s65, s16
	s_and_not1_b32 s63, s63, exec_lo
	s_and_b32 s64, s64, exec_lo
	s_wait_alu 0xfffe
	s_or_b32 s63, s63, s64
	s_and_not1_b32 exec_lo, exec_lo, s16
	s_cbranch_execz .LBB116_199
.LBB116_193:                            ;   Parent Loop BB116_20 Depth=1
                                        ; =>  This Inner Loop Header: Depth=2
	s_mov_b32 s64, exec_lo
	s_delay_alu instid0(VALU_DEP_1)
	v_cmpx_gt_u64_e64 s[4:5], v[10:11]
	s_cbranch_execz .LBB116_190
; %bb.194:                              ;   in Loop: Header=BB116_193 Depth=2
	ds_load_b64 v[4:5], v12
	s_wait_dscnt 0x0
	v_cmp_o_f64_e32 vcc_lo, v[4:5], v[4:5]
	v_ashrrev_i32_e32 v2, 31, v5
	s_delay_alu instid0(VALU_DEP_1) | instskip(SKIP_1) | instid1(VALU_DEP_2)
	v_or_b32_e32 v6, 0x80000000, v2
	v_xor_b32_e32 v2, v2, v4
	v_xor_b32_e32 v6, v6, v5
	s_wait_alu 0xfffd
	s_delay_alu instid0(VALU_DEP_1) | instskip(NEXT) | instid1(VALU_DEP_1)
	v_cndmask_b32_e32 v6, -1, v6, vcc_lo
	v_dual_cndmask_b32 v2, -1, v2 :: v_dual_and_b32 v7, v6, v32
	s_delay_alu instid0(VALU_DEP_1) | instskip(NEXT) | instid1(VALU_DEP_1)
	v_and_b32_e32 v6, v2, v31
	v_cmp_eq_u64_e32 vcc_lo, v[6:7], v[27:28]
	s_and_b32 exec_lo, exec_lo, vcc_lo
	s_cbranch_execz .LBB116_190
; %bb.195:                              ;   in Loop: Header=BB116_193 Depth=2
	v_mov_b32_e32 v2, v21
	ds_store_b128 v21, v[2:5] offset:3072
	s_branch .LBB116_190
.LBB116_196:                            ;   in Loop: Header=BB116_193 Depth=2
	s_mov_b32 s65, -1
	s_mov_b32 s64, -1
                                        ; implicit-def: $vgpr10_vgpr11
                                        ; implicit-def: $vgpr12
	s_branch .LBB116_192
.LBB116_197:                            ;   in Loop: Header=BB116_20 Depth=1
                                        ; implicit-def: $sgpr16_sgpr17
	s_branch .LBB116_136
.LBB116_198:                            ;   in Loop: Header=BB116_20 Depth=1
                                        ; implicit-def: $sgpr4_sgpr5
	s_branch .LBB116_156
.LBB116_199:                            ;   in Loop: Header=BB116_20 Depth=1
	s_or_b32 exec_lo, exec_lo, s16
	s_wait_alu 0xfffe
	s_and_b32 s16, s63, exec_lo
.LBB116_200:                            ;   in Loop: Header=BB116_20 Depth=1
	s_or_b32 exec_lo, exec_lo, s44
.LBB116_201:                            ;   in Loop: Header=BB116_20 Depth=1
	s_wait_alu 0xfffe
	s_and_b32 vcc_lo, exec_lo, s17
	s_wait_alu 0xfffe
	s_cbranch_vccz .LBB116_216
; %bb.202:                              ;   in Loop: Header=BB116_20 Depth=1
	s_mov_b32 s4, s45
	s_mov_b32 s5, s51
	s_wait_alu 0xfffe
	s_cmp_lg_u64 s[4:5], 0
	s_cbranch_scc0 .LBB116_245
; %bb.203:                              ;   in Loop: Header=BB116_20 Depth=1
	s_cvt_f32_u32 s4, s40
	s_sub_nc_u64 s[14:15], 0, s[40:41]
	s_wait_alu 0xfffe
	s_delay_alu instid0(SALU_CYCLE_1) | instskip(SKIP_1) | instid1(SALU_CYCLE_2)
	s_fmamk_f32 s4, s81, 0x0, s4
	s_wait_alu 0xfffe
	v_s_rcp_f32 s4, s4
	s_delay_alu instid0(TRANS32_DEP_1) | instskip(SKIP_1) | instid1(SALU_CYCLE_2)
	s_mul_f32 s4, s4, 0x5f7ffffc
	s_wait_alu 0xfffe
	s_mul_f32 s5, s4, 0x2f800000
	s_wait_alu 0xfffe
	s_delay_alu instid0(SALU_CYCLE_2) | instskip(SKIP_1) | instid1(SALU_CYCLE_2)
	s_trunc_f32 s5, s5
	s_wait_alu 0xfffe
	s_fmamk_f32 s4, s5, 0xcf800000, s4
	s_cvt_u32_f32 s5, s5
	s_wait_alu 0xfffe
	s_delay_alu instid0(SALU_CYCLE_1) | instskip(SKIP_1) | instid1(SALU_CYCLE_2)
	s_cvt_u32_f32 s4, s4
	s_wait_alu 0xfffe
	s_mul_u64 s[64:65], s[14:15], s[4:5]
	s_wait_alu 0xfffe
	s_mul_hi_u32 s67, s4, s65
	s_mul_i32 s66, s4, s65
	s_mul_hi_u32 s44, s4, s64
	s_mul_i32 s59, s5, s64
	s_wait_alu 0xfffe
	s_add_nc_u64 s[66:67], s[44:45], s[66:67]
	s_mul_hi_u32 s17, s5, s64
	s_mul_hi_u32 s60, s5, s65
	s_wait_alu 0xfffe
	s_add_co_u32 s44, s66, s59
	s_add_co_ci_u32 s44, s67, s17
	s_mul_i32 s64, s5, s65
	s_add_co_ci_u32 s65, s60, 0
	s_wait_alu 0xfffe
	s_add_nc_u64 s[64:65], s[44:45], s[64:65]
	s_wait_alu 0xfffe
	s_add_co_u32 s4, s4, s64
	s_cselect_b32 s17, -1, 0
	s_wait_alu 0xfffe
	s_cmp_lg_u32 s17, 0
	s_add_co_ci_u32 s5, s5, s65
	s_wait_alu 0xfffe
	s_mul_u64 s[14:15], s[14:15], s[4:5]
	s_wait_alu 0xfffe
	s_mul_hi_u32 s65, s4, s15
	s_mul_i32 s64, s4, s15
	s_mul_hi_u32 s44, s4, s14
	s_mul_i32 s59, s5, s14
	s_wait_alu 0xfffe
	s_add_nc_u64 s[64:65], s[44:45], s[64:65]
	s_mul_hi_u32 s17, s5, s14
	s_mul_hi_u32 s60, s5, s15
	s_mul_i32 s14, s5, s15
	s_wait_alu 0xfffe
	s_add_co_u32 s15, s64, s59
	s_add_co_ci_u32 s44, s65, s17
	s_add_co_ci_u32 s15, s60, 0
	s_wait_alu 0xfffe
	s_add_nc_u64 s[14:15], s[44:45], s[14:15]
	s_wait_alu 0xfffe
	s_add_co_u32 s4, s4, s14
	s_cselect_b32 s14, -1, 0
	s_wait_alu 0xfffe
	s_mul_hi_u32 s44, s50, s4
	s_cmp_lg_u32 s14, 0
	s_mul_hi_u32 s17, s51, s4
	s_add_co_ci_u32 s14, s5, s15
	s_mul_i32 s15, s51, s4
	s_wait_alu 0xfffe
	s_mul_hi_u32 s5, s50, s14
	s_mul_i32 s4, s50, s14
	s_mul_hi_u32 s59, s51, s14
	s_wait_alu 0xfffe
	s_add_nc_u64 s[4:5], s[44:45], s[4:5]
	s_mul_i32 s14, s51, s14
	s_wait_alu 0xfffe
	s_add_co_u32 s4, s4, s15
	s_add_co_ci_u32 s44, s5, s17
	s_add_co_ci_u32 s15, s59, 0
	s_wait_alu 0xfffe
	s_add_nc_u64 s[4:5], s[44:45], s[14:15]
	s_wait_alu 0xfffe
	s_mul_u64 s[4:5], s[40:41], s[4:5]
	s_wait_alu 0xfffe
	s_sub_co_u32 s4, s50, s4
	s_cselect_b32 s14, -1, 0
	s_wait_alu 0xfffe
	s_cmp_lg_u32 s14, 0
	s_sub_co_ci_u32 s5, s51, s5
	s_sub_co_u32 s14, s4, s40
	s_cselect_b32 s15, -1, 0
	s_wait_alu 0xfffe
	s_cmp_lg_u32 s15, 0
	s_sub_co_ci_u32 s15, s5, 0
	s_sub_co_u32 s17, s14, s40
	s_cselect_b32 s44, -1, 0
	s_wait_alu 0xfffe
	s_cmp_lg_u32 s44, 0
	s_sub_co_ci_u32 s44, s15, 0
	s_cmp_ge_u32 s14, s40
	s_cselect_b32 s59, -1, 0
	s_cmp_eq_u32 s15, 0
	s_cselect_b32 s59, s59, -1
	s_delay_alu instid0(SALU_CYCLE_1)
	s_cmp_lg_u32 s59, 0
	s_wait_alu 0xfffe
	s_cselect_b32 s15, s44, s15
	s_cselect_b32 s14, s17, s14
	s_cmp_ge_u32 s4, s40
	s_cselect_b32 s17, -1, 0
	s_cmp_eq_u32 s5, 0
	s_wait_alu 0xfffe
	s_cselect_b32 s17, s17, -1
	s_wait_alu 0xfffe
	s_cmp_lg_u32 s17, 0
	s_cselect_b32 s5, s15, s5
	s_cselect_b32 s4, s14, s4
	s_cbranch_execnz .LBB116_205
.LBB116_204:                            ;   in Loop: Header=BB116_20 Depth=1
	v_cvt_f32_u32_e32 v2, s40
	s_sub_co_i32 s5, 0, s40
	s_delay_alu instid0(VALU_DEP_1) | instskip(NEXT) | instid1(TRANS32_DEP_1)
	v_rcp_iflag_f32_e32 v2, v2
	v_mul_f32_e32 v2, 0x4f7ffffe, v2
	s_delay_alu instid0(VALU_DEP_1) | instskip(NEXT) | instid1(VALU_DEP_1)
	v_cvt_u32_f32_e32 v2, v2
	v_readfirstlane_b32 s4, v2
	s_wait_alu 0xfffe
	s_mul_i32 s5, s5, s4
	s_wait_alu 0xfffe
	s_mul_hi_u32 s5, s4, s5
	s_wait_alu 0xfffe
	s_add_co_i32 s4, s4, s5
	s_wait_alu 0xfffe
	s_mul_hi_u32 s4, s50, s4
	s_wait_alu 0xfffe
	s_mul_i32 s4, s4, s40
	s_wait_alu 0xfffe
	s_sub_co_i32 s4, s50, s4
	s_wait_alu 0xfffe
	s_sub_co_i32 s5, s4, s40
	s_cmp_ge_u32 s4, s40
	s_wait_alu 0xfffe
	s_cselect_b32 s4, s5, s4
	s_wait_alu 0xfffe
	s_sub_co_i32 s5, s4, s40
	s_cmp_ge_u32 s4, s40
	s_wait_alu 0xfffe
	s_cselect_b32 s44, s5, s4
	s_wait_alu 0xfffe
	s_mov_b64 s[4:5], s[44:45]
.LBB116_205:                            ;   in Loop: Header=BB116_20 Depth=1
	s_wait_alu 0xfffe
	s_sub_nc_u64 s[14:15], s[50:51], s[4:5]
	s_mov_b32 s5, exec_lo
                                        ; implicit-def: $vgpr6_vgpr7
	s_wait_alu 0xfffe
	v_cmpx_gt_u64_e64 s[14:15], v[0:1]
	s_cbranch_execz .LBB116_215
; %bb.206:                              ;   in Loop: Header=BB116_20 Depth=1
	v_dual_mov_b32 v10, v16 :: v_dual_mov_b32 v11, v17
	v_dual_mov_b32 v13, v1 :: v_dual_mov_b32 v12, v0
	s_mov_b32 s17, 0
                                        ; implicit-def: $sgpr44
	s_branch .LBB116_210
.LBB116_207:                            ;   in Loop: Header=BB116_210 Depth=2
	s_wait_alu 0xfffe
	s_or_b32 exec_lo, exec_lo, s4
	s_wait_loadcnt_dscnt 0x0
	s_barrier_signal -1
	s_barrier_wait -1
	global_inv scope:SCOPE_SE
	ds_load_b128 v[4:7], v21 offset:3072
	s_wait_loadcnt_dscnt 0x0
	s_barrier_signal -1
	s_barrier_wait -1
	global_inv scope:SCOPE_SE
	v_cmp_eq_f64_e32 vcc_lo, 0, v[4:5]
	s_cbranch_vccz .LBB116_213
; %bb.208:                              ;   in Loop: Header=BB116_210 Depth=2
	v_add_co_u32 v12, vcc_lo, v12, s40
	s_wait_alu 0xfffd
	v_add_co_ci_u32_e64 v13, null, 0, v13, vcc_lo
	v_add_co_u32 v10, s4, v10, s42
	s_wait_alu 0xf1ff
	v_add_co_ci_u32_e64 v11, null, s43, v11, s4
	s_delay_alu instid0(VALU_DEP_3)
	v_cmp_le_u64_e32 vcc_lo, s[14:15], v[12:13]
	s_mov_b32 s4, 0
	s_or_not1_b32 s59, vcc_lo, exec_lo
.LBB116_209:                            ;   in Loop: Header=BB116_210 Depth=2
	s_delay_alu instid0(SALU_CYCLE_1) | instskip(NEXT) | instid1(SALU_CYCLE_1)
	s_and_b32 s59, exec_lo, s59
	s_or_b32 s17, s59, s17
	s_and_not1_b32 s44, s44, exec_lo
	s_wait_alu 0xfffe
	s_and_b32 s4, s4, exec_lo
	s_wait_alu 0xfffe
	s_or_b32 s44, s44, s4
	s_and_not1_b32 exec_lo, exec_lo, s17
	s_cbranch_execz .LBB116_214
.LBB116_210:                            ;   Parent Loop BB116_20 Depth=1
                                        ; =>  This Inner Loop Header: Depth=2
	s_mov_b32 s4, exec_lo
	s_delay_alu instid0(VALU_DEP_1)
	v_cmpx_gt_u64_e64 s[24:25], v[12:13]
	s_cbranch_execz .LBB116_207
; %bb.211:                              ;   in Loop: Header=BB116_210 Depth=2
	global_load_b64 v[4:5], v[10:11], off
	s_wait_loadcnt 0x0
	v_cmp_o_f64_e32 vcc_lo, v[4:5], v[4:5]
	v_ashrrev_i32_e32 v2, 31, v5
	s_delay_alu instid0(VALU_DEP_1) | instskip(SKIP_1) | instid1(VALU_DEP_2)
	v_or_b32_e32 v6, 0x80000000, v2
	v_xor_b32_e32 v2, v2, v4
	v_xor_b32_e32 v6, v6, v5
	s_wait_alu 0xfffd
	s_delay_alu instid0(VALU_DEP_1) | instskip(NEXT) | instid1(VALU_DEP_1)
	v_cndmask_b32_e32 v6, -1, v6, vcc_lo
	v_dual_cndmask_b32 v2, -1, v2 :: v_dual_and_b32 v7, v6, v32
	s_delay_alu instid0(VALU_DEP_1) | instskip(NEXT) | instid1(VALU_DEP_1)
	v_and_b32_e32 v6, v2, v31
	v_cmp_eq_u64_e32 vcc_lo, v[6:7], v[27:28]
	s_and_b32 exec_lo, exec_lo, vcc_lo
	s_cbranch_execz .LBB116_207
; %bb.212:                              ;   in Loop: Header=BB116_210 Depth=2
	v_mov_b32_e32 v2, v21
	ds_store_b128 v21, v[2:5] offset:3072
	s_branch .LBB116_207
.LBB116_213:                            ;   in Loop: Header=BB116_210 Depth=2
	s_mov_b32 s59, -1
	s_mov_b32 s4, -1
                                        ; implicit-def: $vgpr12_vgpr13
                                        ; implicit-def: $vgpr10_vgpr11
	s_branch .LBB116_209
.LBB116_214:                            ;   in Loop: Header=BB116_20 Depth=1
	s_or_b32 exec_lo, exec_lo, s17
	s_delay_alu instid0(SALU_CYCLE_1)
	s_and_not1_b32 s4, s16, exec_lo
	s_wait_alu 0xfffe
	s_and_b32 s14, s44, exec_lo
	s_wait_alu 0xfffe
	s_or_b32 s16, s4, s14
.LBB116_215:                            ;   in Loop: Header=BB116_20 Depth=1
	s_or_b32 exec_lo, exec_lo, s5
	s_mov_b32 s59, 0
	s_mov_b32 s60, -1
.LBB116_216:                            ;   in Loop: Header=BB116_20 Depth=1
	s_wait_alu 0xfffe
	s_or_not1_b32 s4, s16, exec_lo
.LBB116_217:                            ;   in Loop: Header=BB116_20 Depth=1
	s_wait_alu 0xfffe
	s_or_b32 exec_lo, exec_lo, s62
	s_mov_b32 s5, 0
	s_and_saveexec_b32 s14, s4
	s_cbranch_execz .LBB116_277
; %bb.218:                              ;   in Loop: Header=BB116_20 Depth=1
	v_dual_mov_b32 v10, 1 :: v_dual_mov_b32 v35, 1
	v_mov_b32_e32 v11, 0
	s_xor_b32 s15, s61, -1
	s_wait_alu 0xfffe
	s_and_saveexec_b32 s4, s15
	s_cbranch_execz .LBB116_227
; %bb.219:                              ;   in Loop: Header=BB116_20 Depth=1
	s_mov_b32 s5, exec_lo
	v_cmpx_ge_u64_e64 s[10:11], v[8:9]
	s_wait_alu 0xfffe
	s_xor_b32 s5, exec_lo, s5
	s_cbranch_execz .LBB116_224
; %bb.220:                              ;   in Loop: Header=BB116_20 Depth=1
	ds_load_b64 v[4:5], v21 offset:5120
	v_and_b32_e32 v2, s13, v28
	v_and_b32_e32 v10, s12, v27
	s_lshl_b64 s[12:13], 2, s79
	v_or_b32_e32 v32, s9, v32
	v_or_b32_e32 v31, s8, v31
	s_wait_alu 0xfffe
	v_or_b32_e32 v28, s13, v2
	v_or_b32_e32 v27, s12, v10
	s_wait_dscnt 0x0
	v_cmp_ne_u64_e32 vcc_lo, 0, v[4:5]
	s_cbranch_vccnz .LBB116_224
; %bb.221:                              ;   in Loop: Header=BB116_20 Depth=1
	s_and_saveexec_b32 s12, s3
; %bb.222:                              ;   in Loop: Header=BB116_20 Depth=1
	v_dual_mov_b32 v4, s10 :: v_dual_mov_b32 v5, s11
	ds_store_b64 v21, v[4:5] offset:5128
; %bb.223:                              ;   in Loop: Header=BB116_20 Depth=1
	s_wait_alu 0xfffe
	s_or_b32 exec_lo, exec_lo, s12
	s_wait_loadcnt_dscnt 0x0
	s_barrier_signal -1
	s_barrier_wait -1
	global_inv scope:SCOPE_SE
.LBB116_224:                            ;   in Loop: Header=BB116_20 Depth=1
	s_wait_alu 0xfffe
	s_or_saveexec_b32 s5, s5
	v_mov_b32_e32 v35, 8
	s_mov_b32 s12, 0
	s_wait_alu 0xfffe
	s_xor_b32 exec_lo, exec_lo, s5
; %bb.225:                              ;   in Loop: Header=BB116_20 Depth=1
	v_sub_co_u32 v8, vcc_lo, v8, s10
	s_wait_alu 0xfffd
	v_subrev_co_ci_u32_e64 v9, null, s11, v9, vcc_lo
	v_mov_b32_e32 v35, 0
	s_mov_b32 s12, exec_lo
; %bb.226:                              ;   in Loop: Header=BB116_20 Depth=1
	s_or_b32 exec_lo, exec_lo, s5
	s_delay_alu instid0(VALU_DEP_2)
	v_dual_mov_b32 v11, v9 :: v_dual_mov_b32 v10, v8
	s_wait_alu 0xfffe
	s_and_b32 s5, s12, exec_lo
.LBB116_227:                            ;   in Loop: Header=BB116_20 Depth=1
	s_wait_alu 0xfffe
	s_or_b32 exec_lo, exec_lo, s4
	s_mov_b32 s4, -1
                                        ; implicit-def: $sgpr62
                                        ; implicit-def: $sgpr61
	s_and_saveexec_b32 s15, s5
	s_cbranch_execz .LBB116_276
; %bb.228:                              ;   in Loop: Header=BB116_20 Depth=1
	v_cmp_eq_u64_e32 vcc_lo, 1, v[10:11]
	s_cmp_eq_u64 s[6:7], 1
	s_mov_b32 s5, -1
	s_cselect_b32 s4, -1, 0
                                        ; implicit-def: $sgpr62
                                        ; implicit-def: $sgpr61
	s_wait_alu 0xfffe
	s_and_b32 s16, s4, vcc_lo
	s_wait_alu 0xfffe
	s_and_saveexec_b32 s17, s16
	s_cbranch_execz .LBB116_264
; %bb.229:                              ;   in Loop: Header=BB116_20 Depth=1
	ds_load_b64 v[4:5], v21 offset:5120
	s_wait_loadcnt_dscnt 0x0
	s_barrier_signal -1
	s_barrier_wait -1
	global_inv scope:SCOPE_SE
	v_readfirstlane_b32 s4, v4
	v_readfirstlane_b32 s5, v5
	s_and_saveexec_b32 s10, s0
; %bb.230:                              ;   in Loop: Header=BB116_20 Depth=1
	v_mov_b32_e32 v20, v21
	ds_store_b64 v41, v[20:21]
; %bb.231:                              ;   in Loop: Header=BB116_20 Depth=1
	s_wait_alu 0xfffe
	s_or_b32 exec_lo, exec_lo, s10
	v_or_b32_e32 v28, s9, v28
	v_or_b32_e32 v27, s8, v27
	;; [unrolled: 1-line block ×4, first 2 shown]
	s_mov_b32 s61, -1
	s_mov_b32 s62, 0
	s_cmp_eq_u64 s[4:5], 0
	s_mov_b32 s12, 0
	s_mov_b32 s13, -1
	s_wait_loadcnt_dscnt 0x0
	s_barrier_signal -1
	s_barrier_wait -1
	global_inv scope:SCOPE_SE
                                        ; implicit-def: $vgpr6_vgpr7
	s_cbranch_scc1 .LBB116_248
; %bb.232:                              ;   in Loop: Header=BB116_20 Depth=1
	s_add_nc_u64 s[10:11], s[4:5], s[48:49]
	s_mov_b32 s12, s45
	s_wait_alu 0xfffe
	s_mov_b32 s13, s11
	s_wait_alu 0xfffe
	s_cmp_lg_u64 s[12:13], 0
	s_cbranch_scc0 .LBB116_283
; %bb.233:                              ;   in Loop: Header=BB116_20 Depth=1
	s_cvt_f32_u32 s12, s40
	s_sub_nc_u64 s[64:65], 0, s[40:41]
	s_wait_alu 0xfffe
	s_delay_alu instid0(SALU_CYCLE_1) | instskip(SKIP_1) | instid1(SALU_CYCLE_2)
	s_fmamk_f32 s12, s81, 0x0, s12
	s_wait_alu 0xfffe
	v_s_rcp_f32 s12, s12
	s_delay_alu instid0(TRANS32_DEP_1) | instskip(SKIP_1) | instid1(SALU_CYCLE_2)
	s_mul_f32 s12, s12, 0x5f7ffffc
	s_wait_alu 0xfffe
	s_mul_f32 s13, s12, 0x2f800000
	s_wait_alu 0xfffe
	s_delay_alu instid0(SALU_CYCLE_2) | instskip(SKIP_1) | instid1(SALU_CYCLE_2)
	s_trunc_f32 s13, s13
	s_wait_alu 0xfffe
	s_fmamk_f32 s12, s13, 0xcf800000, s12
	s_cvt_u32_f32 s13, s13
	s_wait_alu 0xfffe
	s_delay_alu instid0(SALU_CYCLE_1) | instskip(SKIP_1) | instid1(SALU_CYCLE_2)
	s_cvt_u32_f32 s12, s12
	s_wait_alu 0xfffe
	s_mul_u64 s[66:67], s[64:65], s[12:13]
	s_wait_alu 0xfffe
	s_mul_hi_u32 s69, s12, s67
	s_mul_i32 s68, s12, s67
	s_mul_hi_u32 s44, s12, s66
	s_mul_i32 s70, s13, s66
	s_wait_alu 0xfffe
	s_add_nc_u64 s[68:69], s[44:45], s[68:69]
	s_mul_hi_u32 s63, s13, s66
	s_mul_hi_u32 s71, s13, s67
	s_wait_alu 0xfffe
	s_add_co_u32 s44, s68, s70
	s_add_co_ci_u32 s44, s69, s63
	s_mul_i32 s66, s13, s67
	s_add_co_ci_u32 s67, s71, 0
	s_wait_alu 0xfffe
	s_add_nc_u64 s[66:67], s[44:45], s[66:67]
	s_wait_alu 0xfffe
	s_add_co_u32 s12, s12, s66
	s_cselect_b32 s44, -1, 0
	s_wait_alu 0xfffe
	s_cmp_lg_u32 s44, 0
	s_add_co_ci_u32 s13, s13, s67
	s_wait_alu 0xfffe
	s_mul_u64 s[64:65], s[64:65], s[12:13]
	s_wait_alu 0xfffe
	s_mul_hi_u32 s67, s12, s65
	s_mul_i32 s66, s12, s65
	s_mul_hi_u32 s44, s12, s64
	s_mul_i32 s68, s13, s64
	s_wait_alu 0xfffe
	s_add_nc_u64 s[66:67], s[44:45], s[66:67]
	s_mul_hi_u32 s63, s13, s64
	s_mul_hi_u32 s69, s13, s65
	s_wait_alu 0xfffe
	s_add_co_u32 s44, s66, s68
	s_add_co_ci_u32 s44, s67, s63
	s_mul_i32 s64, s13, s65
	s_add_co_ci_u32 s65, s69, 0
	s_wait_alu 0xfffe
	s_add_nc_u64 s[64:65], s[44:45], s[64:65]
	s_wait_alu 0xfffe
	s_add_co_u32 s12, s12, s64
	s_cselect_b32 s63, -1, 0
	s_wait_alu 0xfffe
	s_mul_hi_u32 s44, s10, s12
	s_cmp_lg_u32 s63, 0
	s_mul_hi_u32 s63, s11, s12
	s_add_co_ci_u32 s64, s13, s65
	s_mul_i32 s65, s11, s12
	s_wait_alu 0xfffe
	s_mul_hi_u32 s13, s10, s64
	s_mul_i32 s12, s10, s64
	s_mul_hi_u32 s66, s11, s64
	s_wait_alu 0xfffe
	s_add_nc_u64 s[12:13], s[44:45], s[12:13]
	s_mul_i32 s64, s11, s64
	s_wait_alu 0xfffe
	s_add_co_u32 s12, s12, s65
	s_add_co_ci_u32 s44, s13, s63
	s_add_co_ci_u32 s65, s66, 0
	s_wait_alu 0xfffe
	s_add_nc_u64 s[12:13], s[44:45], s[64:65]
	s_wait_alu 0xfffe
	s_mul_u64 s[12:13], s[40:41], s[12:13]
	s_wait_alu 0xfffe
	s_sub_co_u32 s12, s10, s12
	s_cselect_b32 s44, -1, 0
	s_wait_alu 0xfffe
	s_cmp_lg_u32 s44, 0
	s_sub_co_ci_u32 s13, s11, s13
	s_sub_co_u32 s44, s12, s40
	s_cselect_b32 s63, -1, 0
	s_wait_alu 0xfffe
	s_cmp_lg_u32 s63, 0
	s_sub_co_ci_u32 s63, s13, 0
	;; [unrolled: 5-line block ×3, first 2 shown]
	s_cmp_ge_u32 s44, s40
	s_cselect_b32 s66, -1, 0
	s_cmp_eq_u32 s63, 0
	s_wait_alu 0xfffe
	s_cselect_b32 s66, s66, -1
	s_wait_alu 0xfffe
	s_cmp_lg_u32 s66, 0
	s_cselect_b32 s63, s65, s63
	s_cselect_b32 s44, s64, s44
	s_cmp_ge_u32 s12, s40
	s_cselect_b32 s64, -1, 0
	s_cmp_eq_u32 s13, 0
	s_wait_alu 0xfffe
	s_cselect_b32 s64, s64, -1
	s_wait_alu 0xfffe
	s_cmp_lg_u32 s64, 0
	s_cselect_b32 s13, s63, s13
	s_cselect_b32 s12, s44, s12
	s_cbranch_execnz .LBB116_235
.LBB116_234:                            ;   in Loop: Header=BB116_20 Depth=1
	v_cvt_f32_u32_e32 v2, s40
	s_sub_co_i32 s13, 0, s40
	s_delay_alu instid0(VALU_DEP_1) | instskip(NEXT) | instid1(TRANS32_DEP_1)
	v_rcp_iflag_f32_e32 v2, v2
	v_mul_f32_e32 v2, 0x4f7ffffe, v2
	s_delay_alu instid0(VALU_DEP_1) | instskip(NEXT) | instid1(VALU_DEP_1)
	v_cvt_u32_f32_e32 v2, v2
	v_readfirstlane_b32 s12, v2
	s_wait_alu 0xfffe
	s_mul_i32 s13, s13, s12
	s_wait_alu 0xfffe
	s_mul_hi_u32 s13, s12, s13
	s_wait_alu 0xfffe
	s_add_co_i32 s12, s12, s13
	s_wait_alu 0xfffe
	s_mul_hi_u32 s12, s10, s12
	s_wait_alu 0xfffe
	s_mul_i32 s12, s12, s40
	s_wait_alu 0xfffe
	s_sub_co_i32 s12, s10, s12
	s_wait_alu 0xfffe
	s_sub_co_i32 s13, s12, s40
	s_cmp_ge_u32 s12, s40
	s_wait_alu 0xfffe
	s_cselect_b32 s12, s13, s12
	s_wait_alu 0xfffe
	s_sub_co_i32 s13, s12, s40
	s_cmp_ge_u32 s12, s40
	s_wait_alu 0xfffe
	s_cselect_b32 s44, s13, s12
	s_wait_alu 0xfffe
	s_mov_b64 s[12:13], s[44:45]
.LBB116_235:                            ;   in Loop: Header=BB116_20 Depth=1
	s_wait_alu 0xfffe
	s_sub_nc_u64 s[10:11], s[10:11], s[12:13]
	s_mov_b32 s13, 0
	s_mov_b32 s12, 0
	s_mov_b32 s44, exec_lo
                                        ; implicit-def: $vgpr6_vgpr7
	s_wait_alu 0xfffe
	v_cmpx_gt_u64_e64 s[10:11], v[0:1]
	s_cbranch_execz .LBB116_247
; %bb.236:                              ;   in Loop: Header=BB116_20 Depth=1
	v_dual_mov_b32 v12, v40 :: v_dual_mov_b32 v9, v1
	v_mov_b32_e32 v8, v0
                                        ; implicit-def: $sgpr63
	s_branch .LBB116_240
.LBB116_237:                            ;   in Loop: Header=BB116_240 Depth=2
	s_wait_alu 0xfffe
	s_or_b32 exec_lo, exec_lo, s64
	s_wait_loadcnt_dscnt 0x0
	s_barrier_signal -1
	s_barrier_wait -1
	global_inv scope:SCOPE_SE
	ds_load_b128 v[4:7], v21 offset:3072
	s_wait_loadcnt_dscnt 0x0
	s_barrier_signal -1
	s_barrier_wait -1
	global_inv scope:SCOPE_SE
	v_cmp_neq_f64_e32 vcc_lo, 0, v[4:5]
	s_cbranch_vccnz .LBB116_243
; %bb.238:                              ;   in Loop: Header=BB116_240 Depth=2
	v_add_co_u32 v8, vcc_lo, v8, s40
	s_wait_alu 0xfffd
	v_add_co_ci_u32_e64 v9, null, 0, v9, vcc_lo
	v_add_nc_u32_e32 v12, s78, v12
	s_mov_b32 s64, 0
	s_delay_alu instid0(VALU_DEP_2)
	v_cmp_le_u64_e32 vcc_lo, s[10:11], v[8:9]
	s_or_not1_b32 s65, vcc_lo, exec_lo
.LBB116_239:                            ;   in Loop: Header=BB116_240 Depth=2
	s_wait_alu 0xfffe
	s_and_b32 s65, exec_lo, s65
	s_wait_alu 0xfffe
	s_or_b32 s12, s65, s12
	s_and_not1_b32 s63, s63, exec_lo
	s_and_b32 s64, s64, exec_lo
	s_wait_alu 0xfffe
	s_or_b32 s63, s63, s64
	s_and_not1_b32 exec_lo, exec_lo, s12
	s_cbranch_execz .LBB116_246
.LBB116_240:                            ;   Parent Loop BB116_20 Depth=1
                                        ; =>  This Inner Loop Header: Depth=2
	s_mov_b32 s64, exec_lo
	s_delay_alu instid0(VALU_DEP_1)
	v_cmpx_gt_u64_e64 s[4:5], v[8:9]
	s_cbranch_execz .LBB116_237
; %bb.241:                              ;   in Loop: Header=BB116_240 Depth=2
	ds_load_b64 v[4:5], v12
	s_wait_dscnt 0x0
	v_cmp_o_f64_e32 vcc_lo, v[4:5], v[4:5]
	v_ashrrev_i32_e32 v2, 31, v5
	s_delay_alu instid0(VALU_DEP_1) | instskip(SKIP_1) | instid1(VALU_DEP_2)
	v_or_b32_e32 v6, 0x80000000, v2
	v_xor_b32_e32 v2, v2, v4
	v_xor_b32_e32 v6, v6, v5
	s_wait_alu 0xfffd
	s_delay_alu instid0(VALU_DEP_1) | instskip(NEXT) | instid1(VALU_DEP_1)
	v_cndmask_b32_e32 v6, -1, v6, vcc_lo
	v_dual_cndmask_b32 v2, -1, v2 :: v_dual_and_b32 v7, v6, v32
	s_delay_alu instid0(VALU_DEP_1) | instskip(NEXT) | instid1(VALU_DEP_1)
	v_and_b32_e32 v6, v2, v31
	v_cmp_eq_u64_e32 vcc_lo, v[6:7], v[27:28]
	s_and_b32 exec_lo, exec_lo, vcc_lo
	s_cbranch_execz .LBB116_237
; %bb.242:                              ;   in Loop: Header=BB116_240 Depth=2
	v_mov_b32_e32 v2, v21
	ds_store_b128 v21, v[2:5] offset:3072
	s_branch .LBB116_237
.LBB116_243:                            ;   in Loop: Header=BB116_240 Depth=2
	s_mov_b32 s65, -1
	s_mov_b32 s64, -1
                                        ; implicit-def: $vgpr8_vgpr9
                                        ; implicit-def: $vgpr12
	s_branch .LBB116_239
.LBB116_244:                            ;   in Loop: Header=BB116_20 Depth=1
                                        ; implicit-def: $sgpr16_sgpr17
	s_branch .LBB116_187
.LBB116_245:                            ;   in Loop: Header=BB116_20 Depth=1
                                        ; implicit-def: $sgpr4_sgpr5
	s_branch .LBB116_204
.LBB116_246:                            ;   in Loop: Header=BB116_20 Depth=1
	s_or_b32 exec_lo, exec_lo, s12
	s_wait_alu 0xfffe
	s_and_b32 s12, s63, exec_lo
.LBB116_247:                            ;   in Loop: Header=BB116_20 Depth=1
	s_or_b32 exec_lo, exec_lo, s44
.LBB116_248:                            ;   in Loop: Header=BB116_20 Depth=1
	s_wait_alu 0xfffe
	s_and_b32 vcc_lo, exec_lo, s13
	s_wait_alu 0xfffe
	s_cbranch_vccz .LBB116_263
; %bb.249:                              ;   in Loop: Header=BB116_20 Depth=1
	s_mov_b32 s4, s45
	s_mov_b32 s5, s51
	s_wait_alu 0xfffe
	s_cmp_lg_u64 s[4:5], 0
	s_cbranch_scc0 .LBB116_284
; %bb.250:                              ;   in Loop: Header=BB116_20 Depth=1
	s_cvt_f32_u32 s4, s40
	s_sub_nc_u64 s[10:11], 0, s[40:41]
	s_wait_alu 0xfffe
	s_delay_alu instid0(SALU_CYCLE_1) | instskip(SKIP_1) | instid1(SALU_CYCLE_2)
	s_fmamk_f32 s4, s81, 0x0, s4
	s_wait_alu 0xfffe
	v_s_rcp_f32 s4, s4
	s_delay_alu instid0(TRANS32_DEP_1) | instskip(SKIP_1) | instid1(SALU_CYCLE_2)
	s_mul_f32 s4, s4, 0x5f7ffffc
	s_wait_alu 0xfffe
	s_mul_f32 s5, s4, 0x2f800000
	s_wait_alu 0xfffe
	s_delay_alu instid0(SALU_CYCLE_2) | instskip(SKIP_1) | instid1(SALU_CYCLE_2)
	s_trunc_f32 s5, s5
	s_wait_alu 0xfffe
	s_fmamk_f32 s4, s5, 0xcf800000, s4
	s_cvt_u32_f32 s5, s5
	s_wait_alu 0xfffe
	s_delay_alu instid0(SALU_CYCLE_1) | instskip(SKIP_1) | instid1(SALU_CYCLE_2)
	s_cvt_u32_f32 s4, s4
	s_wait_alu 0xfffe
	s_mul_u64 s[62:63], s[10:11], s[4:5]
	s_wait_alu 0xfffe
	s_mul_hi_u32 s65, s4, s63
	s_mul_i32 s64, s4, s63
	s_mul_hi_u32 s44, s4, s62
	s_mul_i32 s61, s5, s62
	s_wait_alu 0xfffe
	s_add_nc_u64 s[64:65], s[44:45], s[64:65]
	s_mul_hi_u32 s13, s5, s62
	s_mul_hi_u32 s66, s5, s63
	s_wait_alu 0xfffe
	s_add_co_u32 s44, s64, s61
	s_add_co_ci_u32 s44, s65, s13
	s_mul_i32 s62, s5, s63
	s_add_co_ci_u32 s63, s66, 0
	s_wait_alu 0xfffe
	s_add_nc_u64 s[62:63], s[44:45], s[62:63]
	s_wait_alu 0xfffe
	s_add_co_u32 s4, s4, s62
	s_cselect_b32 s13, -1, 0
	s_wait_alu 0xfffe
	s_cmp_lg_u32 s13, 0
	s_add_co_ci_u32 s5, s5, s63
	s_wait_alu 0xfffe
	s_mul_u64 s[10:11], s[10:11], s[4:5]
	s_wait_alu 0xfffe
	s_mul_hi_u32 s63, s4, s11
	s_mul_i32 s62, s4, s11
	s_mul_hi_u32 s44, s4, s10
	s_mul_i32 s61, s5, s10
	s_wait_alu 0xfffe
	s_add_nc_u64 s[62:63], s[44:45], s[62:63]
	s_mul_hi_u32 s13, s5, s10
	s_mul_hi_u32 s64, s5, s11
	s_mul_i32 s10, s5, s11
	s_wait_alu 0xfffe
	s_add_co_u32 s11, s62, s61
	s_add_co_ci_u32 s44, s63, s13
	s_add_co_ci_u32 s11, s64, 0
	s_wait_alu 0xfffe
	s_add_nc_u64 s[10:11], s[44:45], s[10:11]
	s_wait_alu 0xfffe
	s_add_co_u32 s4, s4, s10
	s_cselect_b32 s10, -1, 0
	s_wait_alu 0xfffe
	s_mul_hi_u32 s44, s50, s4
	s_cmp_lg_u32 s10, 0
	s_mul_hi_u32 s13, s51, s4
	s_add_co_ci_u32 s10, s5, s11
	s_mul_i32 s11, s51, s4
	s_wait_alu 0xfffe
	s_mul_hi_u32 s5, s50, s10
	s_mul_i32 s4, s50, s10
	s_mul_hi_u32 s61, s51, s10
	s_wait_alu 0xfffe
	s_add_nc_u64 s[4:5], s[44:45], s[4:5]
	s_mul_i32 s10, s51, s10
	s_wait_alu 0xfffe
	s_add_co_u32 s4, s4, s11
	s_add_co_ci_u32 s44, s5, s13
	s_add_co_ci_u32 s11, s61, 0
	s_wait_alu 0xfffe
	s_add_nc_u64 s[4:5], s[44:45], s[10:11]
	s_wait_alu 0xfffe
	s_mul_u64 s[4:5], s[40:41], s[4:5]
	s_wait_alu 0xfffe
	s_sub_co_u32 s4, s50, s4
	s_cselect_b32 s10, -1, 0
	s_wait_alu 0xfffe
	s_cmp_lg_u32 s10, 0
	s_sub_co_ci_u32 s5, s51, s5
	s_sub_co_u32 s10, s4, s40
	s_cselect_b32 s11, -1, 0
	s_wait_alu 0xfffe
	s_cmp_lg_u32 s11, 0
	s_sub_co_ci_u32 s11, s5, 0
	;; [unrolled: 5-line block ×3, first 2 shown]
	s_cmp_ge_u32 s10, s40
	s_cselect_b32 s61, -1, 0
	s_cmp_eq_u32 s11, 0
	s_wait_alu 0xfffe
	s_cselect_b32 s61, s61, -1
	s_wait_alu 0xfffe
	s_cmp_lg_u32 s61, 0
	s_cselect_b32 s11, s44, s11
	s_cselect_b32 s10, s13, s10
	s_cmp_ge_u32 s4, s40
	s_cselect_b32 s13, -1, 0
	s_cmp_eq_u32 s5, 0
	s_wait_alu 0xfffe
	s_cselect_b32 s13, s13, -1
	s_wait_alu 0xfffe
	s_cmp_lg_u32 s13, 0
	s_cselect_b32 s5, s11, s5
	s_cselect_b32 s4, s10, s4
	s_cbranch_execnz .LBB116_252
.LBB116_251:                            ;   in Loop: Header=BB116_20 Depth=1
	v_cvt_f32_u32_e32 v2, s40
	s_sub_co_i32 s5, 0, s40
	s_delay_alu instid0(VALU_DEP_1) | instskip(NEXT) | instid1(TRANS32_DEP_1)
	v_rcp_iflag_f32_e32 v2, v2
	v_mul_f32_e32 v2, 0x4f7ffffe, v2
	s_delay_alu instid0(VALU_DEP_1) | instskip(NEXT) | instid1(VALU_DEP_1)
	v_cvt_u32_f32_e32 v2, v2
	v_readfirstlane_b32 s4, v2
	s_wait_alu 0xfffe
	s_mul_i32 s5, s5, s4
	s_wait_alu 0xfffe
	s_mul_hi_u32 s5, s4, s5
	s_wait_alu 0xfffe
	s_add_co_i32 s4, s4, s5
	s_wait_alu 0xfffe
	s_mul_hi_u32 s4, s50, s4
	s_wait_alu 0xfffe
	s_mul_i32 s4, s4, s40
	s_wait_alu 0xfffe
	s_sub_co_i32 s4, s50, s4
	s_wait_alu 0xfffe
	s_sub_co_i32 s5, s4, s40
	s_cmp_ge_u32 s4, s40
	s_wait_alu 0xfffe
	s_cselect_b32 s4, s5, s4
	s_wait_alu 0xfffe
	s_sub_co_i32 s5, s4, s40
	s_cmp_ge_u32 s4, s40
	s_wait_alu 0xfffe
	s_cselect_b32 s44, s5, s4
	s_wait_alu 0xfffe
	s_mov_b64 s[4:5], s[44:45]
.LBB116_252:                            ;   in Loop: Header=BB116_20 Depth=1
	s_wait_alu 0xfffe
	s_sub_nc_u64 s[10:11], s[50:51], s[4:5]
	s_mov_b32 s5, exec_lo
                                        ; implicit-def: $vgpr6_vgpr7
	s_wait_alu 0xfffe
	v_cmpx_gt_u64_e64 s[10:11], v[0:1]
	s_cbranch_execz .LBB116_262
; %bb.253:                              ;   in Loop: Header=BB116_20 Depth=1
	v_dual_mov_b32 v8, v16 :: v_dual_mov_b32 v9, v17
	v_dual_mov_b32 v13, v1 :: v_dual_mov_b32 v12, v0
	s_mov_b32 s13, 0
                                        ; implicit-def: $sgpr44
	s_branch .LBB116_257
.LBB116_254:                            ;   in Loop: Header=BB116_257 Depth=2
	s_wait_alu 0xfffe
	s_or_b32 exec_lo, exec_lo, s4
	s_wait_loadcnt_dscnt 0x0
	s_barrier_signal -1
	s_barrier_wait -1
	global_inv scope:SCOPE_SE
	ds_load_b128 v[4:7], v21 offset:3072
	s_wait_loadcnt_dscnt 0x0
	s_barrier_signal -1
	s_barrier_wait -1
	global_inv scope:SCOPE_SE
	v_cmp_eq_f64_e32 vcc_lo, 0, v[4:5]
	s_cbranch_vccz .LBB116_260
; %bb.255:                              ;   in Loop: Header=BB116_257 Depth=2
	v_add_co_u32 v12, vcc_lo, v12, s40
	s_wait_alu 0xfffd
	v_add_co_ci_u32_e64 v13, null, 0, v13, vcc_lo
	v_add_co_u32 v8, s4, v8, s42
	s_wait_alu 0xf1ff
	v_add_co_ci_u32_e64 v9, null, s43, v9, s4
	s_delay_alu instid0(VALU_DEP_3)
	v_cmp_le_u64_e32 vcc_lo, s[10:11], v[12:13]
	s_mov_b32 s4, 0
	s_or_not1_b32 s61, vcc_lo, exec_lo
.LBB116_256:                            ;   in Loop: Header=BB116_257 Depth=2
	s_wait_alu 0xfffe
	s_and_b32 s61, exec_lo, s61
	s_wait_alu 0xfffe
	s_or_b32 s13, s61, s13
	s_and_not1_b32 s44, s44, exec_lo
	s_and_b32 s4, s4, exec_lo
	s_wait_alu 0xfffe
	s_or_b32 s44, s44, s4
	s_and_not1_b32 exec_lo, exec_lo, s13
	s_cbranch_execz .LBB116_261
.LBB116_257:                            ;   Parent Loop BB116_20 Depth=1
                                        ; =>  This Inner Loop Header: Depth=2
	s_mov_b32 s4, exec_lo
	s_delay_alu instid0(VALU_DEP_1)
	v_cmpx_gt_u64_e64 s[24:25], v[12:13]
	s_cbranch_execz .LBB116_254
; %bb.258:                              ;   in Loop: Header=BB116_257 Depth=2
	global_load_b64 v[4:5], v[8:9], off
	s_wait_loadcnt 0x0
	v_cmp_o_f64_e32 vcc_lo, v[4:5], v[4:5]
	v_ashrrev_i32_e32 v2, 31, v5
	s_delay_alu instid0(VALU_DEP_1) | instskip(SKIP_1) | instid1(VALU_DEP_2)
	v_or_b32_e32 v6, 0x80000000, v2
	v_xor_b32_e32 v2, v2, v4
	v_xor_b32_e32 v6, v6, v5
	s_wait_alu 0xfffd
	s_delay_alu instid0(VALU_DEP_1) | instskip(NEXT) | instid1(VALU_DEP_1)
	v_cndmask_b32_e32 v6, -1, v6, vcc_lo
	v_dual_cndmask_b32 v2, -1, v2 :: v_dual_and_b32 v7, v6, v32
	s_delay_alu instid0(VALU_DEP_1) | instskip(NEXT) | instid1(VALU_DEP_1)
	v_and_b32_e32 v6, v2, v31
	v_cmp_eq_u64_e32 vcc_lo, v[6:7], v[27:28]
	s_and_b32 exec_lo, exec_lo, vcc_lo
	s_cbranch_execz .LBB116_254
; %bb.259:                              ;   in Loop: Header=BB116_257 Depth=2
	v_mov_b32_e32 v2, v21
	ds_store_b128 v21, v[2:5] offset:3072
	s_branch .LBB116_254
.LBB116_260:                            ;   in Loop: Header=BB116_257 Depth=2
	s_mov_b32 s61, -1
	s_mov_b32 s4, -1
                                        ; implicit-def: $vgpr12_vgpr13
                                        ; implicit-def: $vgpr8_vgpr9
	s_branch .LBB116_256
.LBB116_261:                            ;   in Loop: Header=BB116_20 Depth=1
	s_or_b32 exec_lo, exec_lo, s13
	s_delay_alu instid0(SALU_CYCLE_1)
	s_and_not1_b32 s4, s12, exec_lo
	s_wait_alu 0xfffe
	s_and_b32 s10, s44, exec_lo
	s_wait_alu 0xfffe
	s_or_b32 s12, s4, s10
.LBB116_262:                            ;   in Loop: Header=BB116_20 Depth=1
	s_or_b32 exec_lo, exec_lo, s5
	s_mov_b32 s61, 0
	s_mov_b32 s62, -1
.LBB116_263:                            ;   in Loop: Header=BB116_20 Depth=1
	s_wait_alu 0xfffe
	s_or_not1_b32 s5, s12, exec_lo
.LBB116_264:                            ;   in Loop: Header=BB116_20 Depth=1
	s_wait_alu 0xfffe
	s_or_b32 exec_lo, exec_lo, s17
	s_mov_b32 s10, 0
	s_and_saveexec_b32 s4, s5
	s_cbranch_execz .LBB116_275
; %bb.265:                              ;   in Loop: Header=BB116_20 Depth=1
	v_dual_mov_b32 v4, 1 :: v_dual_mov_b32 v35, 1
	v_mov_b32_e32 v5, 0
	s_xor_b32 s10, s16, -1
	s_wait_alu 0xfffe
	s_and_saveexec_b32 s5, s10
	s_cbranch_execz .LBB116_274
; %bb.266:                              ;   in Loop: Header=BB116_20 Depth=1
	s_mov_b32 s10, exec_lo
	v_cmpx_ge_u64_e64 s[6:7], v[10:11]
	s_wait_alu 0xfffe
	s_xor_b32 s10, exec_lo, s10
	s_cbranch_execz .LBB116_271
; %bb.267:                              ;   in Loop: Header=BB116_20 Depth=1
	ds_load_b64 v[4:5], v21 offset:5120
	v_or_b32_e32 v28, s9, v28
	v_or_b32_e32 v27, s8, v27
	;; [unrolled: 1-line block ×4, first 2 shown]
	s_wait_dscnt 0x0
	v_cmp_ne_u64_e32 vcc_lo, 0, v[4:5]
	s_cbranch_vccnz .LBB116_271
; %bb.268:                              ;   in Loop: Header=BB116_20 Depth=1
	s_and_saveexec_b32 s8, s3
; %bb.269:                              ;   in Loop: Header=BB116_20 Depth=1
	v_dual_mov_b32 v4, s6 :: v_dual_mov_b32 v5, s7
	ds_store_b64 v21, v[4:5] offset:5128
; %bb.270:                              ;   in Loop: Header=BB116_20 Depth=1
	s_wait_alu 0xfffe
	s_or_b32 exec_lo, exec_lo, s8
	s_wait_loadcnt_dscnt 0x0
	s_barrier_signal -1
	s_barrier_wait -1
	global_inv scope:SCOPE_SE
.LBB116_271:                            ;   in Loop: Header=BB116_20 Depth=1
	s_wait_alu 0xfffe
	s_and_not1_saveexec_b32 s8, s10
; %bb.272:                              ;   in Loop: Header=BB116_20 Depth=1
	v_sub_co_u32 v10, vcc_lo, v10, s6
	s_wait_alu 0xfffd
	v_subrev_co_ci_u32_e64 v11, null, s7, v11, vcc_lo
; %bb.273:                              ;   in Loop: Header=BB116_20 Depth=1
	s_wait_alu 0xfffe
	s_or_b32 exec_lo, exec_lo, s8
	v_dual_mov_b32 v35, 8 :: v_dual_mov_b32 v4, v10
	s_delay_alu instid0(VALU_DEP_2)
	v_mov_b32_e32 v5, v11
.LBB116_274:                            ;   in Loop: Header=BB116_20 Depth=1
	s_wait_alu 0xfffe
	s_or_b32 exec_lo, exec_lo, s5
	s_delay_alu instid0(VALU_DEP_1)
	v_dual_mov_b32 v11, v5 :: v_dual_mov_b32 v10, v4
	s_mov_b32 s10, exec_lo
.LBB116_275:                            ;   in Loop: Header=BB116_20 Depth=1
	s_wait_alu 0xfffe
	s_or_b32 exec_lo, exec_lo, s4
	s_delay_alu instid0(SALU_CYCLE_1)
	s_or_not1_b32 s4, s10, exec_lo
.LBB116_276:                            ;   in Loop: Header=BB116_20 Depth=1
	s_wait_alu 0xfffe
	s_or_b32 exec_lo, exec_lo, s15
	v_dual_mov_b32 v8, v10 :: v_dual_mov_b32 v9, v11
	s_and_not1_b32 s5, s60, exec_lo
	s_and_b32 s6, s62, exec_lo
	s_and_not1_b32 s7, s59, exec_lo
	s_and_b32 s8, s61, exec_lo
	s_wait_alu 0xfffe
	s_or_b32 s60, s5, s6
	s_or_b32 s59, s7, s8
	s_and_b32 s5, s4, exec_lo
.LBB116_277:                            ;   in Loop: Header=BB116_20 Depth=1
	s_wait_alu 0xfffe
	s_or_b32 exec_lo, exec_lo, s14
	s_delay_alu instid0(SALU_CYCLE_1)
	s_or_not1_b32 s4, s5, exec_lo
.LBB116_278:                            ;   in Loop: Header=BB116_20 Depth=1
	s_or_b32 exec_lo, exec_lo, s58
	v_dual_mov_b32 v13, v9 :: v_dual_mov_b32 v12, v8
	s_and_not1_b32 s5, s22, exec_lo
	s_and_b32 s6, s60, exec_lo
	s_and_not1_b32 s7, s21, exec_lo
	s_and_b32 s8, s59, exec_lo
	s_wait_alu 0xfffe
	s_or_b32 s22, s5, s6
	s_or_b32 s21, s7, s8
	s_and_b32 s5, s4, exec_lo
.LBB116_279:                            ;   in Loop: Header=BB116_20 Depth=1
	s_or_b32 exec_lo, exec_lo, s23
	s_wait_alu 0xfffe
	s_or_not1_b32 s4, s5, exec_lo
.LBB116_280:                            ;   in Loop: Header=BB116_20 Depth=1
	s_or_b32 exec_lo, exec_lo, s20
	s_mov_b32 s5, 0
	s_wait_alu 0xfffe
	s_and_saveexec_b32 s6, s4
	s_wait_alu 0xfffe
	s_xor_b32 s4, exec_lo, s6
	s_cbranch_execz .LBB116_18
; %bb.281:                              ;   in Loop: Header=BB116_20 Depth=1
	v_and_b32_e32 v2, 7, v35
	s_mov_b32 s6, -1
	s_mov_b32 s5, -1
	s_mov_b32 s7, exec_lo
	s_delay_alu instid0(VALU_DEP_1)
	v_cmpx_eq_u32_e32 0, v2
	s_cbranch_execz .LBB116_17
; %bb.282:                              ;   in Loop: Header=BB116_20 Depth=1
	s_xor_b32 s82, s82, 1
	s_add_co_i32 s8, s79, -2
	s_cmp_eq_u32 s79, 0
	s_wait_alu 0xfffe
	s_mov_b32 s79, s8
	s_cselect_b32 s6, -1, 0
	s_xor_b32 s5, exec_lo, -1
	s_wait_alu 0xfffe
	s_or_not1_b32 s6, s6, exec_lo
	s_branch .LBB116_17
.LBB116_283:                            ;   in Loop: Header=BB116_20 Depth=1
                                        ; implicit-def: $sgpr12_sgpr13
	s_branch .LBB116_234
.LBB116_284:                            ;   in Loop: Header=BB116_20 Depth=1
                                        ; implicit-def: $sgpr4_sgpr5
	s_branch .LBB116_251
.LBB116_285:
	s_or_b32 exec_lo, exec_lo, s80
	s_xor_b32 s3, s88, -1
	s_xor_b32 s1, s86, -1
	;; [unrolled: 1-line block ×3, first 2 shown]
	s_mov_b32 s0, 0
	s_and_saveexec_b32 s5, s1
	s_wait_alu 0xfffe
	s_xor_b32 s1, exec_lo, s5
	s_cbranch_execnz .LBB116_290
; %bb.286:
	s_and_not1_saveexec_b32 s1, s1
	s_cbranch_execnz .LBB116_303
.LBB116_287:
	s_wait_alu 0xfffe
	s_or_b32 exec_lo, exec_lo, s1
	s_and_saveexec_b32 s1, s0
.LBB116_288:
	; divergent unreachable
.LBB116_289:
	s_endpgm
.LBB116_290:
	s_and_saveexec_b32 s0, s3
	s_delay_alu instid0(SALU_CYCLE_1)
	s_xor_b32 s3, exec_lo, s0
	s_cbranch_execz .LBB116_301
; %bb.291:
	s_and_saveexec_b32 s0, s4
	s_delay_alu instid0(SALU_CYCLE_1)
	s_xor_b32 s0, exec_lo, s0
; %bb.292:
	v_lshrrev_b32_e32 v2, 31, v28
	s_delay_alu instid0(VALU_DEP_1) | instskip(SKIP_2) | instid1(VALU_DEP_2)
	v_add_co_u32 v2, s4, v2, -1
	s_wait_alu 0xf1ff
	v_add_co_ci_u32_e64 v3, null, 0, -1, s4
	v_xor_b32_e32 v6, v2, v27
	s_delay_alu instid0(VALU_DEP_2) | instskip(NEXT) | instid1(VALU_DEP_1)
	v_or_b32_e32 v3, 0x80000000, v3
	v_xor_b32_e32 v7, v3, v28
; %bb.293:
	s_or_b32 exec_lo, exec_lo, s0
	s_mul_u64 s[4:5], s[38:39], s[28:29]
	v_mov_b32_e32 v2, 0
	s_wait_alu 0xfffe
	s_lshl_b64 s[4:5], s[4:5], 3
	s_wait_alu 0xfffe
	s_add_nc_u64 s[4:5], s[36:37], s[4:5]
	global_store_b64 v2, v[6:7], s[4:5]
	s_and_saveexec_b32 s4, s2
	s_cbranch_execz .LBB116_300
; %bb.294:
	v_cmp_u_f64_e32 vcc_lo, v[6:7], v[6:7]
	s_mov_b32 s2, 0
                                        ; implicit-def: $sgpr5
                                        ; implicit-def: $sgpr8
                                        ; implicit-def: $sgpr7
	s_xor_b32 s6, vcc_lo, -1
	s_branch .LBB116_296
.LBB116_295:                            ;   in Loop: Header=BB116_296 Depth=1
	s_wait_alu 0xfffe
	s_or_b32 exec_lo, exec_lo, s9
	s_delay_alu instid0(SALU_CYCLE_1)
	s_and_b32 s0, exec_lo, s8
	s_wait_alu 0xfffe
	s_or_b32 s2, s0, s2
	s_and_not1_b32 s0, s5, exec_lo
	s_and_b32 s5, s7, exec_lo
	s_wait_alu 0xfffe
	s_or_b32 s5, s0, s5
	s_and_not1_b32 exec_lo, exec_lo, s2
	s_cbranch_execz .LBB116_298
.LBB116_296:                            ; =>This Inner Loop Header: Depth=1
	global_load_b64 v[2:3], v[16:17], off
	s_or_b32 s7, s7, exec_lo
	s_or_b32 s8, s8, exec_lo
	s_wait_loadcnt 0x0
	v_cmp_o_f64_e32 vcc_lo, v[2:3], v[2:3]
	v_cmp_neq_f64_e64 s0, v[2:3], v[6:7]
	v_dual_mov_b32 v3, v1 :: v_dual_mov_b32 v2, v0
                                        ; implicit-def: $vgpr0_vgpr1
	s_wait_alu 0xfffe
	s_or_b32 s9, vcc_lo, s6
	s_wait_alu 0xfffe
	s_and_b32 s0, s0, s9
	s_wait_alu 0xfffe
	s_and_saveexec_b32 s9, s0
	s_cbranch_execz .LBB116_295
; %bb.297:                              ;   in Loop: Header=BB116_296 Depth=1
	v_add_co_u32 v0, vcc_lo, v2, s40
	s_wait_alu 0xfffd
	v_add_co_ci_u32_e64 v1, null, 0, v3, vcc_lo
	v_add_co_u32 v16, s0, v16, s42
	s_wait_alu 0xf1ff
	v_add_co_ci_u32_e64 v17, null, s43, v17, s0
	s_delay_alu instid0(VALU_DEP_3)
	v_cmp_le_u64_e32 vcc_lo, s[24:25], v[0:1]
	s_and_not1_b32 s0, s8, exec_lo
	s_and_not1_b32 s7, s7, exec_lo
	s_and_b32 s8, vcc_lo, exec_lo
	s_wait_alu 0xfffe
	s_or_b32 s8, s0, s8
	s_branch .LBB116_295
.LBB116_298:
	s_or_b32 exec_lo, exec_lo, s2
	s_wait_alu 0xfffe
	s_and_saveexec_b32 s0, s5
	s_wait_alu 0xfffe
	s_xor_b32 s0, exec_lo, s0
	s_cbranch_execz .LBB116_300
; %bb.299:
	s_mul_u64 s[6:7], s[30:31], s[28:29]
	v_mov_b32_e32 v0, 0
	s_wait_alu 0xfffe
	s_lshl_b64 s[6:7], s[6:7], 3
	s_wait_alu 0xfffe
	s_add_nc_u64 s[6:7], s[26:27], s[6:7]
	global_store_b64 v0, v[2:3], s[6:7]
.LBB116_300:
	s_wait_alu 0xfffe
	s_or_b32 exec_lo, exec_lo, s4
.LBB116_301:
	s_wait_alu 0xfffe
	s_or_saveexec_b32 s0, s3
	s_mov_b32 s2, 0
	s_wait_alu 0xfffe
	s_xor_b32 exec_lo, exec_lo, s0
	s_cbranch_execnz .LBB116_304
.LBB116_302:
	s_or_b32 exec_lo, exec_lo, s0
	s_wait_alu 0xfffe
	s_and_b32 s0, s2, exec_lo
	s_and_not1_saveexec_b32 s1, s1
	s_cbranch_execz .LBB116_287
.LBB116_303:
	s_wait_alu 0xfffe
	s_or_b32 s0, s0, exec_lo
	s_trap 2
	s_or_b32 exec_lo, exec_lo, s1
	s_wait_alu 0xfffe
	s_and_saveexec_b32 s1, s0
	s_cbranch_execnz .LBB116_288
	s_branch .LBB116_289
.LBB116_304:
	s_mov_b32 s2, exec_lo
	s_trap 2
	s_branch .LBB116_302
	.section	.rodata,"a",@progbits
	.p2align	6, 0x0
	.amdhsa_kernel _ZN2at6native12_GLOBAL__N_112gatherMedianIdmLi1EEEvNS_4cuda6detail10TensorInfoIT_T0_EENS5_IlS7_EENS5_IKS6_S7_EES7_S7_S7_b
		.amdhsa_group_segment_fixed_size 5152
		.amdhsa_private_segment_fixed_size 0
		.amdhsa_kernarg_size 1536
		.amdhsa_user_sgpr_count 2
		.amdhsa_user_sgpr_dispatch_ptr 0
		.amdhsa_user_sgpr_queue_ptr 0
		.amdhsa_user_sgpr_kernarg_segment_ptr 1
		.amdhsa_user_sgpr_dispatch_id 0
		.amdhsa_user_sgpr_private_segment_size 0
		.amdhsa_wavefront_size32 1
		.amdhsa_uses_dynamic_stack 0
		.amdhsa_enable_private_segment 0
		.amdhsa_system_sgpr_workgroup_id_x 1
		.amdhsa_system_sgpr_workgroup_id_y 1
		.amdhsa_system_sgpr_workgroup_id_z 1
		.amdhsa_system_sgpr_workgroup_info 0
		.amdhsa_system_vgpr_workitem_id 0
		.amdhsa_next_free_vgpr 63
		.amdhsa_next_free_sgpr 90
		.amdhsa_reserve_vcc 1
		.amdhsa_float_round_mode_32 0
		.amdhsa_float_round_mode_16_64 0
		.amdhsa_float_denorm_mode_32 3
		.amdhsa_float_denorm_mode_16_64 3
		.amdhsa_fp16_overflow 0
		.amdhsa_workgroup_processor_mode 1
		.amdhsa_memory_ordered 1
		.amdhsa_forward_progress 1
		.amdhsa_inst_pref_size 147
		.amdhsa_round_robin_scheduling 0
		.amdhsa_exception_fp_ieee_invalid_op 0
		.amdhsa_exception_fp_denorm_src 0
		.amdhsa_exception_fp_ieee_div_zero 0
		.amdhsa_exception_fp_ieee_overflow 0
		.amdhsa_exception_fp_ieee_underflow 0
		.amdhsa_exception_fp_ieee_inexact 0
		.amdhsa_exception_int_div_zero 0
	.end_amdhsa_kernel
	.section	.text._ZN2at6native12_GLOBAL__N_112gatherMedianIdmLi1EEEvNS_4cuda6detail10TensorInfoIT_T0_EENS5_IlS7_EENS5_IKS6_S7_EES7_S7_S7_b,"axG",@progbits,_ZN2at6native12_GLOBAL__N_112gatherMedianIdmLi1EEEvNS_4cuda6detail10TensorInfoIT_T0_EENS5_IlS7_EENS5_IKS6_S7_EES7_S7_S7_b,comdat
.Lfunc_end116:
	.size	_ZN2at6native12_GLOBAL__N_112gatherMedianIdmLi1EEEvNS_4cuda6detail10TensorInfoIT_T0_EENS5_IlS7_EENS5_IKS6_S7_EES7_S7_S7_b, .Lfunc_end116-_ZN2at6native12_GLOBAL__N_112gatherMedianIdmLi1EEEvNS_4cuda6detail10TensorInfoIT_T0_EENS5_IlS7_EENS5_IKS6_S7_EES7_S7_S7_b
                                        ; -- End function
	.set _ZN2at6native12_GLOBAL__N_112gatherMedianIdmLi1EEEvNS_4cuda6detail10TensorInfoIT_T0_EENS5_IlS7_EENS5_IKS6_S7_EES7_S7_S7_b.num_vgpr, 63
	.set _ZN2at6native12_GLOBAL__N_112gatherMedianIdmLi1EEEvNS_4cuda6detail10TensorInfoIT_T0_EENS5_IlS7_EENS5_IKS6_S7_EES7_S7_S7_b.num_agpr, 0
	.set _ZN2at6native12_GLOBAL__N_112gatherMedianIdmLi1EEEvNS_4cuda6detail10TensorInfoIT_T0_EENS5_IlS7_EENS5_IKS6_S7_EES7_S7_S7_b.numbered_sgpr, 90
	.set _ZN2at6native12_GLOBAL__N_112gatherMedianIdmLi1EEEvNS_4cuda6detail10TensorInfoIT_T0_EENS5_IlS7_EENS5_IKS6_S7_EES7_S7_S7_b.num_named_barrier, 0
	.set _ZN2at6native12_GLOBAL__N_112gatherMedianIdmLi1EEEvNS_4cuda6detail10TensorInfoIT_T0_EENS5_IlS7_EENS5_IKS6_S7_EES7_S7_S7_b.private_seg_size, 0
	.set _ZN2at6native12_GLOBAL__N_112gatherMedianIdmLi1EEEvNS_4cuda6detail10TensorInfoIT_T0_EENS5_IlS7_EENS5_IKS6_S7_EES7_S7_S7_b.uses_vcc, 1
	.set _ZN2at6native12_GLOBAL__N_112gatherMedianIdmLi1EEEvNS_4cuda6detail10TensorInfoIT_T0_EENS5_IlS7_EENS5_IKS6_S7_EES7_S7_S7_b.uses_flat_scratch, 0
	.set _ZN2at6native12_GLOBAL__N_112gatherMedianIdmLi1EEEvNS_4cuda6detail10TensorInfoIT_T0_EENS5_IlS7_EENS5_IKS6_S7_EES7_S7_S7_b.has_dyn_sized_stack, 0
	.set _ZN2at6native12_GLOBAL__N_112gatherMedianIdmLi1EEEvNS_4cuda6detail10TensorInfoIT_T0_EENS5_IlS7_EENS5_IKS6_S7_EES7_S7_S7_b.has_recursion, 0
	.set _ZN2at6native12_GLOBAL__N_112gatherMedianIdmLi1EEEvNS_4cuda6detail10TensorInfoIT_T0_EENS5_IlS7_EENS5_IKS6_S7_EES7_S7_S7_b.has_indirect_call, 0
	.section	.AMDGPU.csdata,"",@progbits
; Kernel info:
; codeLenInByte = 18740
; TotalNumSgprs: 92
; NumVgprs: 63
; ScratchSize: 0
; MemoryBound: 0
; FloatMode: 240
; IeeeMode: 1
; LDSByteSize: 5152 bytes/workgroup (compile time only)
; SGPRBlocks: 0
; VGPRBlocks: 7
; NumSGPRsForWavesPerEU: 92
; NumVGPRsForWavesPerEU: 63
; Occupancy: 16
; WaveLimiterHint : 1
; COMPUTE_PGM_RSRC2:SCRATCH_EN: 0
; COMPUTE_PGM_RSRC2:USER_SGPR: 2
; COMPUTE_PGM_RSRC2:TRAP_HANDLER: 0
; COMPUTE_PGM_RSRC2:TGID_X_EN: 1
; COMPUTE_PGM_RSRC2:TGID_Y_EN: 1
; COMPUTE_PGM_RSRC2:TGID_Z_EN: 1
; COMPUTE_PGM_RSRC2:TIDIG_COMP_CNT: 0
	.section	.text._ZN2at6native12_GLOBAL__N_112gatherMedianIdmLi2EEEvNS_4cuda6detail10TensorInfoIT_T0_EENS5_IlS7_EENS5_IKS6_S7_EES7_S7_S7_b,"axG",@progbits,_ZN2at6native12_GLOBAL__N_112gatherMedianIdmLi2EEEvNS_4cuda6detail10TensorInfoIT_T0_EENS5_IlS7_EENS5_IKS6_S7_EES7_S7_S7_b,comdat
	.globl	_ZN2at6native12_GLOBAL__N_112gatherMedianIdmLi2EEEvNS_4cuda6detail10TensorInfoIT_T0_EENS5_IlS7_EENS5_IKS6_S7_EES7_S7_S7_b ; -- Begin function _ZN2at6native12_GLOBAL__N_112gatherMedianIdmLi2EEEvNS_4cuda6detail10TensorInfoIT_T0_EENS5_IlS7_EENS5_IKS6_S7_EES7_S7_S7_b
	.p2align	8
	.type	_ZN2at6native12_GLOBAL__N_112gatherMedianIdmLi2EEEvNS_4cuda6detail10TensorInfoIT_T0_EENS5_IlS7_EENS5_IKS6_S7_EES7_S7_S7_b,@function
_ZN2at6native12_GLOBAL__N_112gatherMedianIdmLi2EEEvNS_4cuda6detail10TensorInfoIT_T0_EENS5_IlS7_EENS5_IKS6_S7_EES7_S7_S7_b: ; @_ZN2at6native12_GLOBAL__N_112gatherMedianIdmLi2EEEvNS_4cuda6detail10TensorInfoIT_T0_EENS5_IlS7_EENS5_IKS6_S7_EES7_S7_S7_b
; %bb.0:
	s_clause 0x1
	s_load_b64 s[8:9], s[0:1], 0x500
	s_load_b128 s[24:27], s[0:1], 0x4e0
	s_lshr_b32 s2, ttmp7, 16
	s_and_b32 s3, ttmp7, 0xffff
	s_mov_b32 s35, 0
	s_wait_kmcnt 0x0
	s_mul_i32 s2, s9, s2
	s_delay_alu instid0(SALU_CYCLE_1) | instskip(NEXT) | instid1(SALU_CYCLE_1)
	s_add_co_i32 s2, s2, s3
	s_mul_i32 s2, s2, s8
	s_delay_alu instid0(SALU_CYCLE_1) | instskip(NEXT) | instid1(SALU_CYCLE_1)
	s_add_co_i32 s34, s2, ttmp9
	v_cmp_le_u64_e64 s2, s[26:27], s[34:35]
	s_and_b32 vcc_lo, exec_lo, s2
	s_cbranch_vccnz .LBB117_295
; %bb.1:
	s_clause 0x2
	s_load_b64 s[44:45], s[0:1], 0x10
	s_load_b64 s[40:41], s[0:1], 0x4f0
	;; [unrolled: 1-line block ×3, first 2 shown]
	s_mov_b64 s[42:43], 0
	s_mov_b64 s[46:47], 0
	s_wait_kmcnt 0x0
	v_cmp_lt_u64_e64 s2, s[34:35], s[44:45]
	s_and_b32 vcc_lo, exec_lo, s2
	s_cbranch_vccnz .LBB117_3
; %bb.2:
	v_cvt_f32_u32_e32 v1, s44
	s_sub_co_i32 s3, 0, s44
	s_mov_b32 s47, 0
	s_delay_alu instid0(VALU_DEP_1) | instskip(NEXT) | instid1(TRANS32_DEP_1)
	v_rcp_iflag_f32_e32 v1, v1
	v_mul_f32_e32 v1, 0x4f7ffffe, v1
	s_delay_alu instid0(VALU_DEP_1) | instskip(NEXT) | instid1(VALU_DEP_1)
	v_cvt_u32_f32_e32 v1, v1
	v_readfirstlane_b32 s2, v1
	s_mul_i32 s3, s3, s2
	s_delay_alu instid0(SALU_CYCLE_1) | instskip(NEXT) | instid1(SALU_CYCLE_1)
	s_mul_hi_u32 s3, s2, s3
	s_add_co_i32 s2, s2, s3
	s_delay_alu instid0(SALU_CYCLE_1) | instskip(NEXT) | instid1(SALU_CYCLE_1)
	s_mul_hi_u32 s2, s34, s2
	s_mul_i32 s3, s2, s44
	s_add_co_i32 s4, s2, 1
	s_sub_co_i32 s3, s34, s3
	s_delay_alu instid0(SALU_CYCLE_1)
	s_sub_co_i32 s5, s3, s44
	s_cmp_ge_u32 s3, s44
	s_cselect_b32 s2, s4, s2
	s_cselect_b32 s3, s5, s3
	s_add_co_i32 s4, s2, 1
	s_cmp_ge_u32 s3, s44
	s_cselect_b32 s46, s4, s2
.LBB117_3:
	s_load_b64 s[2:3], s[0:1], 0x350
	v_cmp_lt_u64_e64 s4, s[34:35], s[26:27]
	s_and_b32 vcc_lo, exec_lo, s4
	s_cbranch_vccnz .LBB117_5
; %bb.4:
	v_cvt_f32_u32_e32 v1, s26
	s_sub_co_i32 s5, 0, s26
	s_mov_b32 s43, 0
	s_delay_alu instid0(VALU_DEP_1) | instskip(NEXT) | instid1(TRANS32_DEP_1)
	v_rcp_iflag_f32_e32 v1, v1
	v_mul_f32_e32 v1, 0x4f7ffffe, v1
	s_delay_alu instid0(VALU_DEP_1) | instskip(NEXT) | instid1(VALU_DEP_1)
	v_cvt_u32_f32_e32 v1, v1
	v_readfirstlane_b32 s4, v1
	s_mul_i32 s5, s5, s4
	s_delay_alu instid0(SALU_CYCLE_1) | instskip(NEXT) | instid1(SALU_CYCLE_1)
	s_mul_hi_u32 s5, s4, s5
	s_add_co_i32 s4, s4, s5
	s_delay_alu instid0(SALU_CYCLE_1) | instskip(NEXT) | instid1(SALU_CYCLE_1)
	s_mul_hi_u32 s4, s34, s4
	s_mul_i32 s5, s4, s26
	s_add_co_i32 s6, s4, 1
	s_sub_co_i32 s5, s34, s5
	s_delay_alu instid0(SALU_CYCLE_1)
	s_sub_co_i32 s7, s5, s26
	s_cmp_ge_u32 s5, s26
	s_cselect_b32 s4, s6, s4
	s_cselect_b32 s5, s7, s5
	s_add_co_i32 s6, s4, 1
	s_cmp_ge_u32 s5, s26
	s_cselect_b32 s42, s6, s4
.LBB117_5:
	s_clause 0x1
	s_load_b128 s[4:7], s[0:1], 0x410
	s_load_b64 s[10:11], s[0:1], 0x340
	s_wait_kmcnt 0x0
	v_cmp_lt_u64_e64 s9, s[34:35], s[2:3]
	s_mov_b64 s[12:13], 0
	s_and_b32 vcc_lo, exec_lo, s9
	s_cbranch_vccnz .LBB117_7
; %bb.6:
	v_cvt_f32_u32_e32 v1, s2
	s_sub_co_i32 s12, 0, s2
	s_delay_alu instid0(VALU_DEP_1) | instskip(NEXT) | instid1(TRANS32_DEP_1)
	v_rcp_iflag_f32_e32 v1, v1
	v_mul_f32_e32 v1, 0x4f7ffffe, v1
	s_delay_alu instid0(VALU_DEP_1) | instskip(NEXT) | instid1(VALU_DEP_1)
	v_cvt_u32_f32_e32 v1, v1
	v_readfirstlane_b32 s9, v1
	s_mul_i32 s12, s12, s9
	s_delay_alu instid0(SALU_CYCLE_1) | instskip(NEXT) | instid1(SALU_CYCLE_1)
	s_mul_hi_u32 s12, s9, s12
	s_add_co_i32 s9, s9, s12
	s_delay_alu instid0(SALU_CYCLE_1) | instskip(NEXT) | instid1(SALU_CYCLE_1)
	s_mul_hi_u32 s9, s34, s9
	s_mul_i32 s12, s9, s2
	s_add_co_i32 s13, s9, 1
	s_sub_co_i32 s12, s34, s12
	s_delay_alu instid0(SALU_CYCLE_1)
	s_sub_co_i32 s14, s12, s2
	s_cmp_ge_u32 s12, s2
	s_cselect_b32 s9, s13, s9
	s_cselect_b32 s12, s14, s12
	s_add_co_i32 s14, s9, 1
	s_cmp_ge_u32 s12, s2
	s_mov_b32 s13, 0
	s_cselect_b32 s12, s14, s9
.LBB117_7:
	v_dual_mov_b32 v1, 0 :: v_dual_mov_b32 v2, 0
	s_mul_u64 s[2:3], s[12:13], s[2:3]
	s_mul_u64 s[4:5], s[12:13], s[4:5]
	s_wait_alu 0xfffe
	s_sub_nc_u64 s[2:3], s[34:35], s[2:3]
	s_lshl_b64 s[4:5], s[4:5], 3
	s_wait_alu 0xfffe
	s_mul_u64 s[6:7], s[2:3], s[6:7]
	v_cmp_gt_u64_e64 s2, s[24:25], v[0:1]
	v_mov_b32_e32 v3, 0
	s_add_nc_u64 s[4:5], s[10:11], s[4:5]
	s_lshl_b64 s[10:11], s[6:7], 3
	s_add_nc_u64 s[6:7], s[0:1], 0x500
	s_add_nc_u64 s[48:49], s[4:5], s[10:11]
	s_and_saveexec_b32 s4, s2
	s_cbranch_execz .LBB117_11
; %bb.8:
	s_load_b32 s3, s[6:7], 0xc
	v_dual_mov_b32 v2, 0 :: v_dual_mov_b32 v5, v1
	v_dual_mov_b32 v3, 0 :: v_dual_mov_b32 v4, v0
	s_mov_b32 s5, 0
	s_wait_kmcnt 0x0
	s_and_b32 s9, s3, 0xffff
.LBB117_9:                              ; =>This Inner Loop Header: Depth=1
	v_mul_lo_u32 v8, v5, s40
	v_mul_lo_u32 v9, v4, s41
	v_mad_co_u64_u32 v[6:7], null, v4, s40, 0
	s_delay_alu instid0(VALU_DEP_1) | instskip(NEXT) | instid1(VALU_DEP_1)
	v_add3_u32 v7, v7, v9, v8
	v_lshlrev_b64_e32 v[6:7], 3, v[6:7]
	s_delay_alu instid0(VALU_DEP_1) | instskip(SKIP_1) | instid1(VALU_DEP_2)
	v_add_co_u32 v6, vcc_lo, s48, v6
	s_wait_alu 0xfffd
	v_add_co_ci_u32_e64 v7, null, s49, v7, vcc_lo
	v_add_co_u32 v4, vcc_lo, v4, s9
	s_wait_alu 0xfffd
	v_add_co_ci_u32_e64 v5, null, 0, v5, vcc_lo
	global_load_b64 v[6:7], v[6:7], off
	s_wait_loadcnt 0x0
	v_cmp_u_f64_e32 vcc_lo, v[6:7], v[6:7]
	s_wait_alu 0xfffd
	v_cndmask_b32_e64 v6, 0, 1, vcc_lo
	v_cmp_le_u64_e32 vcc_lo, s[24:25], v[4:5]
	s_delay_alu instid0(VALU_DEP_2) | instskip(SKIP_3) | instid1(SALU_CYCLE_1)
	v_add_co_u32 v2, s3, v2, v6
	s_wait_alu 0xf1ff
	v_add_co_ci_u32_e64 v3, null, 0, v3, s3
	s_or_b32 s5, vcc_lo, s5
	s_and_not1_b32 exec_lo, exec_lo, s5
	s_cbranch_execnz .LBB117_9
; %bb.10:
	s_or_b32 exec_lo, exec_lo, s5
.LBB117_11:
	s_delay_alu instid0(SALU_CYCLE_1)
	s_or_b32 exec_lo, exec_lo, s4
	s_clause 0x3
	s_load_b128 s[28:31], s[0:1], 0x270
	s_load_b64 s[50:51], s[0:1], 0x1a0
	s_load_b128 s[36:39], s[0:1], 0xd0
	s_load_b64 s[52:53], s[0:1], 0x0
	v_cmp_eq_u32_e64 s3, 0, v0
	s_and_saveexec_b32 s4, s3
; %bb.12:
	v_mov_b32_e32 v4, 0
	s_delay_alu instid0(VALU_DEP_1)
	v_mov_b32_e32 v5, v4
	ds_store_b64 v4, v[4:5] offset:5136
; %bb.13:
	s_or_b32 exec_lo, exec_lo, s4
	s_mov_b64 s[4:5], 0
	s_mov_b32 s9, exec_lo
	s_wait_dscnt 0x0
	s_barrier_signal -1
	s_barrier_wait -1
	global_inv scope:SCOPE_SE
	v_cmpx_ne_u64_e32 0, v[2:3]
	s_cbranch_execz .LBB117_18
; %bb.14:
	s_mov_b32 s10, exec_lo
.LBB117_15:                             ; =>This Inner Loop Header: Depth=1
	s_delay_alu instid0(SALU_CYCLE_1)
	s_ctz_i32_b32 s11, s10
	s_wait_alu 0xfffe
	v_readlane_b32 s13, v3, s11
	v_readlane_b32 s12, v2, s11
	s_lshl_b32 s11, 1, s11
	s_wait_alu 0xfffe
	s_and_not1_b32 s10, s10, s11
	s_wait_alu 0xfffe
	s_cmp_lg_u32 s10, 0
	s_add_nc_u64 s[4:5], s[4:5], s[12:13]
	s_cbranch_scc1 .LBB117_15
; %bb.16:
	v_mbcnt_lo_u32_b32 v2, exec_lo, 0
	s_mov_b32 s10, exec_lo
	s_delay_alu instid0(VALU_DEP_1)
	v_cmpx_eq_u32_e32 0, v2
	s_wait_alu 0xfffe
	s_xor_b32 s10, exec_lo, s10
; %bb.17:
	v_mov_b32_e32 v2, s4
	v_dual_mov_b32 v4, 0 :: v_dual_mov_b32 v3, s5
	ds_add_u64 v4, v[2:3] offset:5136
.LBB117_18:
	s_wait_alu 0xfffe
	s_or_b32 exec_lo, exec_lo, s9
	v_dual_mov_b32 v2, 0 :: v_dual_mov_b32 v27, s25
	s_wait_loadcnt_dscnt 0x0
	s_barrier_signal -1
	s_barrier_wait -1
	global_inv scope:SCOPE_SE
	ds_load_b64 v[2:3], v2 offset:5136
	s_load_b32 s0, s[0:1], 0x4f8
	v_mov_b32_e32 v26, s24
	s_wait_dscnt 0x0
	v_cmp_gt_i64_e32 vcc_lo, 1, v[2:3]
	s_wait_kmcnt 0x0
	s_bitcmp1_b32 s0, 0
	s_cselect_b32 s0, -1, 0
	s_delay_alu instid0(SALU_CYCLE_1) | instskip(NEXT) | instid1(SALU_CYCLE_1)
	s_or_b32 s0, s0, vcc_lo
	s_and_not1_b32 vcc_lo, exec_lo, s0
	s_wait_alu 0xfffe
	s_cbranch_vccnz .LBB117_20
; %bb.19:
	v_not_b32_e32 v2, v2
	v_not_b32_e32 v3, v3
	s_delay_alu instid0(VALU_DEP_2) | instskip(SKIP_1) | instid1(VALU_DEP_2)
	v_add_co_u32 v2, vcc_lo, s24, v2
	s_wait_alu 0xfffd
	v_add_co_ci_u32_e64 v3, null, s25, v3, vcc_lo
	s_delay_alu instid0(VALU_DEP_1) | instskip(NEXT) | instid1(VALU_DEP_1)
	v_lshrrev_b64 v[2:3], 1, v[2:3]
	v_add_co_u32 v26, vcc_lo, v2, 1
	s_wait_alu 0xfffd
	s_delay_alu instid0(VALU_DEP_2)
	v_add_co_ci_u32_e64 v27, null, 0, v3, vcc_lo
.LBB117_20:
	s_and_saveexec_b32 s0, s3
	s_cbranch_execz .LBB117_22
; %bb.21:
	v_dual_mov_b32 v2, 0 :: v_dual_mov_b32 v5, s25
	s_delay_alu instid0(VALU_DEP_1)
	v_dual_mov_b32 v4, s24 :: v_dual_mov_b32 v3, v2
	ds_store_b32 v2, v2 offset:5144
	ds_store_b128 v2, v[2:5] offset:5120
.LBB117_22:
	s_or_b32 exec_lo, exec_lo, s0
	s_wait_loadcnt_dscnt 0x0
	s_barrier_signal -1
	s_barrier_wait -1
	global_inv scope:SCOPE_SE
	s_load_b32 s5, s[6:7], 0xc
	v_mad_co_u64_u32 v[2:3], null, s40, v0, 0
	v_mbcnt_lo_u32_b32 v32, -1, 0
	v_cmp_gt_u32_e32 vcc_lo, 32, v0
	v_dual_mov_b32 v22, 0 :: v_dual_lshlrev_b32 v33, 3, v0
	v_dual_mov_b32 v19, 0 :: v_dual_lshlrev_b32 v16, 2, v0
	v_mad_co_u64_u32 v[3:4], null, s41, v0, v[3:4]
	v_cmp_gt_i32_e64 s4, 4, v32
	v_lshlrev_b64_e64 v[4:5], v32, -1
	s_mov_b32 s57, 0
	v_cmp_lt_u64_e64 s33, 0x180, s[24:25]
	s_mov_b32 s55, s57
	s_and_b32 s74, vcc_lo, s4
	v_lshlrev_b64_e32 v[2:3], 3, v[2:3]
	v_dual_mov_b32 v6, 0 :: v_dual_lshlrev_b32 v37, 5, v0
	s_wait_kmcnt 0x0
	s_and_b32 s54, s5, 0xffff
	s_bfe_u32 s4, s5, 0xb0005
	s_cmp_gt_u32 s54, 31
	v_add_co_u32 v20, vcc_lo, s48, v2
	s_cselect_b32 s75, -1, 0
	s_cmp_lt_u32 ttmp9, s8
	v_dual_mov_b32 v23, 0 :: v_dual_mov_b32 v24, 0
	s_cselect_b32 s56, 12, 18
	s_wait_alu 0xfffe
	s_add_co_i32 s5, s4, -1
	s_bfe_u32 s76, s54, 0x30005
	s_wait_alu 0xfffe
	s_and_b32 s5, s5, 0xffff
	v_cmp_gt_u32_e64 s0, 2, v0
	s_wait_alu 0xfffe
	s_cmp_gt_u32 s5, 6
	s_movk_i32 s5, 0x3e0
	v_cmp_eq_u32_e64 s1, 0, v32
	v_dual_mov_b32 v17, v19 :: v_dual_add_nc_u32 v34, 0xc00, v33
	s_wait_alu 0xfffd
	v_add_co_ci_u32_e64 v21, null, s49, v3, vcc_lo
	v_not_b32_e32 v35, v4
	s_cselect_b32 s77, -1, 0
	s_and_b32 s78, s4, 0x7f8
	s_wait_alu 0xfffe
	v_and_or_b32 v36, v0, s5, 0xc00
	v_lshl_or_b32 v38, v32, 3, 0xc00
	v_mov_b32_e32 v7, 0
	v_mov_b32_e32 v25, 0
	;; [unrolled: 1-line block ×3, first 2 shown]
	s_add_nc_u64 s[58:59], s[54:55], -1
	s_cmp_lg_u32 s76, 0
	s_add_nc_u64 s[60:61], s[58:59], s[24:25]
	s_cselect_b32 s79, -1, 0
	s_lshl_b32 s80, s54, 3
	s_mov_b32 s81, 62
	s_add_nc_u64 s[62:63], s[6:7], s[56:57]
	s_mov_b32 s83, 0x4f800000
	s_mov_b32 s82, 0
	;; [unrolled: 1-line block ×3, first 2 shown]
                                        ; implicit-def: $sgpr88
                                        ; implicit-def: $sgpr90
                                        ; implicit-def: $sgpr85
                                        ; implicit-def: $sgpr87
                                        ; implicit-def: $sgpr89
                                        ; implicit-def: $sgpr86
	s_branch .LBB117_26
.LBB117_23:                             ;   in Loop: Header=BB117_26 Depth=1
	s_wait_alu 0xfffe
	s_or_b32 exec_lo, exec_lo, s7
	s_delay_alu instid0(SALU_CYCLE_1)
	s_and_b32 s5, s5, exec_lo
	s_and_not1_b32 s22, s22, exec_lo
	s_and_not1_b32 s21, s21, exec_lo
	s_or_not1_b32 s19, s6, exec_lo
.LBB117_24:                             ;   in Loop: Header=BB117_26 Depth=1
	s_wait_alu 0xfffe
	s_or_b32 exec_lo, exec_lo, s4
	s_delay_alu instid0(SALU_CYCLE_1)
	s_and_not1_b32 s4, s86, exec_lo
	s_and_b32 s5, s5, exec_lo
	s_and_not1_b32 s6, s87, exec_lo
	s_wait_alu 0xfffe
	s_or_b32 s86, s4, s5
	s_and_not1_b32 s4, s89, exec_lo
	s_and_b32 s5, s22, exec_lo
	s_and_b32 s7, s21, exec_lo
	s_wait_alu 0xfffe
	s_or_b32 s89, s4, s5
	s_or_b32 s87, s6, s7
	s_or_not1_b32 s19, s19, exec_lo
.LBB117_25:                             ;   in Loop: Header=BB117_26 Depth=1
	s_wait_alu 0xfffe
	s_or_b32 exec_lo, exec_lo, s18
	s_delay_alu instid0(SALU_CYCLE_1)
	s_and_b32 s4, exec_lo, s19
	v_dual_mov_b32 v27, v13 :: v_dual_mov_b32 v26, v12
	s_wait_alu 0xfffe
	s_or_b32 s82, s4, s82
	s_and_not1_b32 s4, s85, exec_lo
	s_and_b32 s5, s86, exec_lo
	s_and_not1_b32 s6, s90, exec_lo
	s_wait_alu 0xfffe
	s_or_b32 s85, s4, s5
	s_and_b32 s4, s89, exec_lo
	s_and_not1_b32 s5, s88, exec_lo
	s_and_b32 s7, s87, exec_lo
	s_wait_alu 0xfffe
	s_or_b32 s90, s6, s4
	s_or_b32 s88, s5, s7
	s_and_not1_b32 exec_lo, exec_lo, s82
	s_cbranch_execz .LBB117_291
.LBB117_26:                             ; =>This Loop Header: Depth=1
                                        ;     Child Loop BB117_32 Depth 2
                                        ;     Child Loop BB117_45 Depth 2
	;; [unrolled: 1-line block ×16, first 2 shown]
	ds_load_b128 v[8:11], v19 offset:5120
	s_wait_dscnt 0x0
	v_readfirstlane_b32 s65, v9
	v_readfirstlane_b32 s64, v8
	s_cmp_lg_u64 s[64:65], 0
	s_cbranch_scc1 .LBB117_53
; %bb.27:                               ;   in Loop: Header=BB117_26 Depth=1
	s_and_b32 vcc_lo, exec_lo, s33
	s_wait_alu 0xfffe
	s_cbranch_vccz .LBB117_40
; %bb.28:                               ;   in Loop: Header=BB117_26 Depth=1
	v_cmp_gt_u64_e32 vcc_lo, 0x181, v[10:11]
	s_mov_b32 s6, 0
	s_mov_b32 s4, 0
	s_cbranch_vccz .LBB117_41
; %bb.29:                               ;   in Loop: Header=BB117_26 Depth=1
	s_and_saveexec_b32 s7, s2
	s_cbranch_execz .LBB117_153
; %bb.30:                               ;   in Loop: Header=BB117_26 Depth=1
	global_load_u16 v2, v19, s[62:63]
	global_load_b64 v[4:5], v[20:21], off
	s_mov_b32 s8, 0
	v_dual_mov_b32 v9, v1 :: v_dual_mov_b32 v8, v0
	s_wait_loadcnt 0x1
	v_and_b32_e32 v2, 0xffff, v2
	s_branch .LBB117_32
.LBB117_31:                             ;   in Loop: Header=BB117_32 Depth=2
	s_wait_alu 0xfffe
	s_or_b32 exec_lo, exec_lo, s5
	v_dual_mov_b32 v4, v10 :: v_dual_mov_b32 v5, v11
	s_and_not1_b32 exec_lo, exec_lo, s8
	s_cbranch_execz .LBB117_153
.LBB117_32:                             ;   Parent Loop BB117_26 Depth=1
                                        ; =>  This Inner Loop Header: Depth=2
	s_delay_alu instid0(VALU_DEP_1)
	v_add_co_u32 v8, vcc_lo, v8, v2
	v_mov_b32_e32 v10, 0
	s_wait_alu 0xfffd
	v_add_co_ci_u32_e64 v9, null, 0, v9, vcc_lo
	v_mov_b32_e32 v11, 0
	s_mov_b32 s5, exec_lo
	s_delay_alu instid0(VALU_DEP_2)
	v_cmp_le_u64_e32 vcc_lo, s[24:25], v[8:9]
	v_cmpx_gt_u64_e64 s[24:25], v[8:9]
	s_cbranch_execz .LBB117_34
; %bb.33:                               ;   in Loop: Header=BB117_32 Depth=2
	s_wait_dscnt 0x0
	v_mul_lo_u32 v12, v9, s40
	v_mul_lo_u32 v13, v8, s41
	v_mad_co_u64_u32 v[10:11], null, v8, s40, 0
	s_delay_alu instid0(VALU_DEP_1) | instskip(NEXT) | instid1(VALU_DEP_1)
	v_add3_u32 v11, v11, v13, v12
	v_lshlrev_b64_e32 v[10:11], 3, v[10:11]
	s_delay_alu instid0(VALU_DEP_1) | instskip(SKIP_1) | instid1(VALU_DEP_2)
	v_add_co_u32 v10, s4, s48, v10
	s_wait_alu 0xf1fe
	v_add_co_ci_u32_e64 v11, null, s49, v11, s4
	global_load_b64 v[10:11], v[10:11], off
.LBB117_34:                             ;   in Loop: Header=BB117_32 Depth=2
	s_wait_alu 0xfffe
	s_or_b32 exec_lo, exec_lo, s5
	s_wait_loadcnt 0x0
	v_cmp_o_f64_e64 s4, v[4:5], v[4:5]
	s_wait_dscnt 0x0
	v_ashrrev_i32_e32 v12, 31, v5
	s_delay_alu instid0(VALU_DEP_1) | instskip(SKIP_1) | instid1(VALU_DEP_2)
	v_or_b32_e32 v13, 0x80000000, v12
	v_xor_b32_e32 v12, v12, v4
	v_xor_b32_e32 v13, v13, v5
	s_wait_alu 0xf1ff
	s_delay_alu instid0(VALU_DEP_1) | instskip(NEXT) | instid1(VALU_DEP_3)
	v_cndmask_b32_e64 v13, -1, v13, s4
	v_cndmask_b32_e64 v12, -1, v12, s4
	s_delay_alu instid0(VALU_DEP_2) | instskip(NEXT) | instid1(VALU_DEP_2)
	v_and_b32_e32 v13, v13, v25
	v_and_b32_e32 v12, v12, v24
	s_delay_alu instid0(VALU_DEP_1)
	v_cmp_eq_u64_e64 s4, v[12:13], v[22:23]
	v_mov_b32_e32 v12, 0
	s_cmp_lg_u32 s4, 0
	s_cselect_b32 s5, -1, 0
	s_wait_alu 0xfffe
	s_and_b32 s5, s1, s5
	s_wait_alu 0xfffe
	s_and_saveexec_b32 s9, s5
	s_cbranch_execz .LBB117_38
; %bb.35:                               ;   in Loop: Header=BB117_32 Depth=2
	s_mov_b32 s12, exec_lo
	s_bcnt1_i32_b32 s10, s4
	s_wait_alu 0xfffe
	v_mbcnt_lo_u32_b32 v12, s12, 0
	s_mov_b32 s11, exec_lo
                                        ; implicit-def: $vgpr13
	s_delay_alu instid0(VALU_DEP_1)
	v_cmpx_eq_u32_e32 0, v12
; %bb.36:                               ;   in Loop: Header=BB117_32 Depth=2
	s_bcnt1_i32_b32 s5, s12
	s_wait_alu 0xfffe
	s_mul_i32 s5, s10, s5
	s_wait_alu 0xfffe
	v_mov_b32_e32 v13, s5
	ds_add_rtn_u32 v13, v19, v13 offset:5144
; %bb.37:                               ;   in Loop: Header=BB117_32 Depth=2
	s_or_b32 exec_lo, exec_lo, s11
	s_wait_dscnt 0x0
	v_readfirstlane_b32 s5, v13
	s_wait_alu 0xf1ff
	s_delay_alu instid0(VALU_DEP_1)
	v_mad_u32_u24 v12, s10, v12, s5
.LBB117_38:                             ;   in Loop: Header=BB117_32 Depth=2
	s_wait_alu 0xfffe
	s_or_b32 exec_lo, exec_lo, s9
	ds_bpermute_b32 v12, v19, v12
	s_and_b32 s5, exec_lo, vcc_lo
	s_wait_alu 0xfffe
	s_or_b32 s8, s5, s8
	s_and_saveexec_b32 s5, s4
	s_cbranch_execz .LBB117_31
; %bb.39:                               ;   in Loop: Header=BB117_32 Depth=2
	v_and_b32_e32 v13, s4, v35
	s_delay_alu instid0(VALU_DEP_1) | instskip(NEXT) | instid1(VALU_DEP_1)
	v_bcnt_u32_b32 v13, v13, 0
	v_lshlrev_b32_e32 v13, 3, v13
	s_wait_dscnt 0x0
	s_delay_alu instid0(VALU_DEP_1)
	v_lshl_add_u32 v12, v12, 3, v13
	ds_store_b64 v12, v[4:5]
	s_branch .LBB117_31
.LBB117_40:                             ;   in Loop: Header=BB117_26 Depth=1
	s_mov_b32 s6, -1
	s_mov_b32 s4, 0
.LBB117_41:                             ;   in Loop: Header=BB117_26 Depth=1
	s_wait_alu 0xfffe
	s_and_b32 vcc_lo, exec_lo, s6
	s_wait_alu 0xfffe
	s_cbranch_vccz .LBB117_51
.LBB117_42:                             ;   in Loop: Header=BB117_26 Depth=1
	s_and_saveexec_b32 s4, s2
	s_cbranch_execz .LBB117_48
; %bb.43:                               ;   in Loop: Header=BB117_26 Depth=1
	global_load_u16 v2, v19, s[62:63]
	global_load_b64 v[4:5], v[20:21], off
	v_mov_b32_e32 v8, v0
	s_mov_b32 s5, exec_lo
	s_wait_loadcnt 0x1
	v_and_b32_e32 v2, 0xffff, v2
	s_delay_alu instid0(VALU_DEP_1) | instskip(NEXT) | instid1(VALU_DEP_1)
	v_add_nc_u32_e32 v18, v2, v0
	v_cmpx_gt_u64_e64 s[24:25], v[18:19]
	s_cbranch_execz .LBB117_47
; %bb.44:                               ;   in Loop: Header=BB117_26 Depth=1
	v_dual_mov_b32 v10, v18 :: v_dual_mov_b32 v11, v19
	v_dual_mov_b32 v9, v1 :: v_dual_mov_b32 v8, v0
	s_mov_b32 s6, 0
.LBB117_45:                             ;   Parent Loop BB117_26 Depth=1
                                        ; =>  This Inner Loop Header: Depth=2
	s_delay_alu instid0(VALU_DEP_2) | instskip(NEXT) | instid1(VALU_DEP_2)
	v_dual_mov_b32 v15, v11 :: v_dual_mov_b32 v14, v10
	v_lshlrev_b32_e32 v8, 3, v8
	s_delay_alu instid0(VALU_DEP_2) | instskip(NEXT) | instid1(VALU_DEP_3)
	v_mul_lo_u32 v11, v15, s40
	v_mul_lo_u32 v12, v14, s41
	v_mad_co_u64_u32 v[9:10], null, v14, s40, 0
	s_wait_loadcnt 0x0
	ds_store_b64 v8, v[4:5]
	v_add3_u32 v10, v10, v12, v11
	s_delay_alu instid0(VALU_DEP_1) | instskip(NEXT) | instid1(VALU_DEP_1)
	v_lshlrev_b64_e32 v[9:10], 3, v[9:10]
	v_add_co_u32 v9, vcc_lo, s48, v9
	s_wait_alu 0xfffd
	s_delay_alu instid0(VALU_DEP_2)
	v_add_co_ci_u32_e64 v10, null, s49, v10, vcc_lo
	global_load_b64 v[12:13], v[9:10], off
	v_add_co_u32 v10, vcc_lo, v14, v2
	s_wait_alu 0xfffd
	v_add_co_ci_u32_e64 v11, null, 0, v15, vcc_lo
	v_dual_mov_b32 v8, v14 :: v_dual_mov_b32 v9, v15
	s_delay_alu instid0(VALU_DEP_2)
	v_cmp_le_u64_e32 vcc_lo, s[24:25], v[10:11]
	s_wait_alu 0xfffe
	s_or_b32 s6, vcc_lo, s6
	s_wait_loadcnt 0x0
	v_dual_mov_b32 v4, v12 :: v_dual_mov_b32 v5, v13
	s_wait_alu 0xfffe
	s_and_not1_b32 exec_lo, exec_lo, s6
	s_cbranch_execnz .LBB117_45
; %bb.46:                               ;   in Loop: Header=BB117_26 Depth=1
	s_or_b32 exec_lo, exec_lo, s6
	v_sub_nc_u32_e32 v8, v10, v2
	v_dual_mov_b32 v4, v12 :: v_dual_mov_b32 v5, v13
.LBB117_47:                             ;   in Loop: Header=BB117_26 Depth=1
	s_wait_alu 0xfffe
	s_or_b32 exec_lo, exec_lo, s5
	s_delay_alu instid0(VALU_DEP_2)
	v_lshlrev_b32_e32 v2, 3, v8
	s_wait_loadcnt 0x0
	ds_store_b64 v2, v[4:5]
.LBB117_48:                             ;   in Loop: Header=BB117_26 Depth=1
	s_wait_alu 0xfffe
	s_or_b32 exec_lo, exec_lo, s4
	s_wait_loadcnt_dscnt 0x0
	s_barrier_signal -1
	s_barrier_wait -1
	global_inv scope:SCOPE_SE
	s_and_saveexec_b32 s4, s3
; %bb.49:                               ;   in Loop: Header=BB117_26 Depth=1
	v_dual_mov_b32 v4, s24 :: v_dual_mov_b32 v5, s25
	ds_store_b64 v19, v[4:5] offset:5120
; %bb.50:                               ;   in Loop: Header=BB117_26 Depth=1
	s_wait_alu 0xfffe
	s_or_b32 exec_lo, exec_lo, s4
	s_mov_b32 s4, -1
	s_wait_loadcnt_dscnt 0x0
	s_barrier_signal -1
	s_barrier_wait -1
.LBB117_51:                             ;   in Loop: Header=BB117_26 Depth=1
	s_wait_alu 0xfffe
	s_and_b32 vcc_lo, exec_lo, s4
	s_mov_b64 s[64:65], 0
	s_wait_alu 0xfffe
	s_cbranch_vccz .LBB117_53
; %bb.52:                               ;   in Loop: Header=BB117_26 Depth=1
	s_wait_loadcnt 0x0
	global_inv scope:SCOPE_SE
	ds_load_b64 v[4:5], v19 offset:5120
	s_wait_dscnt 0x0
	v_readfirstlane_b32 s64, v4
.LBB117_53:                             ;   in Loop: Header=BB117_26 Depth=1
	s_delay_alu instid0(VALU_DEP_1)
	s_cmp_lt_i32 s64, 1
	s_mov_b32 s4, -1
                                        ; implicit-def: $vgpr8_vgpr9
                                        ; implicit-def: $vgpr12_vgpr13
	s_cbranch_scc1 .LBB117_63
; %bb.54:                               ;   in Loop: Header=BB117_26 Depth=1
	s_wait_alu 0xfffe
	s_and_b32 vcc_lo, exec_lo, s4
	s_wait_alu 0xfffe
	s_cbranch_vccnz .LBB117_77
.LBB117_55:                             ;   in Loop: Header=BB117_26 Depth=1
	s_lshl_b32 s4, s84, 7
	s_and_saveexec_b32 s5, s1
	s_cbranch_execz .LBB117_57
.LBB117_56:                             ;   in Loop: Header=BB117_26 Depth=1
	s_wait_alu 0xfffe
	v_lshl_add_u32 v2, s4, 3, v36
	ds_store_b128 v2, v[8:11]
	ds_store_b128 v2, v[12:15] offset:16
.LBB117_57:                             ;   in Loop: Header=BB117_26 Depth=1
	s_wait_alu 0xfffe
	s_or_b32 exec_lo, exec_lo, s5
	s_wait_loadcnt_dscnt 0x0
	s_barrier_signal -1
	s_barrier_wait -1
	global_inv scope:SCOPE_SE
	s_and_saveexec_b32 s5, s74
	s_cbranch_execz .LBB117_91
; %bb.58:                               ;   in Loop: Header=BB117_26 Depth=1
	v_mov_b32_e32 v4, 0
	v_mov_b32_e32 v5, 0
	s_and_not1_b32 vcc_lo, exec_lo, s75
	s_wait_alu 0xfffe
	s_cbranch_vccnz .LBB117_90
; %bb.59:                               ;   in Loop: Header=BB117_26 Depth=1
	v_mov_b32_e32 v4, 0
	v_mov_b32_e32 v5, 0
	s_and_not1_b32 vcc_lo, exec_lo, s77
	s_wait_alu 0xfffe
	s_cbranch_vccnz .LBB117_87
; %bb.60:                               ;   in Loop: Header=BB117_26 Depth=1
	v_lshl_add_u32 v2, s84, 10, v38
	s_mov_b32 s6, 0
.LBB117_61:                             ;   Parent Loop BB117_26 Depth=1
                                        ; =>  This Inner Loop Header: Depth=2
	ds_load_2addr_b64 v[8:11], v2 offset1:4
	ds_load_2addr_b64 v[12:15], v2 offset0:8 offset1:12
	ds_load_2addr_b64 v[28:31], v2 offset0:16 offset1:20
	s_wait_alu 0xfffe
	s_add_co_i32 s6, s6, 8
	s_wait_alu 0xfffe
	s_cmp_eq_u32 s78, s6
	s_wait_dscnt 0x2
	v_add_co_u32 v4, vcc_lo, v8, v4
	s_wait_alu 0xfffd
	v_add_co_ci_u32_e64 v5, null, v9, v5, vcc_lo
	s_delay_alu instid0(VALU_DEP_2) | instskip(SKIP_1) | instid1(VALU_DEP_2)
	v_add_co_u32 v4, vcc_lo, v10, v4
	s_wait_alu 0xfffd
	v_add_co_ci_u32_e64 v5, null, v11, v5, vcc_lo
	ds_load_2addr_b64 v[8:11], v2 offset0:24 offset1:28
	s_wait_dscnt 0x2
	v_add_co_u32 v4, vcc_lo, v12, v4
	s_wait_alu 0xfffd
	v_add_co_ci_u32_e64 v5, null, v13, v5, vcc_lo
	v_add_nc_u32_e32 v2, 0x100, v2
	s_delay_alu instid0(VALU_DEP_3) | instskip(SKIP_1) | instid1(VALU_DEP_3)
	v_add_co_u32 v4, vcc_lo, v14, v4
	s_wait_alu 0xfffd
	v_add_co_ci_u32_e64 v5, null, v15, v5, vcc_lo
	s_wait_dscnt 0x1
	s_delay_alu instid0(VALU_DEP_2) | instskip(SKIP_1) | instid1(VALU_DEP_2)
	v_add_co_u32 v4, vcc_lo, v28, v4
	s_wait_alu 0xfffd
	v_add_co_ci_u32_e64 v5, null, v29, v5, vcc_lo
	s_delay_alu instid0(VALU_DEP_2) | instskip(SKIP_1) | instid1(VALU_DEP_2)
	v_add_co_u32 v4, vcc_lo, v30, v4
	s_wait_alu 0xfffd
	v_add_co_ci_u32_e64 v5, null, v31, v5, vcc_lo
	s_wait_dscnt 0x0
	s_delay_alu instid0(VALU_DEP_2) | instskip(SKIP_1) | instid1(VALU_DEP_2)
	v_add_co_u32 v4, vcc_lo, v8, v4
	s_wait_alu 0xfffd
	v_add_co_ci_u32_e64 v5, null, v9, v5, vcc_lo
	s_delay_alu instid0(VALU_DEP_2) | instskip(SKIP_1) | instid1(VALU_DEP_2)
	v_add_co_u32 v4, vcc_lo, v10, v4
	s_wait_alu 0xfffd
	v_add_co_ci_u32_e64 v5, null, v11, v5, vcc_lo
	s_cbranch_scc0 .LBB117_61
; %bb.62:                               ;   in Loop: Header=BB117_26 Depth=1
	s_mov_b32 s6, s78
	s_and_not1_b32 vcc_lo, exec_lo, s79
	s_wait_alu 0xfffe
	s_cbranch_vccz .LBB117_88
	s_branch .LBB117_90
.LBB117_63:                             ;   in Loop: Header=BB117_26 Depth=1
	global_load_u16 v2, v19, s[62:63]
	s_mov_b32 s5, s25
	s_wait_loadcnt 0x0
	v_readfirstlane_b32 s4, v2
	s_wait_alu 0xfffe
	s_and_b32 s6, 0xffff, s4
	s_mov_b32 s4, s57
	s_wait_alu 0xfffe
	s_lshl_b32 s18, s6, 2
	s_cmp_lg_u64 s[4:5], 0
	s_cbranch_scc0 .LBB117_86
; %bb.64:                               ;   in Loop: Header=BB117_26 Depth=1
	s_wait_alu 0xfffe
	s_cvt_f32_u32 s4, s18
	s_mov_b32 s19, s57
	s_wait_alu 0xfffe
	s_sub_nc_u64 s[6:7], 0, s[18:19]
	s_fmamk_f32 s4, s83, 0x0, s4
	s_wait_alu 0xfffe
	s_delay_alu instid0(SALU_CYCLE_2) | instskip(NEXT) | instid1(TRANS32_DEP_1)
	v_s_rcp_f32 s4, s4
	s_mul_f32 s4, s4, 0x5f7ffffc
	s_wait_alu 0xfffe
	s_delay_alu instid0(SALU_CYCLE_2) | instskip(SKIP_1) | instid1(SALU_CYCLE_2)
	s_mul_f32 s5, s4, 0x2f800000
	s_wait_alu 0xfffe
	s_trunc_f32 s5, s5
	s_wait_alu 0xfffe
	s_delay_alu instid0(SALU_CYCLE_2) | instskip(SKIP_2) | instid1(SALU_CYCLE_1)
	s_fmamk_f32 s4, s5, 0xcf800000, s4
	s_cvt_u32_f32 s5, s5
	s_wait_alu 0xfffe
	s_cvt_u32_f32 s4, s4
	s_wait_alu 0xfffe
	s_delay_alu instid0(SALU_CYCLE_2)
	s_mul_u64 s[8:9], s[6:7], s[4:5]
	s_wait_alu 0xfffe
	s_mul_hi_u32 s11, s4, s9
	s_mul_i32 s10, s4, s9
	s_mul_hi_u32 s56, s4, s8
	s_mul_i32 s13, s5, s8
	s_wait_alu 0xfffe
	s_add_nc_u64 s[10:11], s[56:57], s[10:11]
	s_mul_hi_u32 s12, s5, s8
	s_mul_hi_u32 s14, s5, s9
	s_mul_i32 s8, s5, s9
	s_wait_alu 0xfffe
	s_add_co_u32 s9, s10, s13
	s_add_co_ci_u32 s56, s11, s12
	s_add_co_ci_u32 s9, s14, 0
	s_wait_alu 0xfffe
	s_add_nc_u64 s[8:9], s[56:57], s[8:9]
	s_wait_alu 0xfffe
	s_add_co_u32 s4, s4, s8
	s_cselect_b32 s8, -1, 0
	s_wait_alu 0xfffe
	s_cmp_lg_u32 s8, 0
	s_add_co_ci_u32 s5, s5, s9
	s_wait_alu 0xfffe
	s_mul_u64 s[6:7], s[6:7], s[4:5]
	s_wait_alu 0xfffe
	s_mul_hi_u32 s9, s4, s7
	s_mul_i32 s8, s4, s7
	s_mul_hi_u32 s56, s4, s6
	s_mul_i32 s11, s5, s6
	s_wait_alu 0xfffe
	s_add_nc_u64 s[8:9], s[56:57], s[8:9]
	s_mul_hi_u32 s10, s5, s6
	s_mul_hi_u32 s12, s5, s7
	s_mul_i32 s6, s5, s7
	s_wait_alu 0xfffe
	s_add_co_u32 s7, s8, s11
	s_add_co_ci_u32 s56, s9, s10
	s_add_co_ci_u32 s7, s12, 0
	s_wait_alu 0xfffe
	s_add_nc_u64 s[6:7], s[56:57], s[6:7]
	s_wait_alu 0xfffe
	s_add_co_u32 s4, s4, s6
	s_cselect_b32 s6, -1, 0
	s_wait_alu 0xfffe
	s_mul_hi_u32 s56, s24, s4
	s_cmp_lg_u32 s6, 0
	s_mul_hi_u32 s8, s25, s4
	s_add_co_ci_u32 s6, s5, s7
	s_mul_i32 s7, s25, s4
	s_wait_alu 0xfffe
	s_mul_hi_u32 s5, s24, s6
	s_mul_i32 s4, s24, s6
	s_mul_hi_u32 s9, s25, s6
	s_wait_alu 0xfffe
	s_add_nc_u64 s[4:5], s[56:57], s[4:5]
	s_mul_i32 s6, s25, s6
	s_wait_alu 0xfffe
	s_add_co_u32 s4, s4, s7
	s_add_co_ci_u32 s56, s5, s8
	s_add_co_ci_u32 s7, s9, 0
	s_wait_alu 0xfffe
	s_add_nc_u64 s[4:5], s[56:57], s[6:7]
	s_wait_alu 0xfffe
	s_mul_u64 s[4:5], s[18:19], s[4:5]
	s_wait_alu 0xfffe
	s_sub_co_u32 s4, s24, s4
	s_cselect_b32 s6, -1, 0
	s_wait_alu 0xfffe
	s_cmp_lg_u32 s6, 0
	s_sub_co_ci_u32 s5, s25, s5
	s_sub_co_u32 s6, s4, s18
	s_cselect_b32 s7, -1, 0
	s_wait_alu 0xfffe
	s_cmp_lg_u32 s7, 0
	s_sub_co_ci_u32 s7, s5, 0
	;; [unrolled: 5-line block ×3, first 2 shown]
	s_cmp_ge_u32 s6, s18
	s_cselect_b32 s10, -1, 0
	s_cmp_eq_u32 s7, 0
	s_wait_alu 0xfffe
	s_cselect_b32 s10, s10, -1
	s_wait_alu 0xfffe
	s_cmp_lg_u32 s10, 0
	s_cselect_b32 s7, s9, s7
	s_cselect_b32 s6, s8, s6
	s_cmp_ge_u32 s4, s18
	s_cselect_b32 s8, -1, 0
	s_cmp_eq_u32 s5, 0
	s_wait_alu 0xfffe
	s_cselect_b32 s8, s8, -1
	s_wait_alu 0xfffe
	s_cmp_lg_u32 s8, 0
	s_cselect_b32 s5, s7, s5
	s_cselect_b32 s4, s6, s4
	s_cbranch_execnz .LBB117_66
.LBB117_65:                             ;   in Loop: Header=BB117_26 Depth=1
	s_wait_alu 0xfffe
	v_cvt_f32_u32_e32 v4, s18
	s_sub_co_i32 s5, 0, s18
	s_delay_alu instid0(VALU_DEP_1) | instskip(NEXT) | instid1(TRANS32_DEP_1)
	v_rcp_iflag_f32_e32 v4, v4
	v_mul_f32_e32 v4, 0x4f7ffffe, v4
	s_delay_alu instid0(VALU_DEP_1) | instskip(NEXT) | instid1(VALU_DEP_1)
	v_cvt_u32_f32_e32 v4, v4
	v_readfirstlane_b32 s4, v4
	s_wait_alu 0xfffe
	s_mul_i32 s5, s5, s4
	s_wait_alu 0xfffe
	s_mul_hi_u32 s5, s4, s5
	s_wait_alu 0xfffe
	s_add_co_i32 s4, s4, s5
	s_wait_alu 0xfffe
	s_mul_hi_u32 s4, s24, s4
	s_wait_alu 0xfffe
	s_mul_i32 s4, s4, s18
	s_wait_alu 0xfffe
	s_sub_co_i32 s4, s24, s4
	s_wait_alu 0xfffe
	s_sub_co_i32 s5, s4, s18
	s_cmp_ge_u32 s4, s18
	s_wait_alu 0xfffe
	s_cselect_b32 s4, s5, s4
	s_wait_alu 0xfffe
	s_sub_co_i32 s5, s4, s18
	s_cmp_ge_u32 s4, s18
	s_wait_alu 0xfffe
	s_cselect_b32 s56, s5, s4
	s_wait_alu 0xfffe
	s_mov_b64 s[4:5], s[56:57]
.LBB117_66:                             ;   in Loop: Header=BB117_26 Depth=1
	v_mov_b32_e32 v8, 0
	v_dual_mov_b32 v12, 0 :: v_dual_mov_b32 v9, 0
	v_dual_mov_b32 v10, 0 :: v_dual_mov_b32 v13, 0
	;; [unrolled: 1-line block ×3, first 2 shown]
	v_mov_b32_e32 v15, 0
	s_wait_alu 0xfffe
	s_sub_nc_u64 s[20:21], s[24:25], s[4:5]
	s_mov_b32 s19, exec_lo
	s_wait_alu 0xfffe
	v_cmpx_gt_u64_e64 s[20:21], v[16:17]
	s_cbranch_execz .LBB117_70
; %bb.67:                               ;   in Loop: Header=BB117_26 Depth=1
	v_dual_mov_b32 v4, v16 :: v_dual_mov_b32 v5, v17
	s_mov_b64 s[22:23], 0
	s_mov_b32 s65, 0
	s_mov_b64 s[66:67], 0
	s_mov_b64 s[68:69], 0
	;; [unrolled: 1-line block ×3, first 2 shown]
.LBB117_68:                             ;   Parent Loop BB117_26 Depth=1
                                        ; =>  This Inner Loop Header: Depth=2
	v_mul_lo_u32 v10, v5, s40
	v_mul_lo_u32 v11, v4, s41
	v_mad_co_u64_u32 v[8:9], null, v4, s40, 0
	s_lshl_b64 s[4:5], s[40:41], 3
	v_dual_mov_b32 v29, v19 :: v_dual_mov_b32 v40, v19
	v_add3_u32 v9, v9, v11, v10
	s_delay_alu instid0(VALU_DEP_1) | instskip(NEXT) | instid1(VALU_DEP_1)
	v_lshlrev_b64_e32 v[8:9], 3, v[8:9]
	v_add_co_u32 v8, vcc_lo, s48, v8
	s_wait_alu 0xfffd
	s_delay_alu instid0(VALU_DEP_2) | instskip(SKIP_1) | instid1(VALU_DEP_2)
	v_add_co_ci_u32_e64 v9, null, s49, v9, vcc_lo
	s_wait_alu 0xfffe
	v_add_co_u32 v10, vcc_lo, v8, s4
	s_wait_alu 0xfffd
	s_delay_alu instid0(VALU_DEP_2)
	v_add_co_ci_u32_e64 v11, null, s5, v9, vcc_lo
	global_load_b64 v[8:9], v[8:9], off
	v_add_co_u32 v12, vcc_lo, v10, s4
	s_wait_alu 0xfffd
	v_add_co_ci_u32_e64 v13, null, s5, v11, vcc_lo
	s_clause 0x1
	global_load_b64 v[10:11], v[10:11], off
	global_load_b64 v[14:15], v[12:13], off
	v_add_co_u32 v12, vcc_lo, v12, s4
	s_wait_alu 0xfffd
	v_add_co_ci_u32_e64 v13, null, s5, v13, vcc_lo
	v_add_co_u32 v4, vcc_lo, v4, s18
	s_wait_alu 0xfffd
	v_add_co_ci_u32_e64 v5, null, 0, v5, vcc_lo
	global_load_b64 v[12:13], v[12:13], off
	v_cmp_le_u64_e32 vcc_lo, s[20:21], v[4:5]
	s_wait_loadcnt 0x3
	v_cmp_o_f64_e64 s4, v[8:9], v[8:9]
	v_ashrrev_i32_e32 v18, 31, v9
	s_delay_alu instid0(VALU_DEP_1)
	v_or_b32_e32 v28, 0x80000000, v18
	s_wait_loadcnt 0x1
	v_cmp_o_f64_e64 s6, v[14:15], v[14:15]
	v_cmp_o_f64_e64 s5, v[10:11], v[10:11]
	v_ashrrev_i32_e32 v39, 31, v15
	v_xor_b32_e32 v18, v18, v8
	v_xor_b32_e32 v28, v28, v9
	v_ashrrev_i32_e32 v30, 31, v11
	s_delay_alu instid0(VALU_DEP_4)
	v_or_b32_e32 v8, 0x80000000, v39
	v_xor_b32_e32 v39, v39, v14
	s_wait_loadcnt 0x0
	v_cmp_o_f64_e64 s7, v[12:13], v[12:13]
	v_or_b32_e32 v41, 0x80000000, v30
	v_xor_b32_e32 v30, v30, v10
	v_xor_b32_e32 v8, v8, v15
	s_delay_alu instid0(VALU_DEP_3) | instskip(SKIP_3) | instid1(VALU_DEP_2)
	v_xor_b32_e32 v41, v41, v11
	s_wait_alu 0xf1ff
	v_cndmask_b32_e64 v9, -1, v28, s4
	v_ashrrev_i32_e32 v28, 31, v13
	v_dual_mov_b32 v31, v19 :: v_dual_and_b32 v14, v9, v25
	s_delay_alu instid0(VALU_DEP_2)
	v_or_b32_e32 v10, 0x80000000, v28
	v_cndmask_b32_e64 v42, -1, v8, s6
	v_cndmask_b32_e64 v8, -1, v18, s4
	;; [unrolled: 1-line block ×3, first 2 shown]
	v_xor_b32_e32 v28, v28, v12
	v_xor_b32_e32 v10, v10, v13
	v_cndmask_b32_e64 v41, -1, v39, s6
	v_and_b32_e32 v13, v8, v24
	v_lshrrev_b64 v[8:9], s81, v[8:9]
	v_and_b32_e32 v44, v11, v25
	v_cndmask_b32_e64 v12, -1, v10, s7
	v_cndmask_b32_e64 v10, -1, v30, s5
	v_cmp_eq_u64_e64 s4, v[13:14], v[22:23]
	v_and_b32_e32 v15, v42, v25
	v_and_b32_e32 v18, 3, v8
	;; [unrolled: 1-line block ×4, first 2 shown]
	v_lshrrev_b64 v[9:10], s81, v[10:11]
	v_cndmask_b32_e64 v11, -1, v28, s7
	v_cmp_eq_u64_e64 s6, 0, v[18:19]
	v_lshrrev_b64 v[41:42], s81, v[41:42]
	v_cmp_eq_u64_e64 s7, 1, v[18:19]
	v_cmp_eq_u64_e64 s8, 2, v[18:19]
	v_and_b32_e32 v28, 3, v9
	v_lshrrev_b64 v[8:9], s81, v[11:12]
	s_and_b32 s6, s4, s6
	v_cmp_eq_u64_e64 s5, v[43:44], v[22:23]
	v_and_b32_e32 v30, 3, v41
	v_cmp_eq_u64_e64 s11, 0, v[28:29]
	v_cmp_eq_u64_e64 s12, 1, v[28:29]
	s_wait_alu 0xfffe
	v_cndmask_b32_e64 v9, 0, 1, s6
	s_and_b32 s6, s4, s7
	v_cmp_eq_u64_e64 s9, 3, v[18:19]
	v_cmp_eq_u64_e64 s13, 2, v[28:29]
	;; [unrolled: 1-line block ×3, first 2 shown]
	s_wait_alu 0xfffe
	v_cndmask_b32_e64 v10, 0, 1, s6
	s_and_b32 s6, s4, s8
	v_and_b32_e32 v45, v12, v25
	v_cmp_eq_u64_e64 s10, v[14:15], v[22:23]
	v_and_b32_e32 v44, v11, v24
	s_wait_alu 0xfffe
	v_cndmask_b32_e64 v11, 0, 1, s6
	v_and_b32_e32 v39, 3, v8
	v_cmp_eq_u64_e64 s6, 0, v[30:31]
	s_and_b32 s11, s5, s11
	s_and_b32 s12, s5, s12
	v_cmp_eq_u64_e64 s7, 1, v[30:31]
	s_and_b32 s4, s4, s9
	v_cmp_ne_u32_e64 s15, 0, v9
	s_wait_alu 0xfffe
	v_cndmask_b32_e64 v8, 0, 1, s11
	v_cndmask_b32_e64 v9, 0, 1, s12
	s_and_b32 s13, s5, s13
	s_and_b32 s5, s5, s14
	v_cmp_eq_u64_e64 s8, 2, v[30:31]
	v_cndmask_b32_e64 v12, 0, 1, s4
	v_cmp_eq_u64_e64 s4, v[44:45], v[22:23]
	v_cmp_eq_u64_e64 s9, 3, v[30:31]
	v_cmp_ne_u32_e64 s11, 0, v10
	v_cmp_ne_u32_e64 s12, 0, v11
	s_wait_alu 0xfffe
	v_cndmask_b32_e64 v10, 0, 1, s13
	v_cndmask_b32_e64 v11, 0, 1, s5
	v_cmp_eq_u64_e64 s5, 0, v[39:40]
	s_and_b32 s6, s10, s6
	v_cmp_eq_u64_e64 s14, 1, v[39:40]
	s_bcnt1_i32_b32 s56, s15
	v_cmp_ne_u32_e64 s15, 0, v8
	s_wait_alu 0xfffe
	v_cndmask_b32_e64 v8, 0, 1, s6
	v_cmp_ne_u32_e64 s6, 0, v9
	s_and_b32 s7, s10, s7
	v_cmp_eq_u64_e64 s16, 2, v[39:40]
	v_cmp_eq_u64_e64 s17, 3, v[39:40]
	s_wait_alu 0xfffe
	v_cndmask_b32_e64 v9, 0, 1, s7
	v_cmp_ne_u32_e64 s7, 0, v10
	s_and_b32 s8, s10, s8
	s_and_b32 s9, s10, s9
	s_and_b32 s5, s4, s5
	s_wait_alu 0xfffe
	v_cndmask_b32_e64 v10, 0, 1, s8
	v_cmp_ne_u32_e64 s13, 0, v12
	v_cmp_ne_u32_e64 s8, 0, v11
	v_cndmask_b32_e64 v11, 0, 1, s9
	s_bcnt1_i32_b32 s10, s15
	v_cmp_ne_u32_e64 s9, 0, v8
	v_cndmask_b32_e64 v8, 0, 1, s5
	s_bcnt1_i32_b32 s15, s6
	s_and_b32 s6, s4, s14
	v_cmp_ne_u32_e64 s5, 0, v9
	s_wait_alu 0xfffe
	v_cndmask_b32_e64 v9, 0, 1, s6
	s_bcnt1_i32_b32 s14, s7
	s_and_b32 s7, s4, s16
	s_and_b32 s4, s4, s17
	v_cmp_ne_u32_e64 s6, 0, v10
	s_wait_alu 0xfffe
	v_cndmask_b32_e64 v10, 0, 1, s7
	s_bcnt1_i32_b32 s13, s13
	s_bcnt1_i32_b32 s8, s8
	v_cmp_ne_u32_e64 s7, 0, v11
	v_cndmask_b32_e64 v11, 0, 1, s4
	v_cmp_ne_u32_e64 s4, 0, v8
	s_bcnt1_i32_b32 s12, s12
	s_wait_alu 0xfffe
	s_add_co_i32 s8, s8, s13
	s_bcnt1_i32_b32 s13, s5
	v_cmp_ne_u32_e64 s5, 0, v9
	s_bcnt1_i32_b32 s11, s11
	s_add_co_i32 s10, s10, s56
	s_bcnt1_i32_b32 s9, s9
	s_add_co_i32 s12, s14, s12
	s_bcnt1_i32_b32 s14, s6
	v_cmp_ne_u32_e64 s6, 0, v10
	s_wait_alu 0xfffe
	s_add_co_i32 s11, s15, s11
	s_add_co_i32 s9, s10, s9
	s_bcnt1_i32_b32 s4, s4
	s_bcnt1_i32_b32 s15, s7
	v_cmp_ne_u32_e64 s7, 0, v11
	s_wait_alu 0xfffe
	s_add_co_i32 s10, s11, s13
	s_bcnt1_i32_b32 s5, s5
	s_add_co_i32 s56, s9, s4
	s_add_co_i32 s11, s12, s14
	s_bcnt1_i32_b32 s6, s6
	s_wait_alu 0xfffe
	s_add_nc_u64 s[70:71], s[70:71], s[56:57]
	s_add_co_i32 s56, s10, s5
	s_add_co_i32 s8, s8, s15
	s_bcnt1_i32_b32 s7, s7
	s_wait_alu 0xfffe
	s_add_nc_u64 s[68:69], s[68:69], s[56:57]
	s_add_co_i32 s56, s11, s6
	v_mov_b32_e32 v8, s70
	s_wait_alu 0xfffe
	s_add_nc_u64 s[66:67], s[66:67], s[56:57]
	s_add_co_i32 s56, s8, s7
	v_mov_b32_e32 v10, s68
	s_wait_alu 0xfffe
	s_add_nc_u64 s[22:23], s[22:23], s[56:57]
	v_mov_b32_e32 v12, s66
	s_wait_alu 0xfffe
	v_dual_mov_b32 v14, s22 :: v_dual_mov_b32 v9, s71
	v_mov_b32_e32 v11, s69
	v_mov_b32_e32 v13, s67
	;; [unrolled: 1-line block ×3, first 2 shown]
	s_or_b32 s65, vcc_lo, s65
	s_delay_alu instid0(SALU_CYCLE_1)
	s_and_not1_b32 exec_lo, exec_lo, s65
	s_cbranch_execnz .LBB117_68
; %bb.69:                               ;   in Loop: Header=BB117_26 Depth=1
	s_or_b32 exec_lo, exec_lo, s65
.LBB117_70:                             ;   in Loop: Header=BB117_26 Depth=1
	s_wait_alu 0xfffe
	s_or_b32 exec_lo, exec_lo, s19
	v_add_co_u32 v4, s4, s20, v0
	v_and_b32_e32 v2, 0xffff, v2
	s_wait_alu 0xf1ff
	v_add_co_ci_u32_e64 v5, null, s21, 0, s4
	s_mov_b32 s8, exec_lo
	v_cmpx_gt_u64_e64 s[24:25], v[4:5]
	s_cbranch_execz .LBB117_76
; %bb.71:                               ;   in Loop: Header=BB117_26 Depth=1
	v_mul_lo_u32 v18, v5, s40
	v_mul_lo_u32 v30, v4, s41
	v_mad_co_u64_u32 v[28:29], null, v4, s40, 0
	s_mov_b32 s9, 0
	v_add3_u32 v29, v29, v30, v18
	s_delay_alu instid0(VALU_DEP_1) | instskip(NEXT) | instid1(VALU_DEP_1)
	v_lshlrev_b64_e32 v[28:29], 3, v[28:29]
	v_add_co_u32 v28, vcc_lo, s48, v28
	s_wait_alu 0xfffd
	s_delay_alu instid0(VALU_DEP_2)
	v_add_co_ci_u32_e64 v29, null, s49, v29, vcc_lo
	global_load_b64 v[30:31], v[28:29], off
	s_branch .LBB117_73
.LBB117_72:                             ;   in Loop: Header=BB117_73 Depth=2
	s_wait_alu 0xfffe
	s_or_b32 exec_lo, exec_lo, s5
	s_wait_loadcnt 0x0
	v_cmp_o_f64_e64 s4, v[30:31], v[30:31]
	v_ashrrev_i32_e32 v18, 31, v31
	s_and_b32 s6, exec_lo, vcc_lo
	s_wait_alu 0xfffe
	s_or_b32 s9, s6, s9
	s_delay_alu instid0(VALU_DEP_1) | instskip(SKIP_1) | instid1(VALU_DEP_2)
	v_or_b32_e32 v39, 0x80000000, v18
	v_xor_b32_e32 v18, v18, v30
	v_xor_b32_e32 v39, v39, v31
	s_delay_alu instid0(VALU_DEP_1) | instskip(NEXT) | instid1(VALU_DEP_3)
	v_cndmask_b32_e64 v31, -1, v39, s4
	v_cndmask_b32_e64 v30, -1, v18, s4
	s_delay_alu instid0(VALU_DEP_1) | instskip(SKIP_2) | instid1(VALU_DEP_3)
	v_lshrrev_b64 v[39:40], s81, v[30:31]
	v_and_b32_e32 v31, v31, v25
	v_and_b32_e32 v30, v30, v24
	;; [unrolled: 1-line block ×3, first 2 shown]
	s_delay_alu instid0(VALU_DEP_2) | instskip(NEXT) | instid1(VALU_DEP_2)
	v_cmp_eq_u64_e64 s4, v[30:31], v[22:23]
	v_cmp_eq_u64_e64 s5, 0, v[18:19]
	v_cmp_eq_u64_e32 vcc_lo, 1, v[18:19]
	v_cmp_eq_u64_e64 s6, 2, v[18:19]
	v_cmp_eq_u64_e64 s7, 3, v[18:19]
	s_and_b32 s5, s4, s5
	s_wait_alu 0xfffe
	v_cndmask_b32_e64 v18, 0, 1, s5
	s_and_b32 s5, s4, vcc_lo
	s_wait_alu 0xfffe
	v_cndmask_b32_e64 v30, 0, 1, s5
	s_and_b32 s5, s4, s6
	s_and_b32 s4, s4, s7
	s_wait_alu 0xfffe
	v_cndmask_b32_e64 v31, 0, 1, s5
	v_cmp_ne_u32_e32 vcc_lo, 0, v18
	v_cndmask_b32_e64 v39, 0, 1, s4
	v_cmp_ne_u32_e64 s4, 0, v30
	s_delay_alu instid0(VALU_DEP_4)
	v_cmp_ne_u32_e64 s5, 0, v31
	s_bcnt1_i32_b32 s7, vcc_lo
	v_cmp_ne_u32_e64 s6, 0, v39
	s_bcnt1_i32_b32 s4, s4
	s_wait_alu 0xfffe
	v_add_co_u32 v8, vcc_lo, v8, s7
	s_bcnt1_i32_b32 s5, s5
	s_wait_alu 0xfffd
	v_add_co_ci_u32_e64 v9, null, 0, v9, vcc_lo
	v_add_co_u32 v10, vcc_lo, v10, s4
	s_bcnt1_i32_b32 s6, s6
	s_wait_alu 0xfffd
	v_add_co_ci_u32_e64 v11, null, 0, v11, vcc_lo
	s_wait_alu 0xfffe
	v_add_co_u32 v12, vcc_lo, v12, s5
	s_wait_alu 0xfffd
	v_add_co_ci_u32_e64 v13, null, 0, v13, vcc_lo
	v_add_co_u32 v14, vcc_lo, v14, s6
	v_mov_b32_e32 v31, v29
	s_wait_alu 0xfffd
	v_add_co_ci_u32_e64 v15, null, 0, v15, vcc_lo
	v_mov_b32_e32 v30, v28
	s_and_not1_b32 exec_lo, exec_lo, s9
	s_cbranch_execz .LBB117_75
.LBB117_73:                             ;   Parent Loop BB117_26 Depth=1
                                        ; =>  This Inner Loop Header: Depth=2
	v_add_co_u32 v4, vcc_lo, v4, v2
	v_mov_b32_e32 v28, 0
	s_wait_alu 0xfffd
	v_add_co_ci_u32_e64 v5, null, 0, v5, vcc_lo
	v_mov_b32_e32 v29, 0
	s_mov_b32 s5, exec_lo
	s_delay_alu instid0(VALU_DEP_2)
	v_cmp_le_u64_e32 vcc_lo, s[24:25], v[4:5]
	v_cmpx_gt_u64_e64 s[24:25], v[4:5]
	s_cbranch_execz .LBB117_72
; %bb.74:                               ;   in Loop: Header=BB117_73 Depth=2
	v_mul_lo_u32 v18, v5, s40
	v_mul_lo_u32 v39, v4, s41
	v_mad_co_u64_u32 v[28:29], null, v4, s40, 0
	s_delay_alu instid0(VALU_DEP_1) | instskip(NEXT) | instid1(VALU_DEP_1)
	v_add3_u32 v29, v29, v39, v18
	v_lshlrev_b64_e32 v[28:29], 3, v[28:29]
	s_delay_alu instid0(VALU_DEP_1) | instskip(SKIP_1) | instid1(VALU_DEP_2)
	v_add_co_u32 v28, s4, s48, v28
	s_wait_alu 0xf1ff
	v_add_co_ci_u32_e64 v29, null, s49, v29, s4
	global_load_b64 v[28:29], v[28:29], off
	s_branch .LBB117_72
.LBB117_75:                             ;   in Loop: Header=BB117_26 Depth=1
	s_or_b32 exec_lo, exec_lo, s9
.LBB117_76:                             ;   in Loop: Header=BB117_26 Depth=1
	s_wait_alu 0xfffe
	s_or_b32 exec_lo, exec_lo, s8
	s_branch .LBB117_55
.LBB117_77:                             ;   in Loop: Header=BB117_26 Depth=1
	global_load_u16 v2, v19, s[62:63]
	v_mov_b32_e32 v8, 0
	v_mov_b32_e32 v10, 0
	;; [unrolled: 1-line block ×3, first 2 shown]
	v_dual_mov_b32 v14, 0 :: v_dual_mov_b32 v11, 0
	v_mov_b32_e32 v13, 0
	v_mov_b32_e32 v15, 0
	s_mov_b32 s93, exec_lo
	v_mov_b32_e32 v9, 0
	s_wait_loadcnt 0x0
	v_readfirstlane_b32 s4, v2
	v_and_b32_e32 v2, 0xffff, v2
	s_and_b32 s65, 0xffff, s4
	s_delay_alu instid0(SALU_CYCLE_1) | instskip(SKIP_4) | instid1(SALU_CYCLE_1)
	s_lshl_b32 s92, s65, 2
	s_wait_alu 0xfffe
	s_cvt_f32_u32 s4, s92
	s_sub_co_i32 s5, 0, s92
	s_wait_alu 0xfffe
	v_rcp_iflag_f32_e32 v4, s4
	s_delay_alu instid0(TRANS32_DEP_1) | instskip(SKIP_2) | instid1(SALU_CYCLE_2)
	v_readfirstlane_b32 s4, v4
	s_mul_f32 s4, s4, 0x4f7ffffe
	s_wait_alu 0xfffe
	s_cvt_u32_f32 s4, s4
	s_wait_alu 0xfffe
	s_delay_alu instid0(SALU_CYCLE_2)
	s_mul_i32 s5, s5, s4
	s_wait_alu 0xfffe
	s_mul_hi_u32 s5, s4, s5
	s_wait_alu 0xfffe
	s_add_co_i32 s4, s4, s5
	s_wait_alu 0xfffe
	s_mul_hi_u32 s4, s64, s4
	s_wait_alu 0xfffe
	s_mul_i32 s5, s4, s92
	s_add_co_i32 s6, s4, 1
	s_wait_alu 0xfffe
	s_sub_co_i32 s5, s64, s5
	s_wait_alu 0xfffe
	s_sub_co_i32 s7, s5, s92
	s_cmp_ge_u32 s5, s92
	s_cselect_b32 s4, s6, s4
	s_wait_alu 0xfffe
	s_cselect_b32 s5, s7, s5
	s_add_co_i32 s6, s4, 1
	s_wait_alu 0xfffe
	s_cmp_ge_u32 s5, s92
	s_cselect_b32 s91, s6, s4
	s_wait_alu 0xfffe
	v_mul_hi_u32 v5, s91, v2
	v_mul_lo_u32 v4, s91, v2
	s_delay_alu instid0(VALU_DEP_1) | instskip(NEXT) | instid1(VALU_DEP_1)
	v_lshlrev_b64_e32 v[4:5], 2, v[4:5]
	v_cmpx_gt_u64_e64 v[4:5], v[16:17]
	s_cbranch_execz .LBB117_81
; %bb.78:                               ;   in Loop: Header=BB117_26 Depth=1
	v_dual_mov_b32 v30, v37 :: v_dual_mov_b32 v29, v17
	v_mov_b32_e32 v28, v16
	s_lshl_b32 s94, s65, 5
	s_mov_b64 s[66:67], 0
	s_mov_b32 s95, 0
	s_mov_b64 s[68:69], 0
	s_mov_b64 s[70:71], 0
	;; [unrolled: 1-line block ×3, first 2 shown]
.LBB117_79:                             ;   Parent Loop BB117_26 Depth=1
                                        ; =>  This Inner Loop Header: Depth=2
	ds_load_b128 v[8:11], v30
	ds_load_b128 v[12:15], v30 offset:16
	v_add_co_u32 v28, vcc_lo, v28, s92
	s_wait_alu 0xfffd
	v_add_co_ci_u32_e64 v29, null, 0, v29, vcc_lo
	s_delay_alu instid0(VALU_DEP_1)
	v_cmp_ge_u64_e32 vcc_lo, v[28:29], v[4:5]
	s_wait_dscnt 0x1
	v_cmp_o_f64_e64 s4, v[8:9], v[8:9]
	v_cmp_o_f64_e64 s5, v[10:11], v[10:11]
	s_wait_dscnt 0x0
	v_cmp_o_f64_e64 s6, v[12:13], v[12:13]
	v_cmp_o_f64_e64 s7, v[14:15], v[14:15]
	v_ashrrev_i32_e32 v18, 31, v9
	v_ashrrev_i32_e32 v31, 31, v11
	;; [unrolled: 1-line block ×4, first 2 shown]
	s_delay_alu instid0(VALU_DEP_4) | instskip(NEXT) | instid1(VALU_DEP_4)
	v_or_b32_e32 v43, 0x80000000, v18
	v_or_b32_e32 v45, 0x80000000, v31
	s_delay_alu instid0(VALU_DEP_4) | instskip(NEXT) | instid1(VALU_DEP_4)
	v_or_b32_e32 v46, 0x80000000, v39
	v_or_b32_e32 v47, 0x80000000, v41
	v_xor_b32_e32 v18, v18, v8
	v_xor_b32_e32 v43, v43, v9
	;; [unrolled: 1-line block ×8, first 2 shown]
	s_wait_alu 0xf1ff
	v_cndmask_b32_e64 v9, -1, v43, s4
	v_cndmask_b32_e64 v11, -1, v8, s5
	;; [unrolled: 1-line block ×7, first 2 shown]
	v_dual_mov_b32 v40, v19 :: v_dual_and_b32 v45, v8, v24
	v_and_b32_e32 v46, v9, v25
	v_lshrrev_b64 v[8:9], s81, v[8:9]
	v_cndmask_b32_e64 v14, -1, v41, s7
	v_dual_mov_b32 v42, v19 :: v_dual_and_b32 v47, v10, v24
	v_lshrrev_b64 v[9:10], s81, v[10:11]
	v_and_b32_e32 v48, v11, v25
	v_lshrrev_b64 v[10:11], s81, v[12:13]
	v_dual_mov_b32 v44, v19 :: v_dual_and_b32 v49, v12, v24
	v_lshrrev_b64 v[11:12], s81, v[14:15]
	v_and_b32_e32 v18, 3, v8
	v_and_b32_e32 v39, 3, v9
	v_and_b32_e32 v50, v13, v25
	v_and_b32_e32 v41, 3, v10
	v_cmp_eq_u64_e64 s4, v[45:46], v[22:23]
	v_cmp_eq_u64_e64 s8, 0, v[18:19]
	v_and_b32_e32 v52, v15, v25
	v_and_b32_e32 v51, v14, v24
	;; [unrolled: 1-line block ×3, first 2 shown]
	v_cmp_eq_u64_e64 s5, v[47:48], v[22:23]
	v_cmp_eq_u64_e64 s9, 0, v[39:40]
	;; [unrolled: 1-line block ×6, first 2 shown]
	s_and_b32 s8, s4, s8
	v_cmp_eq_u64_e64 s12, 1, v[18:19]
	s_wait_alu 0xfffe
	v_cndmask_b32_e64 v8, 0, 1, s8
	s_and_b32 s8, s5, s9
	v_cmp_eq_u64_e64 s13, 1, v[39:40]
	s_wait_alu 0xfffe
	v_cndmask_b32_e64 v9, 0, 1, s8
	;; [unrolled: 4-line block ×4, first 2 shown]
	s_and_b32 s8, s4, s12
	v_cmp_eq_u64_e64 s16, 2, v[18:19]
	v_cmp_eq_u64_e64 s20, 3, v[18:19]
	s_wait_alu 0xfffe
	v_cndmask_b32_e64 v12, 0, 1, s8
	s_and_b32 s8, s5, s13
	v_cmp_eq_u64_e64 s21, 3, v[39:40]
	s_wait_alu 0xfffe
	v_cndmask_b32_e64 v13, 0, 1, s8
	s_and_b32 s8, s6, s14
	v_cmp_eq_u64_e64 s17, 2, v[39:40]
	v_cmp_eq_u64_e64 s22, 3, v[41:42]
	s_wait_alu 0xfffe
	v_cndmask_b32_e64 v14, 0, 1, s8
	s_and_b32 s8, s7, s15
	v_cmp_eq_u64_e64 s18, 2, v[41:42]
	v_cmp_eq_u64_e64 s23, 3, v[43:44]
	s_wait_alu 0xfffe
	v_cndmask_b32_e64 v15, 0, 1, s8
	s_and_b32 s8, s4, s16
	s_and_b32 s4, s4, s20
	v_cmp_eq_u64_e64 s19, 2, v[43:44]
	s_wait_alu 0xfffe
	v_cndmask_b32_e64 v41, 0, 1, s4
	s_and_b32 s4, s5, s21
	v_cndmask_b32_e64 v18, 0, 1, s8
	s_and_b32 s8, s5, s17
	s_wait_alu 0xfffe
	v_cndmask_b32_e64 v42, 0, 1, s4
	s_and_b32 s4, s6, s22
	v_cndmask_b32_e64 v31, 0, 1, s8
	s_and_b32 s8, s6, s18
	;; [unrolled: 5-line block ×3, first 2 shown]
	s_wait_alu 0xfffe
	v_cndmask_b32_e64 v44, 0, 1, s4
	v_cmp_ne_u32_e64 s4, 0, v8
	v_cmp_ne_u32_e64 s5, 0, v9
	v_cndmask_b32_e64 v40, 0, 1, s8
	v_cmp_ne_u32_e64 s6, 0, v10
	v_cmp_ne_u32_e64 s8, 0, v12
	;; [unrolled: 1-line block ×7, first 2 shown]
	s_bcnt1_i32_b32 s4, s4
	s_bcnt1_i32_b32 s5, s5
	v_cmp_ne_u32_e64 s11, 0, v15
	v_cmp_ne_u32_e64 s14, 0, v39
	;; [unrolled: 1-line block ×4, first 2 shown]
	s_bcnt1_i32_b32 s6, s6
	s_bcnt1_i32_b32 s8, s8
	;; [unrolled: 1-line block ×3, first 2 shown]
	s_wait_alu 0xfffe
	s_add_co_i32 s4, s5, s4
	v_cmp_ne_u32_e64 s15, 0, v40
	v_cmp_ne_u32_e64 s18, 0, v43
	s_bcnt1_i32_b32 s7, s7
	s_bcnt1_i32_b32 s10, s10
	;; [unrolled: 1-line block ×4, first 2 shown]
	s_add_co_i32 s5, s9, s8
	s_wait_alu 0xfffe
	s_add_co_i32 s4, s4, s6
	v_cmp_ne_u32_e64 s19, 0, v44
	s_bcnt1_i32_b32 s11, s11
	s_bcnt1_i32_b32 s14, s14
	;; [unrolled: 1-line block ×4, first 2 shown]
	s_add_co_i32 s8, s13, s12
	s_add_co_i32 s5, s5, s10
	s_wait_alu 0xfffe
	s_add_co_i32 s56, s4, s7
	s_bcnt1_i32_b32 s15, s15
	s_bcnt1_i32_b32 s18, s18
	s_add_co_i32 s9, s17, s16
	s_add_co_i32 s6, s8, s14
	s_wait_alu 0xfffe
	s_add_nc_u64 s[72:73], s[72:73], s[56:57]
	s_add_co_i32 s56, s5, s11
	s_bcnt1_i32_b32 s19, s19
	s_add_co_i32 s8, s9, s18
	s_wait_alu 0xfffe
	s_add_nc_u64 s[70:71], s[70:71], s[56:57]
	s_add_co_i32 s56, s6, s15
	v_mov_b32_e32 v8, s72
	s_wait_alu 0xfffe
	s_add_nc_u64 s[68:69], s[68:69], s[56:57]
	s_add_co_i32 s56, s8, s19
	v_mov_b32_e32 v10, s70
	s_wait_alu 0xfffe
	s_add_nc_u64 s[66:67], s[66:67], s[56:57]
	v_mov_b32_e32 v12, s68
	s_wait_alu 0xfffe
	v_mov_b32_e32 v14, s66
	v_dual_mov_b32 v9, s73 :: v_dual_add_nc_u32 v30, s94, v30
	v_mov_b32_e32 v11, s71
	v_mov_b32_e32 v13, s69
	;; [unrolled: 1-line block ×3, first 2 shown]
	s_or_b32 s95, vcc_lo, s95
	s_wait_alu 0xfffe
	s_and_not1_b32 exec_lo, exec_lo, s95
	s_cbranch_execnz .LBB117_79
; %bb.80:                               ;   in Loop: Header=BB117_26 Depth=1
	s_or_b32 exec_lo, exec_lo, s95
.LBB117_81:                             ;   in Loop: Header=BB117_26 Depth=1
	s_delay_alu instid0(SALU_CYCLE_1)
	s_or_b32 exec_lo, exec_lo, s93
	v_add_co_u32 v4, vcc_lo, v4, v0
	s_wait_alu 0xfffd
	v_add_co_ci_u32_e64 v5, null, 0, v5, vcc_lo
	s_and_b32 s56, s64, 0x7fffffff
	s_mov_b32 s9, exec_lo
	s_wait_alu 0xfffe
	v_cmpx_gt_u64_e64 s[56:57], v[4:5]
	s_cbranch_execz .LBB117_85
; %bb.82:                               ;   in Loop: Header=BB117_26 Depth=1
	s_mul_i32 s91, s91, s65
	s_lshl_b32 s11, s65, 3
	s_wait_alu 0xfffe
	v_lshl_add_u32 v28, s91, 5, v33
	s_mov_b32 s10, 0
.LBB117_83:                             ;   Parent Loop BB117_26 Depth=1
                                        ; =>  This Inner Loop Header: Depth=2
	ds_load_b64 v[29:30], v28
	v_add_co_u32 v4, s4, v4, v2
	s_wait_alu 0xf1ff
	v_add_co_ci_u32_e64 v5, null, 0, v5, s4
	s_delay_alu instid0(VALU_DEP_1) | instskip(SKIP_3) | instid1(VALU_DEP_1)
	v_cmp_le_u64_e64 s4, s[56:57], v[4:5]
	s_wait_dscnt 0x0
	v_cmp_o_f64_e32 vcc_lo, v[29:30], v[29:30]
	v_ashrrev_i32_e32 v18, 31, v30
	v_or_b32_e32 v31, 0x80000000, v18
	v_xor_b32_e32 v18, v18, v29
	v_add_nc_u32_e32 v28, s11, v28
	s_delay_alu instid0(VALU_DEP_3) | instskip(SKIP_1) | instid1(VALU_DEP_1)
	v_xor_b32_e32 v31, v31, v30
	s_wait_alu 0xfffd
	v_dual_cndmask_b32 v29, -1, v18 :: v_dual_cndmask_b32 v30, -1, v31
	s_delay_alu instid0(VALU_DEP_1) | instskip(NEXT) | instid1(VALU_DEP_2)
	v_and_b32_e32 v39, v29, v24
	v_and_b32_e32 v40, v30, v25
	v_lshrrev_b64 v[29:30], s81, v[29:30]
	s_delay_alu instid0(VALU_DEP_2) | instskip(NEXT) | instid1(VALU_DEP_2)
	v_cmp_eq_u64_e32 vcc_lo, v[39:40], v[22:23]
	v_and_b32_e32 v18, 3, v29
	s_delay_alu instid0(VALU_DEP_1)
	v_cmp_eq_u64_e64 s5, 0, v[18:19]
	v_cmp_eq_u64_e64 s6, 1, v[18:19]
	;; [unrolled: 1-line block ×4, first 2 shown]
	s_and_b32 s5, vcc_lo, s5
	s_wait_alu 0xfffe
	v_cndmask_b32_e64 v18, 0, 1, s5
	s_and_b32 s5, vcc_lo, s6
	s_wait_alu 0xfffe
	v_cndmask_b32_e64 v29, 0, 1, s5
	;; [unrolled: 3-line block ×3, first 2 shown]
	s_and_b32 s5, vcc_lo, s8
	v_cmp_ne_u32_e32 vcc_lo, 0, v18
	s_wait_alu 0xfffe
	v_cndmask_b32_e64 v31, 0, 1, s5
	v_cmp_ne_u32_e64 s5, 0, v29
	v_cmp_ne_u32_e64 s6, 0, v30
	s_bcnt1_i32_b32 s8, vcc_lo
	v_cmp_ne_u32_e64 s7, 0, v31
	s_bcnt1_i32_b32 s5, s5
	s_wait_alu 0xfffe
	v_add_co_u32 v8, vcc_lo, v8, s8
	s_bcnt1_i32_b32 s6, s6
	s_wait_alu 0xfffd
	v_add_co_ci_u32_e64 v9, null, 0, v9, vcc_lo
	v_add_co_u32 v10, vcc_lo, v10, s5
	s_bcnt1_i32_b32 s7, s7
	s_wait_alu 0xfffd
	v_add_co_ci_u32_e64 v11, null, 0, v11, vcc_lo
	s_wait_alu 0xfffe
	v_add_co_u32 v12, vcc_lo, v12, s6
	s_wait_alu 0xfffd
	v_add_co_ci_u32_e64 v13, null, 0, v13, vcc_lo
	v_add_co_u32 v14, vcc_lo, v14, s7
	s_wait_alu 0xfffd
	v_add_co_ci_u32_e64 v15, null, 0, v15, vcc_lo
	s_or_b32 s10, s4, s10
	s_wait_alu 0xfffe
	s_and_not1_b32 exec_lo, exec_lo, s10
	s_cbranch_execnz .LBB117_83
; %bb.84:                               ;   in Loop: Header=BB117_26 Depth=1
	s_or_b32 exec_lo, exec_lo, s10
.LBB117_85:                             ;   in Loop: Header=BB117_26 Depth=1
	s_wait_alu 0xfffe
	s_or_b32 exec_lo, exec_lo, s9
	s_lshl_b32 s4, s84, 7
	s_and_saveexec_b32 s5, s1
	s_cbranch_execnz .LBB117_56
	s_branch .LBB117_57
.LBB117_86:                             ;   in Loop: Header=BB117_26 Depth=1
                                        ; implicit-def: $sgpr4_sgpr5
	s_branch .LBB117_65
.LBB117_87:                             ;   in Loop: Header=BB117_26 Depth=1
	s_mov_b32 s6, 0
	s_and_not1_b32 vcc_lo, exec_lo, s79
	s_wait_alu 0xfffe
	s_cbranch_vccnz .LBB117_90
.LBB117_88:                             ;   in Loop: Header=BB117_26 Depth=1
	s_lshl_b32 s7, s84, 10
	s_lshl_b32 s6, s6, 5
	s_wait_alu 0xfffe
	v_add3_u32 v2, s7, s6, v38
	s_mov_b32 s6, s76
.LBB117_89:                             ;   Parent Loop BB117_26 Depth=1
                                        ; =>  This Inner Loop Header: Depth=2
	ds_load_b64 v[8:9], v2
	v_add_nc_u32_e32 v2, 32, v2
	s_wait_alu 0xfffe
	s_add_co_i32 s6, s6, -1
	s_wait_alu 0xfffe
	s_cmp_lg_u32 s6, 0
	s_wait_dscnt 0x0
	v_add_co_u32 v4, vcc_lo, v8, v4
	s_wait_alu 0xfffd
	v_add_co_ci_u32_e64 v5, null, v9, v5, vcc_lo
	s_cbranch_scc1 .LBB117_89
.LBB117_90:                             ;   in Loop: Header=BB117_26 Depth=1
	v_add_lshl_u32 v2, s4, v32, 3
	ds_store_b64 v2, v[4:5] offset:3072
.LBB117_91:                             ;   in Loop: Header=BB117_26 Depth=1
	s_wait_alu 0xfffe
	s_or_b32 exec_lo, exec_lo, s5
	s_lshl_b32 s4, s4, 3
	s_wait_loadcnt_dscnt 0x0
	s_wait_alu 0xfffe
	v_mov_b32_e32 v2, s4
	s_barrier_signal -1
	s_barrier_wait -1
	global_inv scope:SCOPE_SE
	v_cmp_eq_u64_e32 vcc_lo, 1, v[26:27]
	ds_load_b128 v[8:11], v2 offset:3072
	ds_load_b128 v[12:15], v2 offset:3088
	s_lshl_b64 s[8:9], 3, s81
	s_mov_b32 s19, -1
	s_wait_alu 0xfffe
	s_not_b64 s[12:13], s[8:9]
                                        ; implicit-def: $sgpr22
                                        ; implicit-def: $sgpr21
	s_wait_dscnt 0x1
	v_cmp_eq_u64_e64 s4, 1, v[8:9]
	s_wait_dscnt 0x0
	v_readfirstlane_b32 s10, v12
	v_readfirstlane_b32 s11, v13
	;; [unrolled: 1-line block ×4, first 2 shown]
	s_and_b32 s20, s4, vcc_lo
	s_mov_b32 s4, -1
	s_wait_alu 0xfffe
	s_and_saveexec_b32 s18, s20
	s_cbranch_execz .LBB117_125
; %bb.92:                               ;   in Loop: Header=BB117_26 Depth=1
	ds_load_b64 v[4:5], v19 offset:5120
	s_wait_loadcnt_dscnt 0x0
	s_barrier_signal -1
	s_barrier_wait -1
	global_inv scope:SCOPE_SE
	v_readfirstlane_b32 s4, v4
	v_readfirstlane_b32 s5, v5
	s_and_saveexec_b32 s14, s0
; %bb.93:                               ;   in Loop: Header=BB117_26 Depth=1
	v_mov_b32_e32 v18, v19
	ds_store_b64 v34, v[18:19]
; %bb.94:                               ;   in Loop: Header=BB117_26 Depth=1
	s_wait_alu 0xfffe
	s_or_b32 exec_lo, exec_lo, s14
	v_and_b32_e32 v23, s13, v23
	v_and_b32_e32 v22, s12, v22
	v_or_b32_e32 v25, s9, v25
	v_or_b32_e32 v24, s8, v24
	s_mov_b32 s21, -1
	s_mov_b32 s22, 0
	s_cmp_eq_u64 s[4:5], 0
	s_mov_b32 s16, 0
	s_mov_b32 s17, -1
	s_wait_loadcnt_dscnt 0x0
	s_barrier_signal -1
	s_barrier_wait -1
	global_inv scope:SCOPE_SE
                                        ; implicit-def: $vgpr6_vgpr7
	s_cbranch_scc1 .LBB117_109
; %bb.95:                               ;   in Loop: Header=BB117_26 Depth=1
	s_add_nc_u64 s[14:15], s[4:5], s[58:59]
	s_mov_b32 s16, s57
	s_wait_alu 0xfffe
	s_mov_b32 s17, s15
	s_wait_alu 0xfffe
	s_cmp_lg_u64 s[16:17], 0
	s_cbranch_scc0 .LBB117_152
; %bb.96:                               ;   in Loop: Header=BB117_26 Depth=1
	s_cvt_f32_u32 s16, s54
	s_sub_nc_u64 s[64:65], 0, s[54:55]
	s_wait_alu 0xfffe
	s_delay_alu instid0(SALU_CYCLE_1) | instskip(SKIP_1) | instid1(SALU_CYCLE_2)
	s_fmamk_f32 s16, s83, 0x0, s16
	s_wait_alu 0xfffe
	v_s_rcp_f32 s16, s16
	s_delay_alu instid0(TRANS32_DEP_1) | instskip(SKIP_1) | instid1(SALU_CYCLE_2)
	s_mul_f32 s16, s16, 0x5f7ffffc
	s_wait_alu 0xfffe
	s_mul_f32 s17, s16, 0x2f800000
	s_wait_alu 0xfffe
	s_delay_alu instid0(SALU_CYCLE_2) | instskip(SKIP_1) | instid1(SALU_CYCLE_2)
	s_trunc_f32 s17, s17
	s_wait_alu 0xfffe
	s_fmamk_f32 s16, s17, 0xcf800000, s16
	s_cvt_u32_f32 s17, s17
	s_wait_alu 0xfffe
	s_delay_alu instid0(SALU_CYCLE_1) | instskip(SKIP_1) | instid1(SALU_CYCLE_2)
	s_cvt_u32_f32 s16, s16
	s_wait_alu 0xfffe
	s_mul_u64 s[66:67], s[64:65], s[16:17]
	s_wait_alu 0xfffe
	s_mul_hi_u32 s69, s16, s67
	s_mul_i32 s68, s16, s67
	s_mul_hi_u32 s56, s16, s66
	s_mul_i32 s70, s17, s66
	s_wait_alu 0xfffe
	s_add_nc_u64 s[68:69], s[56:57], s[68:69]
	s_mul_hi_u32 s23, s17, s66
	s_mul_hi_u32 s71, s17, s67
	s_wait_alu 0xfffe
	s_add_co_u32 s56, s68, s70
	s_add_co_ci_u32 s56, s69, s23
	s_mul_i32 s66, s17, s67
	s_add_co_ci_u32 s67, s71, 0
	s_wait_alu 0xfffe
	s_add_nc_u64 s[66:67], s[56:57], s[66:67]
	s_wait_alu 0xfffe
	s_add_co_u32 s16, s16, s66
	s_cselect_b32 s23, -1, 0
	s_wait_alu 0xfffe
	s_cmp_lg_u32 s23, 0
	s_add_co_ci_u32 s17, s17, s67
	s_wait_alu 0xfffe
	s_mul_u64 s[64:65], s[64:65], s[16:17]
	s_delay_alu instid0(SALU_CYCLE_1)
	s_mul_hi_u32 s67, s16, s65
	s_mul_i32 s66, s16, s65
	s_mul_hi_u32 s56, s16, s64
	s_mul_i32 s68, s17, s64
	s_wait_alu 0xfffe
	s_add_nc_u64 s[66:67], s[56:57], s[66:67]
	s_mul_hi_u32 s23, s17, s64
	s_mul_hi_u32 s69, s17, s65
	s_wait_alu 0xfffe
	s_add_co_u32 s56, s66, s68
	s_add_co_ci_u32 s56, s67, s23
	s_mul_i32 s64, s17, s65
	s_add_co_ci_u32 s65, s69, 0
	s_wait_alu 0xfffe
	s_add_nc_u64 s[64:65], s[56:57], s[64:65]
	s_delay_alu instid0(SALU_CYCLE_1)
	s_add_co_u32 s16, s16, s64
	s_cselect_b32 s23, -1, 0
	s_wait_alu 0xfffe
	s_mul_hi_u32 s56, s14, s16
	s_cmp_lg_u32 s23, 0
	s_mul_hi_u32 s23, s15, s16
	s_add_co_ci_u32 s64, s17, s65
	s_mul_i32 s65, s15, s16
	s_mul_hi_u32 s17, s14, s64
	s_mul_i32 s16, s14, s64
	s_mul_hi_u32 s66, s15, s64
	s_wait_alu 0xfffe
	s_add_nc_u64 s[16:17], s[56:57], s[16:17]
	s_mul_i32 s64, s15, s64
	s_wait_alu 0xfffe
	s_add_co_u32 s16, s16, s65
	s_add_co_ci_u32 s56, s17, s23
	s_add_co_ci_u32 s65, s66, 0
	s_wait_alu 0xfffe
	s_add_nc_u64 s[16:17], s[56:57], s[64:65]
	s_wait_alu 0xfffe
	s_mul_u64 s[16:17], s[54:55], s[16:17]
	s_wait_alu 0xfffe
	s_sub_co_u32 s16, s14, s16
	s_cselect_b32 s23, -1, 0
	s_wait_alu 0xfffe
	s_cmp_lg_u32 s23, 0
	s_sub_co_ci_u32 s17, s15, s17
	s_sub_co_u32 s23, s16, s54
	s_cselect_b32 s56, -1, 0
	s_wait_alu 0xfffe
	s_cmp_lg_u32 s56, 0
	s_sub_co_ci_u32 s56, s17, 0
	s_sub_co_u32 s64, s23, s54
	s_cselect_b32 s65, -1, 0
	s_delay_alu instid0(SALU_CYCLE_1)
	s_cmp_lg_u32 s65, 0
	s_wait_alu 0xfffe
	s_sub_co_ci_u32 s65, s56, 0
	s_cmp_ge_u32 s23, s54
	s_cselect_b32 s66, -1, 0
	s_cmp_eq_u32 s56, 0
	s_wait_alu 0xfffe
	s_cselect_b32 s66, s66, -1
	s_wait_alu 0xfffe
	s_cmp_lg_u32 s66, 0
	s_cselect_b32 s56, s65, s56
	s_cselect_b32 s23, s64, s23
	s_cmp_ge_u32 s16, s54
	s_cselect_b32 s64, -1, 0
	s_cmp_eq_u32 s17, 0
	s_cselect_b32 s64, s64, -1
	s_delay_alu instid0(SALU_CYCLE_1)
	s_cmp_lg_u32 s64, 0
	s_wait_alu 0xfffe
	s_cselect_b32 s17, s56, s17
	s_cselect_b32 s16, s23, s16
	s_cbranch_execnz .LBB117_98
.LBB117_97:                             ;   in Loop: Header=BB117_26 Depth=1
	v_cvt_f32_u32_e32 v2, s54
	s_sub_co_i32 s17, 0, s54
	s_delay_alu instid0(VALU_DEP_1) | instskip(NEXT) | instid1(TRANS32_DEP_1)
	v_rcp_iflag_f32_e32 v2, v2
	v_mul_f32_e32 v2, 0x4f7ffffe, v2
	s_delay_alu instid0(VALU_DEP_1) | instskip(NEXT) | instid1(VALU_DEP_1)
	v_cvt_u32_f32_e32 v2, v2
	v_readfirstlane_b32 s16, v2
	s_wait_alu 0xfffe
	s_mul_i32 s17, s17, s16
	s_wait_alu 0xfffe
	s_mul_hi_u32 s17, s16, s17
	s_wait_alu 0xfffe
	s_add_co_i32 s16, s16, s17
	s_wait_alu 0xfffe
	s_mul_hi_u32 s16, s14, s16
	s_wait_alu 0xfffe
	s_mul_i32 s16, s16, s54
	s_wait_alu 0xfffe
	s_sub_co_i32 s16, s14, s16
	s_wait_alu 0xfffe
	s_sub_co_i32 s17, s16, s54
	s_cmp_ge_u32 s16, s54
	s_wait_alu 0xfffe
	s_cselect_b32 s16, s17, s16
	s_wait_alu 0xfffe
	s_sub_co_i32 s17, s16, s54
	s_cmp_ge_u32 s16, s54
	s_wait_alu 0xfffe
	s_cselect_b32 s56, s17, s16
	s_wait_alu 0xfffe
	s_mov_b64 s[16:17], s[56:57]
.LBB117_98:                             ;   in Loop: Header=BB117_26 Depth=1
	s_wait_alu 0xfffe
	s_sub_nc_u64 s[14:15], s[14:15], s[16:17]
	s_mov_b32 s17, 0
	s_mov_b32 s16, 0
	s_mov_b32 s23, exec_lo
                                        ; implicit-def: $vgpr6_vgpr7
	s_wait_alu 0xfffe
	v_cmpx_gt_u64_e64 s[14:15], v[0:1]
	s_cbranch_execz .LBB117_108
; %bb.99:                               ;   in Loop: Header=BB117_26 Depth=1
	v_dual_mov_b32 v14, v33 :: v_dual_mov_b32 v13, v1
	v_mov_b32_e32 v12, v0
                                        ; implicit-def: $sgpr56
	s_branch .LBB117_103
.LBB117_100:                            ;   in Loop: Header=BB117_103 Depth=2
	s_or_b32 exec_lo, exec_lo, s64
	s_wait_loadcnt_dscnt 0x0
	s_barrier_signal -1
	s_barrier_wait -1
	global_inv scope:SCOPE_SE
	ds_load_b128 v[4:7], v19 offset:3072
	s_wait_loadcnt_dscnt 0x0
	s_barrier_signal -1
	s_barrier_wait -1
	global_inv scope:SCOPE_SE
	v_cmp_neq_f64_e32 vcc_lo, 0, v[4:5]
	s_cbranch_vccnz .LBB117_106
; %bb.101:                              ;   in Loop: Header=BB117_103 Depth=2
	v_add_co_u32 v12, vcc_lo, v12, s54
	s_wait_alu 0xfffd
	v_add_co_ci_u32_e64 v13, null, 0, v13, vcc_lo
	v_add_nc_u32_e32 v14, s80, v14
	s_mov_b32 s64, 0
	s_delay_alu instid0(VALU_DEP_2)
	v_cmp_le_u64_e32 vcc_lo, s[14:15], v[12:13]
	s_or_not1_b32 s65, vcc_lo, exec_lo
.LBB117_102:                            ;   in Loop: Header=BB117_103 Depth=2
	s_delay_alu instid0(SALU_CYCLE_1)
	s_and_b32 s65, exec_lo, s65
	s_wait_alu 0xfffe
	s_or_b32 s16, s65, s16
	s_and_not1_b32 s56, s56, exec_lo
	s_and_b32 s64, s64, exec_lo
	s_wait_alu 0xfffe
	s_or_b32 s56, s56, s64
	s_and_not1_b32 exec_lo, exec_lo, s16
	s_cbranch_execz .LBB117_107
.LBB117_103:                            ;   Parent Loop BB117_26 Depth=1
                                        ; =>  This Inner Loop Header: Depth=2
	s_mov_b32 s64, exec_lo
	s_delay_alu instid0(VALU_DEP_1)
	v_cmpx_gt_u64_e64 s[4:5], v[12:13]
	s_cbranch_execz .LBB117_100
; %bb.104:                              ;   in Loop: Header=BB117_103 Depth=2
	ds_load_b64 v[4:5], v14
	s_wait_dscnt 0x0
	v_cmp_o_f64_e32 vcc_lo, v[4:5], v[4:5]
	v_ashrrev_i32_e32 v2, 31, v5
	s_delay_alu instid0(VALU_DEP_1) | instskip(SKIP_1) | instid1(VALU_DEP_2)
	v_or_b32_e32 v6, 0x80000000, v2
	v_xor_b32_e32 v2, v2, v4
	v_xor_b32_e32 v6, v6, v5
	s_wait_alu 0xfffd
	s_delay_alu instid0(VALU_DEP_1) | instskip(NEXT) | instid1(VALU_DEP_1)
	v_cndmask_b32_e32 v6, -1, v6, vcc_lo
	v_dual_cndmask_b32 v2, -1, v2 :: v_dual_and_b32 v7, v6, v25
	s_delay_alu instid0(VALU_DEP_1) | instskip(NEXT) | instid1(VALU_DEP_1)
	v_and_b32_e32 v6, v2, v24
	v_cmp_eq_u64_e32 vcc_lo, v[6:7], v[22:23]
	s_and_b32 exec_lo, exec_lo, vcc_lo
	s_cbranch_execz .LBB117_100
; %bb.105:                              ;   in Loop: Header=BB117_103 Depth=2
	v_mov_b32_e32 v2, v19
	ds_store_b128 v19, v[2:5] offset:3072
	s_branch .LBB117_100
.LBB117_106:                            ;   in Loop: Header=BB117_103 Depth=2
	s_mov_b32 s65, -1
	s_mov_b32 s64, -1
                                        ; implicit-def: $vgpr12_vgpr13
                                        ; implicit-def: $vgpr14
	s_branch .LBB117_102
.LBB117_107:                            ;   in Loop: Header=BB117_26 Depth=1
	s_or_b32 exec_lo, exec_lo, s16
	s_wait_alu 0xfffe
	s_and_b32 s16, s56, exec_lo
.LBB117_108:                            ;   in Loop: Header=BB117_26 Depth=1
	s_wait_alu 0xfffe
	s_or_b32 exec_lo, exec_lo, s23
.LBB117_109:                            ;   in Loop: Header=BB117_26 Depth=1
	s_wait_alu 0xfffe
	s_and_b32 vcc_lo, exec_lo, s17
	s_wait_alu 0xfffe
	s_cbranch_vccz .LBB117_124
; %bb.110:                              ;   in Loop: Header=BB117_26 Depth=1
	s_mov_b32 s4, s57
	s_mov_b32 s5, s61
	s_wait_alu 0xfffe
	s_cmp_lg_u64 s[4:5], 0
	s_cbranch_scc0 .LBB117_156
; %bb.111:                              ;   in Loop: Header=BB117_26 Depth=1
	s_cvt_f32_u32 s4, s54
	s_sub_nc_u64 s[14:15], 0, s[54:55]
	s_wait_alu 0xfffe
	s_delay_alu instid0(SALU_CYCLE_1) | instskip(SKIP_1) | instid1(SALU_CYCLE_2)
	s_fmamk_f32 s4, s83, 0x0, s4
	s_wait_alu 0xfffe
	v_s_rcp_f32 s4, s4
	s_delay_alu instid0(TRANS32_DEP_1) | instskip(SKIP_1) | instid1(SALU_CYCLE_2)
	s_mul_f32 s4, s4, 0x5f7ffffc
	s_wait_alu 0xfffe
	s_mul_f32 s5, s4, 0x2f800000
	s_wait_alu 0xfffe
	s_delay_alu instid0(SALU_CYCLE_2) | instskip(SKIP_1) | instid1(SALU_CYCLE_2)
	s_trunc_f32 s5, s5
	s_wait_alu 0xfffe
	s_fmamk_f32 s4, s5, 0xcf800000, s4
	s_cvt_u32_f32 s5, s5
	s_wait_alu 0xfffe
	s_delay_alu instid0(SALU_CYCLE_1) | instskip(SKIP_1) | instid1(SALU_CYCLE_2)
	s_cvt_u32_f32 s4, s4
	s_wait_alu 0xfffe
	s_mul_u64 s[22:23], s[14:15], s[4:5]
	s_wait_alu 0xfffe
	s_mul_hi_u32 s65, s4, s23
	s_mul_i32 s64, s4, s23
	s_mul_hi_u32 s56, s4, s22
	s_mul_i32 s21, s5, s22
	s_wait_alu 0xfffe
	s_add_nc_u64 s[64:65], s[56:57], s[64:65]
	s_mul_hi_u32 s17, s5, s22
	s_mul_hi_u32 s66, s5, s23
	s_add_co_u32 s21, s64, s21
	s_wait_alu 0xfffe
	s_add_co_ci_u32 s56, s65, s17
	s_mul_i32 s22, s5, s23
	s_add_co_ci_u32 s23, s66, 0
	s_wait_alu 0xfffe
	s_add_nc_u64 s[22:23], s[56:57], s[22:23]
	s_wait_alu 0xfffe
	s_add_co_u32 s4, s4, s22
	s_cselect_b32 s17, -1, 0
	s_wait_alu 0xfffe
	s_cmp_lg_u32 s17, 0
	s_add_co_ci_u32 s5, s5, s23
	s_wait_alu 0xfffe
	s_mul_u64 s[14:15], s[14:15], s[4:5]
	s_wait_alu 0xfffe
	s_mul_hi_u32 s23, s4, s15
	s_mul_i32 s22, s4, s15
	s_mul_hi_u32 s56, s4, s14
	s_mul_i32 s21, s5, s14
	s_wait_alu 0xfffe
	s_add_nc_u64 s[22:23], s[56:57], s[22:23]
	s_mul_hi_u32 s17, s5, s14
	s_mul_hi_u32 s64, s5, s15
	s_mul_i32 s14, s5, s15
	s_wait_alu 0xfffe
	s_add_co_u32 s15, s22, s21
	s_add_co_ci_u32 s56, s23, s17
	s_add_co_ci_u32 s15, s64, 0
	s_wait_alu 0xfffe
	s_add_nc_u64 s[14:15], s[56:57], s[14:15]
	s_wait_alu 0xfffe
	s_add_co_u32 s4, s4, s14
	s_cselect_b32 s14, -1, 0
	s_wait_alu 0xfffe
	s_mul_hi_u32 s56, s60, s4
	s_cmp_lg_u32 s14, 0
	s_mul_hi_u32 s17, s61, s4
	s_add_co_ci_u32 s14, s5, s15
	s_mul_i32 s15, s61, s4
	s_wait_alu 0xfffe
	s_mul_hi_u32 s5, s60, s14
	s_mul_i32 s4, s60, s14
	s_mul_hi_u32 s21, s61, s14
	s_wait_alu 0xfffe
	s_add_nc_u64 s[4:5], s[56:57], s[4:5]
	s_mul_i32 s14, s61, s14
	s_wait_alu 0xfffe
	s_add_co_u32 s4, s4, s15
	s_add_co_ci_u32 s56, s5, s17
	s_add_co_ci_u32 s15, s21, 0
	s_wait_alu 0xfffe
	s_add_nc_u64 s[4:5], s[56:57], s[14:15]
	s_wait_alu 0xfffe
	s_mul_u64 s[4:5], s[54:55], s[4:5]
	s_wait_alu 0xfffe
	s_sub_co_u32 s4, s60, s4
	s_cselect_b32 s14, -1, 0
	s_wait_alu 0xfffe
	s_cmp_lg_u32 s14, 0
	s_sub_co_ci_u32 s5, s61, s5
	s_sub_co_u32 s14, s4, s54
	s_cselect_b32 s15, -1, 0
	s_wait_alu 0xfffe
	s_cmp_lg_u32 s15, 0
	s_sub_co_ci_u32 s15, s5, 0
	;; [unrolled: 5-line block ×3, first 2 shown]
	s_cmp_ge_u32 s14, s54
	s_cselect_b32 s22, -1, 0
	s_cmp_eq_u32 s15, 0
	s_wait_alu 0xfffe
	s_cselect_b32 s22, s22, -1
	s_wait_alu 0xfffe
	s_cmp_lg_u32 s22, 0
	s_cselect_b32 s15, s21, s15
	s_cselect_b32 s14, s17, s14
	s_cmp_ge_u32 s4, s54
	s_cselect_b32 s17, -1, 0
	s_cmp_eq_u32 s5, 0
	s_wait_alu 0xfffe
	s_cselect_b32 s17, s17, -1
	s_wait_alu 0xfffe
	s_cmp_lg_u32 s17, 0
	s_cselect_b32 s5, s15, s5
	s_cselect_b32 s4, s14, s4
	s_cbranch_execnz .LBB117_113
.LBB117_112:                            ;   in Loop: Header=BB117_26 Depth=1
	v_cvt_f32_u32_e32 v2, s54
	s_sub_co_i32 s5, 0, s54
	s_delay_alu instid0(VALU_DEP_1) | instskip(NEXT) | instid1(TRANS32_DEP_1)
	v_rcp_iflag_f32_e32 v2, v2
	v_mul_f32_e32 v2, 0x4f7ffffe, v2
	s_delay_alu instid0(VALU_DEP_1) | instskip(NEXT) | instid1(VALU_DEP_1)
	v_cvt_u32_f32_e32 v2, v2
	v_readfirstlane_b32 s4, v2
	s_wait_alu 0xfffe
	s_mul_i32 s5, s5, s4
	s_wait_alu 0xfffe
	s_mul_hi_u32 s5, s4, s5
	s_wait_alu 0xfffe
	s_add_co_i32 s4, s4, s5
	s_wait_alu 0xfffe
	s_mul_hi_u32 s4, s60, s4
	s_wait_alu 0xfffe
	s_mul_i32 s4, s4, s54
	s_wait_alu 0xfffe
	s_sub_co_i32 s4, s60, s4
	s_wait_alu 0xfffe
	s_sub_co_i32 s5, s4, s54
	s_cmp_ge_u32 s4, s54
	s_wait_alu 0xfffe
	s_cselect_b32 s4, s5, s4
	s_wait_alu 0xfffe
	s_sub_co_i32 s5, s4, s54
	s_cmp_ge_u32 s4, s54
	s_wait_alu 0xfffe
	s_cselect_b32 s56, s5, s4
	s_wait_alu 0xfffe
	s_mov_b64 s[4:5], s[56:57]
.LBB117_113:                            ;   in Loop: Header=BB117_26 Depth=1
	s_wait_alu 0xfffe
	s_sub_nc_u64 s[4:5], s[60:61], s[4:5]
	s_mov_b32 s14, exec_lo
                                        ; implicit-def: $vgpr6_vgpr7
	s_wait_alu 0xfffe
	v_cmpx_gt_u64_e64 s[4:5], v[0:1]
	s_cbranch_execz .LBB117_123
; %bb.114:                              ;   in Loop: Header=BB117_26 Depth=1
	v_dual_mov_b32 v13, v1 :: v_dual_mov_b32 v12, v0
	s_mov_b32 s17, 0
                                        ; implicit-def: $sgpr15
	s_branch .LBB117_118
.LBB117_115:                            ;   in Loop: Header=BB117_118 Depth=2
	s_wait_alu 0xfffe
	s_or_b32 exec_lo, exec_lo, s21
	s_wait_loadcnt_dscnt 0x0
	s_barrier_signal -1
	s_barrier_wait -1
	global_inv scope:SCOPE_SE
	ds_load_b128 v[4:7], v19 offset:3072
	s_wait_loadcnt_dscnt 0x0
	s_barrier_signal -1
	s_barrier_wait -1
	global_inv scope:SCOPE_SE
	v_cmp_neq_f64_e32 vcc_lo, 0, v[4:5]
	s_cbranch_vccnz .LBB117_121
; %bb.116:                              ;   in Loop: Header=BB117_118 Depth=2
	v_add_co_u32 v12, vcc_lo, v12, s54
	s_wait_alu 0xfffd
	v_add_co_ci_u32_e64 v13, null, 0, v13, vcc_lo
	s_mov_b32 s21, 0
	v_cmp_le_u64_e32 vcc_lo, s[4:5], v[12:13]
	s_or_not1_b32 s22, vcc_lo, exec_lo
.LBB117_117:                            ;   in Loop: Header=BB117_118 Depth=2
	s_wait_alu 0xfffe
	s_and_b32 s22, exec_lo, s22
	s_wait_alu 0xfffe
	s_or_b32 s17, s22, s17
	s_and_not1_b32 s15, s15, exec_lo
	s_and_b32 s21, s21, exec_lo
	s_wait_alu 0xfffe
	s_or_b32 s15, s15, s21
	s_and_not1_b32 exec_lo, exec_lo, s17
	s_cbranch_execz .LBB117_122
.LBB117_118:                            ;   Parent Loop BB117_26 Depth=1
                                        ; =>  This Inner Loop Header: Depth=2
	s_mov_b32 s21, exec_lo
	s_delay_alu instid0(VALU_DEP_1)
	v_cmpx_gt_u64_e64 s[24:25], v[12:13]
	s_cbranch_execz .LBB117_115
; %bb.119:                              ;   in Loop: Header=BB117_118 Depth=2
	v_mul_lo_u32 v2, v13, s40
	v_mul_lo_u32 v6, v12, s41
	v_mad_co_u64_u32 v[4:5], null, v12, s40, 0
	s_delay_alu instid0(VALU_DEP_1) | instskip(NEXT) | instid1(VALU_DEP_1)
	v_add3_u32 v5, v5, v6, v2
	v_lshlrev_b64_e32 v[4:5], 3, v[4:5]
	s_delay_alu instid0(VALU_DEP_1) | instskip(SKIP_1) | instid1(VALU_DEP_2)
	v_add_co_u32 v4, vcc_lo, s48, v4
	s_wait_alu 0xfffd
	v_add_co_ci_u32_e64 v5, null, s49, v5, vcc_lo
	global_load_b64 v[4:5], v[4:5], off
	s_wait_loadcnt 0x0
	v_cmp_o_f64_e32 vcc_lo, v[4:5], v[4:5]
	v_ashrrev_i32_e32 v2, 31, v5
	s_delay_alu instid0(VALU_DEP_1) | instskip(SKIP_1) | instid1(VALU_DEP_2)
	v_or_b32_e32 v6, 0x80000000, v2
	v_xor_b32_e32 v2, v2, v4
	v_xor_b32_e32 v6, v6, v5
	s_wait_alu 0xfffd
	s_delay_alu instid0(VALU_DEP_1) | instskip(NEXT) | instid1(VALU_DEP_1)
	v_cndmask_b32_e32 v6, -1, v6, vcc_lo
	v_dual_cndmask_b32 v2, -1, v2 :: v_dual_and_b32 v7, v6, v25
	s_delay_alu instid0(VALU_DEP_1) | instskip(NEXT) | instid1(VALU_DEP_1)
	v_and_b32_e32 v6, v2, v24
	v_cmp_eq_u64_e32 vcc_lo, v[6:7], v[22:23]
	s_and_b32 exec_lo, exec_lo, vcc_lo
	s_cbranch_execz .LBB117_115
; %bb.120:                              ;   in Loop: Header=BB117_118 Depth=2
	v_mov_b32_e32 v2, v19
	ds_store_b128 v19, v[2:5] offset:3072
	s_branch .LBB117_115
.LBB117_121:                            ;   in Loop: Header=BB117_118 Depth=2
	s_mov_b32 s22, -1
	s_mov_b32 s21, -1
                                        ; implicit-def: $vgpr12_vgpr13
	s_branch .LBB117_117
.LBB117_122:                            ;   in Loop: Header=BB117_26 Depth=1
	s_or_b32 exec_lo, exec_lo, s17
	s_delay_alu instid0(SALU_CYCLE_1)
	s_and_not1_b32 s4, s16, exec_lo
	s_wait_alu 0xfffe
	s_and_b32 s5, s15, exec_lo
	s_wait_alu 0xfffe
	s_or_b32 s16, s4, s5
.LBB117_123:                            ;   in Loop: Header=BB117_26 Depth=1
	s_or_b32 exec_lo, exec_lo, s14
	s_mov_b32 s21, 0
	s_mov_b32 s22, -1
.LBB117_124:                            ;   in Loop: Header=BB117_26 Depth=1
	s_wait_alu 0xfffe
	s_or_not1_b32 s4, s16, exec_lo
.LBB117_125:                            ;   in Loop: Header=BB117_26 Depth=1
	s_wait_alu 0xfffe
	s_or_b32 exec_lo, exec_lo, s18
	s_delay_alu instid0(SALU_CYCLE_1)
	s_and_not1_b32 s5, s89, exec_lo
	s_and_b32 s14, s22, exec_lo
	s_and_not1_b32 s15, s87, exec_lo
	s_and_b32 s16, s21, exec_lo
	s_and_not1_b32 s86, s86, exec_lo
	s_wait_alu 0xfffe
	s_or_b32 s89, s5, s14
	s_or_b32 s87, s15, s16
                                        ; implicit-def: $vgpr12_vgpr13
	s_and_saveexec_b32 s18, s4
	s_cbranch_execz .LBB117_25
; %bb.126:                              ;   in Loop: Header=BB117_26 Depth=1
	v_mov_b32_e32 v12, 1
	v_dual_mov_b32 v13, 0 :: v_dual_mov_b32 v14, 1
	s_xor_b32 s14, s20, -1
	s_mov_b32 s5, 0
	s_wait_alu 0xfffe
	s_and_saveexec_b32 s4, s14
	s_cbranch_execz .LBB117_135
; %bb.127:                              ;   in Loop: Header=BB117_26 Depth=1
	s_mov_b32 s5, exec_lo
	v_cmpx_le_u64_e64 v[26:27], v[8:9]
	s_wait_alu 0xfffe
	s_xor_b32 s5, exec_lo, s5
	s_cbranch_execz .LBB117_132
; %bb.128:                              ;   in Loop: Header=BB117_26 Depth=1
	ds_load_b64 v[4:5], v19 offset:5120
	v_and_b32_e32 v23, s13, v23
	v_and_b32_e32 v22, s12, v22
	v_or_b32_e32 v25, s9, v25
	v_or_b32_e32 v24, s8, v24
	s_wait_dscnt 0x0
	v_cmp_ne_u64_e32 vcc_lo, 0, v[4:5]
	s_cbranch_vccnz .LBB117_132
; %bb.129:                              ;   in Loop: Header=BB117_26 Depth=1
	s_and_saveexec_b32 s14, s3
; %bb.130:                              ;   in Loop: Header=BB117_26 Depth=1
	ds_store_b64 v19, v[8:9] offset:5128
; %bb.131:                              ;   in Loop: Header=BB117_26 Depth=1
	s_wait_alu 0xfffe
	s_or_b32 exec_lo, exec_lo, s14
	s_wait_loadcnt_dscnt 0x0
	s_barrier_signal -1
	s_barrier_wait -1
	global_inv scope:SCOPE_SE
.LBB117_132:                            ;   in Loop: Header=BB117_26 Depth=1
	s_wait_alu 0xfffe
	s_or_saveexec_b32 s5, s5
	v_mov_b32_e32 v14, 8
	s_mov_b32 s14, 0
	s_wait_alu 0xfffe
	s_xor_b32 exec_lo, exec_lo, s5
; %bb.133:                              ;   in Loop: Header=BB117_26 Depth=1
	v_sub_co_u32 v26, vcc_lo, v26, v8
	s_wait_alu 0xfffd
	v_sub_co_ci_u32_e64 v27, null, v27, v9, vcc_lo
	v_mov_b32_e32 v14, 0
	s_mov_b32 s14, exec_lo
; %bb.134:                              ;   in Loop: Header=BB117_26 Depth=1
	s_or_b32 exec_lo, exec_lo, s5
	s_delay_alu instid0(VALU_DEP_2)
	v_dual_mov_b32 v12, v26 :: v_dual_mov_b32 v13, v27
	s_wait_alu 0xfffe
	s_and_b32 s5, s14, exec_lo
.LBB117_135:                            ;   in Loop: Header=BB117_26 Depth=1
	s_wait_alu 0xfffe
	s_or_b32 exec_lo, exec_lo, s4
	s_mov_b32 s19, -1
	s_mov_b32 s4, -1
                                        ; implicit-def: $sgpr21
                                        ; implicit-def: $sgpr22
	s_and_saveexec_b32 s14, s5
	s_wait_alu 0xfffe
	s_xor_b32 s20, exec_lo, s14
	s_cbranch_execz .LBB117_286
; %bb.136:                              ;   in Loop: Header=BB117_26 Depth=1
	v_cmp_eq_u64_e32 vcc_lo, 1, v[10:11]
	v_cmp_eq_u64_e64 s4, 1, v[12:13]
                                        ; implicit-def: $sgpr22
                                        ; implicit-def: $sgpr21
	s_and_b32 s64, vcc_lo, s4
	s_mov_b32 s4, -1
	s_and_saveexec_b32 s23, s64
	s_cbranch_execz .LBB117_175
; %bb.137:                              ;   in Loop: Header=BB117_26 Depth=1
	ds_load_b64 v[4:5], v19 offset:5120
	s_wait_loadcnt_dscnt 0x0
	s_barrier_signal -1
	s_barrier_wait -1
	global_inv scope:SCOPE_SE
	v_readfirstlane_b32 s4, v4
	v_readfirstlane_b32 s5, v5
	s_and_saveexec_b32 s14, s0
; %bb.138:                              ;   in Loop: Header=BB117_26 Depth=1
	v_mov_b32_e32 v18, v19
	ds_store_b64 v34, v[18:19]
; %bb.139:                              ;   in Loop: Header=BB117_26 Depth=1
	s_wait_alu 0xfffe
	s_or_b32 exec_lo, exec_lo, s14
	v_and_b32_e32 v2, s13, v23
	v_and_b32_e32 v4, s12, v22
	s_lshl_b64 s[14:15], 1, s81
	v_or_b32_e32 v25, s9, v25
	v_or_b32_e32 v24, s8, v24
	s_wait_alu 0xfffe
	v_or_b32_e32 v23, s15, v2
	v_or_b32_e32 v22, s14, v4
	s_mov_b32 s21, -1
	s_mov_b32 s22, 0
	s_cmp_eq_u64 s[4:5], 0
	s_mov_b32 s16, 0
	s_mov_b32 s17, -1
	s_wait_loadcnt_dscnt 0x0
	s_barrier_signal -1
	s_barrier_wait -1
	global_inv scope:SCOPE_SE
                                        ; implicit-def: $vgpr6_vgpr7
	s_cbranch_scc1 .LBB117_159
; %bb.140:                              ;   in Loop: Header=BB117_26 Depth=1
	s_add_nc_u64 s[14:15], s[4:5], s[58:59]
	s_mov_b32 s16, s57
	s_wait_alu 0xfffe
	s_mov_b32 s17, s15
	s_wait_alu 0xfffe
	s_cmp_lg_u64 s[16:17], 0
	s_cbranch_scc0 .LBB117_203
; %bb.141:                              ;   in Loop: Header=BB117_26 Depth=1
	s_cvt_f32_u32 s16, s54
	s_sub_nc_u64 s[66:67], 0, s[54:55]
	s_wait_alu 0xfffe
	s_delay_alu instid0(SALU_CYCLE_1) | instskip(SKIP_1) | instid1(SALU_CYCLE_2)
	s_fmamk_f32 s16, s83, 0x0, s16
	s_wait_alu 0xfffe
	v_s_rcp_f32 s16, s16
	s_delay_alu instid0(TRANS32_DEP_1) | instskip(SKIP_1) | instid1(SALU_CYCLE_2)
	s_mul_f32 s16, s16, 0x5f7ffffc
	s_wait_alu 0xfffe
	s_mul_f32 s17, s16, 0x2f800000
	s_wait_alu 0xfffe
	s_delay_alu instid0(SALU_CYCLE_2) | instskip(SKIP_1) | instid1(SALU_CYCLE_2)
	s_trunc_f32 s17, s17
	s_wait_alu 0xfffe
	s_fmamk_f32 s16, s17, 0xcf800000, s16
	s_cvt_u32_f32 s17, s17
	s_wait_alu 0xfffe
	s_delay_alu instid0(SALU_CYCLE_1) | instskip(SKIP_1) | instid1(SALU_CYCLE_2)
	s_cvt_u32_f32 s16, s16
	s_wait_alu 0xfffe
	s_mul_u64 s[68:69], s[66:67], s[16:17]
	s_wait_alu 0xfffe
	s_mul_hi_u32 s71, s16, s69
	s_mul_i32 s70, s16, s69
	s_mul_hi_u32 s56, s16, s68
	s_mul_i32 s72, s17, s68
	s_wait_alu 0xfffe
	s_add_nc_u64 s[70:71], s[56:57], s[70:71]
	s_mul_hi_u32 s65, s17, s68
	s_mul_hi_u32 s73, s17, s69
	s_wait_alu 0xfffe
	s_add_co_u32 s56, s70, s72
	s_add_co_ci_u32 s56, s71, s65
	s_mul_i32 s68, s17, s69
	s_add_co_ci_u32 s69, s73, 0
	s_wait_alu 0xfffe
	s_add_nc_u64 s[68:69], s[56:57], s[68:69]
	s_wait_alu 0xfffe
	s_add_co_u32 s16, s16, s68
	s_cselect_b32 s56, -1, 0
	s_wait_alu 0xfffe
	s_cmp_lg_u32 s56, 0
	s_add_co_ci_u32 s17, s17, s69
	s_wait_alu 0xfffe
	s_mul_u64 s[66:67], s[66:67], s[16:17]
	s_wait_alu 0xfffe
	s_mul_hi_u32 s69, s16, s67
	s_mul_i32 s68, s16, s67
	s_mul_hi_u32 s56, s16, s66
	s_mul_i32 s70, s17, s66
	s_wait_alu 0xfffe
	s_add_nc_u64 s[68:69], s[56:57], s[68:69]
	s_mul_hi_u32 s65, s17, s66
	s_mul_hi_u32 s71, s17, s67
	s_wait_alu 0xfffe
	s_add_co_u32 s56, s68, s70
	s_add_co_ci_u32 s56, s69, s65
	s_mul_i32 s66, s17, s67
	s_add_co_ci_u32 s67, s71, 0
	s_wait_alu 0xfffe
	s_add_nc_u64 s[66:67], s[56:57], s[66:67]
	s_wait_alu 0xfffe
	s_add_co_u32 s16, s16, s66
	s_cselect_b32 s65, -1, 0
	s_wait_alu 0xfffe
	s_mul_hi_u32 s56, s14, s16
	s_cmp_lg_u32 s65, 0
	s_mul_hi_u32 s65, s15, s16
	s_add_co_ci_u32 s66, s17, s67
	s_mul_i32 s67, s15, s16
	s_wait_alu 0xfffe
	s_mul_hi_u32 s17, s14, s66
	s_mul_i32 s16, s14, s66
	s_mul_hi_u32 s68, s15, s66
	s_wait_alu 0xfffe
	s_add_nc_u64 s[16:17], s[56:57], s[16:17]
	s_mul_i32 s66, s15, s66
	s_wait_alu 0xfffe
	s_add_co_u32 s16, s16, s67
	s_add_co_ci_u32 s56, s17, s65
	s_add_co_ci_u32 s67, s68, 0
	s_wait_alu 0xfffe
	s_add_nc_u64 s[16:17], s[56:57], s[66:67]
	s_wait_alu 0xfffe
	s_mul_u64 s[16:17], s[54:55], s[16:17]
	s_wait_alu 0xfffe
	s_sub_co_u32 s16, s14, s16
	s_cselect_b32 s56, -1, 0
	s_wait_alu 0xfffe
	s_cmp_lg_u32 s56, 0
	s_sub_co_ci_u32 s17, s15, s17
	s_sub_co_u32 s56, s16, s54
	s_cselect_b32 s65, -1, 0
	s_delay_alu instid0(SALU_CYCLE_1)
	s_cmp_lg_u32 s65, 0
	s_wait_alu 0xfffe
	s_sub_co_ci_u32 s65, s17, 0
	s_sub_co_u32 s66, s56, s54
	s_cselect_b32 s67, -1, 0
	s_wait_alu 0xfffe
	s_cmp_lg_u32 s67, 0
	s_sub_co_ci_u32 s67, s65, 0
	s_cmp_ge_u32 s56, s54
	s_cselect_b32 s68, -1, 0
	s_cmp_eq_u32 s65, 0
	s_wait_alu 0xfffe
	s_cselect_b32 s68, s68, -1
	s_wait_alu 0xfffe
	s_cmp_lg_u32 s68, 0
	s_cselect_b32 s65, s67, s65
	s_cselect_b32 s56, s66, s56
	s_cmp_ge_u32 s16, s54
	s_cselect_b32 s66, -1, 0
	s_cmp_eq_u32 s17, 0
	s_wait_alu 0xfffe
	s_cselect_b32 s66, s66, -1
	s_wait_alu 0xfffe
	s_cmp_lg_u32 s66, 0
	s_cselect_b32 s17, s65, s17
	s_cselect_b32 s16, s56, s16
	s_cbranch_execnz .LBB117_143
.LBB117_142:                            ;   in Loop: Header=BB117_26 Depth=1
	v_cvt_f32_u32_e32 v2, s54
	s_sub_co_i32 s17, 0, s54
	s_delay_alu instid0(VALU_DEP_1) | instskip(NEXT) | instid1(TRANS32_DEP_1)
	v_rcp_iflag_f32_e32 v2, v2
	v_mul_f32_e32 v2, 0x4f7ffffe, v2
	s_delay_alu instid0(VALU_DEP_1) | instskip(NEXT) | instid1(VALU_DEP_1)
	v_cvt_u32_f32_e32 v2, v2
	v_readfirstlane_b32 s16, v2
	s_wait_alu 0xfffe
	s_mul_i32 s17, s17, s16
	s_wait_alu 0xfffe
	s_mul_hi_u32 s17, s16, s17
	s_wait_alu 0xfffe
	s_add_co_i32 s16, s16, s17
	s_wait_alu 0xfffe
	s_mul_hi_u32 s16, s14, s16
	s_wait_alu 0xfffe
	s_mul_i32 s16, s16, s54
	s_wait_alu 0xfffe
	s_sub_co_i32 s16, s14, s16
	s_wait_alu 0xfffe
	s_sub_co_i32 s17, s16, s54
	s_cmp_ge_u32 s16, s54
	s_wait_alu 0xfffe
	s_cselect_b32 s16, s17, s16
	s_wait_alu 0xfffe
	s_sub_co_i32 s17, s16, s54
	s_cmp_ge_u32 s16, s54
	s_wait_alu 0xfffe
	s_cselect_b32 s56, s17, s16
	s_wait_alu 0xfffe
	s_mov_b64 s[16:17], s[56:57]
.LBB117_143:                            ;   in Loop: Header=BB117_26 Depth=1
	s_wait_alu 0xfffe
	s_sub_nc_u64 s[14:15], s[14:15], s[16:17]
	s_mov_b32 s17, 0
	s_mov_b32 s16, 0
	s_mov_b32 s56, exec_lo
                                        ; implicit-def: $vgpr6_vgpr7
	s_wait_alu 0xfffe
	v_cmpx_gt_u64_e64 s[14:15], v[0:1]
	s_cbranch_execz .LBB117_158
; %bb.144:                              ;   in Loop: Header=BB117_26 Depth=1
	v_mov_b32_e32 v9, v1
	v_dual_mov_b32 v15, v33 :: v_dual_mov_b32 v8, v0
                                        ; implicit-def: $sgpr65
	s_branch .LBB117_148
.LBB117_145:                            ;   in Loop: Header=BB117_148 Depth=2
	s_wait_alu 0xfffe
	s_or_b32 exec_lo, exec_lo, s66
	s_wait_loadcnt_dscnt 0x0
	s_barrier_signal -1
	s_barrier_wait -1
	global_inv scope:SCOPE_SE
	ds_load_b128 v[4:7], v19 offset:3072
	s_wait_loadcnt_dscnt 0x0
	s_barrier_signal -1
	s_barrier_wait -1
	global_inv scope:SCOPE_SE
	v_cmp_neq_f64_e32 vcc_lo, 0, v[4:5]
	s_cbranch_vccnz .LBB117_151
; %bb.146:                              ;   in Loop: Header=BB117_148 Depth=2
	v_add_co_u32 v8, vcc_lo, v8, s54
	s_wait_alu 0xfffd
	v_add_co_ci_u32_e64 v9, null, 0, v9, vcc_lo
	v_add_nc_u32_e32 v15, s80, v15
	s_mov_b32 s66, 0
	s_delay_alu instid0(VALU_DEP_2)
	v_cmp_le_u64_e32 vcc_lo, s[14:15], v[8:9]
	s_or_not1_b32 s67, vcc_lo, exec_lo
.LBB117_147:                            ;   in Loop: Header=BB117_148 Depth=2
	s_wait_alu 0xfffe
	s_and_b32 s67, exec_lo, s67
	s_wait_alu 0xfffe
	s_or_b32 s16, s67, s16
	s_and_not1_b32 s65, s65, exec_lo
	s_and_b32 s66, s66, exec_lo
	s_wait_alu 0xfffe
	s_or_b32 s65, s65, s66
	s_and_not1_b32 exec_lo, exec_lo, s16
	s_cbranch_execz .LBB117_157
.LBB117_148:                            ;   Parent Loop BB117_26 Depth=1
                                        ; =>  This Inner Loop Header: Depth=2
	s_mov_b32 s66, exec_lo
	s_delay_alu instid0(VALU_DEP_1)
	v_cmpx_gt_u64_e64 s[4:5], v[8:9]
	s_cbranch_execz .LBB117_145
; %bb.149:                              ;   in Loop: Header=BB117_148 Depth=2
	ds_load_b64 v[4:5], v15
	s_wait_dscnt 0x0
	v_cmp_o_f64_e32 vcc_lo, v[4:5], v[4:5]
	v_ashrrev_i32_e32 v2, 31, v5
	s_delay_alu instid0(VALU_DEP_1) | instskip(SKIP_1) | instid1(VALU_DEP_2)
	v_or_b32_e32 v6, 0x80000000, v2
	v_xor_b32_e32 v2, v2, v4
	v_xor_b32_e32 v6, v6, v5
	s_wait_alu 0xfffd
	s_delay_alu instid0(VALU_DEP_1) | instskip(NEXT) | instid1(VALU_DEP_1)
	v_cndmask_b32_e32 v6, -1, v6, vcc_lo
	v_dual_cndmask_b32 v2, -1, v2 :: v_dual_and_b32 v7, v6, v25
	s_delay_alu instid0(VALU_DEP_1) | instskip(NEXT) | instid1(VALU_DEP_1)
	v_and_b32_e32 v6, v2, v24
	v_cmp_eq_u64_e32 vcc_lo, v[6:7], v[22:23]
	s_and_b32 exec_lo, exec_lo, vcc_lo
	s_cbranch_execz .LBB117_145
; %bb.150:                              ;   in Loop: Header=BB117_148 Depth=2
	v_mov_b32_e32 v2, v19
	ds_store_b128 v19, v[2:5] offset:3072
	s_branch .LBB117_145
.LBB117_151:                            ;   in Loop: Header=BB117_148 Depth=2
	s_mov_b32 s67, -1
	s_mov_b32 s66, -1
                                        ; implicit-def: $vgpr8_vgpr9
                                        ; implicit-def: $vgpr15
	s_branch .LBB117_147
.LBB117_152:                            ;   in Loop: Header=BB117_26 Depth=1
                                        ; implicit-def: $sgpr16_sgpr17
	s_branch .LBB117_97
.LBB117_153:                            ;   in Loop: Header=BB117_26 Depth=1
	s_wait_alu 0xfffe
	s_or_b32 exec_lo, exec_lo, s7
	s_wait_loadcnt_dscnt 0x0
	s_barrier_signal -1
	s_barrier_wait -1
	global_inv scope:SCOPE_SE
	s_and_saveexec_b32 s4, s3
	s_cbranch_execz .LBB117_155
; %bb.154:                              ;   in Loop: Header=BB117_26 Depth=1
	ds_load_b32 v4, v19 offset:5144
	s_wait_dscnt 0x0
	v_ashrrev_i32_e32 v5, 31, v4
	ds_store_b64 v19, v[4:5] offset:5120
.LBB117_155:                            ;   in Loop: Header=BB117_26 Depth=1
	s_wait_alu 0xfffe
	s_or_b32 exec_lo, exec_lo, s4
	s_wait_loadcnt_dscnt 0x0
	s_barrier_signal -1
	s_mov_b32 s4, -1
	s_barrier_wait -1
	s_and_b32 vcc_lo, exec_lo, s6
	s_wait_alu 0xfffe
	s_cbranch_vccnz .LBB117_42
	s_branch .LBB117_51
.LBB117_156:                            ;   in Loop: Header=BB117_26 Depth=1
                                        ; implicit-def: $sgpr4_sgpr5
	s_branch .LBB117_112
.LBB117_157:                            ;   in Loop: Header=BB117_26 Depth=1
	s_or_b32 exec_lo, exec_lo, s16
	s_delay_alu instid0(SALU_CYCLE_1)
	s_and_b32 s16, s65, exec_lo
.LBB117_158:                            ;   in Loop: Header=BB117_26 Depth=1
	s_or_b32 exec_lo, exec_lo, s56
.LBB117_159:                            ;   in Loop: Header=BB117_26 Depth=1
	s_wait_alu 0xfffe
	s_and_b32 vcc_lo, exec_lo, s17
	s_wait_alu 0xfffe
	s_cbranch_vccz .LBB117_174
; %bb.160:                              ;   in Loop: Header=BB117_26 Depth=1
	s_mov_b32 s4, s57
	s_mov_b32 s5, s61
	s_wait_alu 0xfffe
	s_cmp_lg_u64 s[4:5], 0
	s_cbranch_scc0 .LBB117_204
; %bb.161:                              ;   in Loop: Header=BB117_26 Depth=1
	s_cvt_f32_u32 s4, s54
	s_sub_nc_u64 s[14:15], 0, s[54:55]
	s_wait_alu 0xfffe
	s_delay_alu instid0(SALU_CYCLE_1) | instskip(SKIP_1) | instid1(SALU_CYCLE_2)
	s_fmamk_f32 s4, s83, 0x0, s4
	s_wait_alu 0xfffe
	v_s_rcp_f32 s4, s4
	s_delay_alu instid0(TRANS32_DEP_1) | instskip(SKIP_1) | instid1(SALU_CYCLE_2)
	s_mul_f32 s4, s4, 0x5f7ffffc
	s_wait_alu 0xfffe
	s_mul_f32 s5, s4, 0x2f800000
	s_wait_alu 0xfffe
	s_delay_alu instid0(SALU_CYCLE_2) | instskip(SKIP_1) | instid1(SALU_CYCLE_2)
	s_trunc_f32 s5, s5
	s_wait_alu 0xfffe
	s_fmamk_f32 s4, s5, 0xcf800000, s4
	s_cvt_u32_f32 s5, s5
	s_wait_alu 0xfffe
	s_delay_alu instid0(SALU_CYCLE_1) | instskip(SKIP_1) | instid1(SALU_CYCLE_2)
	s_cvt_u32_f32 s4, s4
	s_wait_alu 0xfffe
	s_mul_u64 s[66:67], s[14:15], s[4:5]
	s_wait_alu 0xfffe
	s_mul_hi_u32 s69, s4, s67
	s_mul_i32 s68, s4, s67
	s_mul_hi_u32 s56, s4, s66
	s_mul_i32 s21, s5, s66
	s_wait_alu 0xfffe
	s_add_nc_u64 s[68:69], s[56:57], s[68:69]
	s_mul_hi_u32 s17, s5, s66
	s_mul_hi_u32 s22, s5, s67
	s_wait_alu 0xfffe
	s_add_co_u32 s21, s68, s21
	s_add_co_ci_u32 s56, s69, s17
	s_mul_i32 s66, s5, s67
	s_add_co_ci_u32 s67, s22, 0
	s_wait_alu 0xfffe
	s_add_nc_u64 s[66:67], s[56:57], s[66:67]
	s_wait_alu 0xfffe
	s_add_co_u32 s4, s4, s66
	s_cselect_b32 s17, -1, 0
	s_wait_alu 0xfffe
	s_cmp_lg_u32 s17, 0
	s_add_co_ci_u32 s5, s5, s67
	s_wait_alu 0xfffe
	s_mul_u64 s[14:15], s[14:15], s[4:5]
	s_wait_alu 0xfffe
	s_mul_hi_u32 s67, s4, s15
	s_mul_i32 s66, s4, s15
	s_mul_hi_u32 s56, s4, s14
	s_mul_i32 s21, s5, s14
	s_wait_alu 0xfffe
	s_add_nc_u64 s[66:67], s[56:57], s[66:67]
	s_mul_hi_u32 s17, s5, s14
	s_mul_hi_u32 s22, s5, s15
	s_mul_i32 s14, s5, s15
	s_wait_alu 0xfffe
	s_add_co_u32 s15, s66, s21
	s_add_co_ci_u32 s56, s67, s17
	s_add_co_ci_u32 s15, s22, 0
	s_wait_alu 0xfffe
	s_add_nc_u64 s[14:15], s[56:57], s[14:15]
	s_wait_alu 0xfffe
	s_add_co_u32 s4, s4, s14
	s_cselect_b32 s14, -1, 0
	s_wait_alu 0xfffe
	s_mul_hi_u32 s56, s60, s4
	s_cmp_lg_u32 s14, 0
	s_mul_hi_u32 s17, s61, s4
	s_add_co_ci_u32 s14, s5, s15
	s_mul_i32 s15, s61, s4
	s_wait_alu 0xfffe
	s_mul_hi_u32 s5, s60, s14
	s_mul_i32 s4, s60, s14
	s_mul_hi_u32 s21, s61, s14
	s_wait_alu 0xfffe
	s_add_nc_u64 s[4:5], s[56:57], s[4:5]
	s_mul_i32 s14, s61, s14
	s_wait_alu 0xfffe
	s_add_co_u32 s4, s4, s15
	s_add_co_ci_u32 s56, s5, s17
	s_add_co_ci_u32 s15, s21, 0
	s_wait_alu 0xfffe
	s_add_nc_u64 s[4:5], s[56:57], s[14:15]
	s_wait_alu 0xfffe
	s_mul_u64 s[4:5], s[54:55], s[4:5]
	s_wait_alu 0xfffe
	s_sub_co_u32 s4, s60, s4
	s_cselect_b32 s14, -1, 0
	s_wait_alu 0xfffe
	s_cmp_lg_u32 s14, 0
	s_sub_co_ci_u32 s5, s61, s5
	s_sub_co_u32 s14, s4, s54
	s_cselect_b32 s15, -1, 0
	s_wait_alu 0xfffe
	s_cmp_lg_u32 s15, 0
	s_sub_co_ci_u32 s15, s5, 0
	;; [unrolled: 5-line block ×3, first 2 shown]
	s_cmp_ge_u32 s14, s54
	s_cselect_b32 s22, -1, 0
	s_cmp_eq_u32 s15, 0
	s_wait_alu 0xfffe
	s_cselect_b32 s22, s22, -1
	s_wait_alu 0xfffe
	s_cmp_lg_u32 s22, 0
	s_cselect_b32 s15, s21, s15
	s_cselect_b32 s14, s17, s14
	s_cmp_ge_u32 s4, s54
	s_cselect_b32 s17, -1, 0
	s_cmp_eq_u32 s5, 0
	s_wait_alu 0xfffe
	s_cselect_b32 s17, s17, -1
	s_wait_alu 0xfffe
	s_cmp_lg_u32 s17, 0
	s_cselect_b32 s5, s15, s5
	s_cselect_b32 s4, s14, s4
	s_cbranch_execnz .LBB117_163
.LBB117_162:                            ;   in Loop: Header=BB117_26 Depth=1
	v_cvt_f32_u32_e32 v2, s54
	s_sub_co_i32 s5, 0, s54
	s_delay_alu instid0(VALU_DEP_1) | instskip(NEXT) | instid1(TRANS32_DEP_1)
	v_rcp_iflag_f32_e32 v2, v2
	v_mul_f32_e32 v2, 0x4f7ffffe, v2
	s_delay_alu instid0(VALU_DEP_1) | instskip(NEXT) | instid1(VALU_DEP_1)
	v_cvt_u32_f32_e32 v2, v2
	v_readfirstlane_b32 s4, v2
	s_wait_alu 0xfffe
	s_mul_i32 s5, s5, s4
	s_wait_alu 0xfffe
	s_mul_hi_u32 s5, s4, s5
	s_wait_alu 0xfffe
	s_add_co_i32 s4, s4, s5
	s_wait_alu 0xfffe
	s_mul_hi_u32 s4, s60, s4
	s_wait_alu 0xfffe
	s_mul_i32 s4, s4, s54
	s_wait_alu 0xfffe
	s_sub_co_i32 s4, s60, s4
	s_wait_alu 0xfffe
	s_sub_co_i32 s5, s4, s54
	s_cmp_ge_u32 s4, s54
	s_wait_alu 0xfffe
	s_cselect_b32 s4, s5, s4
	s_wait_alu 0xfffe
	s_sub_co_i32 s5, s4, s54
	s_cmp_ge_u32 s4, s54
	s_wait_alu 0xfffe
	s_cselect_b32 s56, s5, s4
	s_wait_alu 0xfffe
	s_mov_b64 s[4:5], s[56:57]
.LBB117_163:                            ;   in Loop: Header=BB117_26 Depth=1
	s_wait_alu 0xfffe
	s_sub_nc_u64 s[4:5], s[60:61], s[4:5]
	s_mov_b32 s14, exec_lo
                                        ; implicit-def: $vgpr6_vgpr7
	s_wait_alu 0xfffe
	v_cmpx_gt_u64_e64 s[4:5], v[0:1]
	s_cbranch_execz .LBB117_173
; %bb.164:                              ;   in Loop: Header=BB117_26 Depth=1
	v_dual_mov_b32 v9, v1 :: v_dual_mov_b32 v8, v0
	s_mov_b32 s15, 0
                                        ; implicit-def: $sgpr17
	s_branch .LBB117_168
.LBB117_165:                            ;   in Loop: Header=BB117_168 Depth=2
	s_wait_alu 0xfffe
	s_or_b32 exec_lo, exec_lo, s21
	s_wait_loadcnt_dscnt 0x0
	s_barrier_signal -1
	s_barrier_wait -1
	global_inv scope:SCOPE_SE
	ds_load_b128 v[4:7], v19 offset:3072
	s_wait_loadcnt_dscnt 0x0
	s_barrier_signal -1
	s_barrier_wait -1
	global_inv scope:SCOPE_SE
	v_cmp_eq_f64_e32 vcc_lo, 0, v[4:5]
	s_cbranch_vccz .LBB117_171
; %bb.166:                              ;   in Loop: Header=BB117_168 Depth=2
	v_add_co_u32 v8, vcc_lo, v8, s54
	s_wait_alu 0xfffd
	v_add_co_ci_u32_e64 v9, null, 0, v9, vcc_lo
	s_mov_b32 s21, 0
	v_cmp_le_u64_e32 vcc_lo, s[4:5], v[8:9]
	s_or_not1_b32 s22, vcc_lo, exec_lo
.LBB117_167:                            ;   in Loop: Header=BB117_168 Depth=2
	s_wait_alu 0xfffe
	s_and_b32 s22, exec_lo, s22
	s_wait_alu 0xfffe
	s_or_b32 s15, s22, s15
	s_and_not1_b32 s17, s17, exec_lo
	s_and_b32 s21, s21, exec_lo
	s_wait_alu 0xfffe
	s_or_b32 s17, s17, s21
	s_and_not1_b32 exec_lo, exec_lo, s15
	s_cbranch_execz .LBB117_172
.LBB117_168:                            ;   Parent Loop BB117_26 Depth=1
                                        ; =>  This Inner Loop Header: Depth=2
	s_mov_b32 s21, exec_lo
	s_delay_alu instid0(VALU_DEP_1)
	v_cmpx_gt_u64_e64 s[24:25], v[8:9]
	s_cbranch_execz .LBB117_165
; %bb.169:                              ;   in Loop: Header=BB117_168 Depth=2
	v_mul_lo_u32 v2, v9, s40
	v_mul_lo_u32 v6, v8, s41
	v_mad_co_u64_u32 v[4:5], null, v8, s40, 0
	s_delay_alu instid0(VALU_DEP_1) | instskip(NEXT) | instid1(VALU_DEP_1)
	v_add3_u32 v5, v5, v6, v2
	v_lshlrev_b64_e32 v[4:5], 3, v[4:5]
	s_delay_alu instid0(VALU_DEP_1) | instskip(SKIP_1) | instid1(VALU_DEP_2)
	v_add_co_u32 v4, vcc_lo, s48, v4
	s_wait_alu 0xfffd
	v_add_co_ci_u32_e64 v5, null, s49, v5, vcc_lo
	global_load_b64 v[4:5], v[4:5], off
	s_wait_loadcnt 0x0
	v_cmp_o_f64_e32 vcc_lo, v[4:5], v[4:5]
	v_ashrrev_i32_e32 v2, 31, v5
	s_delay_alu instid0(VALU_DEP_1) | instskip(SKIP_1) | instid1(VALU_DEP_2)
	v_or_b32_e32 v6, 0x80000000, v2
	v_xor_b32_e32 v2, v2, v4
	v_xor_b32_e32 v6, v6, v5
	s_wait_alu 0xfffd
	s_delay_alu instid0(VALU_DEP_1) | instskip(NEXT) | instid1(VALU_DEP_1)
	v_cndmask_b32_e32 v6, -1, v6, vcc_lo
	v_dual_cndmask_b32 v2, -1, v2 :: v_dual_and_b32 v7, v6, v25
	s_delay_alu instid0(VALU_DEP_1) | instskip(NEXT) | instid1(VALU_DEP_1)
	v_and_b32_e32 v6, v2, v24
	v_cmp_eq_u64_e32 vcc_lo, v[6:7], v[22:23]
	s_and_b32 exec_lo, exec_lo, vcc_lo
	s_cbranch_execz .LBB117_165
; %bb.170:                              ;   in Loop: Header=BB117_168 Depth=2
	v_mov_b32_e32 v2, v19
	ds_store_b128 v19, v[2:5] offset:3072
	s_branch .LBB117_165
.LBB117_171:                            ;   in Loop: Header=BB117_168 Depth=2
	s_mov_b32 s22, -1
	s_mov_b32 s21, -1
                                        ; implicit-def: $vgpr8_vgpr9
	s_branch .LBB117_167
.LBB117_172:                            ;   in Loop: Header=BB117_26 Depth=1
	s_or_b32 exec_lo, exec_lo, s15
	s_delay_alu instid0(SALU_CYCLE_1)
	s_and_not1_b32 s4, s16, exec_lo
	s_wait_alu 0xfffe
	s_and_b32 s5, s17, exec_lo
	s_wait_alu 0xfffe
	s_or_b32 s16, s4, s5
.LBB117_173:                            ;   in Loop: Header=BB117_26 Depth=1
	s_or_b32 exec_lo, exec_lo, s14
	s_mov_b32 s21, 0
	s_mov_b32 s22, -1
.LBB117_174:                            ;   in Loop: Header=BB117_26 Depth=1
	s_wait_alu 0xfffe
	s_or_not1_b32 s4, s16, exec_lo
.LBB117_175:                            ;   in Loop: Header=BB117_26 Depth=1
	s_wait_alu 0xfffe
	s_or_b32 exec_lo, exec_lo, s23
	s_mov_b32 s5, 0
	s_and_saveexec_b32 s23, s4
	s_cbranch_execz .LBB117_285
; %bb.176:                              ;   in Loop: Header=BB117_26 Depth=1
	v_mov_b32_e32 v8, 1
	v_dual_mov_b32 v9, 0 :: v_dual_mov_b32 v14, 1
	s_xor_b32 s14, s64, -1
	s_wait_alu 0xfffe
	s_and_saveexec_b32 s4, s14
	s_cbranch_execz .LBB117_186
; %bb.177:                              ;   in Loop: Header=BB117_26 Depth=1
	s_mov_b32 s5, exec_lo
	v_cmpx_le_u64_e64 v[12:13], v[10:11]
	s_wait_alu 0xfffe
	s_xor_b32 s5, exec_lo, s5
	s_cbranch_execz .LBB117_183
; %bb.178:                              ;   in Loop: Header=BB117_26 Depth=1
	ds_load_b64 v[4:5], v19 offset:5120
	v_and_b32_e32 v2, s13, v23
	v_and_b32_e32 v8, s12, v22
	s_lshl_b64 s[14:15], 1, s81
	v_or_b32_e32 v25, s9, v25
	v_or_b32_e32 v24, s8, v24
	s_wait_alu 0xfffe
	v_or_b32_e32 v23, s15, v2
	v_or_b32_e32 v22, s14, v8
	s_wait_dscnt 0x0
	v_cmp_ne_u64_e32 vcc_lo, 0, v[4:5]
	s_cbranch_vccnz .LBB117_182
; %bb.179:                              ;   in Loop: Header=BB117_26 Depth=1
	s_and_saveexec_b32 s14, s3
; %bb.180:                              ;   in Loop: Header=BB117_26 Depth=1
	ds_store_b64 v19, v[10:11] offset:5128
; %bb.181:                              ;   in Loop: Header=BB117_26 Depth=1
	s_wait_alu 0xfffe
	s_or_b32 exec_lo, exec_lo, s14
	s_wait_loadcnt_dscnt 0x0
	s_barrier_signal -1
	s_barrier_wait -1
	global_inv scope:SCOPE_SE
.LBB117_182:                            ;   in Loop: Header=BB117_26 Depth=1
                                        ; implicit-def: $vgpr8_vgpr9_vgpr10_vgpr11
.LBB117_183:                            ;   in Loop: Header=BB117_26 Depth=1
	s_wait_alu 0xfffe
	s_or_saveexec_b32 s5, s5
	v_mov_b32_e32 v14, 8
	s_mov_b32 s14, 0
	s_wait_alu 0xfffe
	s_xor_b32 exec_lo, exec_lo, s5
; %bb.184:                              ;   in Loop: Header=BB117_26 Depth=1
	v_sub_co_u32 v12, vcc_lo, v12, v10
	s_wait_alu 0xfffd
	v_sub_co_ci_u32_e64 v13, null, v13, v11, vcc_lo
	v_mov_b32_e32 v14, 0
	s_mov_b32 s14, exec_lo
; %bb.185:                              ;   in Loop: Header=BB117_26 Depth=1
	s_or_b32 exec_lo, exec_lo, s5
	s_delay_alu instid0(VALU_DEP_2)
	v_dual_mov_b32 v8, v12 :: v_dual_mov_b32 v9, v13
	s_wait_alu 0xfffe
	s_and_b32 s5, s14, exec_lo
.LBB117_186:                            ;   in Loop: Header=BB117_26 Depth=1
	s_wait_alu 0xfffe
	s_or_b32 exec_lo, exec_lo, s4
	s_mov_b32 s4, -1
                                        ; implicit-def: $sgpr65
                                        ; implicit-def: $sgpr66
	s_and_saveexec_b32 s64, s5
	s_cbranch_execz .LBB117_284
; %bb.187:                              ;   in Loop: Header=BB117_26 Depth=1
	v_cmp_eq_u64_e32 vcc_lo, 1, v[8:9]
	s_cmp_eq_u64 s[10:11], 1
                                        ; implicit-def: $sgpr66
                                        ; implicit-def: $sgpr65
	s_cselect_b32 s4, -1, 0
	s_wait_alu 0xfffe
	s_and_b32 s67, s4, vcc_lo
	s_mov_b32 s4, -1
	s_wait_alu 0xfffe
	s_and_saveexec_b32 s68, s67
	s_cbranch_execz .LBB117_223
; %bb.188:                              ;   in Loop: Header=BB117_26 Depth=1
	ds_load_b64 v[4:5], v19 offset:5120
	s_wait_loadcnt_dscnt 0x0
	s_barrier_signal -1
	s_barrier_wait -1
	global_inv scope:SCOPE_SE
	v_readfirstlane_b32 s4, v4
	v_readfirstlane_b32 s5, v5
	s_and_saveexec_b32 s14, s0
; %bb.189:                              ;   in Loop: Header=BB117_26 Depth=1
	v_mov_b32_e32 v18, v19
	ds_store_b64 v34, v[18:19]
; %bb.190:                              ;   in Loop: Header=BB117_26 Depth=1
	s_wait_alu 0xfffe
	s_or_b32 exec_lo, exec_lo, s14
	v_and_b32_e32 v2, s13, v23
	v_and_b32_e32 v4, s12, v22
	s_lshl_b64 s[14:15], 2, s81
	v_or_b32_e32 v25, s9, v25
	v_or_b32_e32 v24, s8, v24
	s_wait_alu 0xfffe
	v_or_b32_e32 v23, s15, v2
	v_or_b32_e32 v22, s14, v4
	s_mov_b32 s65, -1
	s_mov_b32 s66, 0
	s_cmp_eq_u64 s[4:5], 0
	s_mov_b32 s16, 0
	s_mov_b32 s17, -1
	s_wait_loadcnt_dscnt 0x0
	s_barrier_signal -1
	s_barrier_wait -1
	global_inv scope:SCOPE_SE
                                        ; implicit-def: $vgpr6_vgpr7
	s_cbranch_scc1 .LBB117_207
; %bb.191:                              ;   in Loop: Header=BB117_26 Depth=1
	s_add_nc_u64 s[14:15], s[4:5], s[58:59]
	s_mov_b32 s16, s57
	s_wait_alu 0xfffe
	s_mov_b32 s17, s15
	s_wait_alu 0xfffe
	s_cmp_lg_u64 s[16:17], 0
	s_cbranch_scc0 .LBB117_250
; %bb.192:                              ;   in Loop: Header=BB117_26 Depth=1
	s_cvt_f32_u32 s16, s54
	s_sub_nc_u64 s[70:71], 0, s[54:55]
	s_wait_alu 0xfffe
	s_delay_alu instid0(SALU_CYCLE_1) | instskip(SKIP_1) | instid1(SALU_CYCLE_2)
	s_fmamk_f32 s16, s83, 0x0, s16
	s_wait_alu 0xfffe
	v_s_rcp_f32 s16, s16
	s_delay_alu instid0(TRANS32_DEP_1) | instskip(SKIP_1) | instid1(SALU_CYCLE_2)
	s_mul_f32 s16, s16, 0x5f7ffffc
	s_wait_alu 0xfffe
	s_mul_f32 s17, s16, 0x2f800000
	s_wait_alu 0xfffe
	s_delay_alu instid0(SALU_CYCLE_2) | instskip(SKIP_1) | instid1(SALU_CYCLE_2)
	s_trunc_f32 s17, s17
	s_wait_alu 0xfffe
	s_fmamk_f32 s16, s17, 0xcf800000, s16
	s_cvt_u32_f32 s17, s17
	s_wait_alu 0xfffe
	s_delay_alu instid0(SALU_CYCLE_1) | instskip(SKIP_1) | instid1(SALU_CYCLE_2)
	s_cvt_u32_f32 s16, s16
	s_wait_alu 0xfffe
	s_mul_u64 s[72:73], s[70:71], s[16:17]
	s_wait_alu 0xfffe
	s_mul_hi_u32 s93, s16, s73
	s_mul_i32 s92, s16, s73
	s_mul_hi_u32 s56, s16, s72
	s_mul_i32 s91, s17, s72
	s_wait_alu 0xfffe
	s_add_nc_u64 s[92:93], s[56:57], s[92:93]
	s_mul_hi_u32 s69, s17, s72
	s_mul_hi_u32 s94, s17, s73
	s_wait_alu 0xfffe
	s_add_co_u32 s56, s92, s91
	s_add_co_ci_u32 s56, s93, s69
	s_mul_i32 s72, s17, s73
	s_add_co_ci_u32 s73, s94, 0
	s_wait_alu 0xfffe
	s_add_nc_u64 s[72:73], s[56:57], s[72:73]
	s_wait_alu 0xfffe
	s_add_co_u32 s16, s16, s72
	s_cselect_b32 s56, -1, 0
	s_wait_alu 0xfffe
	s_cmp_lg_u32 s56, 0
	s_add_co_ci_u32 s17, s17, s73
	s_wait_alu 0xfffe
	s_mul_u64 s[70:71], s[70:71], s[16:17]
	s_wait_alu 0xfffe
	s_mul_hi_u32 s73, s16, s71
	s_mul_i32 s72, s16, s71
	s_mul_hi_u32 s56, s16, s70
	s_mul_i32 s91, s17, s70
	s_wait_alu 0xfffe
	s_add_nc_u64 s[72:73], s[56:57], s[72:73]
	s_mul_hi_u32 s69, s17, s70
	s_mul_hi_u32 s92, s17, s71
	s_wait_alu 0xfffe
	s_add_co_u32 s56, s72, s91
	s_add_co_ci_u32 s56, s73, s69
	s_mul_i32 s70, s17, s71
	s_add_co_ci_u32 s71, s92, 0
	s_wait_alu 0xfffe
	s_add_nc_u64 s[70:71], s[56:57], s[70:71]
	s_wait_alu 0xfffe
	s_add_co_u32 s16, s16, s70
	s_cselect_b32 s69, -1, 0
	s_wait_alu 0xfffe
	s_mul_hi_u32 s56, s14, s16
	s_cmp_lg_u32 s69, 0
	s_mul_hi_u32 s69, s15, s16
	s_add_co_ci_u32 s70, s17, s71
	s_mul_i32 s71, s15, s16
	s_wait_alu 0xfffe
	s_mul_hi_u32 s17, s14, s70
	s_mul_i32 s16, s14, s70
	s_mul_hi_u32 s72, s15, s70
	s_wait_alu 0xfffe
	s_add_nc_u64 s[16:17], s[56:57], s[16:17]
	s_mul_i32 s70, s15, s70
	s_wait_alu 0xfffe
	s_add_co_u32 s16, s16, s71
	s_add_co_ci_u32 s56, s17, s69
	s_add_co_ci_u32 s71, s72, 0
	s_wait_alu 0xfffe
	s_add_nc_u64 s[16:17], s[56:57], s[70:71]
	s_wait_alu 0xfffe
	s_mul_u64 s[16:17], s[54:55], s[16:17]
	s_wait_alu 0xfffe
	s_sub_co_u32 s16, s14, s16
	s_cselect_b32 s56, -1, 0
	s_wait_alu 0xfffe
	s_cmp_lg_u32 s56, 0
	s_sub_co_ci_u32 s17, s15, s17
	s_sub_co_u32 s56, s16, s54
	s_cselect_b32 s69, -1, 0
	s_wait_alu 0xfffe
	s_cmp_lg_u32 s69, 0
	s_sub_co_ci_u32 s69, s17, 0
	s_sub_co_u32 s70, s56, s54
	s_cselect_b32 s71, -1, 0
	s_wait_alu 0xfffe
	s_cmp_lg_u32 s71, 0
	s_sub_co_ci_u32 s71, s69, 0
	s_cmp_ge_u32 s56, s54
	s_cselect_b32 s72, -1, 0
	s_cmp_eq_u32 s69, 0
	s_wait_alu 0xfffe
	s_cselect_b32 s72, s72, -1
	s_wait_alu 0xfffe
	s_cmp_lg_u32 s72, 0
	s_cselect_b32 s69, s71, s69
	s_cselect_b32 s56, s70, s56
	s_cmp_ge_u32 s16, s54
	s_cselect_b32 s70, -1, 0
	s_cmp_eq_u32 s17, 0
	s_wait_alu 0xfffe
	s_cselect_b32 s70, s70, -1
	s_wait_alu 0xfffe
	s_cmp_lg_u32 s70, 0
	s_cselect_b32 s17, s69, s17
	s_cselect_b32 s16, s56, s16
	s_cbranch_execnz .LBB117_194
.LBB117_193:                            ;   in Loop: Header=BB117_26 Depth=1
	v_cvt_f32_u32_e32 v2, s54
	s_sub_co_i32 s17, 0, s54
	s_delay_alu instid0(VALU_DEP_1) | instskip(NEXT) | instid1(TRANS32_DEP_1)
	v_rcp_iflag_f32_e32 v2, v2
	v_mul_f32_e32 v2, 0x4f7ffffe, v2
	s_delay_alu instid0(VALU_DEP_1) | instskip(NEXT) | instid1(VALU_DEP_1)
	v_cvt_u32_f32_e32 v2, v2
	v_readfirstlane_b32 s16, v2
	s_wait_alu 0xfffe
	s_mul_i32 s17, s17, s16
	s_wait_alu 0xfffe
	s_mul_hi_u32 s17, s16, s17
	s_wait_alu 0xfffe
	s_add_co_i32 s16, s16, s17
	s_wait_alu 0xfffe
	s_mul_hi_u32 s16, s14, s16
	s_wait_alu 0xfffe
	s_mul_i32 s16, s16, s54
	s_wait_alu 0xfffe
	s_sub_co_i32 s16, s14, s16
	s_wait_alu 0xfffe
	s_sub_co_i32 s17, s16, s54
	s_cmp_ge_u32 s16, s54
	s_wait_alu 0xfffe
	s_cselect_b32 s16, s17, s16
	s_wait_alu 0xfffe
	s_sub_co_i32 s17, s16, s54
	s_cmp_ge_u32 s16, s54
	s_wait_alu 0xfffe
	s_cselect_b32 s56, s17, s16
	s_wait_alu 0xfffe
	s_mov_b64 s[16:17], s[56:57]
.LBB117_194:                            ;   in Loop: Header=BB117_26 Depth=1
	s_wait_alu 0xfffe
	s_sub_nc_u64 s[14:15], s[14:15], s[16:17]
	s_mov_b32 s17, 0
	s_mov_b32 s16, 0
	s_mov_b32 s56, exec_lo
                                        ; implicit-def: $vgpr6_vgpr7
	s_wait_alu 0xfffe
	v_cmpx_gt_u64_e64 s[14:15], v[0:1]
	s_cbranch_execz .LBB117_206
; %bb.195:                              ;   in Loop: Header=BB117_26 Depth=1
	v_dual_mov_b32 v12, v33 :: v_dual_mov_b32 v11, v1
	v_mov_b32_e32 v10, v0
                                        ; implicit-def: $sgpr69
	s_branch .LBB117_199
.LBB117_196:                            ;   in Loop: Header=BB117_199 Depth=2
	s_wait_alu 0xfffe
	s_or_b32 exec_lo, exec_lo, s70
	s_wait_loadcnt_dscnt 0x0
	s_barrier_signal -1
	s_barrier_wait -1
	global_inv scope:SCOPE_SE
	ds_load_b128 v[4:7], v19 offset:3072
	s_wait_loadcnt_dscnt 0x0
	s_barrier_signal -1
	s_barrier_wait -1
	global_inv scope:SCOPE_SE
	v_cmp_neq_f64_e32 vcc_lo, 0, v[4:5]
	s_cbranch_vccnz .LBB117_202
; %bb.197:                              ;   in Loop: Header=BB117_199 Depth=2
	v_add_co_u32 v10, vcc_lo, v10, s54
	s_wait_alu 0xfffd
	v_add_co_ci_u32_e64 v11, null, 0, v11, vcc_lo
	v_add_nc_u32_e32 v12, s80, v12
	s_mov_b32 s70, 0
	s_delay_alu instid0(VALU_DEP_2)
	v_cmp_le_u64_e32 vcc_lo, s[14:15], v[10:11]
	s_or_not1_b32 s71, vcc_lo, exec_lo
.LBB117_198:                            ;   in Loop: Header=BB117_199 Depth=2
	s_wait_alu 0xfffe
	s_and_b32 s71, exec_lo, s71
	s_wait_alu 0xfffe
	s_or_b32 s16, s71, s16
	s_and_not1_b32 s69, s69, exec_lo
	s_and_b32 s70, s70, exec_lo
	s_wait_alu 0xfffe
	s_or_b32 s69, s69, s70
	s_and_not1_b32 exec_lo, exec_lo, s16
	s_cbranch_execz .LBB117_205
.LBB117_199:                            ;   Parent Loop BB117_26 Depth=1
                                        ; =>  This Inner Loop Header: Depth=2
	s_mov_b32 s70, exec_lo
	s_delay_alu instid0(VALU_DEP_1)
	v_cmpx_gt_u64_e64 s[4:5], v[10:11]
	s_cbranch_execz .LBB117_196
; %bb.200:                              ;   in Loop: Header=BB117_199 Depth=2
	ds_load_b64 v[4:5], v12
	s_wait_dscnt 0x0
	v_cmp_o_f64_e32 vcc_lo, v[4:5], v[4:5]
	v_ashrrev_i32_e32 v2, 31, v5
	s_delay_alu instid0(VALU_DEP_1) | instskip(SKIP_1) | instid1(VALU_DEP_2)
	v_or_b32_e32 v6, 0x80000000, v2
	v_xor_b32_e32 v2, v2, v4
	v_xor_b32_e32 v6, v6, v5
	s_wait_alu 0xfffd
	s_delay_alu instid0(VALU_DEP_1) | instskip(NEXT) | instid1(VALU_DEP_1)
	v_cndmask_b32_e32 v6, -1, v6, vcc_lo
	v_dual_cndmask_b32 v2, -1, v2 :: v_dual_and_b32 v7, v6, v25
	s_delay_alu instid0(VALU_DEP_1) | instskip(NEXT) | instid1(VALU_DEP_1)
	v_and_b32_e32 v6, v2, v24
	v_cmp_eq_u64_e32 vcc_lo, v[6:7], v[22:23]
	s_and_b32 exec_lo, exec_lo, vcc_lo
	s_cbranch_execz .LBB117_196
; %bb.201:                              ;   in Loop: Header=BB117_199 Depth=2
	v_mov_b32_e32 v2, v19
	ds_store_b128 v19, v[2:5] offset:3072
	s_branch .LBB117_196
.LBB117_202:                            ;   in Loop: Header=BB117_199 Depth=2
	s_mov_b32 s71, -1
	s_mov_b32 s70, -1
                                        ; implicit-def: $vgpr10_vgpr11
                                        ; implicit-def: $vgpr12
	s_branch .LBB117_198
.LBB117_203:                            ;   in Loop: Header=BB117_26 Depth=1
                                        ; implicit-def: $sgpr16_sgpr17
	s_branch .LBB117_142
.LBB117_204:                            ;   in Loop: Header=BB117_26 Depth=1
                                        ; implicit-def: $sgpr4_sgpr5
	s_branch .LBB117_162
.LBB117_205:                            ;   in Loop: Header=BB117_26 Depth=1
	s_or_b32 exec_lo, exec_lo, s16
	s_wait_alu 0xfffe
	s_and_b32 s16, s69, exec_lo
.LBB117_206:                            ;   in Loop: Header=BB117_26 Depth=1
	s_or_b32 exec_lo, exec_lo, s56
.LBB117_207:                            ;   in Loop: Header=BB117_26 Depth=1
	s_wait_alu 0xfffe
	s_and_b32 vcc_lo, exec_lo, s17
	s_wait_alu 0xfffe
	s_cbranch_vccz .LBB117_222
; %bb.208:                              ;   in Loop: Header=BB117_26 Depth=1
	s_mov_b32 s4, s57
	s_mov_b32 s5, s61
	s_wait_alu 0xfffe
	s_cmp_lg_u64 s[4:5], 0
	s_cbranch_scc0 .LBB117_251
; %bb.209:                              ;   in Loop: Header=BB117_26 Depth=1
	s_cvt_f32_u32 s4, s54
	s_sub_nc_u64 s[14:15], 0, s[54:55]
	s_wait_alu 0xfffe
	s_delay_alu instid0(SALU_CYCLE_1) | instskip(SKIP_1) | instid1(SALU_CYCLE_2)
	s_fmamk_f32 s4, s83, 0x0, s4
	s_wait_alu 0xfffe
	v_s_rcp_f32 s4, s4
	s_delay_alu instid0(TRANS32_DEP_1) | instskip(SKIP_1) | instid1(SALU_CYCLE_2)
	s_mul_f32 s4, s4, 0x5f7ffffc
	s_wait_alu 0xfffe
	s_mul_f32 s5, s4, 0x2f800000
	s_wait_alu 0xfffe
	s_delay_alu instid0(SALU_CYCLE_2) | instskip(SKIP_1) | instid1(SALU_CYCLE_2)
	s_trunc_f32 s5, s5
	s_wait_alu 0xfffe
	s_fmamk_f32 s4, s5, 0xcf800000, s4
	s_cvt_u32_f32 s5, s5
	s_wait_alu 0xfffe
	s_delay_alu instid0(SALU_CYCLE_1) | instskip(SKIP_1) | instid1(SALU_CYCLE_2)
	s_cvt_u32_f32 s4, s4
	s_wait_alu 0xfffe
	s_mul_u64 s[70:71], s[14:15], s[4:5]
	s_wait_alu 0xfffe
	s_mul_hi_u32 s73, s4, s71
	s_mul_i32 s72, s4, s71
	s_mul_hi_u32 s56, s4, s70
	s_mul_i32 s65, s5, s70
	s_wait_alu 0xfffe
	s_add_nc_u64 s[72:73], s[56:57], s[72:73]
	s_mul_hi_u32 s17, s5, s70
	s_mul_hi_u32 s66, s5, s71
	s_wait_alu 0xfffe
	s_add_co_u32 s56, s72, s65
	s_add_co_ci_u32 s56, s73, s17
	s_mul_i32 s70, s5, s71
	s_add_co_ci_u32 s71, s66, 0
	s_wait_alu 0xfffe
	s_add_nc_u64 s[70:71], s[56:57], s[70:71]
	s_wait_alu 0xfffe
	s_add_co_u32 s4, s4, s70
	s_cselect_b32 s17, -1, 0
	s_wait_alu 0xfffe
	s_cmp_lg_u32 s17, 0
	s_add_co_ci_u32 s5, s5, s71
	s_wait_alu 0xfffe
	s_mul_u64 s[14:15], s[14:15], s[4:5]
	s_wait_alu 0xfffe
	s_mul_hi_u32 s71, s4, s15
	s_mul_i32 s70, s4, s15
	s_mul_hi_u32 s56, s4, s14
	s_mul_i32 s65, s5, s14
	s_wait_alu 0xfffe
	s_add_nc_u64 s[70:71], s[56:57], s[70:71]
	s_mul_hi_u32 s17, s5, s14
	s_mul_hi_u32 s66, s5, s15
	s_mul_i32 s14, s5, s15
	s_wait_alu 0xfffe
	s_add_co_u32 s15, s70, s65
	s_add_co_ci_u32 s56, s71, s17
	s_add_co_ci_u32 s15, s66, 0
	s_wait_alu 0xfffe
	s_add_nc_u64 s[14:15], s[56:57], s[14:15]
	s_wait_alu 0xfffe
	s_add_co_u32 s4, s4, s14
	s_cselect_b32 s14, -1, 0
	s_wait_alu 0xfffe
	s_mul_hi_u32 s56, s60, s4
	s_cmp_lg_u32 s14, 0
	s_mul_hi_u32 s17, s61, s4
	s_add_co_ci_u32 s14, s5, s15
	s_mul_i32 s15, s61, s4
	s_wait_alu 0xfffe
	s_mul_hi_u32 s5, s60, s14
	s_mul_i32 s4, s60, s14
	s_mul_hi_u32 s65, s61, s14
	s_wait_alu 0xfffe
	s_add_nc_u64 s[4:5], s[56:57], s[4:5]
	s_mul_i32 s14, s61, s14
	s_wait_alu 0xfffe
	s_add_co_u32 s4, s4, s15
	s_add_co_ci_u32 s56, s5, s17
	s_add_co_ci_u32 s15, s65, 0
	s_wait_alu 0xfffe
	s_add_nc_u64 s[4:5], s[56:57], s[14:15]
	s_wait_alu 0xfffe
	s_mul_u64 s[4:5], s[54:55], s[4:5]
	s_wait_alu 0xfffe
	s_sub_co_u32 s4, s60, s4
	s_cselect_b32 s14, -1, 0
	s_wait_alu 0xfffe
	s_cmp_lg_u32 s14, 0
	s_sub_co_ci_u32 s5, s61, s5
	s_sub_co_u32 s14, s4, s54
	s_cselect_b32 s15, -1, 0
	s_wait_alu 0xfffe
	s_cmp_lg_u32 s15, 0
	s_sub_co_ci_u32 s15, s5, 0
	;; [unrolled: 5-line block ×3, first 2 shown]
	s_cmp_ge_u32 s14, s54
	s_cselect_b32 s65, -1, 0
	s_cmp_eq_u32 s15, 0
	s_cselect_b32 s65, s65, -1
	s_delay_alu instid0(SALU_CYCLE_1)
	s_cmp_lg_u32 s65, 0
	s_wait_alu 0xfffe
	s_cselect_b32 s15, s56, s15
	s_cselect_b32 s14, s17, s14
	s_cmp_ge_u32 s4, s54
	s_cselect_b32 s17, -1, 0
	s_cmp_eq_u32 s5, 0
	s_wait_alu 0xfffe
	s_cselect_b32 s17, s17, -1
	s_wait_alu 0xfffe
	s_cmp_lg_u32 s17, 0
	s_cselect_b32 s5, s15, s5
	s_cselect_b32 s4, s14, s4
	s_cbranch_execnz .LBB117_211
.LBB117_210:                            ;   in Loop: Header=BB117_26 Depth=1
	v_cvt_f32_u32_e32 v2, s54
	s_sub_co_i32 s5, 0, s54
	s_delay_alu instid0(VALU_DEP_1) | instskip(NEXT) | instid1(TRANS32_DEP_1)
	v_rcp_iflag_f32_e32 v2, v2
	v_mul_f32_e32 v2, 0x4f7ffffe, v2
	s_delay_alu instid0(VALU_DEP_1) | instskip(NEXT) | instid1(VALU_DEP_1)
	v_cvt_u32_f32_e32 v2, v2
	v_readfirstlane_b32 s4, v2
	s_wait_alu 0xfffe
	s_mul_i32 s5, s5, s4
	s_wait_alu 0xfffe
	s_mul_hi_u32 s5, s4, s5
	s_wait_alu 0xfffe
	s_add_co_i32 s4, s4, s5
	s_wait_alu 0xfffe
	s_mul_hi_u32 s4, s60, s4
	s_wait_alu 0xfffe
	s_mul_i32 s4, s4, s54
	s_wait_alu 0xfffe
	s_sub_co_i32 s4, s60, s4
	s_wait_alu 0xfffe
	s_sub_co_i32 s5, s4, s54
	s_cmp_ge_u32 s4, s54
	s_wait_alu 0xfffe
	s_cselect_b32 s4, s5, s4
	s_wait_alu 0xfffe
	s_sub_co_i32 s5, s4, s54
	s_cmp_ge_u32 s4, s54
	s_wait_alu 0xfffe
	s_cselect_b32 s56, s5, s4
	s_wait_alu 0xfffe
	s_mov_b64 s[4:5], s[56:57]
.LBB117_211:                            ;   in Loop: Header=BB117_26 Depth=1
	s_wait_alu 0xfffe
	s_sub_nc_u64 s[4:5], s[60:61], s[4:5]
	s_mov_b32 s14, exec_lo
                                        ; implicit-def: $vgpr6_vgpr7
	s_wait_alu 0xfffe
	v_cmpx_gt_u64_e64 s[4:5], v[0:1]
	s_cbranch_execz .LBB117_221
; %bb.212:                              ;   in Loop: Header=BB117_26 Depth=1
	v_dual_mov_b32 v11, v1 :: v_dual_mov_b32 v10, v0
	s_mov_b32 s15, 0
                                        ; implicit-def: $sgpr17
	s_branch .LBB117_216
.LBB117_213:                            ;   in Loop: Header=BB117_216 Depth=2
	s_wait_alu 0xfffe
	s_or_b32 exec_lo, exec_lo, s56
	s_wait_loadcnt_dscnt 0x0
	s_barrier_signal -1
	s_barrier_wait -1
	global_inv scope:SCOPE_SE
	ds_load_b128 v[4:7], v19 offset:3072
	s_wait_loadcnt_dscnt 0x0
	s_barrier_signal -1
	s_barrier_wait -1
	global_inv scope:SCOPE_SE
	v_cmp_eq_f64_e32 vcc_lo, 0, v[4:5]
	s_cbranch_vccz .LBB117_219
; %bb.214:                              ;   in Loop: Header=BB117_216 Depth=2
	v_add_co_u32 v10, vcc_lo, v10, s54
	s_wait_alu 0xfffd
	v_add_co_ci_u32_e64 v11, null, 0, v11, vcc_lo
	s_mov_b32 s56, 0
	v_cmp_le_u64_e32 vcc_lo, s[4:5], v[10:11]
	s_or_not1_b32 s65, vcc_lo, exec_lo
.LBB117_215:                            ;   in Loop: Header=BB117_216 Depth=2
	s_delay_alu instid0(SALU_CYCLE_1) | instskip(NEXT) | instid1(SALU_CYCLE_1)
	s_and_b32 s65, exec_lo, s65
	s_or_b32 s15, s65, s15
	s_and_not1_b32 s17, s17, exec_lo
	s_wait_alu 0xfffe
	s_and_b32 s56, s56, exec_lo
	s_wait_alu 0xfffe
	s_or_b32 s17, s17, s56
	s_and_not1_b32 exec_lo, exec_lo, s15
	s_cbranch_execz .LBB117_220
.LBB117_216:                            ;   Parent Loop BB117_26 Depth=1
                                        ; =>  This Inner Loop Header: Depth=2
	s_mov_b32 s56, exec_lo
	s_delay_alu instid0(VALU_DEP_1)
	v_cmpx_gt_u64_e64 s[24:25], v[10:11]
	s_cbranch_execz .LBB117_213
; %bb.217:                              ;   in Loop: Header=BB117_216 Depth=2
	v_mul_lo_u32 v2, v11, s40
	v_mul_lo_u32 v6, v10, s41
	v_mad_co_u64_u32 v[4:5], null, v10, s40, 0
	s_delay_alu instid0(VALU_DEP_1) | instskip(NEXT) | instid1(VALU_DEP_1)
	v_add3_u32 v5, v5, v6, v2
	v_lshlrev_b64_e32 v[4:5], 3, v[4:5]
	s_delay_alu instid0(VALU_DEP_1) | instskip(SKIP_1) | instid1(VALU_DEP_2)
	v_add_co_u32 v4, vcc_lo, s48, v4
	s_wait_alu 0xfffd
	v_add_co_ci_u32_e64 v5, null, s49, v5, vcc_lo
	global_load_b64 v[4:5], v[4:5], off
	s_wait_loadcnt 0x0
	v_cmp_o_f64_e32 vcc_lo, v[4:5], v[4:5]
	v_ashrrev_i32_e32 v2, 31, v5
	s_delay_alu instid0(VALU_DEP_1) | instskip(SKIP_1) | instid1(VALU_DEP_2)
	v_or_b32_e32 v6, 0x80000000, v2
	v_xor_b32_e32 v2, v2, v4
	v_xor_b32_e32 v6, v6, v5
	s_wait_alu 0xfffd
	s_delay_alu instid0(VALU_DEP_1) | instskip(NEXT) | instid1(VALU_DEP_1)
	v_cndmask_b32_e32 v6, -1, v6, vcc_lo
	v_dual_cndmask_b32 v2, -1, v2 :: v_dual_and_b32 v7, v6, v25
	s_delay_alu instid0(VALU_DEP_1) | instskip(NEXT) | instid1(VALU_DEP_1)
	v_and_b32_e32 v6, v2, v24
	v_cmp_eq_u64_e32 vcc_lo, v[6:7], v[22:23]
	s_and_b32 exec_lo, exec_lo, vcc_lo
	s_cbranch_execz .LBB117_213
; %bb.218:                              ;   in Loop: Header=BB117_216 Depth=2
	v_mov_b32_e32 v2, v19
	ds_store_b128 v19, v[2:5] offset:3072
	s_branch .LBB117_213
.LBB117_219:                            ;   in Loop: Header=BB117_216 Depth=2
	s_mov_b32 s65, -1
	s_mov_b32 s56, -1
                                        ; implicit-def: $vgpr10_vgpr11
	s_branch .LBB117_215
.LBB117_220:                            ;   in Loop: Header=BB117_26 Depth=1
	s_or_b32 exec_lo, exec_lo, s15
	s_delay_alu instid0(SALU_CYCLE_1)
	s_and_not1_b32 s4, s16, exec_lo
	s_wait_alu 0xfffe
	s_and_b32 s5, s17, exec_lo
	s_wait_alu 0xfffe
	s_or_b32 s16, s4, s5
.LBB117_221:                            ;   in Loop: Header=BB117_26 Depth=1
	s_or_b32 exec_lo, exec_lo, s14
	s_mov_b32 s65, 0
	s_mov_b32 s66, -1
.LBB117_222:                            ;   in Loop: Header=BB117_26 Depth=1
	s_wait_alu 0xfffe
	s_or_not1_b32 s4, s16, exec_lo
.LBB117_223:                            ;   in Loop: Header=BB117_26 Depth=1
	s_wait_alu 0xfffe
	s_or_b32 exec_lo, exec_lo, s68
	s_mov_b32 s5, 0
	s_and_saveexec_b32 s14, s4
	s_cbranch_execz .LBB117_283
; %bb.224:                              ;   in Loop: Header=BB117_26 Depth=1
	v_mov_b32_e32 v10, 1
	v_dual_mov_b32 v11, 0 :: v_dual_mov_b32 v14, 1
	s_xor_b32 s15, s67, -1
	s_wait_alu 0xfffe
	s_and_saveexec_b32 s4, s15
	s_cbranch_execz .LBB117_233
; %bb.225:                              ;   in Loop: Header=BB117_26 Depth=1
	s_mov_b32 s5, exec_lo
	v_cmpx_ge_u64_e64 s[10:11], v[8:9]
	s_wait_alu 0xfffe
	s_xor_b32 s5, exec_lo, s5
	s_cbranch_execz .LBB117_230
; %bb.226:                              ;   in Loop: Header=BB117_26 Depth=1
	ds_load_b64 v[4:5], v19 offset:5120
	v_and_b32_e32 v2, s13, v23
	v_and_b32_e32 v10, s12, v22
	s_lshl_b64 s[12:13], 2, s81
	v_or_b32_e32 v25, s9, v25
	v_or_b32_e32 v24, s8, v24
	s_wait_alu 0xfffe
	v_or_b32_e32 v23, s13, v2
	v_or_b32_e32 v22, s12, v10
	s_wait_dscnt 0x0
	v_cmp_ne_u64_e32 vcc_lo, 0, v[4:5]
	s_cbranch_vccnz .LBB117_230
; %bb.227:                              ;   in Loop: Header=BB117_26 Depth=1
	s_and_saveexec_b32 s12, s3
; %bb.228:                              ;   in Loop: Header=BB117_26 Depth=1
	v_dual_mov_b32 v4, s10 :: v_dual_mov_b32 v5, s11
	ds_store_b64 v19, v[4:5] offset:5128
; %bb.229:                              ;   in Loop: Header=BB117_26 Depth=1
	s_wait_alu 0xfffe
	s_or_b32 exec_lo, exec_lo, s12
	s_wait_loadcnt_dscnt 0x0
	s_barrier_signal -1
	s_barrier_wait -1
	global_inv scope:SCOPE_SE
.LBB117_230:                            ;   in Loop: Header=BB117_26 Depth=1
	s_wait_alu 0xfffe
	s_or_saveexec_b32 s5, s5
	v_mov_b32_e32 v14, 8
	s_mov_b32 s12, 0
	s_wait_alu 0xfffe
	s_xor_b32 exec_lo, exec_lo, s5
; %bb.231:                              ;   in Loop: Header=BB117_26 Depth=1
	v_sub_co_u32 v8, vcc_lo, v8, s10
	s_wait_alu 0xfffd
	v_subrev_co_ci_u32_e64 v9, null, s11, v9, vcc_lo
	v_mov_b32_e32 v14, 0
	s_mov_b32 s12, exec_lo
; %bb.232:                              ;   in Loop: Header=BB117_26 Depth=1
	s_or_b32 exec_lo, exec_lo, s5
	s_delay_alu instid0(VALU_DEP_2)
	v_dual_mov_b32 v11, v9 :: v_dual_mov_b32 v10, v8
	s_wait_alu 0xfffe
	s_and_b32 s5, s12, exec_lo
.LBB117_233:                            ;   in Loop: Header=BB117_26 Depth=1
	s_wait_alu 0xfffe
	s_or_b32 exec_lo, exec_lo, s4
	s_mov_b32 s4, -1
                                        ; implicit-def: $sgpr68
                                        ; implicit-def: $sgpr67
	s_and_saveexec_b32 s15, s5
	s_cbranch_execz .LBB117_282
; %bb.234:                              ;   in Loop: Header=BB117_26 Depth=1
	v_cmp_eq_u64_e32 vcc_lo, 1, v[10:11]
	s_cmp_eq_u64 s[6:7], 1
	s_mov_b32 s5, -1
	s_cselect_b32 s4, -1, 0
                                        ; implicit-def: $sgpr68
                                        ; implicit-def: $sgpr67
	s_wait_alu 0xfffe
	s_and_b32 s16, s4, vcc_lo
	s_wait_alu 0xfffe
	s_and_saveexec_b32 s17, s16
	s_cbranch_execz .LBB117_270
; %bb.235:                              ;   in Loop: Header=BB117_26 Depth=1
	ds_load_b64 v[4:5], v19 offset:5120
	s_wait_loadcnt_dscnt 0x0
	s_barrier_signal -1
	s_barrier_wait -1
	global_inv scope:SCOPE_SE
	v_readfirstlane_b32 s4, v4
	v_readfirstlane_b32 s5, v5
	s_and_saveexec_b32 s10, s0
; %bb.236:                              ;   in Loop: Header=BB117_26 Depth=1
	v_mov_b32_e32 v18, v19
	ds_store_b64 v34, v[18:19]
; %bb.237:                              ;   in Loop: Header=BB117_26 Depth=1
	s_wait_alu 0xfffe
	s_or_b32 exec_lo, exec_lo, s10
	v_or_b32_e32 v23, s9, v23
	v_or_b32_e32 v22, s8, v22
	;; [unrolled: 1-line block ×4, first 2 shown]
	s_mov_b32 s67, -1
	s_mov_b32 s68, 0
	s_cmp_eq_u64 s[4:5], 0
	s_mov_b32 s12, 0
	s_mov_b32 s13, -1
	s_wait_loadcnt_dscnt 0x0
	s_barrier_signal -1
	s_barrier_wait -1
	global_inv scope:SCOPE_SE
                                        ; implicit-def: $vgpr6_vgpr7
	s_cbranch_scc1 .LBB117_254
; %bb.238:                              ;   in Loop: Header=BB117_26 Depth=1
	s_add_nc_u64 s[10:11], s[4:5], s[58:59]
	s_mov_b32 s12, s57
	s_wait_alu 0xfffe
	s_mov_b32 s13, s11
	s_wait_alu 0xfffe
	s_cmp_lg_u64 s[12:13], 0
	s_cbranch_scc0 .LBB117_289
; %bb.239:                              ;   in Loop: Header=BB117_26 Depth=1
	s_cvt_f32_u32 s12, s54
	s_sub_nc_u64 s[70:71], 0, s[54:55]
	s_wait_alu 0xfffe
	s_delay_alu instid0(SALU_CYCLE_1) | instskip(SKIP_1) | instid1(SALU_CYCLE_2)
	s_fmamk_f32 s12, s83, 0x0, s12
	s_wait_alu 0xfffe
	v_s_rcp_f32 s12, s12
	s_delay_alu instid0(TRANS32_DEP_1) | instskip(SKIP_1) | instid1(SALU_CYCLE_2)
	s_mul_f32 s12, s12, 0x5f7ffffc
	s_wait_alu 0xfffe
	s_mul_f32 s13, s12, 0x2f800000
	s_wait_alu 0xfffe
	s_delay_alu instid0(SALU_CYCLE_2) | instskip(SKIP_1) | instid1(SALU_CYCLE_2)
	s_trunc_f32 s13, s13
	s_wait_alu 0xfffe
	s_fmamk_f32 s12, s13, 0xcf800000, s12
	s_cvt_u32_f32 s13, s13
	s_wait_alu 0xfffe
	s_delay_alu instid0(SALU_CYCLE_1) | instskip(SKIP_1) | instid1(SALU_CYCLE_2)
	s_cvt_u32_f32 s12, s12
	s_wait_alu 0xfffe
	s_mul_u64 s[72:73], s[70:71], s[12:13]
	s_wait_alu 0xfffe
	s_mul_hi_u32 s93, s12, s73
	s_mul_i32 s92, s12, s73
	s_mul_hi_u32 s56, s12, s72
	s_mul_i32 s91, s13, s72
	s_wait_alu 0xfffe
	s_add_nc_u64 s[92:93], s[56:57], s[92:93]
	s_mul_hi_u32 s69, s13, s72
	s_mul_hi_u32 s94, s13, s73
	s_wait_alu 0xfffe
	s_add_co_u32 s56, s92, s91
	s_add_co_ci_u32 s56, s93, s69
	s_mul_i32 s72, s13, s73
	s_add_co_ci_u32 s73, s94, 0
	s_wait_alu 0xfffe
	s_add_nc_u64 s[72:73], s[56:57], s[72:73]
	s_wait_alu 0xfffe
	s_add_co_u32 s12, s12, s72
	s_cselect_b32 s56, -1, 0
	s_wait_alu 0xfffe
	s_cmp_lg_u32 s56, 0
	s_add_co_ci_u32 s13, s13, s73
	s_wait_alu 0xfffe
	s_mul_u64 s[70:71], s[70:71], s[12:13]
	s_wait_alu 0xfffe
	s_mul_hi_u32 s73, s12, s71
	s_mul_i32 s72, s12, s71
	s_mul_hi_u32 s56, s12, s70
	s_mul_i32 s91, s13, s70
	s_wait_alu 0xfffe
	s_add_nc_u64 s[72:73], s[56:57], s[72:73]
	s_mul_hi_u32 s69, s13, s70
	s_mul_hi_u32 s92, s13, s71
	s_wait_alu 0xfffe
	s_add_co_u32 s56, s72, s91
	s_add_co_ci_u32 s56, s73, s69
	s_mul_i32 s70, s13, s71
	s_add_co_ci_u32 s71, s92, 0
	s_wait_alu 0xfffe
	s_add_nc_u64 s[70:71], s[56:57], s[70:71]
	s_wait_alu 0xfffe
	s_add_co_u32 s12, s12, s70
	s_cselect_b32 s69, -1, 0
	s_wait_alu 0xfffe
	s_mul_hi_u32 s56, s10, s12
	s_cmp_lg_u32 s69, 0
	s_mul_hi_u32 s69, s11, s12
	s_add_co_ci_u32 s70, s13, s71
	s_mul_i32 s71, s11, s12
	s_wait_alu 0xfffe
	s_mul_hi_u32 s13, s10, s70
	s_mul_i32 s12, s10, s70
	s_mul_hi_u32 s72, s11, s70
	s_wait_alu 0xfffe
	s_add_nc_u64 s[12:13], s[56:57], s[12:13]
	s_mul_i32 s70, s11, s70
	s_wait_alu 0xfffe
	s_add_co_u32 s12, s12, s71
	s_add_co_ci_u32 s56, s13, s69
	s_add_co_ci_u32 s71, s72, 0
	s_wait_alu 0xfffe
	s_add_nc_u64 s[12:13], s[56:57], s[70:71]
	s_wait_alu 0xfffe
	s_mul_u64 s[12:13], s[54:55], s[12:13]
	s_wait_alu 0xfffe
	s_sub_co_u32 s12, s10, s12
	s_cselect_b32 s56, -1, 0
	s_wait_alu 0xfffe
	s_cmp_lg_u32 s56, 0
	s_sub_co_ci_u32 s13, s11, s13
	s_sub_co_u32 s56, s12, s54
	s_cselect_b32 s69, -1, 0
	s_wait_alu 0xfffe
	s_cmp_lg_u32 s69, 0
	s_sub_co_ci_u32 s69, s13, 0
	;; [unrolled: 5-line block ×3, first 2 shown]
	s_cmp_ge_u32 s56, s54
	s_cselect_b32 s72, -1, 0
	s_cmp_eq_u32 s69, 0
	s_wait_alu 0xfffe
	s_cselect_b32 s72, s72, -1
	s_wait_alu 0xfffe
	s_cmp_lg_u32 s72, 0
	s_cselect_b32 s69, s71, s69
	s_cselect_b32 s56, s70, s56
	s_cmp_ge_u32 s12, s54
	s_cselect_b32 s70, -1, 0
	s_cmp_eq_u32 s13, 0
	s_wait_alu 0xfffe
	s_cselect_b32 s70, s70, -1
	s_wait_alu 0xfffe
	s_cmp_lg_u32 s70, 0
	s_cselect_b32 s13, s69, s13
	s_cselect_b32 s12, s56, s12
	s_cbranch_execnz .LBB117_241
.LBB117_240:                            ;   in Loop: Header=BB117_26 Depth=1
	v_cvt_f32_u32_e32 v2, s54
	s_sub_co_i32 s13, 0, s54
	s_delay_alu instid0(VALU_DEP_1) | instskip(NEXT) | instid1(TRANS32_DEP_1)
	v_rcp_iflag_f32_e32 v2, v2
	v_mul_f32_e32 v2, 0x4f7ffffe, v2
	s_delay_alu instid0(VALU_DEP_1) | instskip(NEXT) | instid1(VALU_DEP_1)
	v_cvt_u32_f32_e32 v2, v2
	v_readfirstlane_b32 s12, v2
	s_wait_alu 0xfffe
	s_mul_i32 s13, s13, s12
	s_wait_alu 0xfffe
	s_mul_hi_u32 s13, s12, s13
	s_wait_alu 0xfffe
	s_add_co_i32 s12, s12, s13
	s_wait_alu 0xfffe
	s_mul_hi_u32 s12, s10, s12
	s_wait_alu 0xfffe
	s_mul_i32 s12, s12, s54
	s_wait_alu 0xfffe
	s_sub_co_i32 s12, s10, s12
	s_wait_alu 0xfffe
	s_sub_co_i32 s13, s12, s54
	s_cmp_ge_u32 s12, s54
	s_wait_alu 0xfffe
	s_cselect_b32 s12, s13, s12
	s_wait_alu 0xfffe
	s_sub_co_i32 s13, s12, s54
	s_cmp_ge_u32 s12, s54
	s_wait_alu 0xfffe
	s_cselect_b32 s56, s13, s12
	s_wait_alu 0xfffe
	s_mov_b64 s[12:13], s[56:57]
.LBB117_241:                            ;   in Loop: Header=BB117_26 Depth=1
	s_wait_alu 0xfffe
	s_sub_nc_u64 s[10:11], s[10:11], s[12:13]
	s_mov_b32 s13, 0
	s_mov_b32 s12, 0
	s_mov_b32 s56, exec_lo
                                        ; implicit-def: $vgpr6_vgpr7
	s_wait_alu 0xfffe
	v_cmpx_gt_u64_e64 s[10:11], v[0:1]
	s_cbranch_execz .LBB117_253
; %bb.242:                              ;   in Loop: Header=BB117_26 Depth=1
	v_dual_mov_b32 v12, v33 :: v_dual_mov_b32 v9, v1
	v_mov_b32_e32 v8, v0
                                        ; implicit-def: $sgpr69
	s_branch .LBB117_246
.LBB117_243:                            ;   in Loop: Header=BB117_246 Depth=2
	s_wait_alu 0xfffe
	s_or_b32 exec_lo, exec_lo, s70
	s_wait_loadcnt_dscnt 0x0
	s_barrier_signal -1
	s_barrier_wait -1
	global_inv scope:SCOPE_SE
	ds_load_b128 v[4:7], v19 offset:3072
	s_wait_loadcnt_dscnt 0x0
	s_barrier_signal -1
	s_barrier_wait -1
	global_inv scope:SCOPE_SE
	v_cmp_neq_f64_e32 vcc_lo, 0, v[4:5]
	s_cbranch_vccnz .LBB117_249
; %bb.244:                              ;   in Loop: Header=BB117_246 Depth=2
	v_add_co_u32 v8, vcc_lo, v8, s54
	s_wait_alu 0xfffd
	v_add_co_ci_u32_e64 v9, null, 0, v9, vcc_lo
	v_add_nc_u32_e32 v12, s80, v12
	s_mov_b32 s70, 0
	s_delay_alu instid0(VALU_DEP_2)
	v_cmp_le_u64_e32 vcc_lo, s[10:11], v[8:9]
	s_or_not1_b32 s71, vcc_lo, exec_lo
.LBB117_245:                            ;   in Loop: Header=BB117_246 Depth=2
	s_wait_alu 0xfffe
	s_and_b32 s71, exec_lo, s71
	s_wait_alu 0xfffe
	s_or_b32 s12, s71, s12
	s_and_not1_b32 s69, s69, exec_lo
	s_and_b32 s70, s70, exec_lo
	s_wait_alu 0xfffe
	s_or_b32 s69, s69, s70
	s_and_not1_b32 exec_lo, exec_lo, s12
	s_cbranch_execz .LBB117_252
.LBB117_246:                            ;   Parent Loop BB117_26 Depth=1
                                        ; =>  This Inner Loop Header: Depth=2
	s_mov_b32 s70, exec_lo
	s_delay_alu instid0(VALU_DEP_1)
	v_cmpx_gt_u64_e64 s[4:5], v[8:9]
	s_cbranch_execz .LBB117_243
; %bb.247:                              ;   in Loop: Header=BB117_246 Depth=2
	ds_load_b64 v[4:5], v12
	s_wait_dscnt 0x0
	v_cmp_o_f64_e32 vcc_lo, v[4:5], v[4:5]
	v_ashrrev_i32_e32 v2, 31, v5
	s_delay_alu instid0(VALU_DEP_1) | instskip(SKIP_1) | instid1(VALU_DEP_2)
	v_or_b32_e32 v6, 0x80000000, v2
	v_xor_b32_e32 v2, v2, v4
	v_xor_b32_e32 v6, v6, v5
	s_wait_alu 0xfffd
	s_delay_alu instid0(VALU_DEP_1) | instskip(NEXT) | instid1(VALU_DEP_1)
	v_cndmask_b32_e32 v6, -1, v6, vcc_lo
	v_dual_cndmask_b32 v2, -1, v2 :: v_dual_and_b32 v7, v6, v25
	s_delay_alu instid0(VALU_DEP_1) | instskip(NEXT) | instid1(VALU_DEP_1)
	v_and_b32_e32 v6, v2, v24
	v_cmp_eq_u64_e32 vcc_lo, v[6:7], v[22:23]
	s_and_b32 exec_lo, exec_lo, vcc_lo
	s_cbranch_execz .LBB117_243
; %bb.248:                              ;   in Loop: Header=BB117_246 Depth=2
	v_mov_b32_e32 v2, v19
	ds_store_b128 v19, v[2:5] offset:3072
	s_branch .LBB117_243
.LBB117_249:                            ;   in Loop: Header=BB117_246 Depth=2
	s_mov_b32 s71, -1
	s_mov_b32 s70, -1
                                        ; implicit-def: $vgpr8_vgpr9
                                        ; implicit-def: $vgpr12
	s_branch .LBB117_245
.LBB117_250:                            ;   in Loop: Header=BB117_26 Depth=1
                                        ; implicit-def: $sgpr16_sgpr17
	s_branch .LBB117_193
.LBB117_251:                            ;   in Loop: Header=BB117_26 Depth=1
                                        ; implicit-def: $sgpr4_sgpr5
	s_branch .LBB117_210
.LBB117_252:                            ;   in Loop: Header=BB117_26 Depth=1
	s_or_b32 exec_lo, exec_lo, s12
	s_wait_alu 0xfffe
	s_and_b32 s12, s69, exec_lo
.LBB117_253:                            ;   in Loop: Header=BB117_26 Depth=1
	s_or_b32 exec_lo, exec_lo, s56
.LBB117_254:                            ;   in Loop: Header=BB117_26 Depth=1
	s_wait_alu 0xfffe
	s_and_b32 vcc_lo, exec_lo, s13
	s_wait_alu 0xfffe
	s_cbranch_vccz .LBB117_269
; %bb.255:                              ;   in Loop: Header=BB117_26 Depth=1
	s_mov_b32 s4, s57
	s_mov_b32 s5, s61
	s_wait_alu 0xfffe
	s_cmp_lg_u64 s[4:5], 0
	s_cbranch_scc0 .LBB117_290
; %bb.256:                              ;   in Loop: Header=BB117_26 Depth=1
	s_cvt_f32_u32 s4, s54
	s_sub_nc_u64 s[10:11], 0, s[54:55]
	s_wait_alu 0xfffe
	s_delay_alu instid0(SALU_CYCLE_1) | instskip(SKIP_1) | instid1(SALU_CYCLE_2)
	s_fmamk_f32 s4, s83, 0x0, s4
	s_wait_alu 0xfffe
	v_s_rcp_f32 s4, s4
	s_delay_alu instid0(TRANS32_DEP_1) | instskip(SKIP_1) | instid1(SALU_CYCLE_2)
	s_mul_f32 s4, s4, 0x5f7ffffc
	s_wait_alu 0xfffe
	s_mul_f32 s5, s4, 0x2f800000
	s_wait_alu 0xfffe
	s_delay_alu instid0(SALU_CYCLE_2) | instskip(SKIP_1) | instid1(SALU_CYCLE_2)
	s_trunc_f32 s5, s5
	s_wait_alu 0xfffe
	s_fmamk_f32 s4, s5, 0xcf800000, s4
	s_cvt_u32_f32 s5, s5
	s_wait_alu 0xfffe
	s_delay_alu instid0(SALU_CYCLE_1) | instskip(SKIP_1) | instid1(SALU_CYCLE_2)
	s_cvt_u32_f32 s4, s4
	s_wait_alu 0xfffe
	s_mul_u64 s[68:69], s[10:11], s[4:5]
	s_wait_alu 0xfffe
	s_mul_hi_u32 s71, s4, s69
	s_mul_i32 s70, s4, s69
	s_mul_hi_u32 s56, s4, s68
	s_mul_i32 s67, s5, s68
	s_wait_alu 0xfffe
	s_add_nc_u64 s[70:71], s[56:57], s[70:71]
	s_mul_hi_u32 s13, s5, s68
	s_mul_hi_u32 s72, s5, s69
	s_wait_alu 0xfffe
	s_add_co_u32 s56, s70, s67
	s_add_co_ci_u32 s56, s71, s13
	s_mul_i32 s68, s5, s69
	s_add_co_ci_u32 s69, s72, 0
	s_wait_alu 0xfffe
	s_add_nc_u64 s[68:69], s[56:57], s[68:69]
	s_wait_alu 0xfffe
	s_add_co_u32 s4, s4, s68
	s_cselect_b32 s13, -1, 0
	s_wait_alu 0xfffe
	s_cmp_lg_u32 s13, 0
	s_add_co_ci_u32 s5, s5, s69
	s_wait_alu 0xfffe
	s_mul_u64 s[10:11], s[10:11], s[4:5]
	s_wait_alu 0xfffe
	s_mul_hi_u32 s69, s4, s11
	s_mul_i32 s68, s4, s11
	s_mul_hi_u32 s56, s4, s10
	s_mul_i32 s67, s5, s10
	s_wait_alu 0xfffe
	s_add_nc_u64 s[68:69], s[56:57], s[68:69]
	s_mul_hi_u32 s13, s5, s10
	s_mul_hi_u32 s70, s5, s11
	s_mul_i32 s10, s5, s11
	s_wait_alu 0xfffe
	s_add_co_u32 s11, s68, s67
	s_add_co_ci_u32 s56, s69, s13
	s_add_co_ci_u32 s11, s70, 0
	s_wait_alu 0xfffe
	s_add_nc_u64 s[10:11], s[56:57], s[10:11]
	s_wait_alu 0xfffe
	s_add_co_u32 s4, s4, s10
	s_cselect_b32 s10, -1, 0
	s_wait_alu 0xfffe
	s_mul_hi_u32 s56, s60, s4
	s_cmp_lg_u32 s10, 0
	s_mul_hi_u32 s13, s61, s4
	s_add_co_ci_u32 s10, s5, s11
	s_mul_i32 s11, s61, s4
	s_wait_alu 0xfffe
	s_mul_hi_u32 s5, s60, s10
	s_mul_i32 s4, s60, s10
	s_mul_hi_u32 s67, s61, s10
	s_wait_alu 0xfffe
	s_add_nc_u64 s[4:5], s[56:57], s[4:5]
	s_mul_i32 s10, s61, s10
	s_wait_alu 0xfffe
	s_add_co_u32 s4, s4, s11
	s_add_co_ci_u32 s56, s5, s13
	s_add_co_ci_u32 s11, s67, 0
	s_wait_alu 0xfffe
	s_add_nc_u64 s[4:5], s[56:57], s[10:11]
	s_wait_alu 0xfffe
	s_mul_u64 s[4:5], s[54:55], s[4:5]
	s_wait_alu 0xfffe
	s_sub_co_u32 s4, s60, s4
	s_cselect_b32 s10, -1, 0
	s_wait_alu 0xfffe
	s_cmp_lg_u32 s10, 0
	s_sub_co_ci_u32 s5, s61, s5
	s_sub_co_u32 s10, s4, s54
	s_cselect_b32 s11, -1, 0
	s_wait_alu 0xfffe
	s_cmp_lg_u32 s11, 0
	s_sub_co_ci_u32 s11, s5, 0
	;; [unrolled: 5-line block ×3, first 2 shown]
	s_cmp_ge_u32 s10, s54
	s_cselect_b32 s67, -1, 0
	s_cmp_eq_u32 s11, 0
	s_wait_alu 0xfffe
	s_cselect_b32 s67, s67, -1
	s_wait_alu 0xfffe
	s_cmp_lg_u32 s67, 0
	s_cselect_b32 s11, s56, s11
	s_cselect_b32 s10, s13, s10
	s_cmp_ge_u32 s4, s54
	s_cselect_b32 s13, -1, 0
	s_cmp_eq_u32 s5, 0
	s_wait_alu 0xfffe
	s_cselect_b32 s13, s13, -1
	s_wait_alu 0xfffe
	s_cmp_lg_u32 s13, 0
	s_cselect_b32 s5, s11, s5
	s_cselect_b32 s4, s10, s4
	s_cbranch_execnz .LBB117_258
.LBB117_257:                            ;   in Loop: Header=BB117_26 Depth=1
	v_cvt_f32_u32_e32 v2, s54
	s_sub_co_i32 s5, 0, s54
	s_delay_alu instid0(VALU_DEP_1) | instskip(NEXT) | instid1(TRANS32_DEP_1)
	v_rcp_iflag_f32_e32 v2, v2
	v_mul_f32_e32 v2, 0x4f7ffffe, v2
	s_delay_alu instid0(VALU_DEP_1) | instskip(NEXT) | instid1(VALU_DEP_1)
	v_cvt_u32_f32_e32 v2, v2
	v_readfirstlane_b32 s4, v2
	s_wait_alu 0xfffe
	s_mul_i32 s5, s5, s4
	s_wait_alu 0xfffe
	s_mul_hi_u32 s5, s4, s5
	s_wait_alu 0xfffe
	s_add_co_i32 s4, s4, s5
	s_wait_alu 0xfffe
	s_mul_hi_u32 s4, s60, s4
	s_wait_alu 0xfffe
	s_mul_i32 s4, s4, s54
	s_wait_alu 0xfffe
	s_sub_co_i32 s4, s60, s4
	s_wait_alu 0xfffe
	s_sub_co_i32 s5, s4, s54
	s_cmp_ge_u32 s4, s54
	s_wait_alu 0xfffe
	s_cselect_b32 s4, s5, s4
	s_wait_alu 0xfffe
	s_sub_co_i32 s5, s4, s54
	s_cmp_ge_u32 s4, s54
	s_wait_alu 0xfffe
	s_cselect_b32 s56, s5, s4
	s_wait_alu 0xfffe
	s_mov_b64 s[4:5], s[56:57]
.LBB117_258:                            ;   in Loop: Header=BB117_26 Depth=1
	s_wait_alu 0xfffe
	s_sub_nc_u64 s[4:5], s[60:61], s[4:5]
	s_mov_b32 s10, exec_lo
                                        ; implicit-def: $vgpr6_vgpr7
	s_wait_alu 0xfffe
	v_cmpx_gt_u64_e64 s[4:5], v[0:1]
	s_cbranch_execz .LBB117_268
; %bb.259:                              ;   in Loop: Header=BB117_26 Depth=1
	v_dual_mov_b32 v9, v1 :: v_dual_mov_b32 v8, v0
	s_mov_b32 s11, 0
                                        ; implicit-def: $sgpr13
	s_branch .LBB117_263
.LBB117_260:                            ;   in Loop: Header=BB117_263 Depth=2
	s_wait_alu 0xfffe
	s_or_b32 exec_lo, exec_lo, s56
	s_wait_loadcnt_dscnt 0x0
	s_barrier_signal -1
	s_barrier_wait -1
	global_inv scope:SCOPE_SE
	ds_load_b128 v[4:7], v19 offset:3072
	s_wait_loadcnt_dscnt 0x0
	s_barrier_signal -1
	s_barrier_wait -1
	global_inv scope:SCOPE_SE
	v_cmp_eq_f64_e32 vcc_lo, 0, v[4:5]
	s_cbranch_vccz .LBB117_266
; %bb.261:                              ;   in Loop: Header=BB117_263 Depth=2
	v_add_co_u32 v8, vcc_lo, v8, s54
	s_wait_alu 0xfffd
	v_add_co_ci_u32_e64 v9, null, 0, v9, vcc_lo
	s_mov_b32 s56, 0
	v_cmp_le_u64_e32 vcc_lo, s[4:5], v[8:9]
	s_or_not1_b32 s67, vcc_lo, exec_lo
.LBB117_262:                            ;   in Loop: Header=BB117_263 Depth=2
	s_wait_alu 0xfffe
	s_and_b32 s67, exec_lo, s67
	s_wait_alu 0xfffe
	s_or_b32 s11, s67, s11
	s_and_not1_b32 s13, s13, exec_lo
	s_and_b32 s56, s56, exec_lo
	s_wait_alu 0xfffe
	s_or_b32 s13, s13, s56
	s_and_not1_b32 exec_lo, exec_lo, s11
	s_cbranch_execz .LBB117_267
.LBB117_263:                            ;   Parent Loop BB117_26 Depth=1
                                        ; =>  This Inner Loop Header: Depth=2
	s_mov_b32 s56, exec_lo
	s_delay_alu instid0(VALU_DEP_1)
	v_cmpx_gt_u64_e64 s[24:25], v[8:9]
	s_cbranch_execz .LBB117_260
; %bb.264:                              ;   in Loop: Header=BB117_263 Depth=2
	v_mul_lo_u32 v2, v9, s40
	v_mul_lo_u32 v6, v8, s41
	v_mad_co_u64_u32 v[4:5], null, v8, s40, 0
	s_delay_alu instid0(VALU_DEP_1) | instskip(NEXT) | instid1(VALU_DEP_1)
	v_add3_u32 v5, v5, v6, v2
	v_lshlrev_b64_e32 v[4:5], 3, v[4:5]
	s_delay_alu instid0(VALU_DEP_1) | instskip(SKIP_1) | instid1(VALU_DEP_2)
	v_add_co_u32 v4, vcc_lo, s48, v4
	s_wait_alu 0xfffd
	v_add_co_ci_u32_e64 v5, null, s49, v5, vcc_lo
	global_load_b64 v[4:5], v[4:5], off
	s_wait_loadcnt 0x0
	v_cmp_o_f64_e32 vcc_lo, v[4:5], v[4:5]
	v_ashrrev_i32_e32 v2, 31, v5
	s_delay_alu instid0(VALU_DEP_1) | instskip(SKIP_1) | instid1(VALU_DEP_2)
	v_or_b32_e32 v6, 0x80000000, v2
	v_xor_b32_e32 v2, v2, v4
	v_xor_b32_e32 v6, v6, v5
	s_wait_alu 0xfffd
	s_delay_alu instid0(VALU_DEP_1) | instskip(NEXT) | instid1(VALU_DEP_1)
	v_cndmask_b32_e32 v6, -1, v6, vcc_lo
	v_dual_cndmask_b32 v2, -1, v2 :: v_dual_and_b32 v7, v6, v25
	s_delay_alu instid0(VALU_DEP_1) | instskip(NEXT) | instid1(VALU_DEP_1)
	v_and_b32_e32 v6, v2, v24
	v_cmp_eq_u64_e32 vcc_lo, v[6:7], v[22:23]
	s_and_b32 exec_lo, exec_lo, vcc_lo
	s_cbranch_execz .LBB117_260
; %bb.265:                              ;   in Loop: Header=BB117_263 Depth=2
	v_mov_b32_e32 v2, v19
	ds_store_b128 v19, v[2:5] offset:3072
	s_branch .LBB117_260
.LBB117_266:                            ;   in Loop: Header=BB117_263 Depth=2
	s_mov_b32 s67, -1
	s_mov_b32 s56, -1
                                        ; implicit-def: $vgpr8_vgpr9
	s_branch .LBB117_262
.LBB117_267:                            ;   in Loop: Header=BB117_26 Depth=1
	s_or_b32 exec_lo, exec_lo, s11
	s_delay_alu instid0(SALU_CYCLE_1)
	s_and_not1_b32 s4, s12, exec_lo
	s_wait_alu 0xfffe
	s_and_b32 s5, s13, exec_lo
	s_wait_alu 0xfffe
	s_or_b32 s12, s4, s5
.LBB117_268:                            ;   in Loop: Header=BB117_26 Depth=1
	s_or_b32 exec_lo, exec_lo, s10
	s_mov_b32 s67, 0
	s_mov_b32 s68, -1
.LBB117_269:                            ;   in Loop: Header=BB117_26 Depth=1
	s_wait_alu 0xfffe
	s_or_not1_b32 s5, s12, exec_lo
.LBB117_270:                            ;   in Loop: Header=BB117_26 Depth=1
	s_wait_alu 0xfffe
	s_or_b32 exec_lo, exec_lo, s17
	s_mov_b32 s10, 0
	s_and_saveexec_b32 s4, s5
	s_cbranch_execz .LBB117_281
; %bb.271:                              ;   in Loop: Header=BB117_26 Depth=1
	v_mov_b32_e32 v4, 1
	v_dual_mov_b32 v5, 0 :: v_dual_mov_b32 v14, 1
	s_xor_b32 s10, s16, -1
	s_wait_alu 0xfffe
	s_and_saveexec_b32 s5, s10
	s_cbranch_execz .LBB117_280
; %bb.272:                              ;   in Loop: Header=BB117_26 Depth=1
	s_mov_b32 s10, exec_lo
	v_cmpx_ge_u64_e64 s[6:7], v[10:11]
	s_wait_alu 0xfffe
	s_xor_b32 s10, exec_lo, s10
	s_cbranch_execz .LBB117_277
; %bb.273:                              ;   in Loop: Header=BB117_26 Depth=1
	ds_load_b64 v[4:5], v19 offset:5120
	v_or_b32_e32 v23, s9, v23
	v_or_b32_e32 v22, s8, v22
	;; [unrolled: 1-line block ×4, first 2 shown]
	s_wait_dscnt 0x0
	v_cmp_ne_u64_e32 vcc_lo, 0, v[4:5]
	s_cbranch_vccnz .LBB117_277
; %bb.274:                              ;   in Loop: Header=BB117_26 Depth=1
	s_and_saveexec_b32 s8, s3
; %bb.275:                              ;   in Loop: Header=BB117_26 Depth=1
	v_dual_mov_b32 v4, s6 :: v_dual_mov_b32 v5, s7
	ds_store_b64 v19, v[4:5] offset:5128
; %bb.276:                              ;   in Loop: Header=BB117_26 Depth=1
	s_wait_alu 0xfffe
	s_or_b32 exec_lo, exec_lo, s8
	s_wait_loadcnt_dscnt 0x0
	s_barrier_signal -1
	s_barrier_wait -1
	global_inv scope:SCOPE_SE
.LBB117_277:                            ;   in Loop: Header=BB117_26 Depth=1
	s_wait_alu 0xfffe
	s_and_not1_saveexec_b32 s8, s10
; %bb.278:                              ;   in Loop: Header=BB117_26 Depth=1
	v_sub_co_u32 v10, vcc_lo, v10, s6
	s_wait_alu 0xfffd
	v_subrev_co_ci_u32_e64 v11, null, s7, v11, vcc_lo
; %bb.279:                              ;   in Loop: Header=BB117_26 Depth=1
	s_wait_alu 0xfffe
	s_or_b32 exec_lo, exec_lo, s8
	v_mov_b32_e32 v4, v10
	s_delay_alu instid0(VALU_DEP_2)
	v_dual_mov_b32 v14, 8 :: v_dual_mov_b32 v5, v11
.LBB117_280:                            ;   in Loop: Header=BB117_26 Depth=1
	s_wait_alu 0xfffe
	s_or_b32 exec_lo, exec_lo, s5
	s_delay_alu instid0(VALU_DEP_1)
	v_dual_mov_b32 v11, v5 :: v_dual_mov_b32 v10, v4
	s_mov_b32 s10, exec_lo
.LBB117_281:                            ;   in Loop: Header=BB117_26 Depth=1
	s_wait_alu 0xfffe
	s_or_b32 exec_lo, exec_lo, s4
	s_delay_alu instid0(SALU_CYCLE_1)
	s_or_not1_b32 s4, s10, exec_lo
.LBB117_282:                            ;   in Loop: Header=BB117_26 Depth=1
	s_wait_alu 0xfffe
	s_or_b32 exec_lo, exec_lo, s15
	v_dual_mov_b32 v8, v10 :: v_dual_mov_b32 v9, v11
	s_and_not1_b32 s5, s66, exec_lo
	s_and_b32 s6, s68, exec_lo
	s_and_not1_b32 s7, s65, exec_lo
	s_and_b32 s8, s67, exec_lo
	s_wait_alu 0xfffe
	s_or_b32 s66, s5, s6
	s_or_b32 s65, s7, s8
	s_and_b32 s5, s4, exec_lo
.LBB117_283:                            ;   in Loop: Header=BB117_26 Depth=1
	s_wait_alu 0xfffe
	s_or_b32 exec_lo, exec_lo, s14
	s_delay_alu instid0(SALU_CYCLE_1)
	s_or_not1_b32 s4, s5, exec_lo
.LBB117_284:                            ;   in Loop: Header=BB117_26 Depth=1
	s_or_b32 exec_lo, exec_lo, s64
	v_dual_mov_b32 v13, v9 :: v_dual_mov_b32 v12, v8
	s_and_not1_b32 s5, s22, exec_lo
	s_and_b32 s6, s66, exec_lo
	s_and_not1_b32 s7, s21, exec_lo
	s_and_b32 s8, s65, exec_lo
	s_wait_alu 0xfffe
	s_or_b32 s22, s5, s6
	s_or_b32 s21, s7, s8
	s_and_b32 s5, s4, exec_lo
.LBB117_285:                            ;   in Loop: Header=BB117_26 Depth=1
	s_wait_alu 0xfffe
	s_or_b32 exec_lo, exec_lo, s23
	s_delay_alu instid0(SALU_CYCLE_1)
	s_or_not1_b32 s4, s5, exec_lo
.LBB117_286:                            ;   in Loop: Header=BB117_26 Depth=1
	s_wait_alu 0xfffe
	s_or_b32 exec_lo, exec_lo, s20
	s_mov_b32 s5, 0
	s_and_saveexec_b32 s6, s4
	s_wait_alu 0xfffe
	s_xor_b32 s4, exec_lo, s6
	s_cbranch_execz .LBB117_24
; %bb.287:                              ;   in Loop: Header=BB117_26 Depth=1
	v_and_b32_e32 v2, 7, v14
	s_mov_b32 s6, -1
	s_mov_b32 s5, -1
	s_mov_b32 s7, exec_lo
	s_delay_alu instid0(VALU_DEP_1)
	v_cmpx_eq_u32_e32 0, v2
	s_cbranch_execz .LBB117_23
; %bb.288:                              ;   in Loop: Header=BB117_26 Depth=1
	s_xor_b32 s84, s84, 1
	s_add_co_i32 s8, s81, -2
	s_cmp_eq_u32 s81, 0
	s_wait_alu 0xfffe
	s_mov_b32 s81, s8
	s_cselect_b32 s6, -1, 0
	s_xor_b32 s5, exec_lo, -1
	s_wait_alu 0xfffe
	s_or_not1_b32 s6, s6, exec_lo
	s_branch .LBB117_23
.LBB117_289:                            ;   in Loop: Header=BB117_26 Depth=1
                                        ; implicit-def: $sgpr12_sgpr13
	s_branch .LBB117_240
.LBB117_290:                            ;   in Loop: Header=BB117_26 Depth=1
                                        ; implicit-def: $sgpr4_sgpr5
	s_branch .LBB117_257
.LBB117_291:
	s_or_b32 exec_lo, exec_lo, s82
	s_wait_alu 0xfffe
	s_xor_b32 s3, s90, -1
	s_xor_b32 s1, s88, -1
	;; [unrolled: 1-line block ×3, first 2 shown]
	s_mov_b32 s0, 0
	s_and_saveexec_b32 s5, s1
	s_wait_alu 0xfffe
	s_xor_b32 s1, exec_lo, s5
	s_cbranch_execnz .LBB117_296
; %bb.292:
	s_and_not1_saveexec_b32 s1, s1
	s_cbranch_execnz .LBB117_309
.LBB117_293:
	s_or_b32 exec_lo, exec_lo, s1
	s_and_saveexec_b32 s1, s0
.LBB117_294:
	; divergent unreachable
.LBB117_295:
	s_endpgm
.LBB117_296:
	s_and_saveexec_b32 s0, s3
	s_delay_alu instid0(SALU_CYCLE_1)
	s_xor_b32 s3, exec_lo, s0
	s_cbranch_execz .LBB117_307
; %bb.297:
	s_and_saveexec_b32 s0, s4
	s_delay_alu instid0(SALU_CYCLE_1)
	s_xor_b32 s0, exec_lo, s0
; %bb.298:
	v_lshrrev_b32_e32 v2, 31, v23
	s_delay_alu instid0(VALU_DEP_1) | instskip(SKIP_2) | instid1(VALU_DEP_2)
	v_add_co_u32 v2, s4, v2, -1
	s_wait_alu 0xf1ff
	v_add_co_ci_u32_e64 v3, null, 0, -1, s4
	v_xor_b32_e32 v6, v2, v22
	s_delay_alu instid0(VALU_DEP_2) | instskip(NEXT) | instid1(VALU_DEP_1)
	v_or_b32_e32 v3, 0x80000000, v3
	v_xor_b32_e32 v7, v3, v23
; %bb.299:
	s_or_b32 exec_lo, exec_lo, s0
	s_mul_u64 s[4:5], s[46:47], s[44:45]
	s_mul_u64 s[6:7], s[46:47], s[36:37]
	s_wait_alu 0xfffe
	s_sub_nc_u64 s[4:5], s[34:35], s[4:5]
	s_lshl_b64 s[6:7], s[6:7], 3
	s_wait_alu 0xfffe
	s_mul_u64 s[4:5], s[4:5], s[38:39]
	v_mov_b32_e32 v2, 0
	s_add_nc_u64 s[6:7], s[52:53], s[6:7]
	s_wait_alu 0xfffe
	s_lshl_b64 s[4:5], s[4:5], 3
	s_wait_alu 0xfffe
	s_add_nc_u64 s[4:5], s[6:7], s[4:5]
	global_store_b64 v2, v[6:7], s[4:5]
	s_and_saveexec_b32 s4, s2
	s_cbranch_execz .LBB117_306
; %bb.300:
	v_cmp_u_f64_e32 vcc_lo, v[6:7], v[6:7]
	s_mov_b32 s2, 0
                                        ; implicit-def: $sgpr5
                                        ; implicit-def: $sgpr8
                                        ; implicit-def: $sgpr7
	s_xor_b32 s6, vcc_lo, -1
	s_branch .LBB117_302
.LBB117_301:                            ;   in Loop: Header=BB117_302 Depth=1
	s_or_b32 exec_lo, exec_lo, s0
	s_wait_alu 0xfffe
	s_and_b32 s0, exec_lo, s8
	s_delay_alu instid0(SALU_CYCLE_1)
	s_or_b32 s2, s0, s2
	s_and_not1_b32 s0, s5, exec_lo
	s_and_b32 s5, s7, exec_lo
	s_wait_alu 0xfffe
	s_or_b32 s5, s0, s5
	s_and_not1_b32 exec_lo, exec_lo, s2
	s_cbranch_execz .LBB117_304
.LBB117_302:                            ; =>This Inner Loop Header: Depth=1
	v_dual_mov_b32 v3, v1 :: v_dual_mov_b32 v2, v0
	s_or_b32 s7, s7, exec_lo
	s_or_b32 s8, s8, exec_lo
	s_delay_alu instid0(VALU_DEP_1) | instskip(NEXT) | instid1(VALU_DEP_2)
	v_mul_lo_u32 v4, v3, s40
	v_mul_lo_u32 v5, v2, s41
	v_mad_co_u64_u32 v[0:1], null, v2, s40, 0
	s_delay_alu instid0(VALU_DEP_1) | instskip(NEXT) | instid1(VALU_DEP_1)
	v_add3_u32 v1, v1, v5, v4
	v_lshlrev_b64_e32 v[0:1], 3, v[0:1]
	s_delay_alu instid0(VALU_DEP_1) | instskip(SKIP_1) | instid1(VALU_DEP_2)
	v_add_co_u32 v0, vcc_lo, s48, v0
	s_wait_alu 0xfffd
	v_add_co_ci_u32_e64 v1, null, s49, v1, vcc_lo
	global_load_b64 v[0:1], v[0:1], off
	s_wait_loadcnt 0x0
	v_cmp_o_f64_e32 vcc_lo, v[0:1], v[0:1]
	v_cmp_neq_f64_e64 s0, v[0:1], v[6:7]
                                        ; implicit-def: $vgpr0_vgpr1
	s_wait_alu 0xfffe
	s_or_b32 s9, vcc_lo, s6
	s_wait_alu 0xfffe
	s_and_b32 s9, s0, s9
	s_wait_alu 0xfffe
	s_and_saveexec_b32 s0, s9
	s_cbranch_execz .LBB117_301
; %bb.303:                              ;   in Loop: Header=BB117_302 Depth=1
	v_add_co_u32 v0, vcc_lo, v2, s54
	s_wait_alu 0xfffd
	v_add_co_ci_u32_e64 v1, null, 0, v3, vcc_lo
	s_and_not1_b32 s8, s8, exec_lo
	s_and_not1_b32 s7, s7, exec_lo
	v_cmp_le_u64_e32 vcc_lo, s[24:25], v[0:1]
	s_and_b32 s9, vcc_lo, exec_lo
	s_wait_alu 0xfffe
	s_or_b32 s8, s8, s9
	s_branch .LBB117_301
.LBB117_304:
	s_or_b32 exec_lo, exec_lo, s2
	s_wait_alu 0xfffe
	s_and_saveexec_b32 s0, s5
	s_delay_alu instid0(SALU_CYCLE_1)
	s_xor_b32 s0, exec_lo, s0
	s_cbranch_execz .LBB117_306
; %bb.305:
	s_mul_u64 s[6:7], s[42:43], s[26:27]
	s_mul_u64 s[8:9], s[42:43], s[28:29]
	s_wait_alu 0xfffe
	s_sub_nc_u64 s[6:7], s[34:35], s[6:7]
	s_lshl_b64 s[8:9], s[8:9], 3
	s_wait_alu 0xfffe
	s_mul_u64 s[6:7], s[6:7], s[30:31]
	v_mov_b32_e32 v0, 0
	s_add_nc_u64 s[8:9], s[50:51], s[8:9]
	s_wait_alu 0xfffe
	s_lshl_b64 s[6:7], s[6:7], 3
	s_wait_alu 0xfffe
	s_add_nc_u64 s[6:7], s[8:9], s[6:7]
	global_store_b64 v0, v[2:3], s[6:7]
.LBB117_306:
	s_wait_alu 0xfffe
	s_or_b32 exec_lo, exec_lo, s4
.LBB117_307:
	s_wait_alu 0xfffe
	s_or_saveexec_b32 s0, s3
	s_mov_b32 s2, 0
	s_xor_b32 exec_lo, exec_lo, s0
	s_cbranch_execnz .LBB117_310
.LBB117_308:
	s_or_b32 exec_lo, exec_lo, s0
	s_wait_alu 0xfffe
	s_and_b32 s0, s2, exec_lo
	s_and_not1_saveexec_b32 s1, s1
	s_cbranch_execz .LBB117_293
.LBB117_309:
	s_or_b32 s0, s0, exec_lo
	s_trap 2
	s_or_b32 exec_lo, exec_lo, s1
	s_and_saveexec_b32 s1, s0
	s_cbranch_execnz .LBB117_294
	s_branch .LBB117_295
.LBB117_310:
	s_mov_b32 s2, exec_lo
	s_trap 2
	s_branch .LBB117_308
	.section	.rodata,"a",@progbits
	.p2align	6, 0x0
	.amdhsa_kernel _ZN2at6native12_GLOBAL__N_112gatherMedianIdmLi2EEEvNS_4cuda6detail10TensorInfoIT_T0_EENS5_IlS7_EENS5_IKS6_S7_EES7_S7_S7_b
		.amdhsa_group_segment_fixed_size 5152
		.amdhsa_private_segment_fixed_size 0
		.amdhsa_kernarg_size 1536
		.amdhsa_user_sgpr_count 2
		.amdhsa_user_sgpr_dispatch_ptr 0
		.amdhsa_user_sgpr_queue_ptr 0
		.amdhsa_user_sgpr_kernarg_segment_ptr 1
		.amdhsa_user_sgpr_dispatch_id 0
		.amdhsa_user_sgpr_private_segment_size 0
		.amdhsa_wavefront_size32 1
		.amdhsa_uses_dynamic_stack 0
		.amdhsa_enable_private_segment 0
		.amdhsa_system_sgpr_workgroup_id_x 1
		.amdhsa_system_sgpr_workgroup_id_y 1
		.amdhsa_system_sgpr_workgroup_id_z 1
		.amdhsa_system_sgpr_workgroup_info 0
		.amdhsa_system_vgpr_workitem_id 0
		.amdhsa_next_free_vgpr 53
		.amdhsa_next_free_sgpr 96
		.amdhsa_reserve_vcc 1
		.amdhsa_float_round_mode_32 0
		.amdhsa_float_round_mode_16_64 0
		.amdhsa_float_denorm_mode_32 3
		.amdhsa_float_denorm_mode_16_64 3
		.amdhsa_fp16_overflow 0
		.amdhsa_workgroup_processor_mode 1
		.amdhsa_memory_ordered 1
		.amdhsa_forward_progress 1
		.amdhsa_inst_pref_size 151
		.amdhsa_round_robin_scheduling 0
		.amdhsa_exception_fp_ieee_invalid_op 0
		.amdhsa_exception_fp_denorm_src 0
		.amdhsa_exception_fp_ieee_div_zero 0
		.amdhsa_exception_fp_ieee_overflow 0
		.amdhsa_exception_fp_ieee_underflow 0
		.amdhsa_exception_fp_ieee_inexact 0
		.amdhsa_exception_int_div_zero 0
	.end_amdhsa_kernel
	.section	.text._ZN2at6native12_GLOBAL__N_112gatherMedianIdmLi2EEEvNS_4cuda6detail10TensorInfoIT_T0_EENS5_IlS7_EENS5_IKS6_S7_EES7_S7_S7_b,"axG",@progbits,_ZN2at6native12_GLOBAL__N_112gatherMedianIdmLi2EEEvNS_4cuda6detail10TensorInfoIT_T0_EENS5_IlS7_EENS5_IKS6_S7_EES7_S7_S7_b,comdat
.Lfunc_end117:
	.size	_ZN2at6native12_GLOBAL__N_112gatherMedianIdmLi2EEEvNS_4cuda6detail10TensorInfoIT_T0_EENS5_IlS7_EENS5_IKS6_S7_EES7_S7_S7_b, .Lfunc_end117-_ZN2at6native12_GLOBAL__N_112gatherMedianIdmLi2EEEvNS_4cuda6detail10TensorInfoIT_T0_EENS5_IlS7_EENS5_IKS6_S7_EES7_S7_S7_b
                                        ; -- End function
	.set _ZN2at6native12_GLOBAL__N_112gatherMedianIdmLi2EEEvNS_4cuda6detail10TensorInfoIT_T0_EENS5_IlS7_EENS5_IKS6_S7_EES7_S7_S7_b.num_vgpr, 53
	.set _ZN2at6native12_GLOBAL__N_112gatherMedianIdmLi2EEEvNS_4cuda6detail10TensorInfoIT_T0_EENS5_IlS7_EENS5_IKS6_S7_EES7_S7_S7_b.num_agpr, 0
	.set _ZN2at6native12_GLOBAL__N_112gatherMedianIdmLi2EEEvNS_4cuda6detail10TensorInfoIT_T0_EENS5_IlS7_EENS5_IKS6_S7_EES7_S7_S7_b.numbered_sgpr, 96
	.set _ZN2at6native12_GLOBAL__N_112gatherMedianIdmLi2EEEvNS_4cuda6detail10TensorInfoIT_T0_EENS5_IlS7_EENS5_IKS6_S7_EES7_S7_S7_b.num_named_barrier, 0
	.set _ZN2at6native12_GLOBAL__N_112gatherMedianIdmLi2EEEvNS_4cuda6detail10TensorInfoIT_T0_EENS5_IlS7_EENS5_IKS6_S7_EES7_S7_S7_b.private_seg_size, 0
	.set _ZN2at6native12_GLOBAL__N_112gatherMedianIdmLi2EEEvNS_4cuda6detail10TensorInfoIT_T0_EENS5_IlS7_EENS5_IKS6_S7_EES7_S7_S7_b.uses_vcc, 1
	.set _ZN2at6native12_GLOBAL__N_112gatherMedianIdmLi2EEEvNS_4cuda6detail10TensorInfoIT_T0_EENS5_IlS7_EENS5_IKS6_S7_EES7_S7_S7_b.uses_flat_scratch, 0
	.set _ZN2at6native12_GLOBAL__N_112gatherMedianIdmLi2EEEvNS_4cuda6detail10TensorInfoIT_T0_EENS5_IlS7_EENS5_IKS6_S7_EES7_S7_S7_b.has_dyn_sized_stack, 0
	.set _ZN2at6native12_GLOBAL__N_112gatherMedianIdmLi2EEEvNS_4cuda6detail10TensorInfoIT_T0_EENS5_IlS7_EENS5_IKS6_S7_EES7_S7_S7_b.has_recursion, 0
	.set _ZN2at6native12_GLOBAL__N_112gatherMedianIdmLi2EEEvNS_4cuda6detail10TensorInfoIT_T0_EENS5_IlS7_EENS5_IKS6_S7_EES7_S7_S7_b.has_indirect_call, 0
	.section	.AMDGPU.csdata,"",@progbits
; Kernel info:
; codeLenInByte = 19228
; TotalNumSgprs: 98
; NumVgprs: 53
; ScratchSize: 0
; MemoryBound: 0
; FloatMode: 240
; IeeeMode: 1
; LDSByteSize: 5152 bytes/workgroup (compile time only)
; SGPRBlocks: 0
; VGPRBlocks: 6
; NumSGPRsForWavesPerEU: 98
; NumVGPRsForWavesPerEU: 53
; Occupancy: 16
; WaveLimiterHint : 1
; COMPUTE_PGM_RSRC2:SCRATCH_EN: 0
; COMPUTE_PGM_RSRC2:USER_SGPR: 2
; COMPUTE_PGM_RSRC2:TRAP_HANDLER: 0
; COMPUTE_PGM_RSRC2:TGID_X_EN: 1
; COMPUTE_PGM_RSRC2:TGID_Y_EN: 1
; COMPUTE_PGM_RSRC2:TGID_Z_EN: 1
; COMPUTE_PGM_RSRC2:TIDIG_COMP_CNT: 0
	.section	.text._ZN2at6native12_GLOBAL__N_112gatherMedianIdmLi3EEEvNS_4cuda6detail10TensorInfoIT_T0_EENS5_IlS7_EENS5_IKS6_S7_EES7_S7_S7_b,"axG",@progbits,_ZN2at6native12_GLOBAL__N_112gatherMedianIdmLi3EEEvNS_4cuda6detail10TensorInfoIT_T0_EENS5_IlS7_EENS5_IKS6_S7_EES7_S7_S7_b,comdat
	.globl	_ZN2at6native12_GLOBAL__N_112gatherMedianIdmLi3EEEvNS_4cuda6detail10TensorInfoIT_T0_EENS5_IlS7_EENS5_IKS6_S7_EES7_S7_S7_b ; -- Begin function _ZN2at6native12_GLOBAL__N_112gatherMedianIdmLi3EEEvNS_4cuda6detail10TensorInfoIT_T0_EENS5_IlS7_EENS5_IKS6_S7_EES7_S7_S7_b
	.p2align	8
	.type	_ZN2at6native12_GLOBAL__N_112gatherMedianIdmLi3EEEvNS_4cuda6detail10TensorInfoIT_T0_EENS5_IlS7_EENS5_IKS6_S7_EES7_S7_S7_b,@function
_ZN2at6native12_GLOBAL__N_112gatherMedianIdmLi3EEEvNS_4cuda6detail10TensorInfoIT_T0_EENS5_IlS7_EENS5_IKS6_S7_EES7_S7_S7_b: ; @_ZN2at6native12_GLOBAL__N_112gatherMedianIdmLi3EEEvNS_4cuda6detail10TensorInfoIT_T0_EENS5_IlS7_EENS5_IKS6_S7_EES7_S7_S7_b
; %bb.0:
	s_clause 0x1
	s_load_b64 s[12:13], s[0:1], 0x500
	s_load_b128 s[24:27], s[0:1], 0x4e0
	s_lshr_b32 s2, ttmp7, 16
	s_and_b32 s3, ttmp7, 0xffff
	s_mov_b32 s35, 0
	s_wait_kmcnt 0x0
	s_mul_i32 s2, s13, s2
	s_delay_alu instid0(SALU_CYCLE_1) | instskip(NEXT) | instid1(SALU_CYCLE_1)
	s_add_co_i32 s2, s2, s3
	s_mul_i32 s2, s2, s12
	s_delay_alu instid0(SALU_CYCLE_1) | instskip(NEXT) | instid1(SALU_CYCLE_1)
	s_add_co_i32 s34, s2, ttmp9
	v_cmp_le_u64_e64 s2, s[26:27], s[34:35]
	s_and_b32 vcc_lo, exec_lo, s2
	s_cbranch_vccnz .LBB118_301
; %bb.1:
	s_load_b128 s[36:39], s[0:1], 0x10
	s_mov_b64 s[54:55], 0
	s_mov_b64 s[52:53], 0
	s_wait_kmcnt 0x0
	v_cmp_lt_u64_e64 s2, s[34:35], s[38:39]
	s_and_b32 vcc_lo, exec_lo, s2
	s_cbranch_vccnz .LBB118_3
; %bb.2:
	v_cvt_f32_u32_e32 v1, s38
	s_sub_co_i32 s3, 0, s38
	s_mov_b32 s53, 0
	s_delay_alu instid0(VALU_DEP_1) | instskip(NEXT) | instid1(TRANS32_DEP_1)
	v_rcp_iflag_f32_e32 v1, v1
	v_mul_f32_e32 v1, 0x4f7ffffe, v1
	s_delay_alu instid0(VALU_DEP_1) | instskip(NEXT) | instid1(VALU_DEP_1)
	v_cvt_u32_f32_e32 v1, v1
	v_readfirstlane_b32 s2, v1
	s_mul_i32 s3, s3, s2
	s_delay_alu instid0(SALU_CYCLE_1) | instskip(NEXT) | instid1(SALU_CYCLE_1)
	s_mul_hi_u32 s3, s2, s3
	s_add_co_i32 s2, s2, s3
	s_delay_alu instid0(SALU_CYCLE_1) | instskip(NEXT) | instid1(SALU_CYCLE_1)
	s_mul_hi_u32 s2, s34, s2
	s_mul_i32 s3, s2, s38
	s_add_co_i32 s4, s2, 1
	s_sub_co_i32 s3, s34, s3
	s_delay_alu instid0(SALU_CYCLE_1)
	s_sub_co_i32 s5, s3, s38
	s_cmp_ge_u32 s3, s38
	s_cselect_b32 s2, s4, s2
	s_cselect_b32 s3, s5, s3
	s_add_co_i32 s4, s2, 1
	s_cmp_ge_u32 s3, s38
	s_cselect_b32 s52, s4, s2
.LBB118_3:
	s_load_b128 s[28:31], s[0:1], 0x1b0
	v_cmp_lt_u64_e64 s2, s[52:53], s[36:37]
	s_and_b32 vcc_lo, exec_lo, s2
	s_cbranch_vccnz .LBB118_5
; %bb.4:
	v_cvt_f32_u32_e32 v1, s36
	s_sub_co_i32 s3, 0, s36
	s_mov_b32 s55, 0
	s_delay_alu instid0(VALU_DEP_1) | instskip(NEXT) | instid1(TRANS32_DEP_1)
	v_rcp_iflag_f32_e32 v1, v1
	v_mul_f32_e32 v1, 0x4f7ffffe, v1
	s_delay_alu instid0(VALU_DEP_1) | instskip(NEXT) | instid1(VALU_DEP_1)
	v_cvt_u32_f32_e32 v1, v1
	v_readfirstlane_b32 s2, v1
	s_mul_i32 s3, s3, s2
	s_delay_alu instid0(SALU_CYCLE_1) | instskip(NEXT) | instid1(SALU_CYCLE_1)
	s_mul_hi_u32 s3, s2, s3
	s_add_co_i32 s2, s2, s3
	s_delay_alu instid0(SALU_CYCLE_1) | instskip(NEXT) | instid1(SALU_CYCLE_1)
	s_mul_hi_u32 s2, s52, s2
	s_mul_i32 s3, s2, s36
	s_add_co_i32 s4, s2, 1
	s_sub_co_i32 s3, s52, s3
	s_delay_alu instid0(SALU_CYCLE_1)
	s_sub_co_i32 s5, s3, s36
	s_cmp_ge_u32 s3, s36
	s_cselect_b32 s2, s4, s2
	s_cselect_b32 s3, s5, s3
	s_add_co_i32 s4, s2, 1
	s_cmp_ge_u32 s3, s36
	s_cselect_b32 s54, s4, s2
.LBB118_5:
	s_wait_kmcnt 0x0
	v_cmp_lt_u64_e64 s2, s[34:35], s[30:31]
	s_mov_b64 s[48:49], 0
	s_mov_b64 s[26:27], 0
	s_and_b32 vcc_lo, exec_lo, s2
	s_cbranch_vccnz .LBB118_7
; %bb.6:
	v_cvt_f32_u32_e32 v1, s30
	s_sub_co_i32 s3, 0, s30
	s_mov_b32 s27, 0
	s_delay_alu instid0(VALU_DEP_1) | instskip(NEXT) | instid1(TRANS32_DEP_1)
	v_rcp_iflag_f32_e32 v1, v1
	v_mul_f32_e32 v1, 0x4f7ffffe, v1
	s_delay_alu instid0(VALU_DEP_1) | instskip(NEXT) | instid1(VALU_DEP_1)
	v_cvt_u32_f32_e32 v1, v1
	v_readfirstlane_b32 s2, v1
	s_mul_i32 s3, s3, s2
	s_delay_alu instid0(SALU_CYCLE_1) | instskip(NEXT) | instid1(SALU_CYCLE_1)
	s_mul_hi_u32 s3, s2, s3
	s_add_co_i32 s2, s2, s3
	s_delay_alu instid0(SALU_CYCLE_1) | instskip(NEXT) | instid1(SALU_CYCLE_1)
	s_mul_hi_u32 s2, s34, s2
	s_mul_i32 s3, s2, s30
	s_add_co_i32 s4, s2, 1
	s_sub_co_i32 s3, s34, s3
	s_delay_alu instid0(SALU_CYCLE_1)
	s_sub_co_i32 s5, s3, s30
	s_cmp_ge_u32 s3, s30
	s_cselect_b32 s2, s4, s2
	s_cselect_b32 s3, s5, s3
	s_add_co_i32 s4, s2, 1
	s_cmp_ge_u32 s3, s30
	s_cselect_b32 s26, s4, s2
.LBB118_7:
	s_clause 0x3
	s_load_b64 s[50:51], s[0:1], 0x4f0
	s_load_b64 s[2:3], s[0:1], 0x420
	s_load_b128 s[4:7], s[0:1], 0x410
	s_load_b128 s[8:11], s[0:1], 0x350
	v_cmp_lt_u64_e64 s13, s[26:27], s[28:29]
	s_and_b32 vcc_lo, exec_lo, s13
	s_cbranch_vccnz .LBB118_9
; %bb.8:
	v_cvt_f32_u32_e32 v1, s28
	s_sub_co_i32 s14, 0, s28
	s_mov_b32 s49, 0
	s_delay_alu instid0(VALU_DEP_1) | instskip(NEXT) | instid1(TRANS32_DEP_1)
	v_rcp_iflag_f32_e32 v1, v1
	v_mul_f32_e32 v1, 0x4f7ffffe, v1
	s_delay_alu instid0(VALU_DEP_1) | instskip(NEXT) | instid1(VALU_DEP_1)
	v_cvt_u32_f32_e32 v1, v1
	v_readfirstlane_b32 s13, v1
	s_mul_i32 s14, s14, s13
	s_delay_alu instid0(SALU_CYCLE_1) | instskip(NEXT) | instid1(SALU_CYCLE_1)
	s_mul_hi_u32 s14, s13, s14
	s_add_co_i32 s13, s13, s14
	s_delay_alu instid0(SALU_CYCLE_1) | instskip(NEXT) | instid1(SALU_CYCLE_1)
	s_mul_hi_u32 s13, s26, s13
	s_mul_i32 s14, s13, s28
	s_add_co_i32 s15, s13, 1
	s_sub_co_i32 s14, s26, s14
	s_delay_alu instid0(SALU_CYCLE_1)
	s_sub_co_i32 s16, s14, s28
	s_cmp_ge_u32 s14, s28
	s_cselect_b32 s13, s15, s13
	s_cselect_b32 s14, s16, s14
	s_add_co_i32 s15, s13, 1
	s_cmp_ge_u32 s14, s28
	s_cselect_b32 s48, s15, s13
.LBB118_9:
	s_wait_kmcnt 0x0
	v_cmp_lt_u64_e64 s13, s[34:35], s[10:11]
	s_mov_b64 s[14:15], 0
	s_mov_b64 s[16:17], 0
	s_and_b32 vcc_lo, exec_lo, s13
	s_cbranch_vccnz .LBB118_11
; %bb.10:
	v_cvt_f32_u32_e32 v1, s10
	s_sub_co_i32 s16, 0, s10
	s_delay_alu instid0(VALU_DEP_1) | instskip(NEXT) | instid1(TRANS32_DEP_1)
	v_rcp_iflag_f32_e32 v1, v1
	v_mul_f32_e32 v1, 0x4f7ffffe, v1
	s_delay_alu instid0(VALU_DEP_1) | instskip(NEXT) | instid1(VALU_DEP_1)
	v_cvt_u32_f32_e32 v1, v1
	v_readfirstlane_b32 s13, v1
	s_mul_i32 s16, s16, s13
	s_delay_alu instid0(SALU_CYCLE_1) | instskip(NEXT) | instid1(SALU_CYCLE_1)
	s_mul_hi_u32 s16, s13, s16
	s_add_co_i32 s13, s13, s16
	s_delay_alu instid0(SALU_CYCLE_1) | instskip(NEXT) | instid1(SALU_CYCLE_1)
	s_mul_hi_u32 s13, s34, s13
	s_mul_i32 s16, s13, s10
	s_add_co_i32 s17, s13, 1
	s_sub_co_i32 s16, s34, s16
	s_delay_alu instid0(SALU_CYCLE_1)
	s_sub_co_i32 s18, s16, s10
	s_cmp_ge_u32 s16, s10
	s_cselect_b32 s13, s17, s13
	s_cselect_b32 s16, s18, s16
	s_add_co_i32 s18, s13, 1
	s_cmp_ge_u32 s16, s10
	s_mov_b32 s17, 0
	s_cselect_b32 s16, s18, s13
.LBB118_11:
	s_load_b64 s[18:19], s[0:1], 0x280
                                        ; implicit-def: $vgpr46 : SGPR spill to VGPR lane
	v_cmp_lt_u64_e64 s13, s[16:17], s[8:9]
	s_and_b32 vcc_lo, exec_lo, s13
	s_wait_kmcnt 0x0
	v_writelane_b32 v46, s18, 0
	v_writelane_b32 v46, s19, 1
	s_clause 0x3
	s_load_b128 s[40:43], s[0:1], 0x270
	s_load_b64 s[60:61], s[0:1], 0xe0
	s_load_b128 s[44:47], s[0:1], 0xd0
	s_load_b64 s[18:19], s[0:1], 0x340
	s_cbranch_vccnz .LBB118_13
; %bb.12:
	v_cvt_f32_u32_e32 v1, s8
	s_sub_co_i32 s14, 0, s8
	s_delay_alu instid0(VALU_DEP_1) | instskip(NEXT) | instid1(TRANS32_DEP_1)
	v_rcp_iflag_f32_e32 v1, v1
	v_mul_f32_e32 v1, 0x4f7ffffe, v1
	s_delay_alu instid0(VALU_DEP_1) | instskip(NEXT) | instid1(VALU_DEP_1)
	v_cvt_u32_f32_e32 v1, v1
	v_readfirstlane_b32 s13, v1
	s_mul_i32 s14, s14, s13
	s_delay_alu instid0(SALU_CYCLE_1) | instskip(NEXT) | instid1(SALU_CYCLE_1)
	s_mul_hi_u32 s14, s13, s14
	s_add_co_i32 s13, s13, s14
	s_delay_alu instid0(SALU_CYCLE_1) | instskip(NEXT) | instid1(SALU_CYCLE_1)
	s_mul_hi_u32 s13, s16, s13
	s_mul_i32 s14, s13, s8
	s_add_co_i32 s15, s13, 1
	s_sub_co_i32 s14, s16, s14
	s_delay_alu instid0(SALU_CYCLE_1)
	s_sub_co_i32 s20, s14, s8
	s_cmp_ge_u32 s14, s8
	s_cselect_b32 s13, s15, s13
	s_cselect_b32 s14, s20, s14
	s_add_co_i32 s20, s13, 1
	s_cmp_ge_u32 s14, s8
	s_mov_b32 s15, 0
	s_cselect_b32 s14, s20, s13
.LBB118_13:
	s_mul_u64 s[10:11], s[16:17], s[10:11]
	s_mul_u64 s[8:9], s[14:15], s[8:9]
	s_wait_alu 0xfffe
	s_sub_nc_u64 s[10:11], s[34:35], s[10:11]
	v_dual_mov_b32 v1, 0 :: v_dual_mov_b32 v2, 0
	s_sub_nc_u64 s[8:9], s[16:17], s[8:9]
	s_wait_alu 0xfffe
	s_mul_u64 s[10:11], s[10:11], s[2:3]
	s_mul_u64 s[2:3], s[14:15], s[4:5]
	;; [unrolled: 1-line block ×3, first 2 shown]
	s_lshl_b64 s[2:3], s[2:3], 3
	s_lshl_b64 s[4:5], s[4:5], 3
	s_wait_kmcnt 0x0
	s_add_nc_u64 s[6:7], s[18:19], s[2:3]
	v_cmp_gt_u64_e64 s2, s[24:25], v[0:1]
	v_mov_b32_e32 v3, 0
	s_add_nc_u64 s[4:5], s[6:7], s[4:5]
	s_wait_alu 0xfffe
	s_lshl_b64 s[8:9], s[10:11], 3
	s_add_nc_u64 s[6:7], s[0:1], 0x500
	s_wait_alu 0xfffe
	s_add_nc_u64 s[58:59], s[4:5], s[8:9]
	s_and_saveexec_b32 s4, s2
	s_cbranch_execz .LBB118_17
; %bb.14:
	s_load_b32 s3, s[6:7], 0xc
	v_dual_mov_b32 v2, 0 :: v_dual_mov_b32 v5, v1
	v_dual_mov_b32 v3, 0 :: v_dual_mov_b32 v4, v0
	s_mov_b32 s5, 0
	s_wait_kmcnt 0x0
	s_and_b32 s8, s3, 0xffff
.LBB118_15:                             ; =>This Inner Loop Header: Depth=1
	v_mul_lo_u32 v8, v5, s50
	v_mul_lo_u32 v9, v4, s51
	v_mad_co_u64_u32 v[6:7], null, v4, s50, 0
	s_delay_alu instid0(VALU_DEP_1) | instskip(NEXT) | instid1(VALU_DEP_1)
	v_add3_u32 v7, v7, v9, v8
	v_lshlrev_b64_e32 v[6:7], 3, v[6:7]
	s_delay_alu instid0(VALU_DEP_1) | instskip(SKIP_1) | instid1(VALU_DEP_2)
	v_add_co_u32 v6, vcc_lo, s58, v6
	s_wait_alu 0xfffd
	v_add_co_ci_u32_e64 v7, null, s59, v7, vcc_lo
	s_wait_alu 0xfffe
	v_add_co_u32 v4, vcc_lo, v4, s8
	s_wait_alu 0xfffd
	v_add_co_ci_u32_e64 v5, null, 0, v5, vcc_lo
	global_load_b64 v[6:7], v[6:7], off
	s_wait_loadcnt 0x0
	v_cmp_u_f64_e32 vcc_lo, v[6:7], v[6:7]
	s_wait_alu 0xfffd
	v_cndmask_b32_e64 v6, 0, 1, vcc_lo
	v_cmp_le_u64_e32 vcc_lo, s[24:25], v[4:5]
	s_delay_alu instid0(VALU_DEP_2) | instskip(SKIP_3) | instid1(SALU_CYCLE_1)
	v_add_co_u32 v2, s3, v2, v6
	s_wait_alu 0xf1ff
	v_add_co_ci_u32_e64 v3, null, 0, v3, s3
	s_or_b32 s5, vcc_lo, s5
	s_and_not1_b32 exec_lo, exec_lo, s5
	s_cbranch_execnz .LBB118_15
; %bb.16:
	s_or_b32 exec_lo, exec_lo, s5
.LBB118_17:
	s_delay_alu instid0(SALU_CYCLE_1)
	s_or_b32 exec_lo, exec_lo, s4
	s_clause 0x1
	s_load_b64 s[4:5], s[0:1], 0x1a0
	s_load_b64 s[64:65], s[0:1], 0x0
	v_cmp_eq_u32_e64 s3, 0, v0
	s_wait_kmcnt 0x0
	v_writelane_b32 v46, s4, 2
	v_writelane_b32 v46, s5, 3
	s_and_saveexec_b32 s4, s3
; %bb.18:
	v_mov_b32_e32 v4, 0
	s_delay_alu instid0(VALU_DEP_1)
	v_mov_b32_e32 v5, v4
	ds_store_b64 v4, v[4:5] offset:5136
; %bb.19:
	s_wait_alu 0xfffe
	s_or_b32 exec_lo, exec_lo, s4
	s_mov_b64 s[4:5], 0
	s_mov_b32 s8, exec_lo
	s_wait_dscnt 0x0
	s_barrier_signal -1
	s_barrier_wait -1
	global_inv scope:SCOPE_SE
	v_cmpx_ne_u64_e32 0, v[2:3]
	s_cbranch_execz .LBB118_24
; %bb.20:
	s_mov_b32 s9, exec_lo
.LBB118_21:                             ; =>This Inner Loop Header: Depth=1
	s_wait_alu 0xfffe
	s_ctz_i32_b32 s13, s9
	s_wait_alu 0xfffe
	v_readlane_b32 s11, v3, s13
	v_readlane_b32 s10, v2, s13
	s_lshl_b32 s13, 1, s13
	s_wait_alu 0xfffe
	s_and_not1_b32 s9, s9, s13
	s_wait_alu 0xfffe
	s_cmp_lg_u32 s9, 0
	s_add_nc_u64 s[4:5], s[4:5], s[10:11]
	s_cbranch_scc1 .LBB118_21
; %bb.22:
	v_mbcnt_lo_u32_b32 v2, exec_lo, 0
	s_mov_b32 s9, exec_lo
	s_delay_alu instid0(VALU_DEP_1)
	v_cmpx_eq_u32_e32 0, v2
	s_wait_alu 0xfffe
	s_xor_b32 s9, exec_lo, s9
; %bb.23:
	v_mov_b32_e32 v2, s4
	v_dual_mov_b32 v4, 0 :: v_dual_mov_b32 v3, s5
	ds_add_u64 v4, v[2:3] offset:5136
.LBB118_24:
	s_wait_alu 0xfffe
	s_or_b32 exec_lo, exec_lo, s8
	v_dual_mov_b32 v2, 0 :: v_dual_mov_b32 v27, s25
	s_wait_loadcnt_dscnt 0x0
	s_barrier_signal -1
	s_barrier_wait -1
	global_inv scope:SCOPE_SE
	ds_load_b64 v[2:3], v2 offset:5136
	s_load_b32 s0, s[0:1], 0x4f8
	v_mov_b32_e32 v26, s24
	s_wait_dscnt 0x0
	v_cmp_gt_i64_e32 vcc_lo, 1, v[2:3]
	s_wait_kmcnt 0x0
	s_bitcmp1_b32 s0, 0
	s_cselect_b32 s0, -1, 0
	s_delay_alu instid0(SALU_CYCLE_1) | instskip(NEXT) | instid1(SALU_CYCLE_1)
	s_or_b32 s0, s0, vcc_lo
	s_and_not1_b32 vcc_lo, exec_lo, s0
	s_wait_alu 0xfffe
	s_cbranch_vccnz .LBB118_26
; %bb.25:
	v_not_b32_e32 v2, v2
	v_not_b32_e32 v3, v3
	s_delay_alu instid0(VALU_DEP_2) | instskip(SKIP_1) | instid1(VALU_DEP_2)
	v_add_co_u32 v2, vcc_lo, s24, v2
	s_wait_alu 0xfffd
	v_add_co_ci_u32_e64 v3, null, s25, v3, vcc_lo
	s_delay_alu instid0(VALU_DEP_1) | instskip(NEXT) | instid1(VALU_DEP_1)
	v_lshrrev_b64 v[2:3], 1, v[2:3]
	v_add_co_u32 v26, vcc_lo, v2, 1
	s_wait_alu 0xfffd
	s_delay_alu instid0(VALU_DEP_2)
	v_add_co_ci_u32_e64 v27, null, 0, v3, vcc_lo
.LBB118_26:
	s_and_saveexec_b32 s0, s3
	s_cbranch_execz .LBB118_28
; %bb.27:
	v_dual_mov_b32 v2, 0 :: v_dual_mov_b32 v5, s25
	s_delay_alu instid0(VALU_DEP_1)
	v_dual_mov_b32 v4, s24 :: v_dual_mov_b32 v3, v2
	ds_store_b32 v2, v2 offset:5144
	ds_store_b128 v2, v[2:5] offset:5120
.LBB118_28:
	s_or_b32 exec_lo, exec_lo, s0
	s_wait_loadcnt_dscnt 0x0
	s_barrier_signal -1
	s_barrier_wait -1
	global_inv scope:SCOPE_SE
	s_load_b32 s5, s[6:7], 0xc
	v_mad_co_u64_u32 v[2:3], null, s50, v0, 0
	v_mbcnt_lo_u32_b32 v32, -1, 0
	v_cmp_gt_u32_e32 vcc_lo, 32, v0
	v_dual_mov_b32 v22, 0 :: v_dual_lshlrev_b32 v33, 3, v0
	v_dual_mov_b32 v19, 0 :: v_dual_lshlrev_b32 v16, 2, v0
	v_mad_co_u64_u32 v[3:4], null, s51, v0, v[3:4]
	v_cmp_gt_i32_e64 s4, 4, v32
	v_lshlrev_b64_e64 v[4:5], v32, -1
	s_mov_b32 s69, 0
	v_cmp_lt_u64_e64 s33, 0x180, s[24:25]
	s_mov_b32 s67, s69
	s_and_b32 s86, vcc_lo, s4
	v_lshlrev_b64_e32 v[2:3], 3, v[2:3]
	v_dual_mov_b32 v6, 0 :: v_dual_lshlrev_b32 v37, 5, v0
	s_wait_kmcnt 0x0
	s_and_b32 s66, s5, 0xffff
	s_bfe_u32 s4, s5, 0xb0005
	s_cmp_gt_u32 s66, 31
	v_add_co_u32 v20, vcc_lo, s58, v2
	s_cselect_b32 s87, -1, 0
	s_cmp_lt_u32 ttmp9, s12
	v_dual_mov_b32 v23, 0 :: v_dual_mov_b32 v24, 0
	s_cselect_b32 s68, 12, 18
	s_wait_alu 0xfffe
	s_add_co_i32 s5, s4, -1
	s_bfe_u32 s88, s66, 0x30005
	s_wait_alu 0xfffe
	s_and_b32 s5, s5, 0xffff
	v_cmp_gt_u32_e64 s0, 2, v0
	s_wait_alu 0xfffe
	s_cmp_gt_u32 s5, 6
	s_movk_i32 s5, 0x3e0
	v_cmp_eq_u32_e64 s1, 0, v32
	v_dual_mov_b32 v17, v19 :: v_dual_add_nc_u32 v34, 0xc00, v33
	s_wait_alu 0xfffd
	v_add_co_ci_u32_e64 v21, null, s59, v3, vcc_lo
	v_not_b32_e32 v35, v4
	s_cselect_b32 s89, -1, 0
	s_and_b32 s90, s4, 0x7f8
	s_wait_alu 0xfffe
	v_and_or_b32 v36, v0, s5, 0xc00
	v_lshl_or_b32 v38, v32, 3, 0xc00
	v_mov_b32_e32 v7, 0
	v_mov_b32_e32 v25, 0
	;; [unrolled: 1-line block ×3, first 2 shown]
	s_add_nc_u64 s[70:71], s[66:67], -1
	s_cmp_lg_u32 s88, 0
	s_add_nc_u64 s[72:73], s[70:71], s[24:25]
	s_cselect_b32 s91, -1, 0
	s_lshl_b32 s92, s66, 3
	s_mov_b32 s93, 62
	s_add_nc_u64 s[74:75], s[6:7], s[68:69]
	s_mov_b32 s95, 0x4f800000
	s_mov_b32 s94, 0
	;; [unrolled: 1-line block ×3, first 2 shown]
                                        ; implicit-def: $sgpr100
                                        ; implicit-def: $sgpr102
                                        ; implicit-def: $sgpr97
                                        ; implicit-def: $sgpr99
                                        ; implicit-def: $sgpr101
                                        ; implicit-def: $sgpr98
	s_branch .LBB118_32
.LBB118_29:                             ;   in Loop: Header=BB118_32 Depth=1
	s_wait_alu 0xfffe
	s_or_b32 exec_lo, exec_lo, s7
	s_delay_alu instid0(SALU_CYCLE_1)
	s_and_b32 s5, s5, exec_lo
	s_and_not1_b32 s22, s22, exec_lo
	s_and_not1_b32 s21, s21, exec_lo
	s_or_not1_b32 s19, s6, exec_lo
.LBB118_30:                             ;   in Loop: Header=BB118_32 Depth=1
	s_wait_alu 0xfffe
	s_or_b32 exec_lo, exec_lo, s4
	s_delay_alu instid0(SALU_CYCLE_1)
	s_and_not1_b32 s4, s98, exec_lo
	s_and_b32 s5, s5, exec_lo
	s_and_not1_b32 s6, s99, exec_lo
	s_wait_alu 0xfffe
	s_or_b32 s98, s4, s5
	s_and_not1_b32 s4, s101, exec_lo
	s_and_b32 s5, s22, exec_lo
	s_and_b32 s7, s21, exec_lo
	s_wait_alu 0xfffe
	s_or_b32 s101, s4, s5
	s_or_b32 s99, s6, s7
	s_or_not1_b32 s19, s19, exec_lo
.LBB118_31:                             ;   in Loop: Header=BB118_32 Depth=1
	s_wait_alu 0xfffe
	s_or_b32 exec_lo, exec_lo, s18
	s_delay_alu instid0(SALU_CYCLE_1)
	s_and_b32 s4, exec_lo, s19
	v_dual_mov_b32 v27, v13 :: v_dual_mov_b32 v26, v12
	s_wait_alu 0xfffe
	s_or_b32 s94, s4, s94
	s_and_not1_b32 s4, s97, exec_lo
	s_and_b32 s5, s98, exec_lo
	s_and_not1_b32 s6, s102, exec_lo
	s_wait_alu 0xfffe
	s_or_b32 s97, s4, s5
	s_and_b32 s4, s101, exec_lo
	s_and_not1_b32 s5, s100, exec_lo
	s_and_b32 s7, s99, exec_lo
	s_wait_alu 0xfffe
	s_or_b32 s102, s6, s4
	s_or_b32 s100, s5, s7
	s_and_not1_b32 exec_lo, exec_lo, s94
	s_cbranch_execz .LBB118_297
.LBB118_32:                             ; =>This Loop Header: Depth=1
                                        ;     Child Loop BB118_38 Depth 2
                                        ;     Child Loop BB118_51 Depth 2
	;; [unrolled: 1-line block ×16, first 2 shown]
	ds_load_b128 v[8:11], v19 offset:5120
	s_wait_dscnt 0x0
	v_readfirstlane_b32 s77, v9
	v_readfirstlane_b32 s76, v8
	s_cmp_lg_u64 s[76:77], 0
	s_cbranch_scc1 .LBB118_59
; %bb.33:                               ;   in Loop: Header=BB118_32 Depth=1
	s_and_b32 vcc_lo, exec_lo, s33
	s_wait_alu 0xfffe
	s_cbranch_vccz .LBB118_46
; %bb.34:                               ;   in Loop: Header=BB118_32 Depth=1
	v_cmp_gt_u64_e32 vcc_lo, 0x181, v[10:11]
	s_mov_b32 s6, 0
	s_mov_b32 s4, 0
	s_cbranch_vccz .LBB118_47
; %bb.35:                               ;   in Loop: Header=BB118_32 Depth=1
	s_and_saveexec_b32 s7, s2
	s_cbranch_execz .LBB118_159
; %bb.36:                               ;   in Loop: Header=BB118_32 Depth=1
	global_load_u16 v2, v19, s[74:75]
	global_load_b64 v[4:5], v[20:21], off
	s_mov_b32 s8, 0
	v_dual_mov_b32 v9, v1 :: v_dual_mov_b32 v8, v0
	s_wait_loadcnt 0x1
	v_and_b32_e32 v2, 0xffff, v2
	s_branch .LBB118_38
.LBB118_37:                             ;   in Loop: Header=BB118_38 Depth=2
	s_wait_alu 0xfffe
	s_or_b32 exec_lo, exec_lo, s5
	v_dual_mov_b32 v4, v10 :: v_dual_mov_b32 v5, v11
	s_and_not1_b32 exec_lo, exec_lo, s8
	s_cbranch_execz .LBB118_159
.LBB118_38:                             ;   Parent Loop BB118_32 Depth=1
                                        ; =>  This Inner Loop Header: Depth=2
	s_delay_alu instid0(VALU_DEP_1)
	v_add_co_u32 v8, vcc_lo, v8, v2
	v_mov_b32_e32 v10, 0
	s_wait_alu 0xfffd
	v_add_co_ci_u32_e64 v9, null, 0, v9, vcc_lo
	v_mov_b32_e32 v11, 0
	s_mov_b32 s5, exec_lo
	s_delay_alu instid0(VALU_DEP_2)
	v_cmp_le_u64_e32 vcc_lo, s[24:25], v[8:9]
	v_cmpx_gt_u64_e64 s[24:25], v[8:9]
	s_cbranch_execz .LBB118_40
; %bb.39:                               ;   in Loop: Header=BB118_38 Depth=2
	s_wait_dscnt 0x0
	v_mul_lo_u32 v12, v9, s50
	v_mul_lo_u32 v13, v8, s51
	v_mad_co_u64_u32 v[10:11], null, v8, s50, 0
	s_delay_alu instid0(VALU_DEP_1) | instskip(NEXT) | instid1(VALU_DEP_1)
	v_add3_u32 v11, v11, v13, v12
	v_lshlrev_b64_e32 v[10:11], 3, v[10:11]
	s_delay_alu instid0(VALU_DEP_1) | instskip(SKIP_1) | instid1(VALU_DEP_2)
	v_add_co_u32 v10, s4, s58, v10
	s_wait_alu 0xf1fe
	v_add_co_ci_u32_e64 v11, null, s59, v11, s4
	global_load_b64 v[10:11], v[10:11], off
.LBB118_40:                             ;   in Loop: Header=BB118_38 Depth=2
	s_wait_alu 0xfffe
	s_or_b32 exec_lo, exec_lo, s5
	s_wait_loadcnt 0x0
	v_cmp_o_f64_e64 s4, v[4:5], v[4:5]
	s_wait_dscnt 0x0
	v_ashrrev_i32_e32 v12, 31, v5
	s_delay_alu instid0(VALU_DEP_1) | instskip(SKIP_1) | instid1(VALU_DEP_2)
	v_or_b32_e32 v13, 0x80000000, v12
	v_xor_b32_e32 v12, v12, v4
	v_xor_b32_e32 v13, v13, v5
	s_wait_alu 0xf1ff
	s_delay_alu instid0(VALU_DEP_1) | instskip(NEXT) | instid1(VALU_DEP_3)
	v_cndmask_b32_e64 v13, -1, v13, s4
	v_cndmask_b32_e64 v12, -1, v12, s4
	s_delay_alu instid0(VALU_DEP_2) | instskip(NEXT) | instid1(VALU_DEP_2)
	v_and_b32_e32 v13, v13, v25
	v_and_b32_e32 v12, v12, v24
	s_delay_alu instid0(VALU_DEP_1)
	v_cmp_eq_u64_e64 s4, v[12:13], v[22:23]
	v_mov_b32_e32 v12, 0
	s_cmp_lg_u32 s4, 0
	s_cselect_b32 s5, -1, 0
	s_wait_alu 0xfffe
	s_and_b32 s5, s1, s5
	s_wait_alu 0xfffe
	s_and_saveexec_b32 s9, s5
	s_cbranch_execz .LBB118_44
; %bb.41:                               ;   in Loop: Header=BB118_38 Depth=2
	s_mov_b32 s12, exec_lo
	s_bcnt1_i32_b32 s10, s4
	s_wait_alu 0xfffe
	v_mbcnt_lo_u32_b32 v12, s12, 0
	s_mov_b32 s11, exec_lo
                                        ; implicit-def: $vgpr13
	s_delay_alu instid0(VALU_DEP_1)
	v_cmpx_eq_u32_e32 0, v12
; %bb.42:                               ;   in Loop: Header=BB118_38 Depth=2
	s_bcnt1_i32_b32 s5, s12
	s_wait_alu 0xfffe
	s_mul_i32 s5, s10, s5
	s_wait_alu 0xfffe
	v_mov_b32_e32 v13, s5
	ds_add_rtn_u32 v13, v19, v13 offset:5144
; %bb.43:                               ;   in Loop: Header=BB118_38 Depth=2
	s_or_b32 exec_lo, exec_lo, s11
	s_wait_dscnt 0x0
	v_readfirstlane_b32 s5, v13
	s_wait_alu 0xf1ff
	s_delay_alu instid0(VALU_DEP_1)
	v_mad_u32_u24 v12, s10, v12, s5
.LBB118_44:                             ;   in Loop: Header=BB118_38 Depth=2
	s_wait_alu 0xfffe
	s_or_b32 exec_lo, exec_lo, s9
	ds_bpermute_b32 v12, v19, v12
	s_and_b32 s5, exec_lo, vcc_lo
	s_wait_alu 0xfffe
	s_or_b32 s8, s5, s8
	s_and_saveexec_b32 s5, s4
	s_cbranch_execz .LBB118_37
; %bb.45:                               ;   in Loop: Header=BB118_38 Depth=2
	v_and_b32_e32 v13, s4, v35
	s_delay_alu instid0(VALU_DEP_1) | instskip(NEXT) | instid1(VALU_DEP_1)
	v_bcnt_u32_b32 v13, v13, 0
	v_lshlrev_b32_e32 v13, 3, v13
	s_wait_dscnt 0x0
	s_delay_alu instid0(VALU_DEP_1)
	v_lshl_add_u32 v12, v12, 3, v13
	ds_store_b64 v12, v[4:5]
	s_branch .LBB118_37
.LBB118_46:                             ;   in Loop: Header=BB118_32 Depth=1
	s_mov_b32 s6, -1
	s_mov_b32 s4, 0
.LBB118_47:                             ;   in Loop: Header=BB118_32 Depth=1
	s_wait_alu 0xfffe
	s_and_b32 vcc_lo, exec_lo, s6
	s_wait_alu 0xfffe
	s_cbranch_vccz .LBB118_57
.LBB118_48:                             ;   in Loop: Header=BB118_32 Depth=1
	s_and_saveexec_b32 s4, s2
	s_cbranch_execz .LBB118_54
; %bb.49:                               ;   in Loop: Header=BB118_32 Depth=1
	global_load_u16 v2, v19, s[74:75]
	global_load_b64 v[4:5], v[20:21], off
	v_mov_b32_e32 v8, v0
	s_mov_b32 s5, exec_lo
	s_wait_loadcnt 0x1
	v_and_b32_e32 v2, 0xffff, v2
	s_delay_alu instid0(VALU_DEP_1) | instskip(NEXT) | instid1(VALU_DEP_1)
	v_add_nc_u32_e32 v18, v2, v0
	v_cmpx_gt_u64_e64 s[24:25], v[18:19]
	s_cbranch_execz .LBB118_53
; %bb.50:                               ;   in Loop: Header=BB118_32 Depth=1
	v_dual_mov_b32 v10, v18 :: v_dual_mov_b32 v11, v19
	v_dual_mov_b32 v9, v1 :: v_dual_mov_b32 v8, v0
	s_mov_b32 s6, 0
.LBB118_51:                             ;   Parent Loop BB118_32 Depth=1
                                        ; =>  This Inner Loop Header: Depth=2
	s_delay_alu instid0(VALU_DEP_2) | instskip(NEXT) | instid1(VALU_DEP_2)
	v_dual_mov_b32 v15, v11 :: v_dual_mov_b32 v14, v10
	v_lshlrev_b32_e32 v8, 3, v8
	s_delay_alu instid0(VALU_DEP_2) | instskip(NEXT) | instid1(VALU_DEP_3)
	v_mul_lo_u32 v11, v15, s50
	v_mul_lo_u32 v12, v14, s51
	v_mad_co_u64_u32 v[9:10], null, v14, s50, 0
	s_wait_loadcnt 0x0
	ds_store_b64 v8, v[4:5]
	v_add3_u32 v10, v10, v12, v11
	s_delay_alu instid0(VALU_DEP_1) | instskip(NEXT) | instid1(VALU_DEP_1)
	v_lshlrev_b64_e32 v[9:10], 3, v[9:10]
	v_add_co_u32 v9, vcc_lo, s58, v9
	s_wait_alu 0xfffd
	s_delay_alu instid0(VALU_DEP_2)
	v_add_co_ci_u32_e64 v10, null, s59, v10, vcc_lo
	global_load_b64 v[12:13], v[9:10], off
	v_add_co_u32 v10, vcc_lo, v14, v2
	s_wait_alu 0xfffd
	v_add_co_ci_u32_e64 v11, null, 0, v15, vcc_lo
	v_dual_mov_b32 v8, v14 :: v_dual_mov_b32 v9, v15
	s_delay_alu instid0(VALU_DEP_2)
	v_cmp_le_u64_e32 vcc_lo, s[24:25], v[10:11]
	s_wait_alu 0xfffe
	s_or_b32 s6, vcc_lo, s6
	s_wait_loadcnt 0x0
	v_dual_mov_b32 v4, v12 :: v_dual_mov_b32 v5, v13
	s_wait_alu 0xfffe
	s_and_not1_b32 exec_lo, exec_lo, s6
	s_cbranch_execnz .LBB118_51
; %bb.52:                               ;   in Loop: Header=BB118_32 Depth=1
	s_or_b32 exec_lo, exec_lo, s6
	v_sub_nc_u32_e32 v8, v10, v2
	v_dual_mov_b32 v4, v12 :: v_dual_mov_b32 v5, v13
.LBB118_53:                             ;   in Loop: Header=BB118_32 Depth=1
	s_wait_alu 0xfffe
	s_or_b32 exec_lo, exec_lo, s5
	s_delay_alu instid0(VALU_DEP_2)
	v_lshlrev_b32_e32 v2, 3, v8
	s_wait_loadcnt 0x0
	ds_store_b64 v2, v[4:5]
.LBB118_54:                             ;   in Loop: Header=BB118_32 Depth=1
	s_wait_alu 0xfffe
	s_or_b32 exec_lo, exec_lo, s4
	s_wait_loadcnt_dscnt 0x0
	s_barrier_signal -1
	s_barrier_wait -1
	global_inv scope:SCOPE_SE
	s_and_saveexec_b32 s4, s3
; %bb.55:                               ;   in Loop: Header=BB118_32 Depth=1
	v_dual_mov_b32 v4, s24 :: v_dual_mov_b32 v5, s25
	ds_store_b64 v19, v[4:5] offset:5120
; %bb.56:                               ;   in Loop: Header=BB118_32 Depth=1
	s_wait_alu 0xfffe
	s_or_b32 exec_lo, exec_lo, s4
	s_mov_b32 s4, -1
	s_wait_loadcnt_dscnt 0x0
	s_barrier_signal -1
	s_barrier_wait -1
.LBB118_57:                             ;   in Loop: Header=BB118_32 Depth=1
	s_wait_alu 0xfffe
	s_and_b32 vcc_lo, exec_lo, s4
	s_mov_b64 s[76:77], 0
	s_wait_alu 0xfffe
	s_cbranch_vccz .LBB118_59
; %bb.58:                               ;   in Loop: Header=BB118_32 Depth=1
	s_wait_loadcnt 0x0
	global_inv scope:SCOPE_SE
	ds_load_b64 v[4:5], v19 offset:5120
	s_wait_dscnt 0x0
	v_readfirstlane_b32 s76, v4
.LBB118_59:                             ;   in Loop: Header=BB118_32 Depth=1
	s_delay_alu instid0(VALU_DEP_1)
	s_cmp_lt_i32 s76, 1
	s_mov_b32 s4, -1
                                        ; implicit-def: $vgpr8_vgpr9
                                        ; implicit-def: $vgpr12_vgpr13
	s_cbranch_scc1 .LBB118_69
; %bb.60:                               ;   in Loop: Header=BB118_32 Depth=1
	s_wait_alu 0xfffe
	s_and_b32 vcc_lo, exec_lo, s4
	s_wait_alu 0xfffe
	s_cbranch_vccnz .LBB118_83
.LBB118_61:                             ;   in Loop: Header=BB118_32 Depth=1
	s_lshl_b32 s4, s96, 7
	s_and_saveexec_b32 s5, s1
	s_cbranch_execz .LBB118_63
.LBB118_62:                             ;   in Loop: Header=BB118_32 Depth=1
	s_wait_alu 0xfffe
	v_lshl_add_u32 v2, s4, 3, v36
	ds_store_b128 v2, v[8:11]
	ds_store_b128 v2, v[12:15] offset:16
.LBB118_63:                             ;   in Loop: Header=BB118_32 Depth=1
	s_wait_alu 0xfffe
	s_or_b32 exec_lo, exec_lo, s5
	s_wait_loadcnt_dscnt 0x0
	s_barrier_signal -1
	s_barrier_wait -1
	global_inv scope:SCOPE_SE
	s_and_saveexec_b32 s5, s86
	s_cbranch_execz .LBB118_97
; %bb.64:                               ;   in Loop: Header=BB118_32 Depth=1
	v_mov_b32_e32 v4, 0
	v_mov_b32_e32 v5, 0
	s_and_not1_b32 vcc_lo, exec_lo, s87
	s_wait_alu 0xfffe
	s_cbranch_vccnz .LBB118_96
; %bb.65:                               ;   in Loop: Header=BB118_32 Depth=1
	v_mov_b32_e32 v4, 0
	v_mov_b32_e32 v5, 0
	s_and_not1_b32 vcc_lo, exec_lo, s89
	s_wait_alu 0xfffe
	s_cbranch_vccnz .LBB118_93
; %bb.66:                               ;   in Loop: Header=BB118_32 Depth=1
	v_lshl_add_u32 v2, s96, 10, v38
	s_mov_b32 s6, 0
.LBB118_67:                             ;   Parent Loop BB118_32 Depth=1
                                        ; =>  This Inner Loop Header: Depth=2
	ds_load_2addr_b64 v[8:11], v2 offset1:4
	ds_load_2addr_b64 v[12:15], v2 offset0:8 offset1:12
	ds_load_2addr_b64 v[28:31], v2 offset0:16 offset1:20
	s_wait_alu 0xfffe
	s_add_co_i32 s6, s6, 8
	s_wait_alu 0xfffe
	s_cmp_eq_u32 s90, s6
	s_wait_dscnt 0x2
	v_add_co_u32 v4, vcc_lo, v8, v4
	s_wait_alu 0xfffd
	v_add_co_ci_u32_e64 v5, null, v9, v5, vcc_lo
	s_delay_alu instid0(VALU_DEP_2) | instskip(SKIP_1) | instid1(VALU_DEP_2)
	v_add_co_u32 v4, vcc_lo, v10, v4
	s_wait_alu 0xfffd
	v_add_co_ci_u32_e64 v5, null, v11, v5, vcc_lo
	ds_load_2addr_b64 v[8:11], v2 offset0:24 offset1:28
	s_wait_dscnt 0x2
	v_add_co_u32 v4, vcc_lo, v12, v4
	s_wait_alu 0xfffd
	v_add_co_ci_u32_e64 v5, null, v13, v5, vcc_lo
	v_add_nc_u32_e32 v2, 0x100, v2
	s_delay_alu instid0(VALU_DEP_3) | instskip(SKIP_1) | instid1(VALU_DEP_3)
	v_add_co_u32 v4, vcc_lo, v14, v4
	s_wait_alu 0xfffd
	v_add_co_ci_u32_e64 v5, null, v15, v5, vcc_lo
	s_wait_dscnt 0x1
	s_delay_alu instid0(VALU_DEP_2) | instskip(SKIP_1) | instid1(VALU_DEP_2)
	v_add_co_u32 v4, vcc_lo, v28, v4
	s_wait_alu 0xfffd
	v_add_co_ci_u32_e64 v5, null, v29, v5, vcc_lo
	s_delay_alu instid0(VALU_DEP_2) | instskip(SKIP_1) | instid1(VALU_DEP_2)
	v_add_co_u32 v4, vcc_lo, v30, v4
	s_wait_alu 0xfffd
	v_add_co_ci_u32_e64 v5, null, v31, v5, vcc_lo
	s_wait_dscnt 0x0
	s_delay_alu instid0(VALU_DEP_2) | instskip(SKIP_1) | instid1(VALU_DEP_2)
	v_add_co_u32 v4, vcc_lo, v8, v4
	s_wait_alu 0xfffd
	v_add_co_ci_u32_e64 v5, null, v9, v5, vcc_lo
	s_delay_alu instid0(VALU_DEP_2) | instskip(SKIP_1) | instid1(VALU_DEP_2)
	v_add_co_u32 v4, vcc_lo, v10, v4
	s_wait_alu 0xfffd
	v_add_co_ci_u32_e64 v5, null, v11, v5, vcc_lo
	s_cbranch_scc0 .LBB118_67
; %bb.68:                               ;   in Loop: Header=BB118_32 Depth=1
	s_mov_b32 s6, s90
	s_and_not1_b32 vcc_lo, exec_lo, s91
	s_wait_alu 0xfffe
	s_cbranch_vccz .LBB118_94
	s_branch .LBB118_96
.LBB118_69:                             ;   in Loop: Header=BB118_32 Depth=1
	global_load_u16 v2, v19, s[74:75]
	s_mov_b32 s5, s25
	s_wait_loadcnt 0x0
	v_readfirstlane_b32 s4, v2
	s_wait_alu 0xfffe
	s_and_b32 s6, 0xffff, s4
	s_mov_b32 s4, s69
	s_wait_alu 0xfffe
	s_lshl_b32 s18, s6, 2
	s_cmp_lg_u64 s[4:5], 0
	s_cbranch_scc0 .LBB118_92
; %bb.70:                               ;   in Loop: Header=BB118_32 Depth=1
	s_wait_alu 0xfffe
	s_cvt_f32_u32 s4, s18
	s_mov_b32 s19, s69
	s_wait_alu 0xfffe
	s_sub_nc_u64 s[6:7], 0, s[18:19]
	s_fmamk_f32 s4, s95, 0x0, s4
	s_wait_alu 0xfffe
	s_delay_alu instid0(SALU_CYCLE_2) | instskip(NEXT) | instid1(TRANS32_DEP_1)
	v_s_rcp_f32 s4, s4
	s_mul_f32 s4, s4, 0x5f7ffffc
	s_wait_alu 0xfffe
	s_delay_alu instid0(SALU_CYCLE_2) | instskip(SKIP_1) | instid1(SALU_CYCLE_2)
	s_mul_f32 s5, s4, 0x2f800000
	s_wait_alu 0xfffe
	s_trunc_f32 s5, s5
	s_wait_alu 0xfffe
	s_delay_alu instid0(SALU_CYCLE_2) | instskip(SKIP_2) | instid1(SALU_CYCLE_1)
	s_fmamk_f32 s4, s5, 0xcf800000, s4
	s_cvt_u32_f32 s5, s5
	s_wait_alu 0xfffe
	s_cvt_u32_f32 s4, s4
	s_wait_alu 0xfffe
	s_delay_alu instid0(SALU_CYCLE_2)
	s_mul_u64 s[8:9], s[6:7], s[4:5]
	s_wait_alu 0xfffe
	s_mul_hi_u32 s11, s4, s9
	s_mul_i32 s10, s4, s9
	s_mul_hi_u32 s68, s4, s8
	s_mul_i32 s13, s5, s8
	s_wait_alu 0xfffe
	s_add_nc_u64 s[10:11], s[68:69], s[10:11]
	s_mul_hi_u32 s12, s5, s8
	s_mul_hi_u32 s14, s5, s9
	s_mul_i32 s8, s5, s9
	s_wait_alu 0xfffe
	s_add_co_u32 s9, s10, s13
	s_add_co_ci_u32 s68, s11, s12
	s_add_co_ci_u32 s9, s14, 0
	s_wait_alu 0xfffe
	s_add_nc_u64 s[8:9], s[68:69], s[8:9]
	s_wait_alu 0xfffe
	s_add_co_u32 s4, s4, s8
	s_cselect_b32 s8, -1, 0
	s_wait_alu 0xfffe
	s_cmp_lg_u32 s8, 0
	s_add_co_ci_u32 s5, s5, s9
	s_wait_alu 0xfffe
	s_mul_u64 s[6:7], s[6:7], s[4:5]
	s_wait_alu 0xfffe
	s_mul_hi_u32 s9, s4, s7
	s_mul_i32 s8, s4, s7
	s_mul_hi_u32 s68, s4, s6
	s_mul_i32 s11, s5, s6
	s_wait_alu 0xfffe
	s_add_nc_u64 s[8:9], s[68:69], s[8:9]
	s_mul_hi_u32 s10, s5, s6
	s_mul_hi_u32 s12, s5, s7
	s_mul_i32 s6, s5, s7
	s_wait_alu 0xfffe
	s_add_co_u32 s7, s8, s11
	s_add_co_ci_u32 s68, s9, s10
	s_add_co_ci_u32 s7, s12, 0
	s_wait_alu 0xfffe
	s_add_nc_u64 s[6:7], s[68:69], s[6:7]
	s_wait_alu 0xfffe
	s_add_co_u32 s4, s4, s6
	s_cselect_b32 s6, -1, 0
	s_wait_alu 0xfffe
	s_mul_hi_u32 s68, s24, s4
	s_cmp_lg_u32 s6, 0
	s_mul_hi_u32 s8, s25, s4
	s_add_co_ci_u32 s6, s5, s7
	s_mul_i32 s7, s25, s4
	s_wait_alu 0xfffe
	s_mul_hi_u32 s5, s24, s6
	s_mul_i32 s4, s24, s6
	s_mul_hi_u32 s9, s25, s6
	s_wait_alu 0xfffe
	s_add_nc_u64 s[4:5], s[68:69], s[4:5]
	s_mul_i32 s6, s25, s6
	s_wait_alu 0xfffe
	s_add_co_u32 s4, s4, s7
	s_add_co_ci_u32 s68, s5, s8
	s_add_co_ci_u32 s7, s9, 0
	s_wait_alu 0xfffe
	s_add_nc_u64 s[4:5], s[68:69], s[6:7]
	s_wait_alu 0xfffe
	s_mul_u64 s[4:5], s[18:19], s[4:5]
	s_wait_alu 0xfffe
	s_sub_co_u32 s4, s24, s4
	s_cselect_b32 s6, -1, 0
	s_wait_alu 0xfffe
	s_cmp_lg_u32 s6, 0
	s_sub_co_ci_u32 s5, s25, s5
	s_sub_co_u32 s6, s4, s18
	s_cselect_b32 s7, -1, 0
	s_wait_alu 0xfffe
	s_cmp_lg_u32 s7, 0
	s_sub_co_ci_u32 s7, s5, 0
	;; [unrolled: 5-line block ×3, first 2 shown]
	s_cmp_ge_u32 s6, s18
	s_cselect_b32 s10, -1, 0
	s_cmp_eq_u32 s7, 0
	s_wait_alu 0xfffe
	s_cselect_b32 s10, s10, -1
	s_wait_alu 0xfffe
	s_cmp_lg_u32 s10, 0
	s_cselect_b32 s7, s9, s7
	s_cselect_b32 s6, s8, s6
	s_cmp_ge_u32 s4, s18
	s_cselect_b32 s8, -1, 0
	s_cmp_eq_u32 s5, 0
	s_wait_alu 0xfffe
	s_cselect_b32 s8, s8, -1
	s_wait_alu 0xfffe
	s_cmp_lg_u32 s8, 0
	s_cselect_b32 s5, s7, s5
	s_cselect_b32 s4, s6, s4
	s_cbranch_execnz .LBB118_72
.LBB118_71:                             ;   in Loop: Header=BB118_32 Depth=1
	s_wait_alu 0xfffe
	v_cvt_f32_u32_e32 v4, s18
	s_sub_co_i32 s5, 0, s18
	s_delay_alu instid0(VALU_DEP_1) | instskip(NEXT) | instid1(TRANS32_DEP_1)
	v_rcp_iflag_f32_e32 v4, v4
	v_mul_f32_e32 v4, 0x4f7ffffe, v4
	s_delay_alu instid0(VALU_DEP_1) | instskip(NEXT) | instid1(VALU_DEP_1)
	v_cvt_u32_f32_e32 v4, v4
	v_readfirstlane_b32 s4, v4
	s_wait_alu 0xfffe
	s_mul_i32 s5, s5, s4
	s_wait_alu 0xfffe
	s_mul_hi_u32 s5, s4, s5
	s_wait_alu 0xfffe
	s_add_co_i32 s4, s4, s5
	s_wait_alu 0xfffe
	s_mul_hi_u32 s4, s24, s4
	s_wait_alu 0xfffe
	s_mul_i32 s4, s4, s18
	s_wait_alu 0xfffe
	s_sub_co_i32 s4, s24, s4
	s_wait_alu 0xfffe
	s_sub_co_i32 s5, s4, s18
	s_cmp_ge_u32 s4, s18
	s_wait_alu 0xfffe
	s_cselect_b32 s4, s5, s4
	s_wait_alu 0xfffe
	s_sub_co_i32 s5, s4, s18
	s_cmp_ge_u32 s4, s18
	s_wait_alu 0xfffe
	s_cselect_b32 s68, s5, s4
	s_wait_alu 0xfffe
	s_mov_b64 s[4:5], s[68:69]
.LBB118_72:                             ;   in Loop: Header=BB118_32 Depth=1
	v_mov_b32_e32 v8, 0
	v_dual_mov_b32 v12, 0 :: v_dual_mov_b32 v9, 0
	v_dual_mov_b32 v10, 0 :: v_dual_mov_b32 v13, 0
	;; [unrolled: 1-line block ×3, first 2 shown]
	v_mov_b32_e32 v15, 0
	s_wait_alu 0xfffe
	s_sub_nc_u64 s[20:21], s[24:25], s[4:5]
	s_mov_b32 s19, exec_lo
	s_wait_alu 0xfffe
	v_cmpx_gt_u64_e64 s[20:21], v[16:17]
	s_cbranch_execz .LBB118_76
; %bb.73:                               ;   in Loop: Header=BB118_32 Depth=1
	v_dual_mov_b32 v4, v16 :: v_dual_mov_b32 v5, v17
	s_mov_b64 s[22:23], 0
	s_mov_b32 s56, 0
	s_mov_b64 s[78:79], 0
	s_mov_b64 s[80:81], 0
	;; [unrolled: 1-line block ×3, first 2 shown]
.LBB118_74:                             ;   Parent Loop BB118_32 Depth=1
                                        ; =>  This Inner Loop Header: Depth=2
	v_mul_lo_u32 v10, v5, s50
	v_mul_lo_u32 v11, v4, s51
	v_mad_co_u64_u32 v[8:9], null, v4, s50, 0
	s_lshl_b64 s[4:5], s[50:51], 3
	v_dual_mov_b32 v29, v19 :: v_dual_mov_b32 v40, v19
	v_add3_u32 v9, v9, v11, v10
	s_delay_alu instid0(VALU_DEP_1) | instskip(NEXT) | instid1(VALU_DEP_1)
	v_lshlrev_b64_e32 v[8:9], 3, v[8:9]
	v_add_co_u32 v8, vcc_lo, s58, v8
	s_wait_alu 0xfffd
	s_delay_alu instid0(VALU_DEP_2) | instskip(SKIP_1) | instid1(VALU_DEP_2)
	v_add_co_ci_u32_e64 v9, null, s59, v9, vcc_lo
	s_wait_alu 0xfffe
	v_add_co_u32 v10, vcc_lo, v8, s4
	s_wait_alu 0xfffd
	s_delay_alu instid0(VALU_DEP_2)
	v_add_co_ci_u32_e64 v11, null, s5, v9, vcc_lo
	global_load_b64 v[8:9], v[8:9], off
	v_add_co_u32 v12, vcc_lo, v10, s4
	s_wait_alu 0xfffd
	v_add_co_ci_u32_e64 v13, null, s5, v11, vcc_lo
	s_clause 0x1
	global_load_b64 v[10:11], v[10:11], off
	global_load_b64 v[14:15], v[12:13], off
	v_add_co_u32 v12, vcc_lo, v12, s4
	s_wait_alu 0xfffd
	v_add_co_ci_u32_e64 v13, null, s5, v13, vcc_lo
	v_add_co_u32 v4, vcc_lo, v4, s18
	s_wait_alu 0xfffd
	v_add_co_ci_u32_e64 v5, null, 0, v5, vcc_lo
	global_load_b64 v[12:13], v[12:13], off
	v_cmp_le_u64_e32 vcc_lo, s[20:21], v[4:5]
	s_wait_loadcnt 0x3
	v_cmp_o_f64_e64 s4, v[8:9], v[8:9]
	v_ashrrev_i32_e32 v18, 31, v9
	s_delay_alu instid0(VALU_DEP_1)
	v_or_b32_e32 v28, 0x80000000, v18
	s_wait_loadcnt 0x1
	v_cmp_o_f64_e64 s6, v[14:15], v[14:15]
	v_cmp_o_f64_e64 s5, v[10:11], v[10:11]
	v_ashrrev_i32_e32 v39, 31, v15
	v_xor_b32_e32 v18, v18, v8
	v_xor_b32_e32 v28, v28, v9
	v_ashrrev_i32_e32 v30, 31, v11
	s_delay_alu instid0(VALU_DEP_4)
	v_or_b32_e32 v8, 0x80000000, v39
	v_xor_b32_e32 v39, v39, v14
	s_wait_loadcnt 0x0
	v_cmp_o_f64_e64 s7, v[12:13], v[12:13]
	v_or_b32_e32 v41, 0x80000000, v30
	v_xor_b32_e32 v30, v30, v10
	v_xor_b32_e32 v8, v8, v15
	s_delay_alu instid0(VALU_DEP_3) | instskip(SKIP_3) | instid1(VALU_DEP_2)
	v_xor_b32_e32 v41, v41, v11
	s_wait_alu 0xf1ff
	v_cndmask_b32_e64 v9, -1, v28, s4
	v_ashrrev_i32_e32 v28, 31, v13
	v_dual_mov_b32 v31, v19 :: v_dual_and_b32 v14, v9, v25
	s_delay_alu instid0(VALU_DEP_2)
	v_or_b32_e32 v10, 0x80000000, v28
	v_cndmask_b32_e64 v42, -1, v8, s6
	v_cndmask_b32_e64 v8, -1, v18, s4
	;; [unrolled: 1-line block ×3, first 2 shown]
	v_xor_b32_e32 v28, v28, v12
	v_xor_b32_e32 v10, v10, v13
	v_cndmask_b32_e64 v41, -1, v39, s6
	v_and_b32_e32 v13, v8, v24
	v_lshrrev_b64 v[8:9], s93, v[8:9]
	v_and_b32_e32 v44, v11, v25
	v_cndmask_b32_e64 v12, -1, v10, s7
	v_cndmask_b32_e64 v10, -1, v30, s5
	v_cmp_eq_u64_e64 s4, v[13:14], v[22:23]
	v_and_b32_e32 v15, v42, v25
	v_and_b32_e32 v18, 3, v8
	;; [unrolled: 1-line block ×4, first 2 shown]
	v_lshrrev_b64 v[9:10], s93, v[10:11]
	v_cndmask_b32_e64 v11, -1, v28, s7
	v_cmp_eq_u64_e64 s6, 0, v[18:19]
	v_lshrrev_b64 v[41:42], s93, v[41:42]
	v_cmp_eq_u64_e64 s7, 1, v[18:19]
	v_cmp_eq_u64_e64 s8, 2, v[18:19]
	v_and_b32_e32 v28, 3, v9
	v_lshrrev_b64 v[8:9], s93, v[11:12]
	s_and_b32 s6, s4, s6
	v_cmp_eq_u64_e64 s5, v[43:44], v[22:23]
	v_and_b32_e32 v30, 3, v41
	v_cmp_eq_u64_e64 s11, 0, v[28:29]
	v_cmp_eq_u64_e64 s12, 1, v[28:29]
	s_wait_alu 0xfffe
	v_cndmask_b32_e64 v9, 0, 1, s6
	s_and_b32 s6, s4, s7
	v_cmp_eq_u64_e64 s9, 3, v[18:19]
	v_cmp_eq_u64_e64 s13, 2, v[28:29]
	;; [unrolled: 1-line block ×3, first 2 shown]
	s_wait_alu 0xfffe
	v_cndmask_b32_e64 v10, 0, 1, s6
	s_and_b32 s6, s4, s8
	v_and_b32_e32 v45, v12, v25
	v_cmp_eq_u64_e64 s10, v[14:15], v[22:23]
	v_and_b32_e32 v44, v11, v24
	s_wait_alu 0xfffe
	v_cndmask_b32_e64 v11, 0, 1, s6
	v_and_b32_e32 v39, 3, v8
	v_cmp_eq_u64_e64 s6, 0, v[30:31]
	s_and_b32 s11, s5, s11
	s_and_b32 s12, s5, s12
	v_cmp_eq_u64_e64 s7, 1, v[30:31]
	s_and_b32 s4, s4, s9
	v_cmp_ne_u32_e64 s15, 0, v9
	s_wait_alu 0xfffe
	v_cndmask_b32_e64 v8, 0, 1, s11
	v_cndmask_b32_e64 v9, 0, 1, s12
	s_and_b32 s13, s5, s13
	s_and_b32 s5, s5, s14
	v_cmp_eq_u64_e64 s8, 2, v[30:31]
	v_cndmask_b32_e64 v12, 0, 1, s4
	v_cmp_eq_u64_e64 s4, v[44:45], v[22:23]
	v_cmp_eq_u64_e64 s9, 3, v[30:31]
	v_cmp_ne_u32_e64 s11, 0, v10
	v_cmp_ne_u32_e64 s12, 0, v11
	s_wait_alu 0xfffe
	v_cndmask_b32_e64 v10, 0, 1, s13
	v_cndmask_b32_e64 v11, 0, 1, s5
	v_cmp_eq_u64_e64 s5, 0, v[39:40]
	s_and_b32 s6, s10, s6
	v_cmp_eq_u64_e64 s14, 1, v[39:40]
	s_bcnt1_i32_b32 s57, s15
	v_cmp_ne_u32_e64 s15, 0, v8
	s_wait_alu 0xfffe
	v_cndmask_b32_e64 v8, 0, 1, s6
	v_cmp_ne_u32_e64 s6, 0, v9
	s_and_b32 s7, s10, s7
	v_cmp_eq_u64_e64 s16, 2, v[39:40]
	v_cmp_eq_u64_e64 s17, 3, v[39:40]
	s_wait_alu 0xfffe
	v_cndmask_b32_e64 v9, 0, 1, s7
	v_cmp_ne_u32_e64 s7, 0, v10
	s_and_b32 s8, s10, s8
	s_and_b32 s9, s10, s9
	s_and_b32 s5, s4, s5
	s_wait_alu 0xfffe
	v_cndmask_b32_e64 v10, 0, 1, s8
	v_cmp_ne_u32_e64 s13, 0, v12
	v_cmp_ne_u32_e64 s8, 0, v11
	v_cndmask_b32_e64 v11, 0, 1, s9
	s_bcnt1_i32_b32 s10, s15
	v_cmp_ne_u32_e64 s9, 0, v8
	v_cndmask_b32_e64 v8, 0, 1, s5
	s_bcnt1_i32_b32 s15, s6
	s_and_b32 s6, s4, s14
	v_cmp_ne_u32_e64 s5, 0, v9
	s_wait_alu 0xfffe
	v_cndmask_b32_e64 v9, 0, 1, s6
	s_bcnt1_i32_b32 s14, s7
	s_and_b32 s7, s4, s16
	s_and_b32 s4, s4, s17
	v_cmp_ne_u32_e64 s6, 0, v10
	s_wait_alu 0xfffe
	v_cndmask_b32_e64 v10, 0, 1, s7
	s_bcnt1_i32_b32 s13, s13
	s_bcnt1_i32_b32 s8, s8
	v_cmp_ne_u32_e64 s7, 0, v11
	v_cndmask_b32_e64 v11, 0, 1, s4
	v_cmp_ne_u32_e64 s4, 0, v8
	s_bcnt1_i32_b32 s12, s12
	s_wait_alu 0xfffe
	s_add_co_i32 s8, s8, s13
	s_bcnt1_i32_b32 s13, s5
	v_cmp_ne_u32_e64 s5, 0, v9
	s_bcnt1_i32_b32 s11, s11
	s_add_co_i32 s10, s10, s57
	s_bcnt1_i32_b32 s9, s9
	s_add_co_i32 s12, s14, s12
	s_bcnt1_i32_b32 s14, s6
	v_cmp_ne_u32_e64 s6, 0, v10
	s_wait_alu 0xfffe
	s_add_co_i32 s11, s15, s11
	s_add_co_i32 s9, s10, s9
	s_bcnt1_i32_b32 s4, s4
	s_bcnt1_i32_b32 s15, s7
	v_cmp_ne_u32_e64 s7, 0, v11
	s_wait_alu 0xfffe
	s_add_co_i32 s10, s11, s13
	s_bcnt1_i32_b32 s5, s5
	s_add_co_i32 s68, s9, s4
	s_add_co_i32 s11, s12, s14
	s_bcnt1_i32_b32 s6, s6
	s_wait_alu 0xfffe
	s_add_nc_u64 s[82:83], s[82:83], s[68:69]
	s_add_co_i32 s68, s10, s5
	s_add_co_i32 s8, s8, s15
	s_bcnt1_i32_b32 s7, s7
	s_wait_alu 0xfffe
	s_add_nc_u64 s[80:81], s[80:81], s[68:69]
	s_add_co_i32 s68, s11, s6
	v_mov_b32_e32 v8, s82
	s_wait_alu 0xfffe
	s_add_nc_u64 s[78:79], s[78:79], s[68:69]
	s_add_co_i32 s68, s8, s7
	v_mov_b32_e32 v10, s80
	s_wait_alu 0xfffe
	s_add_nc_u64 s[22:23], s[22:23], s[68:69]
	v_mov_b32_e32 v12, s78
	s_wait_alu 0xfffe
	v_dual_mov_b32 v14, s22 :: v_dual_mov_b32 v9, s83
	v_mov_b32_e32 v11, s81
	v_mov_b32_e32 v13, s79
	;; [unrolled: 1-line block ×3, first 2 shown]
	s_or_b32 s56, vcc_lo, s56
	s_wait_alu 0xfffe
	s_and_not1_b32 exec_lo, exec_lo, s56
	s_cbranch_execnz .LBB118_74
; %bb.75:                               ;   in Loop: Header=BB118_32 Depth=1
	s_or_b32 exec_lo, exec_lo, s56
.LBB118_76:                             ;   in Loop: Header=BB118_32 Depth=1
	s_wait_alu 0xfffe
	s_or_b32 exec_lo, exec_lo, s19
	v_add_co_u32 v4, s4, s20, v0
	v_and_b32_e32 v2, 0xffff, v2
	s_wait_alu 0xf1ff
	v_add_co_ci_u32_e64 v5, null, s21, 0, s4
	s_mov_b32 s8, exec_lo
	v_cmpx_gt_u64_e64 s[24:25], v[4:5]
	s_cbranch_execz .LBB118_82
; %bb.77:                               ;   in Loop: Header=BB118_32 Depth=1
	v_mul_lo_u32 v18, v5, s50
	v_mul_lo_u32 v30, v4, s51
	v_mad_co_u64_u32 v[28:29], null, v4, s50, 0
	s_mov_b32 s9, 0
	v_add3_u32 v29, v29, v30, v18
	s_delay_alu instid0(VALU_DEP_1) | instskip(NEXT) | instid1(VALU_DEP_1)
	v_lshlrev_b64_e32 v[28:29], 3, v[28:29]
	v_add_co_u32 v28, vcc_lo, s58, v28
	s_wait_alu 0xfffd
	s_delay_alu instid0(VALU_DEP_2)
	v_add_co_ci_u32_e64 v29, null, s59, v29, vcc_lo
	global_load_b64 v[30:31], v[28:29], off
	s_branch .LBB118_79
.LBB118_78:                             ;   in Loop: Header=BB118_79 Depth=2
	s_wait_alu 0xfffe
	s_or_b32 exec_lo, exec_lo, s5
	s_wait_loadcnt 0x0
	v_cmp_o_f64_e64 s4, v[30:31], v[30:31]
	v_ashrrev_i32_e32 v18, 31, v31
	s_and_b32 s6, exec_lo, vcc_lo
	s_wait_alu 0xfffe
	s_or_b32 s9, s6, s9
	s_delay_alu instid0(VALU_DEP_1) | instskip(SKIP_1) | instid1(VALU_DEP_2)
	v_or_b32_e32 v39, 0x80000000, v18
	v_xor_b32_e32 v18, v18, v30
	v_xor_b32_e32 v39, v39, v31
	s_delay_alu instid0(VALU_DEP_1) | instskip(NEXT) | instid1(VALU_DEP_3)
	v_cndmask_b32_e64 v31, -1, v39, s4
	v_cndmask_b32_e64 v30, -1, v18, s4
	s_delay_alu instid0(VALU_DEP_1) | instskip(SKIP_2) | instid1(VALU_DEP_3)
	v_lshrrev_b64 v[39:40], s93, v[30:31]
	v_and_b32_e32 v31, v31, v25
	v_and_b32_e32 v30, v30, v24
	;; [unrolled: 1-line block ×3, first 2 shown]
	s_delay_alu instid0(VALU_DEP_2) | instskip(NEXT) | instid1(VALU_DEP_2)
	v_cmp_eq_u64_e64 s4, v[30:31], v[22:23]
	v_cmp_eq_u64_e64 s5, 0, v[18:19]
	v_cmp_eq_u64_e32 vcc_lo, 1, v[18:19]
	v_cmp_eq_u64_e64 s6, 2, v[18:19]
	v_cmp_eq_u64_e64 s7, 3, v[18:19]
	s_and_b32 s5, s4, s5
	s_wait_alu 0xfffe
	v_cndmask_b32_e64 v18, 0, 1, s5
	s_and_b32 s5, s4, vcc_lo
	s_wait_alu 0xfffe
	v_cndmask_b32_e64 v30, 0, 1, s5
	s_and_b32 s5, s4, s6
	s_and_b32 s4, s4, s7
	s_wait_alu 0xfffe
	v_cndmask_b32_e64 v31, 0, 1, s5
	v_cmp_ne_u32_e32 vcc_lo, 0, v18
	v_cndmask_b32_e64 v39, 0, 1, s4
	v_cmp_ne_u32_e64 s4, 0, v30
	s_delay_alu instid0(VALU_DEP_4)
	v_cmp_ne_u32_e64 s5, 0, v31
	s_bcnt1_i32_b32 s7, vcc_lo
	v_cmp_ne_u32_e64 s6, 0, v39
	s_bcnt1_i32_b32 s4, s4
	s_wait_alu 0xfffe
	v_add_co_u32 v8, vcc_lo, v8, s7
	s_bcnt1_i32_b32 s5, s5
	s_wait_alu 0xfffd
	v_add_co_ci_u32_e64 v9, null, 0, v9, vcc_lo
	v_add_co_u32 v10, vcc_lo, v10, s4
	s_bcnt1_i32_b32 s6, s6
	s_wait_alu 0xfffd
	v_add_co_ci_u32_e64 v11, null, 0, v11, vcc_lo
	s_wait_alu 0xfffe
	v_add_co_u32 v12, vcc_lo, v12, s5
	s_wait_alu 0xfffd
	v_add_co_ci_u32_e64 v13, null, 0, v13, vcc_lo
	v_add_co_u32 v14, vcc_lo, v14, s6
	v_mov_b32_e32 v31, v29
	s_wait_alu 0xfffd
	v_add_co_ci_u32_e64 v15, null, 0, v15, vcc_lo
	v_mov_b32_e32 v30, v28
	s_and_not1_b32 exec_lo, exec_lo, s9
	s_cbranch_execz .LBB118_81
.LBB118_79:                             ;   Parent Loop BB118_32 Depth=1
                                        ; =>  This Inner Loop Header: Depth=2
	v_add_co_u32 v4, vcc_lo, v4, v2
	v_mov_b32_e32 v28, 0
	s_wait_alu 0xfffd
	v_add_co_ci_u32_e64 v5, null, 0, v5, vcc_lo
	v_mov_b32_e32 v29, 0
	s_mov_b32 s5, exec_lo
	s_delay_alu instid0(VALU_DEP_2)
	v_cmp_le_u64_e32 vcc_lo, s[24:25], v[4:5]
	v_cmpx_gt_u64_e64 s[24:25], v[4:5]
	s_cbranch_execz .LBB118_78
; %bb.80:                               ;   in Loop: Header=BB118_79 Depth=2
	v_mul_lo_u32 v18, v5, s50
	v_mul_lo_u32 v39, v4, s51
	v_mad_co_u64_u32 v[28:29], null, v4, s50, 0
	s_delay_alu instid0(VALU_DEP_1) | instskip(NEXT) | instid1(VALU_DEP_1)
	v_add3_u32 v29, v29, v39, v18
	v_lshlrev_b64_e32 v[28:29], 3, v[28:29]
	s_delay_alu instid0(VALU_DEP_1) | instskip(SKIP_1) | instid1(VALU_DEP_2)
	v_add_co_u32 v28, s4, s58, v28
	s_wait_alu 0xf1ff
	v_add_co_ci_u32_e64 v29, null, s59, v29, s4
	global_load_b64 v[28:29], v[28:29], off
	s_branch .LBB118_78
.LBB118_81:                             ;   in Loop: Header=BB118_32 Depth=1
	s_or_b32 exec_lo, exec_lo, s9
.LBB118_82:                             ;   in Loop: Header=BB118_32 Depth=1
	s_wait_alu 0xfffe
	s_or_b32 exec_lo, exec_lo, s8
	s_branch .LBB118_61
.LBB118_83:                             ;   in Loop: Header=BB118_32 Depth=1
	global_load_u16 v2, v19, s[74:75]
	v_mov_b32_e32 v8, 0
	v_mov_b32_e32 v10, 0
	;; [unrolled: 1-line block ×3, first 2 shown]
	v_dual_mov_b32 v14, 0 :: v_dual_mov_b32 v11, 0
	v_mov_b32_e32 v13, 0
	v_mov_b32_e32 v15, 0
	s_mov_b32 vcc_hi, exec_lo
	v_mov_b32_e32 v9, 0
	s_wait_loadcnt 0x0
	v_readfirstlane_b32 s4, v2
	v_and_b32_e32 v2, 0xffff, v2
	s_and_b32 s77, 0xffff, s4
	s_delay_alu instid0(SALU_CYCLE_1) | instskip(SKIP_4) | instid1(SALU_CYCLE_1)
	s_lshl_b32 s104, s77, 2
	s_wait_alu 0xfffe
	s_cvt_f32_u32 s4, s104
	s_sub_co_i32 s5, 0, s104
	s_wait_alu 0xfffe
	v_rcp_iflag_f32_e32 v4, s4
	s_delay_alu instid0(TRANS32_DEP_1) | instskip(SKIP_2) | instid1(SALU_CYCLE_2)
	v_readfirstlane_b32 s4, v4
	s_mul_f32 s4, s4, 0x4f7ffffe
	s_wait_alu 0xfffe
	s_cvt_u32_f32 s4, s4
	s_wait_alu 0xfffe
	s_delay_alu instid0(SALU_CYCLE_2)
	s_mul_i32 s5, s5, s4
	s_wait_alu 0xfffe
	s_mul_hi_u32 s5, s4, s5
	s_wait_alu 0xfffe
	s_add_co_i32 s4, s4, s5
	s_wait_alu 0xfffe
	s_mul_hi_u32 s4, s76, s4
	s_wait_alu 0xfffe
	s_mul_i32 s5, s4, s104
	s_add_co_i32 s6, s4, 1
	s_wait_alu 0xfffe
	s_sub_co_i32 s5, s76, s5
	s_wait_alu 0xfffe
	s_sub_co_i32 s7, s5, s104
	s_cmp_ge_u32 s5, s104
	s_cselect_b32 s4, s6, s4
	s_wait_alu 0xfffe
	s_cselect_b32 s5, s7, s5
	s_add_co_i32 s6, s4, 1
	s_wait_alu 0xfffe
	s_cmp_ge_u32 s5, s104
	s_cselect_b32 s103, s6, s4
	s_wait_alu 0xfffe
	v_mul_hi_u32 v5, s103, v2
	v_mul_lo_u32 v4, s103, v2
	s_delay_alu instid0(VALU_DEP_1) | instskip(NEXT) | instid1(VALU_DEP_1)
	v_lshlrev_b64_e32 v[4:5], 2, v[4:5]
	v_cmpx_gt_u64_e64 v[4:5], v[16:17]
	s_cbranch_execz .LBB118_87
; %bb.84:                               ;   in Loop: Header=BB118_32 Depth=1
	v_dual_mov_b32 v30, v37 :: v_dual_mov_b32 v29, v17
	v_mov_b32_e32 v28, v16
	s_lshl_b32 s56, s77, 5
	s_mov_b64 s[78:79], 0
	s_mov_b32 s57, 0
	s_mov_b64 s[80:81], 0
	s_mov_b64 s[82:83], 0
	;; [unrolled: 1-line block ×3, first 2 shown]
.LBB118_85:                             ;   Parent Loop BB118_32 Depth=1
                                        ; =>  This Inner Loop Header: Depth=2
	ds_load_b128 v[8:11], v30
	v_add_co_u32 v28, s15, v28, s104
	s_wait_alu 0xf1ff
	v_add_co_ci_u32_e64 v29, null, 0, v29, s15
	s_delay_alu instid0(VALU_DEP_1) | instskip(SKIP_4) | instid1(VALU_DEP_3)
	v_cmp_ge_u64_e64 s15, v[28:29], v[4:5]
	s_wait_dscnt 0x0
	v_ashrrev_i32_e32 v12, 31, v9
	v_cmp_o_f64_e32 vcc_lo, v[8:9], v[8:9]
	v_cmp_o_f64_e64 s4, v[10:11], v[10:11]
	v_or_b32_e32 v13, 0x80000000, v12
	v_xor_b32_e32 v12, v12, v8
	v_ashrrev_i32_e32 v8, 31, v11
	s_delay_alu instid0(VALU_DEP_3) | instskip(NEXT) | instid1(VALU_DEP_2)
	v_xor_b32_e32 v13, v13, v9
	v_or_b32_e32 v14, 0x80000000, v8
	v_xor_b32_e32 v15, v8, v10
	s_delay_alu instid0(VALU_DEP_2)
	v_xor_b32_e32 v14, v14, v11
	ds_load_b128 v[8:11], v30 offset:16
	s_wait_alu 0xfffe
	v_add_nc_u32_e32 v30, s56, v30
	s_wait_dscnt 0x0
	v_cmp_o_f64_e64 s5, v[8:9], v[8:9]
	v_ashrrev_i32_e32 v18, 31, v9
	v_cmp_o_f64_e64 s6, v[10:11], v[10:11]
	s_delay_alu instid0(VALU_DEP_2) | instskip(SKIP_2) | instid1(VALU_DEP_3)
	v_or_b32_e32 v31, 0x80000000, v18
	v_xor_b32_e32 v18, v18, v8
	v_ashrrev_i32_e32 v8, 31, v11
	v_xor_b32_e32 v31, v31, v9
	s_wait_alu 0xfffd
	v_cndmask_b32_e32 v9, -1, v13, vcc_lo
	s_delay_alu instid0(VALU_DEP_3) | instskip(SKIP_2) | instid1(VALU_DEP_3)
	v_or_b32_e32 v39, 0x80000000, v8
	v_xor_b32_e32 v40, v8, v10
	v_cndmask_b32_e32 v8, -1, v12, vcc_lo
	v_xor_b32_e32 v39, v39, v11
	v_and_b32_e32 v11, v9, v25
	s_delay_alu instid0(VALU_DEP_3) | instskip(SKIP_1) | instid1(VALU_DEP_2)
	v_and_b32_e32 v10, v8, v24
	v_lshrrev_b64 v[8:9], s93, v[8:9]
	v_cmp_eq_u64_e32 vcc_lo, v[10:11], v[22:23]
	s_wait_alu 0xf1ff
	v_cndmask_b32_e64 v11, -1, v14, s4
	v_cndmask_b32_e64 v10, -1, v15, s4
	s_delay_alu instid0(VALU_DEP_2) | instskip(NEXT) | instid1(VALU_DEP_2)
	v_and_b32_e32 v13, v11, v25
	v_and_b32_e32 v12, v10, v24
	s_delay_alu instid0(VALU_DEP_1) | instskip(SKIP_4) | instid1(VALU_DEP_4)
	v_cmp_eq_u64_e64 s4, v[12:13], v[22:23]
	v_cndmask_b32_e64 v12, -1, v18, s5
	v_and_b32_e32 v18, 3, v8
	v_lshrrev_b64 v[8:9], s93, v[10:11]
	v_cndmask_b32_e64 v13, -1, v31, s5
	v_dual_mov_b32 v9, v19 :: v_dual_and_b32 v14, v12, v24
	s_delay_alu instid0(VALU_DEP_4)
	v_cmp_eq_u64_e64 s16, 0, v[18:19]
	v_cmp_eq_u64_e64 s18, 1, v[18:19]
	v_and_b32_e32 v8, 3, v8
	v_and_b32_e32 v15, v13, v25
	v_cmp_eq_u64_e64 s20, 2, v[18:19]
	v_cmp_eq_u64_e64 s22, 3, v[18:19]
	s_and_b32 s16, vcc_lo, s16
	v_cmp_eq_u64_e64 s7, 0, v[8:9]
	v_cmp_eq_u64_e64 s8, 1, v[8:9]
	;; [unrolled: 1-line block ×4, first 2 shown]
	v_lshrrev_b64 v[8:9], s93, v[12:13]
	v_cmp_eq_u64_e64 s5, v[14:15], v[22:23]
	v_cndmask_b32_e64 v15, -1, v39, s6
	v_cndmask_b32_e64 v14, -1, v40, s6
	v_mov_b32_e32 v9, v19
	s_and_b32 s7, s4, s7
	v_and_b32_e32 v8, 3, v8
	v_and_b32_e32 v40, v15, v25
	;; [unrolled: 1-line block ×3, first 2 shown]
	s_and_b32 s18, vcc_lo, s18
	s_and_b32 s20, vcc_lo, s20
	v_cmp_eq_u64_e64 s11, 0, v[8:9]
	v_cmp_eq_u64_e64 s12, 1, v[8:9]
	;; [unrolled: 1-line block ×4, first 2 shown]
	v_lshrrev_b64 v[8:9], s93, v[14:15]
	v_mov_b32_e32 v9, v19
	v_cmp_eq_u64_e64 s6, v[39:40], v[22:23]
	s_and_b32 s11, s5, s11
	s_and_b32 s22, vcc_lo, s22
	s_and_b32 s8, s4, s8
	v_and_b32_e32 v8, 3, v8
	s_and_b32 s68, s4, s9
	s_and_b32 s62, s4, s10
	;; [unrolled: 1-line block ×4, first 2 shown]
	v_cmp_eq_u64_e64 s17, 0, v[8:9]
	v_cmp_eq_u64_e64 s19, 1, v[8:9]
	;; [unrolled: 1-line block ×4, first 2 shown]
	s_wait_alu 0xfffe
	v_cndmask_b32_e64 v8, 0, 1, s16
	v_cndmask_b32_e64 v9, 0, 1, s7
	s_and_b32 s17, s6, s17
	s_and_b32 s63, s5, s14
	;; [unrolled: 1-line block ×3, first 2 shown]
	v_cmp_ne_u32_e32 vcc_lo, 0, v8
	v_cndmask_b32_e64 v8, 0, 1, s11
	v_cmp_ne_u32_e64 s4, 0, v9
	s_wait_alu 0xfffe
	v_cndmask_b32_e64 v9, 0, 1, s17
	s_and_b32 s21, s6, s21
	s_and_b32 s23, s6, s23
	v_cmp_ne_u32_e64 s5, 0, v8
	v_cndmask_b32_e64 v8, 0, 1, s18
	v_cmp_ne_u32_e64 s6, 0, v9
	v_cndmask_b32_e64 v9, 0, 1, s8
	s_bcnt1_i32_b32 s4, s4
	s_bcnt1_i32_b32 s5, s5
	v_cmp_ne_u32_e64 s7, 0, v8
	v_cndmask_b32_e64 v8, 0, 1, s12
	v_cmp_ne_u32_e64 s8, 0, v9
	v_cndmask_b32_e64 v9, 0, 1, s19
	s_bcnt1_i32_b32 s6, s6
	s_bcnt1_i32_b32 s7, s7
	v_cmp_ne_u32_e64 s9, 0, v8
	v_cndmask_b32_e64 v8, 0, 1, s20
	v_cmp_ne_u32_e64 s10, 0, v9
	v_cndmask_b32_e64 v9, 0, 1, s68
	s_bcnt1_i32_b32 s20, vcc_lo
	s_bcnt1_i32_b32 s8, s8
	v_cmp_ne_u32_e64 s11, 0, v8
	v_cndmask_b32_e64 v8, 0, 1, s13
	v_cmp_ne_u32_e64 s12, 0, v9
	s_wait_alu 0xfffe
	v_cndmask_b32_e64 v9, 0, 1, s21
	s_add_co_i32 s4, s4, s20
	s_bcnt1_i32_b32 s9, s9
	v_cmp_ne_u32_e64 s13, 0, v8
	v_cndmask_b32_e64 v8, 0, 1, s22
	v_cmp_ne_u32_e64 s14, 0, v9
	v_cndmask_b32_e64 v9, 0, 1, s62
	s_bcnt1_i32_b32 s11, s11
	s_bcnt1_i32_b32 s12, s12
	v_cmp_ne_u32_e64 s16, 0, v8
	v_cndmask_b32_e64 v8, 0, 1, s63
	v_cmp_ne_u32_e64 s17, 0, v9
	v_cndmask_b32_e64 v9, 0, 1, s23
	s_add_co_i32 s7, s8, s7
	s_wait_alu 0xfffe
	s_add_co_i32 s4, s4, s5
	v_cmp_ne_u32_e64 s18, 0, v8
	s_bcnt1_i32_b32 s10, s10
	v_cmp_ne_u32_e64 s19, 0, v9
	s_bcnt1_i32_b32 s13, s13
	s_bcnt1_i32_b32 s16, s16
	;; [unrolled: 1-line block ×3, first 2 shown]
	s_add_co_i32 s8, s12, s11
	s_add_co_i32 s5, s7, s9
	s_wait_alu 0xfffe
	s_add_co_i32 s68, s4, s6
	s_bcnt1_i32_b32 s14, s14
	s_bcnt1_i32_b32 s18, s18
	s_add_co_i32 s11, s17, s16
	s_add_co_i32 s7, s8, s13
	s_wait_alu 0xfffe
	s_add_nc_u64 s[84:85], s[84:85], s[68:69]
	s_add_co_i32 s68, s5, s10
	s_bcnt1_i32_b32 s19, s19
	s_add_co_i32 s8, s11, s18
	s_wait_alu 0xfffe
	s_add_nc_u64 s[82:83], s[82:83], s[68:69]
	s_add_co_i32 s68, s7, s14
	v_mov_b32_e32 v8, s84
	s_wait_alu 0xfffe
	s_add_nc_u64 s[80:81], s[80:81], s[68:69]
	s_add_co_i32 s68, s8, s19
	v_mov_b32_e32 v10, s82
	s_wait_alu 0xfffe
	s_add_nc_u64 s[78:79], s[78:79], s[68:69]
	v_mov_b32_e32 v12, s80
	s_wait_alu 0xfffe
	v_dual_mov_b32 v14, s78 :: v_dual_mov_b32 v9, s85
	v_mov_b32_e32 v11, s83
	v_mov_b32_e32 v13, s81
	;; [unrolled: 1-line block ×3, first 2 shown]
	s_or_b32 s57, s15, s57
	s_wait_alu 0xfffe
	s_and_not1_b32 exec_lo, exec_lo, s57
	s_cbranch_execnz .LBB118_85
; %bb.86:                               ;   in Loop: Header=BB118_32 Depth=1
	s_or_b32 exec_lo, exec_lo, s57
.LBB118_87:                             ;   in Loop: Header=BB118_32 Depth=1
	s_delay_alu instid0(SALU_CYCLE_1)
	s_or_b32 exec_lo, exec_lo, vcc_hi
	v_add_co_u32 v4, vcc_lo, v4, v0
	s_wait_alu 0xfffd
	v_add_co_ci_u32_e64 v5, null, 0, v5, vcc_lo
	s_and_b32 s68, s76, 0x7fffffff
	s_mov_b32 s9, exec_lo
	s_wait_alu 0xfffe
	v_cmpx_gt_u64_e64 s[68:69], v[4:5]
	s_cbranch_execz .LBB118_91
; %bb.88:                               ;   in Loop: Header=BB118_32 Depth=1
	s_mul_i32 s103, s103, s77
	s_lshl_b32 s11, s77, 3
	s_wait_alu 0xfffe
	v_lshl_add_u32 v28, s103, 5, v33
	s_mov_b32 s10, 0
.LBB118_89:                             ;   Parent Loop BB118_32 Depth=1
                                        ; =>  This Inner Loop Header: Depth=2
	ds_load_b64 v[29:30], v28
	v_add_co_u32 v4, s4, v4, v2
	s_wait_alu 0xf1ff
	v_add_co_ci_u32_e64 v5, null, 0, v5, s4
	s_delay_alu instid0(VALU_DEP_1) | instskip(SKIP_3) | instid1(VALU_DEP_1)
	v_cmp_le_u64_e64 s4, s[68:69], v[4:5]
	s_wait_dscnt 0x0
	v_cmp_o_f64_e32 vcc_lo, v[29:30], v[29:30]
	v_ashrrev_i32_e32 v18, 31, v30
	v_or_b32_e32 v31, 0x80000000, v18
	v_xor_b32_e32 v18, v18, v29
	v_add_nc_u32_e32 v28, s11, v28
	s_delay_alu instid0(VALU_DEP_3) | instskip(SKIP_1) | instid1(VALU_DEP_1)
	v_xor_b32_e32 v31, v31, v30
	s_wait_alu 0xfffd
	v_dual_cndmask_b32 v29, -1, v18 :: v_dual_cndmask_b32 v30, -1, v31
	s_delay_alu instid0(VALU_DEP_1) | instskip(NEXT) | instid1(VALU_DEP_2)
	v_and_b32_e32 v39, v29, v24
	v_and_b32_e32 v40, v30, v25
	v_lshrrev_b64 v[29:30], s93, v[29:30]
	s_delay_alu instid0(VALU_DEP_2) | instskip(NEXT) | instid1(VALU_DEP_2)
	v_cmp_eq_u64_e32 vcc_lo, v[39:40], v[22:23]
	v_and_b32_e32 v18, 3, v29
	s_delay_alu instid0(VALU_DEP_1)
	v_cmp_eq_u64_e64 s5, 0, v[18:19]
	v_cmp_eq_u64_e64 s6, 1, v[18:19]
	;; [unrolled: 1-line block ×4, first 2 shown]
	s_and_b32 s5, vcc_lo, s5
	s_wait_alu 0xfffe
	v_cndmask_b32_e64 v18, 0, 1, s5
	s_and_b32 s5, vcc_lo, s6
	s_wait_alu 0xfffe
	v_cndmask_b32_e64 v29, 0, 1, s5
	s_and_b32 s5, vcc_lo, s7
	s_wait_alu 0xfffe
	v_cndmask_b32_e64 v30, 0, 1, s5
	s_and_b32 s5, vcc_lo, s8
	v_cmp_ne_u32_e32 vcc_lo, 0, v18
	s_wait_alu 0xfffe
	v_cndmask_b32_e64 v31, 0, 1, s5
	v_cmp_ne_u32_e64 s5, 0, v29
	v_cmp_ne_u32_e64 s6, 0, v30
	s_bcnt1_i32_b32 s8, vcc_lo
	v_cmp_ne_u32_e64 s7, 0, v31
	s_bcnt1_i32_b32 s5, s5
	s_wait_alu 0xfffe
	v_add_co_u32 v8, vcc_lo, v8, s8
	s_bcnt1_i32_b32 s6, s6
	s_wait_alu 0xfffd
	v_add_co_ci_u32_e64 v9, null, 0, v9, vcc_lo
	v_add_co_u32 v10, vcc_lo, v10, s5
	s_bcnt1_i32_b32 s7, s7
	s_wait_alu 0xfffd
	v_add_co_ci_u32_e64 v11, null, 0, v11, vcc_lo
	s_wait_alu 0xfffe
	v_add_co_u32 v12, vcc_lo, v12, s6
	s_wait_alu 0xfffd
	v_add_co_ci_u32_e64 v13, null, 0, v13, vcc_lo
	v_add_co_u32 v14, vcc_lo, v14, s7
	s_wait_alu 0xfffd
	v_add_co_ci_u32_e64 v15, null, 0, v15, vcc_lo
	s_or_b32 s10, s4, s10
	s_wait_alu 0xfffe
	s_and_not1_b32 exec_lo, exec_lo, s10
	s_cbranch_execnz .LBB118_89
; %bb.90:                               ;   in Loop: Header=BB118_32 Depth=1
	s_or_b32 exec_lo, exec_lo, s10
.LBB118_91:                             ;   in Loop: Header=BB118_32 Depth=1
	s_delay_alu instid0(SALU_CYCLE_1)
	s_or_b32 exec_lo, exec_lo, s9
	s_lshl_b32 s4, s96, 7
	s_and_saveexec_b32 s5, s1
	s_cbranch_execnz .LBB118_62
	s_branch .LBB118_63
.LBB118_92:                             ;   in Loop: Header=BB118_32 Depth=1
                                        ; implicit-def: $sgpr4_sgpr5
	s_branch .LBB118_71
.LBB118_93:                             ;   in Loop: Header=BB118_32 Depth=1
	s_mov_b32 s6, 0
	s_and_not1_b32 vcc_lo, exec_lo, s91
	s_wait_alu 0xfffe
	s_cbranch_vccnz .LBB118_96
.LBB118_94:                             ;   in Loop: Header=BB118_32 Depth=1
	s_lshl_b32 s7, s96, 10
	s_lshl_b32 s6, s6, 5
	s_wait_alu 0xfffe
	v_add3_u32 v2, s7, s6, v38
	s_mov_b32 s6, s88
.LBB118_95:                             ;   Parent Loop BB118_32 Depth=1
                                        ; =>  This Inner Loop Header: Depth=2
	ds_load_b64 v[8:9], v2
	v_add_nc_u32_e32 v2, 32, v2
	s_wait_alu 0xfffe
	s_add_co_i32 s6, s6, -1
	s_wait_alu 0xfffe
	s_cmp_lg_u32 s6, 0
	s_wait_dscnt 0x0
	v_add_co_u32 v4, vcc_lo, v8, v4
	s_wait_alu 0xfffd
	v_add_co_ci_u32_e64 v5, null, v9, v5, vcc_lo
	s_cbranch_scc1 .LBB118_95
.LBB118_96:                             ;   in Loop: Header=BB118_32 Depth=1
	v_add_lshl_u32 v2, s4, v32, 3
	ds_store_b64 v2, v[4:5] offset:3072
.LBB118_97:                             ;   in Loop: Header=BB118_32 Depth=1
	s_wait_alu 0xfffe
	s_or_b32 exec_lo, exec_lo, s5
	s_lshl_b32 s4, s4, 3
	s_wait_loadcnt_dscnt 0x0
	s_wait_alu 0xfffe
	v_mov_b32_e32 v2, s4
	s_barrier_signal -1
	s_barrier_wait -1
	global_inv scope:SCOPE_SE
	v_cmp_eq_u64_e32 vcc_lo, 1, v[26:27]
	ds_load_b128 v[8:11], v2 offset:3072
	ds_load_b128 v[12:15], v2 offset:3088
	s_lshl_b64 s[8:9], 3, s93
	s_mov_b32 s19, -1
	s_wait_alu 0xfffe
	s_not_b64 s[12:13], s[8:9]
                                        ; implicit-def: $sgpr22
                                        ; implicit-def: $sgpr21
	s_wait_dscnt 0x1
	v_cmp_eq_u64_e64 s4, 1, v[8:9]
	s_wait_dscnt 0x0
	v_readfirstlane_b32 s10, v12
	v_readfirstlane_b32 s11, v13
	;; [unrolled: 1-line block ×4, first 2 shown]
	s_and_b32 s20, s4, vcc_lo
	s_mov_b32 s4, -1
	s_wait_alu 0xfffe
	s_and_saveexec_b32 s18, s20
	s_cbranch_execz .LBB118_131
; %bb.98:                               ;   in Loop: Header=BB118_32 Depth=1
	ds_load_b64 v[4:5], v19 offset:5120
	s_wait_loadcnt_dscnt 0x0
	s_barrier_signal -1
	s_barrier_wait -1
	global_inv scope:SCOPE_SE
	v_readfirstlane_b32 s4, v4
	v_readfirstlane_b32 s5, v5
	s_and_saveexec_b32 s14, s0
; %bb.99:                               ;   in Loop: Header=BB118_32 Depth=1
	v_mov_b32_e32 v18, v19
	ds_store_b64 v34, v[18:19]
; %bb.100:                              ;   in Loop: Header=BB118_32 Depth=1
	s_wait_alu 0xfffe
	s_or_b32 exec_lo, exec_lo, s14
	v_and_b32_e32 v23, s13, v23
	v_and_b32_e32 v22, s12, v22
	v_or_b32_e32 v25, s9, v25
	v_or_b32_e32 v24, s8, v24
	s_mov_b32 s21, -1
	s_mov_b32 s22, 0
	s_cmp_eq_u64 s[4:5], 0
	s_mov_b32 s16, 0
	s_mov_b32 s17, -1
	s_wait_loadcnt_dscnt 0x0
	s_barrier_signal -1
	s_barrier_wait -1
	global_inv scope:SCOPE_SE
                                        ; implicit-def: $vgpr6_vgpr7
	s_cbranch_scc1 .LBB118_115
; %bb.101:                              ;   in Loop: Header=BB118_32 Depth=1
	s_add_nc_u64 s[14:15], s[4:5], s[70:71]
	s_mov_b32 s16, s69
	s_wait_alu 0xfffe
	s_mov_b32 s17, s15
	s_wait_alu 0xfffe
	s_cmp_lg_u64 s[16:17], 0
	s_cbranch_scc0 .LBB118_158
; %bb.102:                              ;   in Loop: Header=BB118_32 Depth=1
	s_cvt_f32_u32 s16, s66
	s_sub_nc_u64 s[56:57], 0, s[66:67]
	s_wait_alu 0xfffe
	s_delay_alu instid0(SALU_CYCLE_1) | instskip(SKIP_1) | instid1(SALU_CYCLE_2)
	s_fmamk_f32 s16, s95, 0x0, s16
	s_wait_alu 0xfffe
	v_s_rcp_f32 s16, s16
	s_delay_alu instid0(TRANS32_DEP_1) | instskip(SKIP_1) | instid1(SALU_CYCLE_2)
	s_mul_f32 s16, s16, 0x5f7ffffc
	s_wait_alu 0xfffe
	s_mul_f32 s17, s16, 0x2f800000
	s_wait_alu 0xfffe
	s_delay_alu instid0(SALU_CYCLE_2) | instskip(SKIP_1) | instid1(SALU_CYCLE_2)
	s_trunc_f32 s17, s17
	s_wait_alu 0xfffe
	s_fmamk_f32 s16, s17, 0xcf800000, s16
	s_cvt_u32_f32 s17, s17
	s_wait_alu 0xfffe
	s_delay_alu instid0(SALU_CYCLE_1) | instskip(SKIP_1) | instid1(SALU_CYCLE_2)
	s_cvt_u32_f32 s16, s16
	s_wait_alu 0xfffe
	s_mul_u64 s[76:77], s[56:57], s[16:17]
	s_delay_alu instid0(SALU_CYCLE_1)
	s_mul_hi_u32 s79, s16, s77
	s_mul_i32 s78, s16, s77
	s_mul_hi_u32 s68, s16, s76
	s_mul_i32 s62, s17, s76
	s_wait_alu 0xfffe
	s_add_nc_u64 s[78:79], s[68:69], s[78:79]
	s_mul_hi_u32 s23, s17, s76
	s_mul_hi_u32 s63, s17, s77
	s_wait_alu 0xfffe
	s_add_co_u32 s62, s78, s62
	s_add_co_ci_u32 s68, s79, s23
	s_mul_i32 s76, s17, s77
	s_add_co_ci_u32 s77, s63, 0
	s_wait_alu 0xfffe
	s_add_nc_u64 s[76:77], s[68:69], s[76:77]
	s_delay_alu instid0(SALU_CYCLE_1)
	s_add_co_u32 s16, s16, s76
	s_cselect_b32 s23, -1, 0
	s_wait_alu 0xfffe
	s_cmp_lg_u32 s23, 0
	s_add_co_ci_u32 s17, s17, s77
	s_wait_alu 0xfffe
	s_mul_u64 s[56:57], s[56:57], s[16:17]
	s_wait_alu 0xfffe
	s_mul_hi_u32 s77, s16, s57
	s_mul_i32 s76, s16, s57
	s_mul_hi_u32 s68, s16, s56
	s_mul_i32 s62, s17, s56
	s_wait_alu 0xfffe
	s_add_nc_u64 s[76:77], s[68:69], s[76:77]
	s_mul_hi_u32 s23, s17, s56
	s_mul_hi_u32 s63, s17, s57
	s_mul_i32 s56, s17, s57
	s_add_co_u32 s57, s76, s62
	s_wait_alu 0xfffe
	s_add_co_ci_u32 s68, s77, s23
	s_add_co_ci_u32 s57, s63, 0
	s_wait_alu 0xfffe
	s_add_nc_u64 s[56:57], s[68:69], s[56:57]
	s_wait_alu 0xfffe
	s_add_co_u32 s16, s16, s56
	s_cselect_b32 s23, -1, 0
	s_wait_alu 0xfffe
	s_mul_hi_u32 s68, s14, s16
	s_cmp_lg_u32 s23, 0
	s_mul_hi_u32 s23, s15, s16
	s_add_co_ci_u32 s56, s17, s57
	s_mul_i32 s57, s15, s16
	s_wait_alu 0xfffe
	s_mul_hi_u32 s17, s14, s56
	s_mul_i32 s16, s14, s56
	s_mul_hi_u32 s62, s15, s56
	s_wait_alu 0xfffe
	s_add_nc_u64 s[16:17], s[68:69], s[16:17]
	s_mul_i32 s56, s15, s56
	s_wait_alu 0xfffe
	s_add_co_u32 s16, s16, s57
	s_add_co_ci_u32 s68, s17, s23
	s_add_co_ci_u32 s57, s62, 0
	s_wait_alu 0xfffe
	s_add_nc_u64 s[16:17], s[68:69], s[56:57]
	s_wait_alu 0xfffe
	s_mul_u64 s[16:17], s[66:67], s[16:17]
	s_wait_alu 0xfffe
	s_sub_co_u32 s16, s14, s16
	s_cselect_b32 s23, -1, 0
	s_wait_alu 0xfffe
	s_cmp_lg_u32 s23, 0
	s_sub_co_ci_u32 s17, s15, s17
	s_sub_co_u32 s23, s16, s66
	s_cselect_b32 s56, -1, 0
	s_wait_alu 0xfffe
	s_cmp_lg_u32 s56, 0
	s_sub_co_ci_u32 s56, s17, 0
	;; [unrolled: 5-line block ×3, first 2 shown]
	s_cmp_ge_u32 s23, s66
	s_cselect_b32 s63, -1, 0
	s_cmp_eq_u32 s56, 0
	s_wait_alu 0xfffe
	s_cselect_b32 s63, s63, -1
	s_wait_alu 0xfffe
	s_cmp_lg_u32 s63, 0
	s_cselect_b32 s56, s62, s56
	s_cselect_b32 s23, s57, s23
	s_cmp_ge_u32 s16, s66
	s_cselect_b32 s57, -1, 0
	s_cmp_eq_u32 s17, 0
	s_wait_alu 0xfffe
	s_cselect_b32 s57, s57, -1
	s_wait_alu 0xfffe
	s_cmp_lg_u32 s57, 0
	s_cselect_b32 s17, s56, s17
	s_cselect_b32 s16, s23, s16
	s_cbranch_execnz .LBB118_104
.LBB118_103:                            ;   in Loop: Header=BB118_32 Depth=1
	v_cvt_f32_u32_e32 v2, s66
	s_sub_co_i32 s17, 0, s66
	s_delay_alu instid0(VALU_DEP_1) | instskip(NEXT) | instid1(TRANS32_DEP_1)
	v_rcp_iflag_f32_e32 v2, v2
	v_mul_f32_e32 v2, 0x4f7ffffe, v2
	s_delay_alu instid0(VALU_DEP_1) | instskip(NEXT) | instid1(VALU_DEP_1)
	v_cvt_u32_f32_e32 v2, v2
	v_readfirstlane_b32 s16, v2
	s_wait_alu 0xfffe
	s_mul_i32 s17, s17, s16
	s_wait_alu 0xfffe
	s_mul_hi_u32 s17, s16, s17
	s_wait_alu 0xfffe
	s_add_co_i32 s16, s16, s17
	s_wait_alu 0xfffe
	s_mul_hi_u32 s16, s14, s16
	s_wait_alu 0xfffe
	s_mul_i32 s16, s16, s66
	s_wait_alu 0xfffe
	s_sub_co_i32 s16, s14, s16
	s_wait_alu 0xfffe
	s_sub_co_i32 s17, s16, s66
	s_cmp_ge_u32 s16, s66
	s_wait_alu 0xfffe
	s_cselect_b32 s16, s17, s16
	s_wait_alu 0xfffe
	s_sub_co_i32 s17, s16, s66
	s_cmp_ge_u32 s16, s66
	s_wait_alu 0xfffe
	s_cselect_b32 s68, s17, s16
	s_wait_alu 0xfffe
	s_mov_b64 s[16:17], s[68:69]
.LBB118_104:                            ;   in Loop: Header=BB118_32 Depth=1
	s_wait_alu 0xfffe
	s_sub_nc_u64 s[14:15], s[14:15], s[16:17]
	s_mov_b32 s17, 0
	s_mov_b32 s16, 0
	s_mov_b32 s23, exec_lo
                                        ; implicit-def: $vgpr6_vgpr7
	s_wait_alu 0xfffe
	v_cmpx_gt_u64_e64 s[14:15], v[0:1]
	s_cbranch_execz .LBB118_114
; %bb.105:                              ;   in Loop: Header=BB118_32 Depth=1
	v_dual_mov_b32 v14, v33 :: v_dual_mov_b32 v13, v1
	v_mov_b32_e32 v12, v0
                                        ; implicit-def: $sgpr56
	s_branch .LBB118_109
.LBB118_106:                            ;   in Loop: Header=BB118_109 Depth=2
	s_wait_alu 0xfffe
	s_or_b32 exec_lo, exec_lo, s57
	s_wait_loadcnt_dscnt 0x0
	s_barrier_signal -1
	s_barrier_wait -1
	global_inv scope:SCOPE_SE
	ds_load_b128 v[4:7], v19 offset:3072
	s_wait_loadcnt_dscnt 0x0
	s_barrier_signal -1
	s_barrier_wait -1
	global_inv scope:SCOPE_SE
	v_cmp_neq_f64_e32 vcc_lo, 0, v[4:5]
	s_cbranch_vccnz .LBB118_112
; %bb.107:                              ;   in Loop: Header=BB118_109 Depth=2
	v_add_co_u32 v12, vcc_lo, v12, s66
	s_wait_alu 0xfffd
	v_add_co_ci_u32_e64 v13, null, 0, v13, vcc_lo
	v_add_nc_u32_e32 v14, s92, v14
	s_mov_b32 s57, 0
	s_delay_alu instid0(VALU_DEP_2)
	v_cmp_le_u64_e32 vcc_lo, s[14:15], v[12:13]
	s_or_not1_b32 s68, vcc_lo, exec_lo
.LBB118_108:                            ;   in Loop: Header=BB118_109 Depth=2
	s_wait_alu 0xfffe
	s_and_b32 s62, exec_lo, s68
	s_wait_alu 0xfffe
	s_or_b32 s16, s62, s16
	s_and_not1_b32 s56, s56, exec_lo
	s_and_b32 s57, s57, exec_lo
	s_wait_alu 0xfffe
	s_or_b32 s56, s56, s57
	s_and_not1_b32 exec_lo, exec_lo, s16
	s_cbranch_execz .LBB118_113
.LBB118_109:                            ;   Parent Loop BB118_32 Depth=1
                                        ; =>  This Inner Loop Header: Depth=2
	s_mov_b32 s57, exec_lo
	s_delay_alu instid0(VALU_DEP_1)
	v_cmpx_gt_u64_e64 s[4:5], v[12:13]
	s_cbranch_execz .LBB118_106
; %bb.110:                              ;   in Loop: Header=BB118_109 Depth=2
	ds_load_b64 v[4:5], v14
	s_wait_dscnt 0x0
	v_cmp_o_f64_e32 vcc_lo, v[4:5], v[4:5]
	v_ashrrev_i32_e32 v2, 31, v5
	s_delay_alu instid0(VALU_DEP_1) | instskip(SKIP_1) | instid1(VALU_DEP_2)
	v_or_b32_e32 v6, 0x80000000, v2
	v_xor_b32_e32 v2, v2, v4
	v_xor_b32_e32 v6, v6, v5
	s_wait_alu 0xfffd
	s_delay_alu instid0(VALU_DEP_1) | instskip(NEXT) | instid1(VALU_DEP_1)
	v_cndmask_b32_e32 v6, -1, v6, vcc_lo
	v_dual_cndmask_b32 v2, -1, v2 :: v_dual_and_b32 v7, v6, v25
	s_delay_alu instid0(VALU_DEP_1) | instskip(NEXT) | instid1(VALU_DEP_1)
	v_and_b32_e32 v6, v2, v24
	v_cmp_eq_u64_e32 vcc_lo, v[6:7], v[22:23]
	s_and_b32 exec_lo, exec_lo, vcc_lo
	s_cbranch_execz .LBB118_106
; %bb.111:                              ;   in Loop: Header=BB118_109 Depth=2
	v_mov_b32_e32 v2, v19
	ds_store_b128 v19, v[2:5] offset:3072
	s_branch .LBB118_106
.LBB118_112:                            ;   in Loop: Header=BB118_109 Depth=2
	s_mov_b32 s68, -1
	s_mov_b32 s57, -1
                                        ; implicit-def: $vgpr12_vgpr13
                                        ; implicit-def: $vgpr14
	s_branch .LBB118_108
.LBB118_113:                            ;   in Loop: Header=BB118_32 Depth=1
	s_or_b32 exec_lo, exec_lo, s16
	s_wait_alu 0xfffe
	s_and_b32 s16, s56, exec_lo
.LBB118_114:                            ;   in Loop: Header=BB118_32 Depth=1
	s_or_b32 exec_lo, exec_lo, s23
.LBB118_115:                            ;   in Loop: Header=BB118_32 Depth=1
	s_wait_alu 0xfffe
	s_and_b32 vcc_lo, exec_lo, s17
	s_wait_alu 0xfffe
	s_cbranch_vccz .LBB118_130
; %bb.116:                              ;   in Loop: Header=BB118_32 Depth=1
	s_mov_b32 s4, s69
	s_mov_b32 s5, s73
	s_wait_alu 0xfffe
	s_cmp_lg_u64 s[4:5], 0
	s_cbranch_scc0 .LBB118_162
; %bb.117:                              ;   in Loop: Header=BB118_32 Depth=1
	s_cvt_f32_u32 s4, s66
	s_sub_nc_u64 s[14:15], 0, s[66:67]
	s_wait_alu 0xfffe
	s_delay_alu instid0(SALU_CYCLE_1) | instskip(SKIP_1) | instid1(SALU_CYCLE_2)
	s_fmamk_f32 s4, s95, 0x0, s4
	s_wait_alu 0xfffe
	v_s_rcp_f32 s4, s4
	s_delay_alu instid0(TRANS32_DEP_1) | instskip(SKIP_1) | instid1(SALU_CYCLE_2)
	s_mul_f32 s4, s4, 0x5f7ffffc
	s_wait_alu 0xfffe
	s_mul_f32 s5, s4, 0x2f800000
	s_wait_alu 0xfffe
	s_delay_alu instid0(SALU_CYCLE_2) | instskip(SKIP_1) | instid1(SALU_CYCLE_2)
	s_trunc_f32 s5, s5
	s_wait_alu 0xfffe
	s_fmamk_f32 s4, s5, 0xcf800000, s4
	s_cvt_u32_f32 s5, s5
	s_wait_alu 0xfffe
	s_delay_alu instid0(SALU_CYCLE_1) | instskip(SKIP_1) | instid1(SALU_CYCLE_2)
	s_cvt_u32_f32 s4, s4
	s_wait_alu 0xfffe
	s_mul_u64 s[22:23], s[14:15], s[4:5]
	s_wait_alu 0xfffe
	s_mul_hi_u32 s57, s4, s23
	s_mul_i32 s56, s4, s23
	s_mul_hi_u32 s68, s4, s22
	s_mul_i32 s21, s5, s22
	s_wait_alu 0xfffe
	s_add_nc_u64 s[56:57], s[68:69], s[56:57]
	s_mul_hi_u32 s17, s5, s22
	s_mul_hi_u32 s62, s5, s23
	s_wait_alu 0xfffe
	s_add_co_u32 s21, s56, s21
	s_add_co_ci_u32 s68, s57, s17
	s_mul_i32 s22, s5, s23
	s_add_co_ci_u32 s23, s62, 0
	s_wait_alu 0xfffe
	s_add_nc_u64 s[22:23], s[68:69], s[22:23]
	s_wait_alu 0xfffe
	s_add_co_u32 s4, s4, s22
	s_cselect_b32 s17, -1, 0
	s_wait_alu 0xfffe
	s_cmp_lg_u32 s17, 0
	s_add_co_ci_u32 s5, s5, s23
	s_wait_alu 0xfffe
	s_mul_u64 s[14:15], s[14:15], s[4:5]
	s_wait_alu 0xfffe
	s_mul_hi_u32 s23, s4, s15
	s_mul_i32 s22, s4, s15
	s_mul_hi_u32 s68, s4, s14
	s_mul_i32 s21, s5, s14
	s_wait_alu 0xfffe
	s_add_nc_u64 s[22:23], s[68:69], s[22:23]
	s_mul_hi_u32 s17, s5, s14
	s_mul_hi_u32 s56, s5, s15
	s_mul_i32 s14, s5, s15
	s_wait_alu 0xfffe
	s_add_co_u32 s15, s22, s21
	s_add_co_ci_u32 s68, s23, s17
	s_add_co_ci_u32 s15, s56, 0
	s_wait_alu 0xfffe
	s_add_nc_u64 s[14:15], s[68:69], s[14:15]
	s_wait_alu 0xfffe
	s_add_co_u32 s4, s4, s14
	s_cselect_b32 s14, -1, 0
	s_wait_alu 0xfffe
	s_mul_hi_u32 s68, s72, s4
	s_cmp_lg_u32 s14, 0
	s_mul_hi_u32 s17, s73, s4
	s_add_co_ci_u32 s14, s5, s15
	s_mul_i32 s15, s73, s4
	s_wait_alu 0xfffe
	s_mul_hi_u32 s5, s72, s14
	s_mul_i32 s4, s72, s14
	s_mul_hi_u32 s21, s73, s14
	s_wait_alu 0xfffe
	s_add_nc_u64 s[4:5], s[68:69], s[4:5]
	s_mul_i32 s14, s73, s14
	s_wait_alu 0xfffe
	s_add_co_u32 s4, s4, s15
	s_add_co_ci_u32 s68, s5, s17
	s_add_co_ci_u32 s15, s21, 0
	s_wait_alu 0xfffe
	s_add_nc_u64 s[4:5], s[68:69], s[14:15]
	s_wait_alu 0xfffe
	s_mul_u64 s[4:5], s[66:67], s[4:5]
	s_wait_alu 0xfffe
	s_sub_co_u32 s4, s72, s4
	s_cselect_b32 s14, -1, 0
	s_wait_alu 0xfffe
	s_cmp_lg_u32 s14, 0
	s_sub_co_ci_u32 s5, s73, s5
	s_sub_co_u32 s14, s4, s66
	s_cselect_b32 s15, -1, 0
	s_wait_alu 0xfffe
	s_cmp_lg_u32 s15, 0
	s_sub_co_ci_u32 s15, s5, 0
	;; [unrolled: 5-line block ×3, first 2 shown]
	s_cmp_ge_u32 s14, s66
	s_cselect_b32 s22, -1, 0
	s_cmp_eq_u32 s15, 0
	s_wait_alu 0xfffe
	s_cselect_b32 s22, s22, -1
	s_wait_alu 0xfffe
	s_cmp_lg_u32 s22, 0
	s_cselect_b32 s15, s21, s15
	s_cselect_b32 s14, s17, s14
	s_cmp_ge_u32 s4, s66
	s_cselect_b32 s17, -1, 0
	s_cmp_eq_u32 s5, 0
	s_wait_alu 0xfffe
	s_cselect_b32 s17, s17, -1
	s_wait_alu 0xfffe
	s_cmp_lg_u32 s17, 0
	s_cselect_b32 s5, s15, s5
	s_cselect_b32 s4, s14, s4
	s_cbranch_execnz .LBB118_119
.LBB118_118:                            ;   in Loop: Header=BB118_32 Depth=1
	v_cvt_f32_u32_e32 v2, s66
	s_sub_co_i32 s5, 0, s66
	s_delay_alu instid0(VALU_DEP_1) | instskip(NEXT) | instid1(TRANS32_DEP_1)
	v_rcp_iflag_f32_e32 v2, v2
	v_mul_f32_e32 v2, 0x4f7ffffe, v2
	s_delay_alu instid0(VALU_DEP_1) | instskip(NEXT) | instid1(VALU_DEP_1)
	v_cvt_u32_f32_e32 v2, v2
	v_readfirstlane_b32 s4, v2
	s_wait_alu 0xfffe
	s_mul_i32 s5, s5, s4
	s_wait_alu 0xfffe
	s_mul_hi_u32 s5, s4, s5
	s_wait_alu 0xfffe
	s_add_co_i32 s4, s4, s5
	s_wait_alu 0xfffe
	s_mul_hi_u32 s4, s72, s4
	s_wait_alu 0xfffe
	s_mul_i32 s4, s4, s66
	s_wait_alu 0xfffe
	s_sub_co_i32 s4, s72, s4
	s_wait_alu 0xfffe
	s_sub_co_i32 s5, s4, s66
	s_cmp_ge_u32 s4, s66
	s_wait_alu 0xfffe
	s_cselect_b32 s4, s5, s4
	s_wait_alu 0xfffe
	s_sub_co_i32 s5, s4, s66
	s_cmp_ge_u32 s4, s66
	s_wait_alu 0xfffe
	s_cselect_b32 s68, s5, s4
	s_wait_alu 0xfffe
	s_mov_b64 s[4:5], s[68:69]
.LBB118_119:                            ;   in Loop: Header=BB118_32 Depth=1
	s_wait_alu 0xfffe
	s_sub_nc_u64 s[4:5], s[72:73], s[4:5]
	s_mov_b32 s14, exec_lo
                                        ; implicit-def: $vgpr6_vgpr7
	s_wait_alu 0xfffe
	v_cmpx_gt_u64_e64 s[4:5], v[0:1]
	s_cbranch_execz .LBB118_129
; %bb.120:                              ;   in Loop: Header=BB118_32 Depth=1
	v_dual_mov_b32 v13, v1 :: v_dual_mov_b32 v12, v0
	s_mov_b32 s17, 0
                                        ; implicit-def: $sgpr15
	s_branch .LBB118_124
.LBB118_121:                            ;   in Loop: Header=BB118_124 Depth=2
	s_wait_alu 0xfffe
	s_or_b32 exec_lo, exec_lo, s21
	s_wait_loadcnt_dscnt 0x0
	s_barrier_signal -1
	s_barrier_wait -1
	global_inv scope:SCOPE_SE
	ds_load_b128 v[4:7], v19 offset:3072
	s_wait_loadcnt_dscnt 0x0
	s_barrier_signal -1
	s_barrier_wait -1
	global_inv scope:SCOPE_SE
	v_cmp_neq_f64_e32 vcc_lo, 0, v[4:5]
	s_cbranch_vccnz .LBB118_127
; %bb.122:                              ;   in Loop: Header=BB118_124 Depth=2
	v_add_co_u32 v12, vcc_lo, v12, s66
	s_wait_alu 0xfffd
	v_add_co_ci_u32_e64 v13, null, 0, v13, vcc_lo
	s_mov_b32 s21, 0
	v_cmp_le_u64_e32 vcc_lo, s[4:5], v[12:13]
	s_or_not1_b32 s22, vcc_lo, exec_lo
.LBB118_123:                            ;   in Loop: Header=BB118_124 Depth=2
	s_wait_alu 0xfffe
	s_and_b32 s22, exec_lo, s22
	s_wait_alu 0xfffe
	s_or_b32 s17, s22, s17
	s_and_not1_b32 s15, s15, exec_lo
	s_and_b32 s21, s21, exec_lo
	s_wait_alu 0xfffe
	s_or_b32 s15, s15, s21
	s_and_not1_b32 exec_lo, exec_lo, s17
	s_cbranch_execz .LBB118_128
.LBB118_124:                            ;   Parent Loop BB118_32 Depth=1
                                        ; =>  This Inner Loop Header: Depth=2
	s_mov_b32 s21, exec_lo
	s_delay_alu instid0(VALU_DEP_1)
	v_cmpx_gt_u64_e64 s[24:25], v[12:13]
	s_cbranch_execz .LBB118_121
; %bb.125:                              ;   in Loop: Header=BB118_124 Depth=2
	v_mul_lo_u32 v2, v13, s50
	v_mul_lo_u32 v6, v12, s51
	v_mad_co_u64_u32 v[4:5], null, v12, s50, 0
	s_delay_alu instid0(VALU_DEP_1) | instskip(NEXT) | instid1(VALU_DEP_1)
	v_add3_u32 v5, v5, v6, v2
	v_lshlrev_b64_e32 v[4:5], 3, v[4:5]
	s_delay_alu instid0(VALU_DEP_1) | instskip(SKIP_1) | instid1(VALU_DEP_2)
	v_add_co_u32 v4, vcc_lo, s58, v4
	s_wait_alu 0xfffd
	v_add_co_ci_u32_e64 v5, null, s59, v5, vcc_lo
	global_load_b64 v[4:5], v[4:5], off
	s_wait_loadcnt 0x0
	v_cmp_o_f64_e32 vcc_lo, v[4:5], v[4:5]
	v_ashrrev_i32_e32 v2, 31, v5
	s_delay_alu instid0(VALU_DEP_1) | instskip(SKIP_1) | instid1(VALU_DEP_2)
	v_or_b32_e32 v6, 0x80000000, v2
	v_xor_b32_e32 v2, v2, v4
	v_xor_b32_e32 v6, v6, v5
	s_wait_alu 0xfffd
	s_delay_alu instid0(VALU_DEP_1) | instskip(NEXT) | instid1(VALU_DEP_1)
	v_cndmask_b32_e32 v6, -1, v6, vcc_lo
	v_dual_cndmask_b32 v2, -1, v2 :: v_dual_and_b32 v7, v6, v25
	s_delay_alu instid0(VALU_DEP_1) | instskip(NEXT) | instid1(VALU_DEP_1)
	v_and_b32_e32 v6, v2, v24
	v_cmp_eq_u64_e32 vcc_lo, v[6:7], v[22:23]
	s_and_b32 exec_lo, exec_lo, vcc_lo
	s_cbranch_execz .LBB118_121
; %bb.126:                              ;   in Loop: Header=BB118_124 Depth=2
	v_mov_b32_e32 v2, v19
	ds_store_b128 v19, v[2:5] offset:3072
	s_branch .LBB118_121
.LBB118_127:                            ;   in Loop: Header=BB118_124 Depth=2
	s_mov_b32 s22, -1
	s_mov_b32 s21, -1
                                        ; implicit-def: $vgpr12_vgpr13
	s_branch .LBB118_123
.LBB118_128:                            ;   in Loop: Header=BB118_32 Depth=1
	s_or_b32 exec_lo, exec_lo, s17
	s_delay_alu instid0(SALU_CYCLE_1)
	s_and_not1_b32 s4, s16, exec_lo
	s_wait_alu 0xfffe
	s_and_b32 s5, s15, exec_lo
	s_wait_alu 0xfffe
	s_or_b32 s16, s4, s5
.LBB118_129:                            ;   in Loop: Header=BB118_32 Depth=1
	s_or_b32 exec_lo, exec_lo, s14
	s_mov_b32 s21, 0
	s_mov_b32 s22, -1
.LBB118_130:                            ;   in Loop: Header=BB118_32 Depth=1
	s_wait_alu 0xfffe
	s_or_not1_b32 s4, s16, exec_lo
.LBB118_131:                            ;   in Loop: Header=BB118_32 Depth=1
	s_wait_alu 0xfffe
	s_or_b32 exec_lo, exec_lo, s18
	s_delay_alu instid0(SALU_CYCLE_1)
	s_and_not1_b32 s5, s101, exec_lo
	s_and_b32 s14, s22, exec_lo
	s_and_not1_b32 s15, s99, exec_lo
	s_and_b32 s16, s21, exec_lo
	s_and_not1_b32 s98, s98, exec_lo
	s_wait_alu 0xfffe
	s_or_b32 s101, s5, s14
	s_or_b32 s99, s15, s16
                                        ; implicit-def: $vgpr12_vgpr13
	s_and_saveexec_b32 s18, s4
	s_cbranch_execz .LBB118_31
; %bb.132:                              ;   in Loop: Header=BB118_32 Depth=1
	v_mov_b32_e32 v12, 1
	v_dual_mov_b32 v13, 0 :: v_dual_mov_b32 v14, 1
	s_xor_b32 s14, s20, -1
	s_mov_b32 s5, 0
	s_wait_alu 0xfffe
	s_and_saveexec_b32 s4, s14
	s_cbranch_execz .LBB118_141
; %bb.133:                              ;   in Loop: Header=BB118_32 Depth=1
	s_mov_b32 s5, exec_lo
	v_cmpx_le_u64_e64 v[26:27], v[8:9]
	s_wait_alu 0xfffe
	s_xor_b32 s5, exec_lo, s5
	s_cbranch_execz .LBB118_138
; %bb.134:                              ;   in Loop: Header=BB118_32 Depth=1
	ds_load_b64 v[4:5], v19 offset:5120
	v_and_b32_e32 v23, s13, v23
	v_and_b32_e32 v22, s12, v22
	v_or_b32_e32 v25, s9, v25
	v_or_b32_e32 v24, s8, v24
	s_wait_dscnt 0x0
	v_cmp_ne_u64_e32 vcc_lo, 0, v[4:5]
	s_cbranch_vccnz .LBB118_138
; %bb.135:                              ;   in Loop: Header=BB118_32 Depth=1
	s_and_saveexec_b32 s14, s3
; %bb.136:                              ;   in Loop: Header=BB118_32 Depth=1
	ds_store_b64 v19, v[8:9] offset:5128
; %bb.137:                              ;   in Loop: Header=BB118_32 Depth=1
	s_wait_alu 0xfffe
	s_or_b32 exec_lo, exec_lo, s14
	s_wait_loadcnt_dscnt 0x0
	s_barrier_signal -1
	s_barrier_wait -1
	global_inv scope:SCOPE_SE
.LBB118_138:                            ;   in Loop: Header=BB118_32 Depth=1
	s_wait_alu 0xfffe
	s_or_saveexec_b32 s5, s5
	v_mov_b32_e32 v14, 8
	s_mov_b32 s14, 0
	s_wait_alu 0xfffe
	s_xor_b32 exec_lo, exec_lo, s5
; %bb.139:                              ;   in Loop: Header=BB118_32 Depth=1
	v_sub_co_u32 v26, vcc_lo, v26, v8
	s_wait_alu 0xfffd
	v_sub_co_ci_u32_e64 v27, null, v27, v9, vcc_lo
	v_mov_b32_e32 v14, 0
	s_mov_b32 s14, exec_lo
; %bb.140:                              ;   in Loop: Header=BB118_32 Depth=1
	s_or_b32 exec_lo, exec_lo, s5
	s_delay_alu instid0(VALU_DEP_2)
	v_dual_mov_b32 v12, v26 :: v_dual_mov_b32 v13, v27
	s_wait_alu 0xfffe
	s_and_b32 s5, s14, exec_lo
.LBB118_141:                            ;   in Loop: Header=BB118_32 Depth=1
	s_wait_alu 0xfffe
	s_or_b32 exec_lo, exec_lo, s4
	s_mov_b32 s19, -1
	s_mov_b32 s4, -1
                                        ; implicit-def: $sgpr21
                                        ; implicit-def: $sgpr22
	s_and_saveexec_b32 s14, s5
	s_wait_alu 0xfffe
	s_xor_b32 s20, exec_lo, s14
	s_cbranch_execz .LBB118_292
; %bb.142:                              ;   in Loop: Header=BB118_32 Depth=1
	v_cmp_eq_u64_e32 vcc_lo, 1, v[10:11]
	v_cmp_eq_u64_e64 s4, 1, v[12:13]
                                        ; implicit-def: $sgpr22
                                        ; implicit-def: $sgpr21
	s_and_b32 s76, vcc_lo, s4
	s_mov_b32 s4, -1
	s_and_saveexec_b32 s23, s76
	s_cbranch_execz .LBB118_181
; %bb.143:                              ;   in Loop: Header=BB118_32 Depth=1
	ds_load_b64 v[4:5], v19 offset:5120
	s_wait_loadcnt_dscnt 0x0
	s_barrier_signal -1
	s_barrier_wait -1
	global_inv scope:SCOPE_SE
	v_readfirstlane_b32 s4, v4
	v_readfirstlane_b32 s5, v5
	s_and_saveexec_b32 s14, s0
; %bb.144:                              ;   in Loop: Header=BB118_32 Depth=1
	v_mov_b32_e32 v18, v19
	ds_store_b64 v34, v[18:19]
; %bb.145:                              ;   in Loop: Header=BB118_32 Depth=1
	s_wait_alu 0xfffe
	s_or_b32 exec_lo, exec_lo, s14
	v_and_b32_e32 v2, s13, v23
	v_and_b32_e32 v4, s12, v22
	s_lshl_b64 s[14:15], 1, s93
	v_or_b32_e32 v25, s9, v25
	v_or_b32_e32 v24, s8, v24
	s_wait_alu 0xfffe
	v_or_b32_e32 v23, s15, v2
	v_or_b32_e32 v22, s14, v4
	s_mov_b32 s21, -1
	s_mov_b32 s22, 0
	s_cmp_eq_u64 s[4:5], 0
	s_mov_b32 s16, 0
	s_mov_b32 s17, -1
	s_wait_loadcnt_dscnt 0x0
	s_barrier_signal -1
	s_barrier_wait -1
	global_inv scope:SCOPE_SE
                                        ; implicit-def: $vgpr6_vgpr7
	s_cbranch_scc1 .LBB118_165
; %bb.146:                              ;   in Loop: Header=BB118_32 Depth=1
	s_add_nc_u64 s[14:15], s[4:5], s[70:71]
	s_mov_b32 s16, s69
	s_wait_alu 0xfffe
	s_mov_b32 s17, s15
	s_wait_alu 0xfffe
	s_cmp_lg_u64 s[16:17], 0
	s_cbranch_scc0 .LBB118_209
; %bb.147:                              ;   in Loop: Header=BB118_32 Depth=1
	s_cvt_f32_u32 s16, s66
	s_sub_nc_u64 s[56:57], 0, s[66:67]
	s_wait_alu 0xfffe
	s_delay_alu instid0(SALU_CYCLE_1) | instskip(SKIP_1) | instid1(SALU_CYCLE_2)
	s_fmamk_f32 s16, s95, 0x0, s16
	s_wait_alu 0xfffe
	v_s_rcp_f32 s16, s16
	s_delay_alu instid0(TRANS32_DEP_1) | instskip(SKIP_1) | instid1(SALU_CYCLE_2)
	s_mul_f32 s16, s16, 0x5f7ffffc
	s_wait_alu 0xfffe
	s_mul_f32 s17, s16, 0x2f800000
	s_wait_alu 0xfffe
	s_delay_alu instid0(SALU_CYCLE_2) | instskip(SKIP_1) | instid1(SALU_CYCLE_2)
	s_trunc_f32 s17, s17
	s_wait_alu 0xfffe
	s_fmamk_f32 s16, s17, 0xcf800000, s16
	s_cvt_u32_f32 s17, s17
	s_wait_alu 0xfffe
	s_delay_alu instid0(SALU_CYCLE_1) | instskip(SKIP_1) | instid1(SALU_CYCLE_2)
	s_cvt_u32_f32 s16, s16
	s_wait_alu 0xfffe
	s_mul_u64 s[78:79], s[56:57], s[16:17]
	s_wait_alu 0xfffe
	s_mul_hi_u32 s81, s16, s79
	s_mul_i32 s80, s16, s79
	s_mul_hi_u32 s68, s16, s78
	s_mul_i32 s63, s17, s78
	s_wait_alu 0xfffe
	s_add_nc_u64 s[80:81], s[68:69], s[80:81]
	s_mul_hi_u32 s62, s17, s78
	s_mul_hi_u32 s77, s17, s79
	s_wait_alu 0xfffe
	s_add_co_u32 s63, s80, s63
	s_add_co_ci_u32 s68, s81, s62
	s_mul_i32 s78, s17, s79
	s_add_co_ci_u32 s79, s77, 0
	s_wait_alu 0xfffe
	s_add_nc_u64 s[78:79], s[68:69], s[78:79]
	s_wait_alu 0xfffe
	s_add_co_u32 s16, s16, s78
	s_cselect_b32 s62, -1, 0
	s_wait_alu 0xfffe
	s_cmp_lg_u32 s62, 0
	s_add_co_ci_u32 s17, s17, s79
	s_wait_alu 0xfffe
	s_mul_u64 s[56:57], s[56:57], s[16:17]
	s_wait_alu 0xfffe
	s_mul_hi_u32 s79, s16, s57
	s_mul_i32 s78, s16, s57
	s_mul_hi_u32 s68, s16, s56
	s_mul_i32 s63, s17, s56
	s_wait_alu 0xfffe
	s_add_nc_u64 s[78:79], s[68:69], s[78:79]
	s_mul_hi_u32 s62, s17, s56
	s_mul_hi_u32 s77, s17, s57
	s_mul_i32 s56, s17, s57
	s_wait_alu 0xfffe
	s_add_co_u32 s57, s78, s63
	s_add_co_ci_u32 s68, s79, s62
	s_add_co_ci_u32 s57, s77, 0
	s_wait_alu 0xfffe
	s_add_nc_u64 s[56:57], s[68:69], s[56:57]
	s_wait_alu 0xfffe
	s_add_co_u32 s16, s16, s56
	s_cselect_b32 s56, -1, 0
	s_wait_alu 0xfffe
	s_mul_hi_u32 s68, s14, s16
	s_cmp_lg_u32 s56, 0
	s_mul_hi_u32 s62, s15, s16
	s_add_co_ci_u32 s56, s17, s57
	s_mul_i32 s57, s15, s16
	s_wait_alu 0xfffe
	s_mul_hi_u32 s17, s14, s56
	s_mul_i32 s16, s14, s56
	s_mul_hi_u32 s63, s15, s56
	s_wait_alu 0xfffe
	s_add_nc_u64 s[16:17], s[68:69], s[16:17]
	s_mul_i32 s56, s15, s56
	s_wait_alu 0xfffe
	s_add_co_u32 s16, s16, s57
	s_add_co_ci_u32 s68, s17, s62
	s_add_co_ci_u32 s57, s63, 0
	s_wait_alu 0xfffe
	s_add_nc_u64 s[16:17], s[68:69], s[56:57]
	s_wait_alu 0xfffe
	s_mul_u64 s[16:17], s[66:67], s[16:17]
	s_wait_alu 0xfffe
	s_sub_co_u32 s16, s14, s16
	s_cselect_b32 s56, -1, 0
	s_wait_alu 0xfffe
	s_cmp_lg_u32 s56, 0
	s_sub_co_ci_u32 s17, s15, s17
	s_sub_co_u32 s56, s16, s66
	s_cselect_b32 s57, -1, 0
	s_wait_alu 0xfffe
	s_cmp_lg_u32 s57, 0
	s_sub_co_ci_u32 s57, s17, 0
	;; [unrolled: 5-line block ×3, first 2 shown]
	s_cmp_ge_u32 s56, s66
	s_cselect_b32 s68, -1, 0
	s_cmp_eq_u32 s57, 0
	s_wait_alu 0xfffe
	s_cselect_b32 s68, s68, -1
	s_wait_alu 0xfffe
	s_cmp_lg_u32 s68, 0
	s_cselect_b32 s57, s63, s57
	s_cselect_b32 s56, s62, s56
	s_cmp_ge_u32 s16, s66
	s_cselect_b32 s62, -1, 0
	s_cmp_eq_u32 s17, 0
	s_wait_alu 0xfffe
	s_cselect_b32 s62, s62, -1
	s_wait_alu 0xfffe
	s_cmp_lg_u32 s62, 0
	s_cselect_b32 s17, s57, s17
	s_cselect_b32 s16, s56, s16
	s_cbranch_execnz .LBB118_149
.LBB118_148:                            ;   in Loop: Header=BB118_32 Depth=1
	v_cvt_f32_u32_e32 v2, s66
	s_sub_co_i32 s17, 0, s66
	s_delay_alu instid0(VALU_DEP_1) | instskip(NEXT) | instid1(TRANS32_DEP_1)
	v_rcp_iflag_f32_e32 v2, v2
	v_mul_f32_e32 v2, 0x4f7ffffe, v2
	s_delay_alu instid0(VALU_DEP_1) | instskip(NEXT) | instid1(VALU_DEP_1)
	v_cvt_u32_f32_e32 v2, v2
	v_readfirstlane_b32 s16, v2
	s_wait_alu 0xfffe
	s_mul_i32 s17, s17, s16
	s_wait_alu 0xfffe
	s_mul_hi_u32 s17, s16, s17
	s_wait_alu 0xfffe
	s_add_co_i32 s16, s16, s17
	s_wait_alu 0xfffe
	s_mul_hi_u32 s16, s14, s16
	s_wait_alu 0xfffe
	s_mul_i32 s16, s16, s66
	s_wait_alu 0xfffe
	s_sub_co_i32 s16, s14, s16
	s_wait_alu 0xfffe
	s_sub_co_i32 s17, s16, s66
	s_cmp_ge_u32 s16, s66
	s_wait_alu 0xfffe
	s_cselect_b32 s16, s17, s16
	s_wait_alu 0xfffe
	s_sub_co_i32 s17, s16, s66
	s_cmp_ge_u32 s16, s66
	s_wait_alu 0xfffe
	s_cselect_b32 s68, s17, s16
	s_wait_alu 0xfffe
	s_mov_b64 s[16:17], s[68:69]
.LBB118_149:                            ;   in Loop: Header=BB118_32 Depth=1
	s_wait_alu 0xfffe
	s_sub_nc_u64 s[14:15], s[14:15], s[16:17]
	s_mov_b32 s17, 0
	s_mov_b32 s16, 0
	s_mov_b32 s56, exec_lo
                                        ; implicit-def: $vgpr6_vgpr7
	s_wait_alu 0xfffe
	v_cmpx_gt_u64_e64 s[14:15], v[0:1]
	s_cbranch_execz .LBB118_164
; %bb.150:                              ;   in Loop: Header=BB118_32 Depth=1
	v_mov_b32_e32 v9, v1
	v_dual_mov_b32 v15, v33 :: v_dual_mov_b32 v8, v0
                                        ; implicit-def: $sgpr57
	s_branch .LBB118_154
.LBB118_151:                            ;   in Loop: Header=BB118_154 Depth=2
	s_wait_alu 0xfffe
	s_or_b32 exec_lo, exec_lo, s68
	s_wait_loadcnt_dscnt 0x0
	s_barrier_signal -1
	s_barrier_wait -1
	global_inv scope:SCOPE_SE
	ds_load_b128 v[4:7], v19 offset:3072
	s_wait_loadcnt_dscnt 0x0
	s_barrier_signal -1
	s_barrier_wait -1
	global_inv scope:SCOPE_SE
	v_cmp_neq_f64_e32 vcc_lo, 0, v[4:5]
	s_cbranch_vccnz .LBB118_157
; %bb.152:                              ;   in Loop: Header=BB118_154 Depth=2
	v_add_co_u32 v8, vcc_lo, v8, s66
	s_wait_alu 0xfffd
	v_add_co_ci_u32_e64 v9, null, 0, v9, vcc_lo
	v_add_nc_u32_e32 v15, s92, v15
	s_mov_b32 s68, 0
	s_delay_alu instid0(VALU_DEP_2)
	v_cmp_le_u64_e32 vcc_lo, s[14:15], v[8:9]
	s_or_not1_b32 s77, vcc_lo, exec_lo
.LBB118_153:                            ;   in Loop: Header=BB118_154 Depth=2
	s_delay_alu instid0(SALU_CYCLE_1)
	s_and_b32 s62, exec_lo, s77
	s_wait_alu 0xfffe
	s_or_b32 s16, s62, s16
	s_and_not1_b32 s57, s57, exec_lo
	s_and_b32 s62, s68, exec_lo
	s_wait_alu 0xfffe
	s_or_b32 s57, s57, s62
	s_and_not1_b32 exec_lo, exec_lo, s16
	s_cbranch_execz .LBB118_163
.LBB118_154:                            ;   Parent Loop BB118_32 Depth=1
                                        ; =>  This Inner Loop Header: Depth=2
	s_mov_b32 s68, exec_lo
	s_delay_alu instid0(VALU_DEP_1)
	v_cmpx_gt_u64_e64 s[4:5], v[8:9]
	s_cbranch_execz .LBB118_151
; %bb.155:                              ;   in Loop: Header=BB118_154 Depth=2
	ds_load_b64 v[4:5], v15
	s_wait_dscnt 0x0
	v_cmp_o_f64_e32 vcc_lo, v[4:5], v[4:5]
	v_ashrrev_i32_e32 v2, 31, v5
	s_delay_alu instid0(VALU_DEP_1) | instskip(SKIP_1) | instid1(VALU_DEP_2)
	v_or_b32_e32 v6, 0x80000000, v2
	v_xor_b32_e32 v2, v2, v4
	v_xor_b32_e32 v6, v6, v5
	s_wait_alu 0xfffd
	s_delay_alu instid0(VALU_DEP_1) | instskip(NEXT) | instid1(VALU_DEP_1)
	v_cndmask_b32_e32 v6, -1, v6, vcc_lo
	v_dual_cndmask_b32 v2, -1, v2 :: v_dual_and_b32 v7, v6, v25
	s_delay_alu instid0(VALU_DEP_1) | instskip(NEXT) | instid1(VALU_DEP_1)
	v_and_b32_e32 v6, v2, v24
	v_cmp_eq_u64_e32 vcc_lo, v[6:7], v[22:23]
	s_and_b32 exec_lo, exec_lo, vcc_lo
	s_cbranch_execz .LBB118_151
; %bb.156:                              ;   in Loop: Header=BB118_154 Depth=2
	v_mov_b32_e32 v2, v19
	ds_store_b128 v19, v[2:5] offset:3072
	s_branch .LBB118_151
.LBB118_157:                            ;   in Loop: Header=BB118_154 Depth=2
	s_mov_b32 s77, -1
	s_mov_b32 s68, -1
                                        ; implicit-def: $vgpr8_vgpr9
                                        ; implicit-def: $vgpr15
	s_branch .LBB118_153
.LBB118_158:                            ;   in Loop: Header=BB118_32 Depth=1
                                        ; implicit-def: $sgpr16_sgpr17
	s_branch .LBB118_103
.LBB118_159:                            ;   in Loop: Header=BB118_32 Depth=1
	s_wait_alu 0xfffe
	s_or_b32 exec_lo, exec_lo, s7
	s_wait_loadcnt_dscnt 0x0
	s_barrier_signal -1
	s_barrier_wait -1
	global_inv scope:SCOPE_SE
	s_and_saveexec_b32 s4, s3
	s_cbranch_execz .LBB118_161
; %bb.160:                              ;   in Loop: Header=BB118_32 Depth=1
	ds_load_b32 v4, v19 offset:5144
	s_wait_dscnt 0x0
	v_ashrrev_i32_e32 v5, 31, v4
	ds_store_b64 v19, v[4:5] offset:5120
.LBB118_161:                            ;   in Loop: Header=BB118_32 Depth=1
	s_wait_alu 0xfffe
	s_or_b32 exec_lo, exec_lo, s4
	s_wait_loadcnt_dscnt 0x0
	s_barrier_signal -1
	s_mov_b32 s4, -1
	s_barrier_wait -1
	s_and_b32 vcc_lo, exec_lo, s6
	s_wait_alu 0xfffe
	s_cbranch_vccnz .LBB118_48
	s_branch .LBB118_57
.LBB118_162:                            ;   in Loop: Header=BB118_32 Depth=1
                                        ; implicit-def: $sgpr4_sgpr5
	s_branch .LBB118_118
.LBB118_163:                            ;   in Loop: Header=BB118_32 Depth=1
	s_or_b32 exec_lo, exec_lo, s16
	s_wait_alu 0xfffe
	s_and_b32 s16, s57, exec_lo
.LBB118_164:                            ;   in Loop: Header=BB118_32 Depth=1
	s_or_b32 exec_lo, exec_lo, s56
.LBB118_165:                            ;   in Loop: Header=BB118_32 Depth=1
	s_wait_alu 0xfffe
	s_and_b32 vcc_lo, exec_lo, s17
	s_wait_alu 0xfffe
	s_cbranch_vccz .LBB118_180
; %bb.166:                              ;   in Loop: Header=BB118_32 Depth=1
	s_mov_b32 s4, s69
	s_mov_b32 s5, s73
	s_wait_alu 0xfffe
	s_cmp_lg_u64 s[4:5], 0
	s_cbranch_scc0 .LBB118_210
; %bb.167:                              ;   in Loop: Header=BB118_32 Depth=1
	s_cvt_f32_u32 s4, s66
	s_sub_nc_u64 s[14:15], 0, s[66:67]
	s_wait_alu 0xfffe
	s_delay_alu instid0(SALU_CYCLE_1) | instskip(SKIP_1) | instid1(SALU_CYCLE_2)
	s_fmamk_f32 s4, s95, 0x0, s4
	s_wait_alu 0xfffe
	v_s_rcp_f32 s4, s4
	s_delay_alu instid0(TRANS32_DEP_1) | instskip(SKIP_1) | instid1(SALU_CYCLE_2)
	s_mul_f32 s4, s4, 0x5f7ffffc
	s_wait_alu 0xfffe
	s_mul_f32 s5, s4, 0x2f800000
	s_wait_alu 0xfffe
	s_delay_alu instid0(SALU_CYCLE_2) | instskip(SKIP_1) | instid1(SALU_CYCLE_2)
	s_trunc_f32 s5, s5
	s_wait_alu 0xfffe
	s_fmamk_f32 s4, s5, 0xcf800000, s4
	s_cvt_u32_f32 s5, s5
	s_wait_alu 0xfffe
	s_delay_alu instid0(SALU_CYCLE_1) | instskip(SKIP_1) | instid1(SALU_CYCLE_2)
	s_cvt_u32_f32 s4, s4
	s_wait_alu 0xfffe
	s_mul_u64 s[56:57], s[14:15], s[4:5]
	s_wait_alu 0xfffe
	s_mul_hi_u32 s79, s4, s57
	s_mul_i32 s78, s4, s57
	s_mul_hi_u32 s68, s4, s56
	s_mul_i32 s21, s5, s56
	s_wait_alu 0xfffe
	s_add_nc_u64 s[78:79], s[68:69], s[78:79]
	s_mul_hi_u32 s17, s5, s56
	s_mul_hi_u32 s22, s5, s57
	s_wait_alu 0xfffe
	s_add_co_u32 s21, s78, s21
	s_add_co_ci_u32 s68, s79, s17
	s_mul_i32 s56, s5, s57
	s_add_co_ci_u32 s57, s22, 0
	s_wait_alu 0xfffe
	s_add_nc_u64 s[56:57], s[68:69], s[56:57]
	s_wait_alu 0xfffe
	s_add_co_u32 s4, s4, s56
	s_cselect_b32 s17, -1, 0
	s_wait_alu 0xfffe
	s_cmp_lg_u32 s17, 0
	s_add_co_ci_u32 s5, s5, s57
	s_wait_alu 0xfffe
	s_mul_u64 s[14:15], s[14:15], s[4:5]
	s_wait_alu 0xfffe
	s_mul_hi_u32 s57, s4, s15
	s_mul_i32 s56, s4, s15
	s_mul_hi_u32 s68, s4, s14
	s_mul_i32 s21, s5, s14
	s_wait_alu 0xfffe
	s_add_nc_u64 s[56:57], s[68:69], s[56:57]
	s_mul_hi_u32 s17, s5, s14
	s_mul_hi_u32 s22, s5, s15
	s_mul_i32 s14, s5, s15
	s_wait_alu 0xfffe
	s_add_co_u32 s15, s56, s21
	s_add_co_ci_u32 s68, s57, s17
	s_add_co_ci_u32 s15, s22, 0
	s_wait_alu 0xfffe
	s_add_nc_u64 s[14:15], s[68:69], s[14:15]
	s_wait_alu 0xfffe
	s_add_co_u32 s4, s4, s14
	s_cselect_b32 s14, -1, 0
	s_wait_alu 0xfffe
	s_mul_hi_u32 s68, s72, s4
	s_cmp_lg_u32 s14, 0
	s_mul_hi_u32 s17, s73, s4
	s_add_co_ci_u32 s14, s5, s15
	s_mul_i32 s15, s73, s4
	s_wait_alu 0xfffe
	s_mul_hi_u32 s5, s72, s14
	s_mul_i32 s4, s72, s14
	s_mul_hi_u32 s21, s73, s14
	s_wait_alu 0xfffe
	s_add_nc_u64 s[4:5], s[68:69], s[4:5]
	s_mul_i32 s14, s73, s14
	s_wait_alu 0xfffe
	s_add_co_u32 s4, s4, s15
	s_add_co_ci_u32 s68, s5, s17
	s_add_co_ci_u32 s15, s21, 0
	s_wait_alu 0xfffe
	s_add_nc_u64 s[4:5], s[68:69], s[14:15]
	s_wait_alu 0xfffe
	s_mul_u64 s[4:5], s[66:67], s[4:5]
	s_wait_alu 0xfffe
	s_sub_co_u32 s4, s72, s4
	s_cselect_b32 s14, -1, 0
	s_wait_alu 0xfffe
	s_cmp_lg_u32 s14, 0
	s_sub_co_ci_u32 s5, s73, s5
	s_sub_co_u32 s14, s4, s66
	s_cselect_b32 s15, -1, 0
	s_wait_alu 0xfffe
	s_cmp_lg_u32 s15, 0
	s_sub_co_ci_u32 s15, s5, 0
	;; [unrolled: 5-line block ×3, first 2 shown]
	s_cmp_ge_u32 s14, s66
	s_cselect_b32 s22, -1, 0
	s_cmp_eq_u32 s15, 0
	s_wait_alu 0xfffe
	s_cselect_b32 s22, s22, -1
	s_wait_alu 0xfffe
	s_cmp_lg_u32 s22, 0
	s_cselect_b32 s15, s21, s15
	s_cselect_b32 s14, s17, s14
	s_cmp_ge_u32 s4, s66
	s_cselect_b32 s17, -1, 0
	s_cmp_eq_u32 s5, 0
	s_wait_alu 0xfffe
	s_cselect_b32 s17, s17, -1
	s_wait_alu 0xfffe
	s_cmp_lg_u32 s17, 0
	s_cselect_b32 s5, s15, s5
	s_cselect_b32 s4, s14, s4
	s_cbranch_execnz .LBB118_169
.LBB118_168:                            ;   in Loop: Header=BB118_32 Depth=1
	v_cvt_f32_u32_e32 v2, s66
	s_sub_co_i32 s5, 0, s66
	s_delay_alu instid0(VALU_DEP_1) | instskip(NEXT) | instid1(TRANS32_DEP_1)
	v_rcp_iflag_f32_e32 v2, v2
	v_mul_f32_e32 v2, 0x4f7ffffe, v2
	s_delay_alu instid0(VALU_DEP_1) | instskip(NEXT) | instid1(VALU_DEP_1)
	v_cvt_u32_f32_e32 v2, v2
	v_readfirstlane_b32 s4, v2
	s_wait_alu 0xfffe
	s_mul_i32 s5, s5, s4
	s_wait_alu 0xfffe
	s_mul_hi_u32 s5, s4, s5
	s_wait_alu 0xfffe
	s_add_co_i32 s4, s4, s5
	s_wait_alu 0xfffe
	s_mul_hi_u32 s4, s72, s4
	s_wait_alu 0xfffe
	s_mul_i32 s4, s4, s66
	s_wait_alu 0xfffe
	s_sub_co_i32 s4, s72, s4
	s_wait_alu 0xfffe
	s_sub_co_i32 s5, s4, s66
	s_cmp_ge_u32 s4, s66
	s_wait_alu 0xfffe
	s_cselect_b32 s4, s5, s4
	s_wait_alu 0xfffe
	s_sub_co_i32 s5, s4, s66
	s_cmp_ge_u32 s4, s66
	s_wait_alu 0xfffe
	s_cselect_b32 s68, s5, s4
	s_wait_alu 0xfffe
	s_mov_b64 s[4:5], s[68:69]
.LBB118_169:                            ;   in Loop: Header=BB118_32 Depth=1
	s_wait_alu 0xfffe
	s_sub_nc_u64 s[4:5], s[72:73], s[4:5]
	s_mov_b32 s14, exec_lo
                                        ; implicit-def: $vgpr6_vgpr7
	s_wait_alu 0xfffe
	v_cmpx_gt_u64_e64 s[4:5], v[0:1]
	s_cbranch_execz .LBB118_179
; %bb.170:                              ;   in Loop: Header=BB118_32 Depth=1
	v_dual_mov_b32 v9, v1 :: v_dual_mov_b32 v8, v0
	s_mov_b32 s15, 0
                                        ; implicit-def: $sgpr17
	s_branch .LBB118_174
.LBB118_171:                            ;   in Loop: Header=BB118_174 Depth=2
	s_wait_alu 0xfffe
	s_or_b32 exec_lo, exec_lo, s21
	s_wait_loadcnt_dscnt 0x0
	s_barrier_signal -1
	s_barrier_wait -1
	global_inv scope:SCOPE_SE
	ds_load_b128 v[4:7], v19 offset:3072
	s_wait_loadcnt_dscnt 0x0
	s_barrier_signal -1
	s_barrier_wait -1
	global_inv scope:SCOPE_SE
	v_cmp_eq_f64_e32 vcc_lo, 0, v[4:5]
	s_cbranch_vccz .LBB118_177
; %bb.172:                              ;   in Loop: Header=BB118_174 Depth=2
	v_add_co_u32 v8, vcc_lo, v8, s66
	s_wait_alu 0xfffd
	v_add_co_ci_u32_e64 v9, null, 0, v9, vcc_lo
	s_mov_b32 s21, 0
	v_cmp_le_u64_e32 vcc_lo, s[4:5], v[8:9]
	s_or_not1_b32 s22, vcc_lo, exec_lo
.LBB118_173:                            ;   in Loop: Header=BB118_174 Depth=2
	s_wait_alu 0xfffe
	s_and_b32 s22, exec_lo, s22
	s_wait_alu 0xfffe
	s_or_b32 s15, s22, s15
	s_and_not1_b32 s17, s17, exec_lo
	s_and_b32 s21, s21, exec_lo
	s_wait_alu 0xfffe
	s_or_b32 s17, s17, s21
	s_and_not1_b32 exec_lo, exec_lo, s15
	s_cbranch_execz .LBB118_178
.LBB118_174:                            ;   Parent Loop BB118_32 Depth=1
                                        ; =>  This Inner Loop Header: Depth=2
	s_mov_b32 s21, exec_lo
	s_delay_alu instid0(VALU_DEP_1)
	v_cmpx_gt_u64_e64 s[24:25], v[8:9]
	s_cbranch_execz .LBB118_171
; %bb.175:                              ;   in Loop: Header=BB118_174 Depth=2
	v_mul_lo_u32 v2, v9, s50
	v_mul_lo_u32 v6, v8, s51
	v_mad_co_u64_u32 v[4:5], null, v8, s50, 0
	s_delay_alu instid0(VALU_DEP_1) | instskip(NEXT) | instid1(VALU_DEP_1)
	v_add3_u32 v5, v5, v6, v2
	v_lshlrev_b64_e32 v[4:5], 3, v[4:5]
	s_delay_alu instid0(VALU_DEP_1) | instskip(SKIP_1) | instid1(VALU_DEP_2)
	v_add_co_u32 v4, vcc_lo, s58, v4
	s_wait_alu 0xfffd
	v_add_co_ci_u32_e64 v5, null, s59, v5, vcc_lo
	global_load_b64 v[4:5], v[4:5], off
	s_wait_loadcnt 0x0
	v_cmp_o_f64_e32 vcc_lo, v[4:5], v[4:5]
	v_ashrrev_i32_e32 v2, 31, v5
	s_delay_alu instid0(VALU_DEP_1) | instskip(SKIP_1) | instid1(VALU_DEP_2)
	v_or_b32_e32 v6, 0x80000000, v2
	v_xor_b32_e32 v2, v2, v4
	v_xor_b32_e32 v6, v6, v5
	s_wait_alu 0xfffd
	s_delay_alu instid0(VALU_DEP_1) | instskip(NEXT) | instid1(VALU_DEP_1)
	v_cndmask_b32_e32 v6, -1, v6, vcc_lo
	v_dual_cndmask_b32 v2, -1, v2 :: v_dual_and_b32 v7, v6, v25
	s_delay_alu instid0(VALU_DEP_1) | instskip(NEXT) | instid1(VALU_DEP_1)
	v_and_b32_e32 v6, v2, v24
	v_cmp_eq_u64_e32 vcc_lo, v[6:7], v[22:23]
	s_and_b32 exec_lo, exec_lo, vcc_lo
	s_cbranch_execz .LBB118_171
; %bb.176:                              ;   in Loop: Header=BB118_174 Depth=2
	v_mov_b32_e32 v2, v19
	ds_store_b128 v19, v[2:5] offset:3072
	s_branch .LBB118_171
.LBB118_177:                            ;   in Loop: Header=BB118_174 Depth=2
	s_mov_b32 s22, -1
	s_mov_b32 s21, -1
                                        ; implicit-def: $vgpr8_vgpr9
	s_branch .LBB118_173
.LBB118_178:                            ;   in Loop: Header=BB118_32 Depth=1
	s_or_b32 exec_lo, exec_lo, s15
	s_delay_alu instid0(SALU_CYCLE_1)
	s_and_not1_b32 s4, s16, exec_lo
	s_wait_alu 0xfffe
	s_and_b32 s5, s17, exec_lo
	s_wait_alu 0xfffe
	s_or_b32 s16, s4, s5
.LBB118_179:                            ;   in Loop: Header=BB118_32 Depth=1
	s_or_b32 exec_lo, exec_lo, s14
	s_mov_b32 s21, 0
	s_mov_b32 s22, -1
.LBB118_180:                            ;   in Loop: Header=BB118_32 Depth=1
	s_wait_alu 0xfffe
	s_or_not1_b32 s4, s16, exec_lo
.LBB118_181:                            ;   in Loop: Header=BB118_32 Depth=1
	s_wait_alu 0xfffe
	s_or_b32 exec_lo, exec_lo, s23
	s_mov_b32 s5, 0
	s_and_saveexec_b32 s23, s4
	s_cbranch_execz .LBB118_291
; %bb.182:                              ;   in Loop: Header=BB118_32 Depth=1
	v_mov_b32_e32 v8, 1
	v_dual_mov_b32 v9, 0 :: v_dual_mov_b32 v14, 1
	s_xor_b32 s14, s76, -1
	s_wait_alu 0xfffe
	s_and_saveexec_b32 s4, s14
	s_cbranch_execz .LBB118_192
; %bb.183:                              ;   in Loop: Header=BB118_32 Depth=1
	s_mov_b32 s5, exec_lo
	v_cmpx_le_u64_e64 v[12:13], v[10:11]
	s_wait_alu 0xfffe
	s_xor_b32 s5, exec_lo, s5
	s_cbranch_execz .LBB118_189
; %bb.184:                              ;   in Loop: Header=BB118_32 Depth=1
	ds_load_b64 v[4:5], v19 offset:5120
	v_and_b32_e32 v2, s13, v23
	v_and_b32_e32 v8, s12, v22
	s_lshl_b64 s[14:15], 1, s93
	v_or_b32_e32 v25, s9, v25
	v_or_b32_e32 v24, s8, v24
	s_wait_alu 0xfffe
	v_or_b32_e32 v23, s15, v2
	v_or_b32_e32 v22, s14, v8
	s_wait_dscnt 0x0
	v_cmp_ne_u64_e32 vcc_lo, 0, v[4:5]
	s_cbranch_vccnz .LBB118_188
; %bb.185:                              ;   in Loop: Header=BB118_32 Depth=1
	s_and_saveexec_b32 s14, s3
; %bb.186:                              ;   in Loop: Header=BB118_32 Depth=1
	ds_store_b64 v19, v[10:11] offset:5128
; %bb.187:                              ;   in Loop: Header=BB118_32 Depth=1
	s_wait_alu 0xfffe
	s_or_b32 exec_lo, exec_lo, s14
	s_wait_loadcnt_dscnt 0x0
	s_barrier_signal -1
	s_barrier_wait -1
	global_inv scope:SCOPE_SE
.LBB118_188:                            ;   in Loop: Header=BB118_32 Depth=1
                                        ; implicit-def: $vgpr8_vgpr9_vgpr10_vgpr11
.LBB118_189:                            ;   in Loop: Header=BB118_32 Depth=1
	s_wait_alu 0xfffe
	s_or_saveexec_b32 s5, s5
	v_mov_b32_e32 v14, 8
	s_mov_b32 s14, 0
	s_wait_alu 0xfffe
	s_xor_b32 exec_lo, exec_lo, s5
; %bb.190:                              ;   in Loop: Header=BB118_32 Depth=1
	v_sub_co_u32 v12, vcc_lo, v12, v10
	s_wait_alu 0xfffd
	v_sub_co_ci_u32_e64 v13, null, v13, v11, vcc_lo
	v_mov_b32_e32 v14, 0
	s_mov_b32 s14, exec_lo
; %bb.191:                              ;   in Loop: Header=BB118_32 Depth=1
	s_or_b32 exec_lo, exec_lo, s5
	s_delay_alu instid0(VALU_DEP_2)
	v_dual_mov_b32 v8, v12 :: v_dual_mov_b32 v9, v13
	s_wait_alu 0xfffe
	s_and_b32 s5, s14, exec_lo
.LBB118_192:                            ;   in Loop: Header=BB118_32 Depth=1
	s_wait_alu 0xfffe
	s_or_b32 exec_lo, exec_lo, s4
	s_mov_b32 s4, -1
                                        ; implicit-def: $sgpr77
                                        ; implicit-def: $sgpr78
	s_and_saveexec_b32 s76, s5
	s_cbranch_execz .LBB118_290
; %bb.193:                              ;   in Loop: Header=BB118_32 Depth=1
	v_cmp_eq_u64_e32 vcc_lo, 1, v[8:9]
	s_cmp_eq_u64 s[10:11], 1
                                        ; implicit-def: $sgpr78
                                        ; implicit-def: $sgpr77
	s_cselect_b32 s4, -1, 0
	s_wait_alu 0xfffe
	s_and_b32 s79, s4, vcc_lo
	s_mov_b32 s4, -1
	s_wait_alu 0xfffe
	s_and_saveexec_b32 s80, s79
	s_cbranch_execz .LBB118_229
; %bb.194:                              ;   in Loop: Header=BB118_32 Depth=1
	ds_load_b64 v[4:5], v19 offset:5120
	s_wait_loadcnt_dscnt 0x0
	s_barrier_signal -1
	s_barrier_wait -1
	global_inv scope:SCOPE_SE
	v_readfirstlane_b32 s4, v4
	v_readfirstlane_b32 s5, v5
	s_and_saveexec_b32 s14, s0
; %bb.195:                              ;   in Loop: Header=BB118_32 Depth=1
	v_mov_b32_e32 v18, v19
	ds_store_b64 v34, v[18:19]
; %bb.196:                              ;   in Loop: Header=BB118_32 Depth=1
	s_wait_alu 0xfffe
	s_or_b32 exec_lo, exec_lo, s14
	v_and_b32_e32 v2, s13, v23
	v_and_b32_e32 v4, s12, v22
	s_lshl_b64 s[14:15], 2, s93
	v_or_b32_e32 v25, s9, v25
	v_or_b32_e32 v24, s8, v24
	s_wait_alu 0xfffe
	v_or_b32_e32 v23, s15, v2
	v_or_b32_e32 v22, s14, v4
	s_mov_b32 s77, -1
	s_mov_b32 s78, 0
	s_cmp_eq_u64 s[4:5], 0
	s_mov_b32 s16, 0
	s_mov_b32 s17, -1
	s_wait_loadcnt_dscnt 0x0
	s_barrier_signal -1
	s_barrier_wait -1
	global_inv scope:SCOPE_SE
                                        ; implicit-def: $vgpr6_vgpr7
	s_cbranch_scc1 .LBB118_213
; %bb.197:                              ;   in Loop: Header=BB118_32 Depth=1
	s_add_nc_u64 s[14:15], s[4:5], s[70:71]
	s_mov_b32 s16, s69
	s_wait_alu 0xfffe
	s_mov_b32 s17, s15
	s_wait_alu 0xfffe
	s_cmp_lg_u64 s[16:17], 0
	s_cbranch_scc0 .LBB118_256
; %bb.198:                              ;   in Loop: Header=BB118_32 Depth=1
	s_cvt_f32_u32 s16, s66
	s_sub_nc_u64 s[56:57], 0, s[66:67]
	s_wait_alu 0xfffe
	s_delay_alu instid0(SALU_CYCLE_1) | instskip(SKIP_1) | instid1(SALU_CYCLE_2)
	s_fmamk_f32 s16, s95, 0x0, s16
	s_wait_alu 0xfffe
	v_s_rcp_f32 s16, s16
	s_delay_alu instid0(TRANS32_DEP_1) | instskip(SKIP_1) | instid1(SALU_CYCLE_2)
	s_mul_f32 s16, s16, 0x5f7ffffc
	s_wait_alu 0xfffe
	s_mul_f32 s17, s16, 0x2f800000
	s_wait_alu 0xfffe
	s_delay_alu instid0(SALU_CYCLE_2) | instskip(SKIP_1) | instid1(SALU_CYCLE_2)
	s_trunc_f32 s17, s17
	s_wait_alu 0xfffe
	s_fmamk_f32 s16, s17, 0xcf800000, s16
	s_cvt_u32_f32 s17, s17
	s_wait_alu 0xfffe
	s_delay_alu instid0(SALU_CYCLE_1) | instskip(SKIP_1) | instid1(SALU_CYCLE_2)
	s_cvt_u32_f32 s16, s16
	s_wait_alu 0xfffe
	s_mul_u64 s[82:83], s[56:57], s[16:17]
	s_wait_alu 0xfffe
	s_mul_hi_u32 s85, s16, s83
	s_mul_i32 s84, s16, s83
	s_mul_hi_u32 s68, s16, s82
	s_mul_i32 s63, s17, s82
	s_wait_alu 0xfffe
	s_add_nc_u64 s[84:85], s[68:69], s[84:85]
	s_mul_hi_u32 s62, s17, s82
	s_mul_hi_u32 s81, s17, s83
	s_wait_alu 0xfffe
	s_add_co_u32 s63, s84, s63
	s_add_co_ci_u32 s68, s85, s62
	s_mul_i32 s82, s17, s83
	s_add_co_ci_u32 s83, s81, 0
	s_wait_alu 0xfffe
	s_add_nc_u64 s[82:83], s[68:69], s[82:83]
	s_wait_alu 0xfffe
	s_add_co_u32 s16, s16, s82
	s_cselect_b32 s62, -1, 0
	s_wait_alu 0xfffe
	s_cmp_lg_u32 s62, 0
	s_add_co_ci_u32 s17, s17, s83
	s_wait_alu 0xfffe
	s_mul_u64 s[56:57], s[56:57], s[16:17]
	s_wait_alu 0xfffe
	s_mul_hi_u32 s83, s16, s57
	s_mul_i32 s82, s16, s57
	s_mul_hi_u32 s68, s16, s56
	s_mul_i32 s63, s17, s56
	s_wait_alu 0xfffe
	s_add_nc_u64 s[82:83], s[68:69], s[82:83]
	s_mul_hi_u32 s62, s17, s56
	s_mul_hi_u32 s81, s17, s57
	s_mul_i32 s56, s17, s57
	s_wait_alu 0xfffe
	s_add_co_u32 s57, s82, s63
	s_add_co_ci_u32 s68, s83, s62
	s_add_co_ci_u32 s57, s81, 0
	s_wait_alu 0xfffe
	s_add_nc_u64 s[56:57], s[68:69], s[56:57]
	s_wait_alu 0xfffe
	s_add_co_u32 s16, s16, s56
	s_cselect_b32 s56, -1, 0
	s_wait_alu 0xfffe
	s_mul_hi_u32 s68, s14, s16
	s_cmp_lg_u32 s56, 0
	s_mul_hi_u32 s62, s15, s16
	s_add_co_ci_u32 s56, s17, s57
	s_mul_i32 s57, s15, s16
	s_wait_alu 0xfffe
	s_mul_hi_u32 s17, s14, s56
	s_mul_i32 s16, s14, s56
	s_mul_hi_u32 s63, s15, s56
	s_wait_alu 0xfffe
	s_add_nc_u64 s[16:17], s[68:69], s[16:17]
	s_mul_i32 s56, s15, s56
	s_wait_alu 0xfffe
	s_add_co_u32 s16, s16, s57
	s_add_co_ci_u32 s68, s17, s62
	s_add_co_ci_u32 s57, s63, 0
	s_wait_alu 0xfffe
	s_add_nc_u64 s[16:17], s[68:69], s[56:57]
	s_wait_alu 0xfffe
	s_mul_u64 s[16:17], s[66:67], s[16:17]
	s_wait_alu 0xfffe
	s_sub_co_u32 s16, s14, s16
	s_cselect_b32 s56, -1, 0
	s_wait_alu 0xfffe
	s_cmp_lg_u32 s56, 0
	s_sub_co_ci_u32 s17, s15, s17
	s_sub_co_u32 s56, s16, s66
	s_cselect_b32 s57, -1, 0
	s_wait_alu 0xfffe
	s_cmp_lg_u32 s57, 0
	s_sub_co_ci_u32 s57, s17, 0
	;; [unrolled: 5-line block ×3, first 2 shown]
	s_cmp_ge_u32 s56, s66
	s_cselect_b32 s68, -1, 0
	s_cmp_eq_u32 s57, 0
	s_wait_alu 0xfffe
	s_cselect_b32 s68, s68, -1
	s_wait_alu 0xfffe
	s_cmp_lg_u32 s68, 0
	s_cselect_b32 s57, s63, s57
	s_cselect_b32 s56, s62, s56
	s_cmp_ge_u32 s16, s66
	s_cselect_b32 s62, -1, 0
	s_cmp_eq_u32 s17, 0
	s_wait_alu 0xfffe
	s_cselect_b32 s62, s62, -1
	s_wait_alu 0xfffe
	s_cmp_lg_u32 s62, 0
	s_cselect_b32 s17, s57, s17
	s_cselect_b32 s16, s56, s16
	s_cbranch_execnz .LBB118_200
.LBB118_199:                            ;   in Loop: Header=BB118_32 Depth=1
	v_cvt_f32_u32_e32 v2, s66
	s_sub_co_i32 s17, 0, s66
	s_delay_alu instid0(VALU_DEP_1) | instskip(NEXT) | instid1(TRANS32_DEP_1)
	v_rcp_iflag_f32_e32 v2, v2
	v_mul_f32_e32 v2, 0x4f7ffffe, v2
	s_delay_alu instid0(VALU_DEP_1) | instskip(NEXT) | instid1(VALU_DEP_1)
	v_cvt_u32_f32_e32 v2, v2
	v_readfirstlane_b32 s16, v2
	s_wait_alu 0xfffe
	s_mul_i32 s17, s17, s16
	s_wait_alu 0xfffe
	s_mul_hi_u32 s17, s16, s17
	s_wait_alu 0xfffe
	s_add_co_i32 s16, s16, s17
	s_wait_alu 0xfffe
	s_mul_hi_u32 s16, s14, s16
	s_wait_alu 0xfffe
	s_mul_i32 s16, s16, s66
	s_wait_alu 0xfffe
	s_sub_co_i32 s16, s14, s16
	s_wait_alu 0xfffe
	s_sub_co_i32 s17, s16, s66
	s_cmp_ge_u32 s16, s66
	s_wait_alu 0xfffe
	s_cselect_b32 s16, s17, s16
	s_wait_alu 0xfffe
	s_sub_co_i32 s17, s16, s66
	s_cmp_ge_u32 s16, s66
	s_wait_alu 0xfffe
	s_cselect_b32 s68, s17, s16
	s_wait_alu 0xfffe
	s_mov_b64 s[16:17], s[68:69]
.LBB118_200:                            ;   in Loop: Header=BB118_32 Depth=1
	s_wait_alu 0xfffe
	s_sub_nc_u64 s[14:15], s[14:15], s[16:17]
	s_mov_b32 s17, 0
	s_mov_b32 s16, 0
	s_mov_b32 s56, exec_lo
                                        ; implicit-def: $vgpr6_vgpr7
	s_wait_alu 0xfffe
	v_cmpx_gt_u64_e64 s[14:15], v[0:1]
	s_cbranch_execz .LBB118_212
; %bb.201:                              ;   in Loop: Header=BB118_32 Depth=1
	v_dual_mov_b32 v12, v33 :: v_dual_mov_b32 v11, v1
	v_mov_b32_e32 v10, v0
                                        ; implicit-def: $sgpr57
	s_branch .LBB118_205
.LBB118_202:                            ;   in Loop: Header=BB118_205 Depth=2
	s_wait_alu 0xfffe
	s_or_b32 exec_lo, exec_lo, s68
	s_wait_loadcnt_dscnt 0x0
	s_barrier_signal -1
	s_barrier_wait -1
	global_inv scope:SCOPE_SE
	ds_load_b128 v[4:7], v19 offset:3072
	s_wait_loadcnt_dscnt 0x0
	s_barrier_signal -1
	s_barrier_wait -1
	global_inv scope:SCOPE_SE
	v_cmp_neq_f64_e32 vcc_lo, 0, v[4:5]
	s_cbranch_vccnz .LBB118_208
; %bb.203:                              ;   in Loop: Header=BB118_205 Depth=2
	v_add_co_u32 v10, vcc_lo, v10, s66
	s_wait_alu 0xfffd
	v_add_co_ci_u32_e64 v11, null, 0, v11, vcc_lo
	v_add_nc_u32_e32 v12, s92, v12
	s_mov_b32 s68, 0
	s_delay_alu instid0(VALU_DEP_2)
	v_cmp_le_u64_e32 vcc_lo, s[14:15], v[10:11]
	s_or_not1_b32 s81, vcc_lo, exec_lo
.LBB118_204:                            ;   in Loop: Header=BB118_205 Depth=2
	s_wait_alu 0xfffe
	s_and_b32 s62, exec_lo, s81
	s_wait_alu 0xfffe
	s_or_b32 s16, s62, s16
	s_and_not1_b32 s57, s57, exec_lo
	s_and_b32 s62, s68, exec_lo
	s_wait_alu 0xfffe
	s_or_b32 s57, s57, s62
	s_and_not1_b32 exec_lo, exec_lo, s16
	s_cbranch_execz .LBB118_211
.LBB118_205:                            ;   Parent Loop BB118_32 Depth=1
                                        ; =>  This Inner Loop Header: Depth=2
	s_mov_b32 s68, exec_lo
	s_delay_alu instid0(VALU_DEP_1)
	v_cmpx_gt_u64_e64 s[4:5], v[10:11]
	s_cbranch_execz .LBB118_202
; %bb.206:                              ;   in Loop: Header=BB118_205 Depth=2
	ds_load_b64 v[4:5], v12
	s_wait_dscnt 0x0
	v_cmp_o_f64_e32 vcc_lo, v[4:5], v[4:5]
	v_ashrrev_i32_e32 v2, 31, v5
	s_delay_alu instid0(VALU_DEP_1) | instskip(SKIP_1) | instid1(VALU_DEP_2)
	v_or_b32_e32 v6, 0x80000000, v2
	v_xor_b32_e32 v2, v2, v4
	v_xor_b32_e32 v6, v6, v5
	s_wait_alu 0xfffd
	s_delay_alu instid0(VALU_DEP_1) | instskip(NEXT) | instid1(VALU_DEP_1)
	v_cndmask_b32_e32 v6, -1, v6, vcc_lo
	v_dual_cndmask_b32 v2, -1, v2 :: v_dual_and_b32 v7, v6, v25
	s_delay_alu instid0(VALU_DEP_1) | instskip(NEXT) | instid1(VALU_DEP_1)
	v_and_b32_e32 v6, v2, v24
	v_cmp_eq_u64_e32 vcc_lo, v[6:7], v[22:23]
	s_and_b32 exec_lo, exec_lo, vcc_lo
	s_cbranch_execz .LBB118_202
; %bb.207:                              ;   in Loop: Header=BB118_205 Depth=2
	v_mov_b32_e32 v2, v19
	ds_store_b128 v19, v[2:5] offset:3072
	s_branch .LBB118_202
.LBB118_208:                            ;   in Loop: Header=BB118_205 Depth=2
	s_mov_b32 s81, -1
	s_mov_b32 s68, -1
                                        ; implicit-def: $vgpr10_vgpr11
                                        ; implicit-def: $vgpr12
	s_branch .LBB118_204
.LBB118_209:                            ;   in Loop: Header=BB118_32 Depth=1
                                        ; implicit-def: $sgpr16_sgpr17
	s_branch .LBB118_148
.LBB118_210:                            ;   in Loop: Header=BB118_32 Depth=1
                                        ; implicit-def: $sgpr4_sgpr5
	s_branch .LBB118_168
.LBB118_211:                            ;   in Loop: Header=BB118_32 Depth=1
	s_or_b32 exec_lo, exec_lo, s16
	s_wait_alu 0xfffe
	s_and_b32 s16, s57, exec_lo
.LBB118_212:                            ;   in Loop: Header=BB118_32 Depth=1
	s_or_b32 exec_lo, exec_lo, s56
.LBB118_213:                            ;   in Loop: Header=BB118_32 Depth=1
	s_wait_alu 0xfffe
	s_and_b32 vcc_lo, exec_lo, s17
	s_wait_alu 0xfffe
	s_cbranch_vccz .LBB118_228
; %bb.214:                              ;   in Loop: Header=BB118_32 Depth=1
	s_mov_b32 s4, s69
	s_mov_b32 s5, s73
	s_wait_alu 0xfffe
	s_cmp_lg_u64 s[4:5], 0
	s_cbranch_scc0 .LBB118_257
; %bb.215:                              ;   in Loop: Header=BB118_32 Depth=1
	s_cvt_f32_u32 s4, s66
	s_sub_nc_u64 s[14:15], 0, s[66:67]
	s_wait_alu 0xfffe
	s_delay_alu instid0(SALU_CYCLE_1) | instskip(SKIP_1) | instid1(SALU_CYCLE_2)
	s_fmamk_f32 s4, s95, 0x0, s4
	s_wait_alu 0xfffe
	v_s_rcp_f32 s4, s4
	s_delay_alu instid0(TRANS32_DEP_1) | instskip(SKIP_1) | instid1(SALU_CYCLE_2)
	s_mul_f32 s4, s4, 0x5f7ffffc
	s_wait_alu 0xfffe
	s_mul_f32 s5, s4, 0x2f800000
	s_wait_alu 0xfffe
	s_delay_alu instid0(SALU_CYCLE_2) | instskip(SKIP_1) | instid1(SALU_CYCLE_2)
	s_trunc_f32 s5, s5
	s_wait_alu 0xfffe
	s_fmamk_f32 s4, s5, 0xcf800000, s4
	s_cvt_u32_f32 s5, s5
	s_wait_alu 0xfffe
	s_delay_alu instid0(SALU_CYCLE_1) | instskip(SKIP_1) | instid1(SALU_CYCLE_2)
	s_cvt_u32_f32 s4, s4
	s_wait_alu 0xfffe
	s_mul_u64 s[56:57], s[14:15], s[4:5]
	s_wait_alu 0xfffe
	s_mul_hi_u32 s83, s4, s57
	s_mul_i32 s82, s4, s57
	s_mul_hi_u32 s68, s4, s56
	s_mul_i32 s62, s5, s56
	s_wait_alu 0xfffe
	s_add_nc_u64 s[82:83], s[68:69], s[82:83]
	s_mul_hi_u32 s17, s5, s56
	s_mul_hi_u32 s63, s5, s57
	s_mul_i32 s56, s5, s57
	s_wait_alu 0xfffe
	s_add_co_u32 s57, s82, s62
	s_add_co_ci_u32 s68, s83, s17
	s_add_co_ci_u32 s57, s63, 0
	s_wait_alu 0xfffe
	s_add_nc_u64 s[56:57], s[68:69], s[56:57]
	s_wait_alu 0xfffe
	s_add_co_u32 s4, s4, s56
	s_cselect_b32 s17, -1, 0
	s_wait_alu 0xfffe
	s_cmp_lg_u32 s17, 0
	s_add_co_ci_u32 s5, s5, s57
	s_wait_alu 0xfffe
	s_mul_u64 s[14:15], s[14:15], s[4:5]
	s_wait_alu 0xfffe
	s_mul_hi_u32 s57, s4, s15
	s_mul_i32 s56, s4, s15
	s_mul_hi_u32 s68, s4, s14
	s_mul_i32 s62, s5, s14
	s_wait_alu 0xfffe
	s_add_nc_u64 s[56:57], s[68:69], s[56:57]
	s_mul_hi_u32 s17, s5, s14
	s_mul_hi_u32 s63, s5, s15
	s_mul_i32 s14, s5, s15
	s_wait_alu 0xfffe
	s_add_co_u32 s15, s56, s62
	s_add_co_ci_u32 s68, s57, s17
	s_add_co_ci_u32 s15, s63, 0
	s_wait_alu 0xfffe
	s_add_nc_u64 s[14:15], s[68:69], s[14:15]
	s_wait_alu 0xfffe
	s_add_co_u32 s4, s4, s14
	s_cselect_b32 s14, -1, 0
	s_wait_alu 0xfffe
	s_mul_hi_u32 s68, s72, s4
	s_cmp_lg_u32 s14, 0
	s_mul_hi_u32 s17, s73, s4
	s_add_co_ci_u32 s14, s5, s15
	s_mul_i32 s15, s73, s4
	s_wait_alu 0xfffe
	s_mul_hi_u32 s5, s72, s14
	s_mul_i32 s4, s72, s14
	s_mul_hi_u32 s56, s73, s14
	s_wait_alu 0xfffe
	s_add_nc_u64 s[4:5], s[68:69], s[4:5]
	s_mul_i32 s14, s73, s14
	s_wait_alu 0xfffe
	s_add_co_u32 s4, s4, s15
	s_add_co_ci_u32 s68, s5, s17
	s_add_co_ci_u32 s15, s56, 0
	s_wait_alu 0xfffe
	s_add_nc_u64 s[4:5], s[68:69], s[14:15]
	s_wait_alu 0xfffe
	s_mul_u64 s[4:5], s[66:67], s[4:5]
	s_wait_alu 0xfffe
	s_sub_co_u32 s4, s72, s4
	s_cselect_b32 s14, -1, 0
	s_wait_alu 0xfffe
	s_cmp_lg_u32 s14, 0
	s_sub_co_ci_u32 s5, s73, s5
	s_sub_co_u32 s14, s4, s66
	s_cselect_b32 s15, -1, 0
	s_wait_alu 0xfffe
	s_cmp_lg_u32 s15, 0
	s_sub_co_ci_u32 s15, s5, 0
	;; [unrolled: 5-line block ×3, first 2 shown]
	s_cmp_ge_u32 s14, s66
	s_cselect_b32 s57, -1, 0
	s_cmp_eq_u32 s15, 0
	s_wait_alu 0xfffe
	s_cselect_b32 s57, s57, -1
	s_wait_alu 0xfffe
	s_cmp_lg_u32 s57, 0
	s_cselect_b32 s15, s56, s15
	s_cselect_b32 s14, s17, s14
	s_cmp_ge_u32 s4, s66
	s_cselect_b32 s17, -1, 0
	s_cmp_eq_u32 s5, 0
	s_wait_alu 0xfffe
	s_cselect_b32 s17, s17, -1
	s_wait_alu 0xfffe
	s_cmp_lg_u32 s17, 0
	s_cselect_b32 s5, s15, s5
	s_cselect_b32 s4, s14, s4
	s_cbranch_execnz .LBB118_217
.LBB118_216:                            ;   in Loop: Header=BB118_32 Depth=1
	v_cvt_f32_u32_e32 v2, s66
	s_sub_co_i32 s5, 0, s66
	s_delay_alu instid0(VALU_DEP_1) | instskip(NEXT) | instid1(TRANS32_DEP_1)
	v_rcp_iflag_f32_e32 v2, v2
	v_mul_f32_e32 v2, 0x4f7ffffe, v2
	s_delay_alu instid0(VALU_DEP_1) | instskip(NEXT) | instid1(VALU_DEP_1)
	v_cvt_u32_f32_e32 v2, v2
	v_readfirstlane_b32 s4, v2
	s_wait_alu 0xfffe
	s_mul_i32 s5, s5, s4
	s_wait_alu 0xfffe
	s_mul_hi_u32 s5, s4, s5
	s_wait_alu 0xfffe
	s_add_co_i32 s4, s4, s5
	s_wait_alu 0xfffe
	s_mul_hi_u32 s4, s72, s4
	s_wait_alu 0xfffe
	s_mul_i32 s4, s4, s66
	s_wait_alu 0xfffe
	s_sub_co_i32 s4, s72, s4
	s_wait_alu 0xfffe
	s_sub_co_i32 s5, s4, s66
	s_cmp_ge_u32 s4, s66
	s_wait_alu 0xfffe
	s_cselect_b32 s4, s5, s4
	s_wait_alu 0xfffe
	s_sub_co_i32 s5, s4, s66
	s_cmp_ge_u32 s4, s66
	s_wait_alu 0xfffe
	s_cselect_b32 s68, s5, s4
	s_wait_alu 0xfffe
	s_mov_b64 s[4:5], s[68:69]
.LBB118_217:                            ;   in Loop: Header=BB118_32 Depth=1
	s_wait_alu 0xfffe
	s_sub_nc_u64 s[4:5], s[72:73], s[4:5]
	s_mov_b32 s14, exec_lo
                                        ; implicit-def: $vgpr6_vgpr7
	s_wait_alu 0xfffe
	v_cmpx_gt_u64_e64 s[4:5], v[0:1]
	s_cbranch_execz .LBB118_227
; %bb.218:                              ;   in Loop: Header=BB118_32 Depth=1
	v_dual_mov_b32 v11, v1 :: v_dual_mov_b32 v10, v0
	s_mov_b32 s15, 0
                                        ; implicit-def: $sgpr17
	s_branch .LBB118_222
.LBB118_219:                            ;   in Loop: Header=BB118_222 Depth=2
	s_wait_alu 0xfffe
	s_or_b32 exec_lo, exec_lo, s56
	s_wait_loadcnt_dscnt 0x0
	s_barrier_signal -1
	s_barrier_wait -1
	global_inv scope:SCOPE_SE
	ds_load_b128 v[4:7], v19 offset:3072
	s_wait_loadcnt_dscnt 0x0
	s_barrier_signal -1
	s_barrier_wait -1
	global_inv scope:SCOPE_SE
	v_cmp_eq_f64_e32 vcc_lo, 0, v[4:5]
	s_cbranch_vccz .LBB118_225
; %bb.220:                              ;   in Loop: Header=BB118_222 Depth=2
	v_add_co_u32 v10, vcc_lo, v10, s66
	s_wait_alu 0xfffd
	v_add_co_ci_u32_e64 v11, null, 0, v11, vcc_lo
	s_mov_b32 s56, 0
	v_cmp_le_u64_e32 vcc_lo, s[4:5], v[10:11]
	s_or_not1_b32 s57, vcc_lo, exec_lo
.LBB118_221:                            ;   in Loop: Header=BB118_222 Depth=2
	s_wait_alu 0xfffe
	s_and_b32 s57, exec_lo, s57
	s_wait_alu 0xfffe
	s_or_b32 s15, s57, s15
	s_and_not1_b32 s17, s17, exec_lo
	s_and_b32 s56, s56, exec_lo
	s_wait_alu 0xfffe
	s_or_b32 s17, s17, s56
	s_and_not1_b32 exec_lo, exec_lo, s15
	s_cbranch_execz .LBB118_226
.LBB118_222:                            ;   Parent Loop BB118_32 Depth=1
                                        ; =>  This Inner Loop Header: Depth=2
	s_mov_b32 s56, exec_lo
	s_delay_alu instid0(VALU_DEP_1)
	v_cmpx_gt_u64_e64 s[24:25], v[10:11]
	s_cbranch_execz .LBB118_219
; %bb.223:                              ;   in Loop: Header=BB118_222 Depth=2
	v_mul_lo_u32 v2, v11, s50
	v_mul_lo_u32 v6, v10, s51
	v_mad_co_u64_u32 v[4:5], null, v10, s50, 0
	s_delay_alu instid0(VALU_DEP_1) | instskip(NEXT) | instid1(VALU_DEP_1)
	v_add3_u32 v5, v5, v6, v2
	v_lshlrev_b64_e32 v[4:5], 3, v[4:5]
	s_delay_alu instid0(VALU_DEP_1) | instskip(SKIP_1) | instid1(VALU_DEP_2)
	v_add_co_u32 v4, vcc_lo, s58, v4
	s_wait_alu 0xfffd
	v_add_co_ci_u32_e64 v5, null, s59, v5, vcc_lo
	global_load_b64 v[4:5], v[4:5], off
	s_wait_loadcnt 0x0
	v_cmp_o_f64_e32 vcc_lo, v[4:5], v[4:5]
	v_ashrrev_i32_e32 v2, 31, v5
	s_delay_alu instid0(VALU_DEP_1) | instskip(SKIP_1) | instid1(VALU_DEP_2)
	v_or_b32_e32 v6, 0x80000000, v2
	v_xor_b32_e32 v2, v2, v4
	v_xor_b32_e32 v6, v6, v5
	s_wait_alu 0xfffd
	s_delay_alu instid0(VALU_DEP_1) | instskip(NEXT) | instid1(VALU_DEP_1)
	v_cndmask_b32_e32 v6, -1, v6, vcc_lo
	v_dual_cndmask_b32 v2, -1, v2 :: v_dual_and_b32 v7, v6, v25
	s_delay_alu instid0(VALU_DEP_1) | instskip(NEXT) | instid1(VALU_DEP_1)
	v_and_b32_e32 v6, v2, v24
	v_cmp_eq_u64_e32 vcc_lo, v[6:7], v[22:23]
	s_and_b32 exec_lo, exec_lo, vcc_lo
	s_cbranch_execz .LBB118_219
; %bb.224:                              ;   in Loop: Header=BB118_222 Depth=2
	v_mov_b32_e32 v2, v19
	ds_store_b128 v19, v[2:5] offset:3072
	s_branch .LBB118_219
.LBB118_225:                            ;   in Loop: Header=BB118_222 Depth=2
	s_mov_b32 s57, -1
	s_mov_b32 s56, -1
                                        ; implicit-def: $vgpr10_vgpr11
	s_branch .LBB118_221
.LBB118_226:                            ;   in Loop: Header=BB118_32 Depth=1
	s_or_b32 exec_lo, exec_lo, s15
	s_delay_alu instid0(SALU_CYCLE_1)
	s_and_not1_b32 s4, s16, exec_lo
	s_wait_alu 0xfffe
	s_and_b32 s5, s17, exec_lo
	s_wait_alu 0xfffe
	s_or_b32 s16, s4, s5
.LBB118_227:                            ;   in Loop: Header=BB118_32 Depth=1
	s_or_b32 exec_lo, exec_lo, s14
	s_mov_b32 s77, 0
	s_mov_b32 s78, -1
.LBB118_228:                            ;   in Loop: Header=BB118_32 Depth=1
	s_wait_alu 0xfffe
	s_or_not1_b32 s4, s16, exec_lo
.LBB118_229:                            ;   in Loop: Header=BB118_32 Depth=1
	s_wait_alu 0xfffe
	s_or_b32 exec_lo, exec_lo, s80
	s_mov_b32 s5, 0
	s_and_saveexec_b32 s14, s4
	s_cbranch_execz .LBB118_289
; %bb.230:                              ;   in Loop: Header=BB118_32 Depth=1
	v_mov_b32_e32 v10, 1
	v_dual_mov_b32 v11, 0 :: v_dual_mov_b32 v14, 1
	s_xor_b32 s15, s79, -1
	s_wait_alu 0xfffe
	s_and_saveexec_b32 s4, s15
	s_cbranch_execz .LBB118_239
; %bb.231:                              ;   in Loop: Header=BB118_32 Depth=1
	s_mov_b32 s5, exec_lo
	v_cmpx_ge_u64_e64 s[10:11], v[8:9]
	s_wait_alu 0xfffe
	s_xor_b32 s5, exec_lo, s5
	s_cbranch_execz .LBB118_236
; %bb.232:                              ;   in Loop: Header=BB118_32 Depth=1
	ds_load_b64 v[4:5], v19 offset:5120
	v_and_b32_e32 v2, s13, v23
	v_and_b32_e32 v10, s12, v22
	s_lshl_b64 s[12:13], 2, s93
	v_or_b32_e32 v25, s9, v25
	v_or_b32_e32 v24, s8, v24
	s_wait_alu 0xfffe
	v_or_b32_e32 v23, s13, v2
	v_or_b32_e32 v22, s12, v10
	s_wait_dscnt 0x0
	v_cmp_ne_u64_e32 vcc_lo, 0, v[4:5]
	s_cbranch_vccnz .LBB118_236
; %bb.233:                              ;   in Loop: Header=BB118_32 Depth=1
	s_and_saveexec_b32 s12, s3
; %bb.234:                              ;   in Loop: Header=BB118_32 Depth=1
	v_dual_mov_b32 v4, s10 :: v_dual_mov_b32 v5, s11
	ds_store_b64 v19, v[4:5] offset:5128
; %bb.235:                              ;   in Loop: Header=BB118_32 Depth=1
	s_wait_alu 0xfffe
	s_or_b32 exec_lo, exec_lo, s12
	s_wait_loadcnt_dscnt 0x0
	s_barrier_signal -1
	s_barrier_wait -1
	global_inv scope:SCOPE_SE
.LBB118_236:                            ;   in Loop: Header=BB118_32 Depth=1
	s_wait_alu 0xfffe
	s_or_saveexec_b32 s5, s5
	v_mov_b32_e32 v14, 8
	s_mov_b32 s12, 0
	s_wait_alu 0xfffe
	s_xor_b32 exec_lo, exec_lo, s5
; %bb.237:                              ;   in Loop: Header=BB118_32 Depth=1
	v_sub_co_u32 v8, vcc_lo, v8, s10
	s_wait_alu 0xfffd
	v_subrev_co_ci_u32_e64 v9, null, s11, v9, vcc_lo
	v_mov_b32_e32 v14, 0
	s_mov_b32 s12, exec_lo
; %bb.238:                              ;   in Loop: Header=BB118_32 Depth=1
	s_or_b32 exec_lo, exec_lo, s5
	s_delay_alu instid0(VALU_DEP_2)
	v_dual_mov_b32 v11, v9 :: v_dual_mov_b32 v10, v8
	s_wait_alu 0xfffe
	s_and_b32 s5, s12, exec_lo
.LBB118_239:                            ;   in Loop: Header=BB118_32 Depth=1
	s_wait_alu 0xfffe
	s_or_b32 exec_lo, exec_lo, s4
	s_mov_b32 s4, -1
                                        ; implicit-def: $sgpr80
                                        ; implicit-def: $sgpr79
	s_and_saveexec_b32 s15, s5
	s_cbranch_execz .LBB118_288
; %bb.240:                              ;   in Loop: Header=BB118_32 Depth=1
	v_cmp_eq_u64_e32 vcc_lo, 1, v[10:11]
	s_cmp_eq_u64 s[6:7], 1
	s_mov_b32 s5, -1
	s_cselect_b32 s4, -1, 0
                                        ; implicit-def: $sgpr80
                                        ; implicit-def: $sgpr79
	s_wait_alu 0xfffe
	s_and_b32 s16, s4, vcc_lo
	s_wait_alu 0xfffe
	s_and_saveexec_b32 s17, s16
	s_cbranch_execz .LBB118_276
; %bb.241:                              ;   in Loop: Header=BB118_32 Depth=1
	ds_load_b64 v[4:5], v19 offset:5120
	s_wait_loadcnt_dscnt 0x0
	s_barrier_signal -1
	s_barrier_wait -1
	global_inv scope:SCOPE_SE
	v_readfirstlane_b32 s4, v4
	v_readfirstlane_b32 s5, v5
	s_and_saveexec_b32 s10, s0
; %bb.242:                              ;   in Loop: Header=BB118_32 Depth=1
	v_mov_b32_e32 v18, v19
	ds_store_b64 v34, v[18:19]
; %bb.243:                              ;   in Loop: Header=BB118_32 Depth=1
	s_wait_alu 0xfffe
	s_or_b32 exec_lo, exec_lo, s10
	v_or_b32_e32 v23, s9, v23
	v_or_b32_e32 v22, s8, v22
	;; [unrolled: 1-line block ×4, first 2 shown]
	s_mov_b32 s79, -1
	s_mov_b32 s80, 0
	s_cmp_eq_u64 s[4:5], 0
	s_mov_b32 s12, 0
	s_mov_b32 s13, -1
	s_wait_loadcnt_dscnt 0x0
	s_barrier_signal -1
	s_barrier_wait -1
	global_inv scope:SCOPE_SE
                                        ; implicit-def: $vgpr6_vgpr7
	s_cbranch_scc1 .LBB118_260
; %bb.244:                              ;   in Loop: Header=BB118_32 Depth=1
	s_add_nc_u64 s[10:11], s[4:5], s[70:71]
	s_mov_b32 s12, s69
	s_wait_alu 0xfffe
	s_mov_b32 s13, s11
	s_wait_alu 0xfffe
	s_cmp_lg_u64 s[12:13], 0
	s_cbranch_scc0 .LBB118_295
; %bb.245:                              ;   in Loop: Header=BB118_32 Depth=1
	s_cvt_f32_u32 s12, s66
	s_sub_nc_u64 s[56:57], 0, s[66:67]
	s_wait_alu 0xfffe
	s_delay_alu instid0(SALU_CYCLE_1) | instskip(SKIP_1) | instid1(SALU_CYCLE_2)
	s_fmamk_f32 s12, s95, 0x0, s12
	s_wait_alu 0xfffe
	v_s_rcp_f32 s12, s12
	s_delay_alu instid0(TRANS32_DEP_1) | instskip(SKIP_1) | instid1(SALU_CYCLE_2)
	s_mul_f32 s12, s12, 0x5f7ffffc
	s_wait_alu 0xfffe
	s_mul_f32 s13, s12, 0x2f800000
	s_wait_alu 0xfffe
	s_delay_alu instid0(SALU_CYCLE_2) | instskip(SKIP_1) | instid1(SALU_CYCLE_2)
	s_trunc_f32 s13, s13
	s_wait_alu 0xfffe
	s_fmamk_f32 s12, s13, 0xcf800000, s12
	s_cvt_u32_f32 s13, s13
	s_wait_alu 0xfffe
	s_delay_alu instid0(SALU_CYCLE_1) | instskip(SKIP_1) | instid1(SALU_CYCLE_2)
	s_cvt_u32_f32 s12, s12
	s_wait_alu 0xfffe
	s_mul_u64 s[82:83], s[56:57], s[12:13]
	s_wait_alu 0xfffe
	s_mul_hi_u32 s85, s12, s83
	s_mul_i32 s84, s12, s83
	s_mul_hi_u32 s68, s12, s82
	s_mul_i32 s63, s13, s82
	s_wait_alu 0xfffe
	s_add_nc_u64 s[84:85], s[68:69], s[84:85]
	s_mul_hi_u32 s62, s13, s82
	s_mul_hi_u32 s81, s13, s83
	s_wait_alu 0xfffe
	s_add_co_u32 s63, s84, s63
	s_add_co_ci_u32 s68, s85, s62
	s_mul_i32 s82, s13, s83
	s_add_co_ci_u32 s83, s81, 0
	s_wait_alu 0xfffe
	s_add_nc_u64 s[82:83], s[68:69], s[82:83]
	s_wait_alu 0xfffe
	s_add_co_u32 s12, s12, s82
	s_cselect_b32 s62, -1, 0
	s_wait_alu 0xfffe
	s_cmp_lg_u32 s62, 0
	s_add_co_ci_u32 s13, s13, s83
	s_wait_alu 0xfffe
	s_mul_u64 s[56:57], s[56:57], s[12:13]
	s_wait_alu 0xfffe
	s_mul_hi_u32 s83, s12, s57
	s_mul_i32 s82, s12, s57
	s_mul_hi_u32 s68, s12, s56
	s_mul_i32 s63, s13, s56
	s_wait_alu 0xfffe
	s_add_nc_u64 s[82:83], s[68:69], s[82:83]
	s_mul_hi_u32 s62, s13, s56
	s_mul_hi_u32 s81, s13, s57
	s_mul_i32 s56, s13, s57
	s_wait_alu 0xfffe
	s_add_co_u32 s57, s82, s63
	s_add_co_ci_u32 s68, s83, s62
	s_add_co_ci_u32 s57, s81, 0
	s_wait_alu 0xfffe
	s_add_nc_u64 s[56:57], s[68:69], s[56:57]
	s_wait_alu 0xfffe
	s_add_co_u32 s12, s12, s56
	s_cselect_b32 s56, -1, 0
	s_wait_alu 0xfffe
	s_mul_hi_u32 s68, s10, s12
	s_cmp_lg_u32 s56, 0
	s_mul_hi_u32 s62, s11, s12
	s_add_co_ci_u32 s56, s13, s57
	s_mul_i32 s57, s11, s12
	s_wait_alu 0xfffe
	s_mul_hi_u32 s13, s10, s56
	s_mul_i32 s12, s10, s56
	s_mul_hi_u32 s63, s11, s56
	s_wait_alu 0xfffe
	s_add_nc_u64 s[12:13], s[68:69], s[12:13]
	s_mul_i32 s56, s11, s56
	s_wait_alu 0xfffe
	s_add_co_u32 s12, s12, s57
	s_add_co_ci_u32 s68, s13, s62
	s_add_co_ci_u32 s57, s63, 0
	s_wait_alu 0xfffe
	s_add_nc_u64 s[12:13], s[68:69], s[56:57]
	s_wait_alu 0xfffe
	s_mul_u64 s[12:13], s[66:67], s[12:13]
	s_wait_alu 0xfffe
	s_sub_co_u32 s12, s10, s12
	s_cselect_b32 s56, -1, 0
	s_wait_alu 0xfffe
	s_cmp_lg_u32 s56, 0
	s_sub_co_ci_u32 s13, s11, s13
	s_sub_co_u32 s56, s12, s66
	s_cselect_b32 s57, -1, 0
	s_wait_alu 0xfffe
	s_cmp_lg_u32 s57, 0
	s_sub_co_ci_u32 s57, s13, 0
	;; [unrolled: 5-line block ×3, first 2 shown]
	s_cmp_ge_u32 s56, s66
	s_cselect_b32 s68, -1, 0
	s_cmp_eq_u32 s57, 0
	s_wait_alu 0xfffe
	s_cselect_b32 s68, s68, -1
	s_wait_alu 0xfffe
	s_cmp_lg_u32 s68, 0
	s_cselect_b32 s57, s63, s57
	s_cselect_b32 s56, s62, s56
	s_cmp_ge_u32 s12, s66
	s_cselect_b32 s62, -1, 0
	s_cmp_eq_u32 s13, 0
	s_wait_alu 0xfffe
	s_cselect_b32 s62, s62, -1
	s_wait_alu 0xfffe
	s_cmp_lg_u32 s62, 0
	s_cselect_b32 s13, s57, s13
	s_cselect_b32 s12, s56, s12
	s_cbranch_execnz .LBB118_247
.LBB118_246:                            ;   in Loop: Header=BB118_32 Depth=1
	v_cvt_f32_u32_e32 v2, s66
	s_sub_co_i32 s13, 0, s66
	s_delay_alu instid0(VALU_DEP_1) | instskip(NEXT) | instid1(TRANS32_DEP_1)
	v_rcp_iflag_f32_e32 v2, v2
	v_mul_f32_e32 v2, 0x4f7ffffe, v2
	s_delay_alu instid0(VALU_DEP_1) | instskip(NEXT) | instid1(VALU_DEP_1)
	v_cvt_u32_f32_e32 v2, v2
	v_readfirstlane_b32 s12, v2
	s_wait_alu 0xfffe
	s_mul_i32 s13, s13, s12
	s_wait_alu 0xfffe
	s_mul_hi_u32 s13, s12, s13
	s_wait_alu 0xfffe
	s_add_co_i32 s12, s12, s13
	s_wait_alu 0xfffe
	s_mul_hi_u32 s12, s10, s12
	s_wait_alu 0xfffe
	s_mul_i32 s12, s12, s66
	s_wait_alu 0xfffe
	s_sub_co_i32 s12, s10, s12
	s_wait_alu 0xfffe
	s_sub_co_i32 s13, s12, s66
	s_cmp_ge_u32 s12, s66
	s_wait_alu 0xfffe
	s_cselect_b32 s12, s13, s12
	s_wait_alu 0xfffe
	s_sub_co_i32 s13, s12, s66
	s_cmp_ge_u32 s12, s66
	s_wait_alu 0xfffe
	s_cselect_b32 s68, s13, s12
	s_wait_alu 0xfffe
	s_mov_b64 s[12:13], s[68:69]
.LBB118_247:                            ;   in Loop: Header=BB118_32 Depth=1
	s_wait_alu 0xfffe
	s_sub_nc_u64 s[10:11], s[10:11], s[12:13]
	s_mov_b32 s13, 0
	s_mov_b32 s12, 0
	s_mov_b32 s56, exec_lo
                                        ; implicit-def: $vgpr6_vgpr7
	s_wait_alu 0xfffe
	v_cmpx_gt_u64_e64 s[10:11], v[0:1]
	s_cbranch_execz .LBB118_259
; %bb.248:                              ;   in Loop: Header=BB118_32 Depth=1
	v_dual_mov_b32 v12, v33 :: v_dual_mov_b32 v9, v1
	v_mov_b32_e32 v8, v0
                                        ; implicit-def: $sgpr57
	s_branch .LBB118_252
.LBB118_249:                            ;   in Loop: Header=BB118_252 Depth=2
	s_wait_alu 0xfffe
	s_or_b32 exec_lo, exec_lo, s68
	s_wait_loadcnt_dscnt 0x0
	s_barrier_signal -1
	s_barrier_wait -1
	global_inv scope:SCOPE_SE
	ds_load_b128 v[4:7], v19 offset:3072
	s_wait_loadcnt_dscnt 0x0
	s_barrier_signal -1
	s_barrier_wait -1
	global_inv scope:SCOPE_SE
	v_cmp_neq_f64_e32 vcc_lo, 0, v[4:5]
	s_cbranch_vccnz .LBB118_255
; %bb.250:                              ;   in Loop: Header=BB118_252 Depth=2
	v_add_co_u32 v8, vcc_lo, v8, s66
	s_wait_alu 0xfffd
	v_add_co_ci_u32_e64 v9, null, 0, v9, vcc_lo
	v_add_nc_u32_e32 v12, s92, v12
	s_mov_b32 s68, 0
	s_delay_alu instid0(VALU_DEP_2)
	v_cmp_le_u64_e32 vcc_lo, s[10:11], v[8:9]
	s_or_not1_b32 s81, vcc_lo, exec_lo
.LBB118_251:                            ;   in Loop: Header=BB118_252 Depth=2
	s_wait_alu 0xfffe
	s_and_b32 s62, exec_lo, s81
	s_wait_alu 0xfffe
	s_or_b32 s12, s62, s12
	s_and_not1_b32 s57, s57, exec_lo
	s_and_b32 s62, s68, exec_lo
	s_wait_alu 0xfffe
	s_or_b32 s57, s57, s62
	s_and_not1_b32 exec_lo, exec_lo, s12
	s_cbranch_execz .LBB118_258
.LBB118_252:                            ;   Parent Loop BB118_32 Depth=1
                                        ; =>  This Inner Loop Header: Depth=2
	s_mov_b32 s68, exec_lo
	s_delay_alu instid0(VALU_DEP_1)
	v_cmpx_gt_u64_e64 s[4:5], v[8:9]
	s_cbranch_execz .LBB118_249
; %bb.253:                              ;   in Loop: Header=BB118_252 Depth=2
	ds_load_b64 v[4:5], v12
	s_wait_dscnt 0x0
	v_cmp_o_f64_e32 vcc_lo, v[4:5], v[4:5]
	v_ashrrev_i32_e32 v2, 31, v5
	s_delay_alu instid0(VALU_DEP_1) | instskip(SKIP_1) | instid1(VALU_DEP_2)
	v_or_b32_e32 v6, 0x80000000, v2
	v_xor_b32_e32 v2, v2, v4
	v_xor_b32_e32 v6, v6, v5
	s_wait_alu 0xfffd
	s_delay_alu instid0(VALU_DEP_1) | instskip(NEXT) | instid1(VALU_DEP_1)
	v_cndmask_b32_e32 v6, -1, v6, vcc_lo
	v_dual_cndmask_b32 v2, -1, v2 :: v_dual_and_b32 v7, v6, v25
	s_delay_alu instid0(VALU_DEP_1) | instskip(NEXT) | instid1(VALU_DEP_1)
	v_and_b32_e32 v6, v2, v24
	v_cmp_eq_u64_e32 vcc_lo, v[6:7], v[22:23]
	s_and_b32 exec_lo, exec_lo, vcc_lo
	s_cbranch_execz .LBB118_249
; %bb.254:                              ;   in Loop: Header=BB118_252 Depth=2
	v_mov_b32_e32 v2, v19
	ds_store_b128 v19, v[2:5] offset:3072
	s_branch .LBB118_249
.LBB118_255:                            ;   in Loop: Header=BB118_252 Depth=2
	s_mov_b32 s81, -1
	s_mov_b32 s68, -1
                                        ; implicit-def: $vgpr8_vgpr9
                                        ; implicit-def: $vgpr12
	s_branch .LBB118_251
.LBB118_256:                            ;   in Loop: Header=BB118_32 Depth=1
                                        ; implicit-def: $sgpr16_sgpr17
	s_branch .LBB118_199
.LBB118_257:                            ;   in Loop: Header=BB118_32 Depth=1
                                        ; implicit-def: $sgpr4_sgpr5
	s_branch .LBB118_216
.LBB118_258:                            ;   in Loop: Header=BB118_32 Depth=1
	s_or_b32 exec_lo, exec_lo, s12
	s_wait_alu 0xfffe
	s_and_b32 s12, s57, exec_lo
.LBB118_259:                            ;   in Loop: Header=BB118_32 Depth=1
	s_or_b32 exec_lo, exec_lo, s56
.LBB118_260:                            ;   in Loop: Header=BB118_32 Depth=1
	s_wait_alu 0xfffe
	s_and_b32 vcc_lo, exec_lo, s13
	s_wait_alu 0xfffe
	s_cbranch_vccz .LBB118_275
; %bb.261:                              ;   in Loop: Header=BB118_32 Depth=1
	s_mov_b32 s4, s69
	s_mov_b32 s5, s73
	s_wait_alu 0xfffe
	s_cmp_lg_u64 s[4:5], 0
	s_cbranch_scc0 .LBB118_296
; %bb.262:                              ;   in Loop: Header=BB118_32 Depth=1
	s_cvt_f32_u32 s4, s66
	s_sub_nc_u64 s[10:11], 0, s[66:67]
	s_wait_alu 0xfffe
	s_delay_alu instid0(SALU_CYCLE_1) | instskip(SKIP_1) | instid1(SALU_CYCLE_2)
	s_fmamk_f32 s4, s95, 0x0, s4
	s_wait_alu 0xfffe
	v_s_rcp_f32 s4, s4
	s_delay_alu instid0(TRANS32_DEP_1) | instskip(SKIP_1) | instid1(SALU_CYCLE_2)
	s_mul_f32 s4, s4, 0x5f7ffffc
	s_wait_alu 0xfffe
	s_mul_f32 s5, s4, 0x2f800000
	s_wait_alu 0xfffe
	s_delay_alu instid0(SALU_CYCLE_2) | instskip(SKIP_1) | instid1(SALU_CYCLE_2)
	s_trunc_f32 s5, s5
	s_wait_alu 0xfffe
	s_fmamk_f32 s4, s5, 0xcf800000, s4
	s_cvt_u32_f32 s5, s5
	s_wait_alu 0xfffe
	s_delay_alu instid0(SALU_CYCLE_1) | instskip(SKIP_1) | instid1(SALU_CYCLE_2)
	s_cvt_u32_f32 s4, s4
	s_wait_alu 0xfffe
	s_mul_u64 s[56:57], s[10:11], s[4:5]
	s_wait_alu 0xfffe
	s_mul_hi_u32 s81, s4, s57
	s_mul_i32 s80, s4, s57
	s_mul_hi_u32 s68, s4, s56
	s_mul_i32 s62, s5, s56
	s_wait_alu 0xfffe
	s_add_nc_u64 s[80:81], s[68:69], s[80:81]
	s_mul_hi_u32 s13, s5, s56
	s_mul_hi_u32 s63, s5, s57
	s_mul_i32 s56, s5, s57
	s_wait_alu 0xfffe
	s_add_co_u32 s57, s80, s62
	s_add_co_ci_u32 s68, s81, s13
	s_add_co_ci_u32 s57, s63, 0
	s_wait_alu 0xfffe
	s_add_nc_u64 s[56:57], s[68:69], s[56:57]
	s_wait_alu 0xfffe
	s_add_co_u32 s4, s4, s56
	s_cselect_b32 s13, -1, 0
	s_wait_alu 0xfffe
	s_cmp_lg_u32 s13, 0
	s_add_co_ci_u32 s5, s5, s57
	s_wait_alu 0xfffe
	s_mul_u64 s[10:11], s[10:11], s[4:5]
	s_wait_alu 0xfffe
	s_mul_hi_u32 s57, s4, s11
	s_mul_i32 s56, s4, s11
	s_mul_hi_u32 s68, s4, s10
	s_mul_i32 s62, s5, s10
	s_wait_alu 0xfffe
	s_add_nc_u64 s[56:57], s[68:69], s[56:57]
	s_mul_hi_u32 s13, s5, s10
	s_mul_hi_u32 s63, s5, s11
	s_mul_i32 s10, s5, s11
	s_wait_alu 0xfffe
	s_add_co_u32 s11, s56, s62
	s_add_co_ci_u32 s68, s57, s13
	s_add_co_ci_u32 s11, s63, 0
	s_wait_alu 0xfffe
	s_add_nc_u64 s[10:11], s[68:69], s[10:11]
	s_wait_alu 0xfffe
	s_add_co_u32 s4, s4, s10
	s_cselect_b32 s10, -1, 0
	s_wait_alu 0xfffe
	s_mul_hi_u32 s68, s72, s4
	s_cmp_lg_u32 s10, 0
	s_mul_hi_u32 s13, s73, s4
	s_add_co_ci_u32 s10, s5, s11
	s_mul_i32 s11, s73, s4
	s_wait_alu 0xfffe
	s_mul_hi_u32 s5, s72, s10
	s_mul_i32 s4, s72, s10
	s_mul_hi_u32 s56, s73, s10
	s_wait_alu 0xfffe
	s_add_nc_u64 s[4:5], s[68:69], s[4:5]
	s_mul_i32 s10, s73, s10
	s_wait_alu 0xfffe
	s_add_co_u32 s4, s4, s11
	s_add_co_ci_u32 s68, s5, s13
	s_add_co_ci_u32 s11, s56, 0
	s_wait_alu 0xfffe
	s_add_nc_u64 s[4:5], s[68:69], s[10:11]
	s_wait_alu 0xfffe
	s_mul_u64 s[4:5], s[66:67], s[4:5]
	s_wait_alu 0xfffe
	s_sub_co_u32 s4, s72, s4
	s_cselect_b32 s10, -1, 0
	s_wait_alu 0xfffe
	s_cmp_lg_u32 s10, 0
	s_sub_co_ci_u32 s5, s73, s5
	s_sub_co_u32 s10, s4, s66
	s_cselect_b32 s11, -1, 0
	s_wait_alu 0xfffe
	s_cmp_lg_u32 s11, 0
	s_sub_co_ci_u32 s11, s5, 0
	;; [unrolled: 5-line block ×3, first 2 shown]
	s_cmp_ge_u32 s10, s66
	s_cselect_b32 s57, -1, 0
	s_cmp_eq_u32 s11, 0
	s_wait_alu 0xfffe
	s_cselect_b32 s57, s57, -1
	s_wait_alu 0xfffe
	s_cmp_lg_u32 s57, 0
	s_cselect_b32 s11, s56, s11
	s_cselect_b32 s10, s13, s10
	s_cmp_ge_u32 s4, s66
	s_cselect_b32 s13, -1, 0
	s_cmp_eq_u32 s5, 0
	s_wait_alu 0xfffe
	s_cselect_b32 s13, s13, -1
	s_wait_alu 0xfffe
	s_cmp_lg_u32 s13, 0
	s_cselect_b32 s5, s11, s5
	s_cselect_b32 s4, s10, s4
	s_cbranch_execnz .LBB118_264
.LBB118_263:                            ;   in Loop: Header=BB118_32 Depth=1
	v_cvt_f32_u32_e32 v2, s66
	s_sub_co_i32 s5, 0, s66
	s_delay_alu instid0(VALU_DEP_1) | instskip(NEXT) | instid1(TRANS32_DEP_1)
	v_rcp_iflag_f32_e32 v2, v2
	v_mul_f32_e32 v2, 0x4f7ffffe, v2
	s_delay_alu instid0(VALU_DEP_1) | instskip(NEXT) | instid1(VALU_DEP_1)
	v_cvt_u32_f32_e32 v2, v2
	v_readfirstlane_b32 s4, v2
	s_wait_alu 0xfffe
	s_mul_i32 s5, s5, s4
	s_wait_alu 0xfffe
	s_mul_hi_u32 s5, s4, s5
	s_wait_alu 0xfffe
	s_add_co_i32 s4, s4, s5
	s_wait_alu 0xfffe
	s_mul_hi_u32 s4, s72, s4
	s_wait_alu 0xfffe
	s_mul_i32 s4, s4, s66
	s_wait_alu 0xfffe
	s_sub_co_i32 s4, s72, s4
	s_wait_alu 0xfffe
	s_sub_co_i32 s5, s4, s66
	s_cmp_ge_u32 s4, s66
	s_wait_alu 0xfffe
	s_cselect_b32 s4, s5, s4
	s_wait_alu 0xfffe
	s_sub_co_i32 s5, s4, s66
	s_cmp_ge_u32 s4, s66
	s_wait_alu 0xfffe
	s_cselect_b32 s68, s5, s4
	s_wait_alu 0xfffe
	s_mov_b64 s[4:5], s[68:69]
.LBB118_264:                            ;   in Loop: Header=BB118_32 Depth=1
	s_wait_alu 0xfffe
	s_sub_nc_u64 s[4:5], s[72:73], s[4:5]
	s_mov_b32 s10, exec_lo
                                        ; implicit-def: $vgpr6_vgpr7
	s_wait_alu 0xfffe
	v_cmpx_gt_u64_e64 s[4:5], v[0:1]
	s_cbranch_execz .LBB118_274
; %bb.265:                              ;   in Loop: Header=BB118_32 Depth=1
	v_dual_mov_b32 v9, v1 :: v_dual_mov_b32 v8, v0
	s_mov_b32 s11, 0
                                        ; implicit-def: $sgpr13
	s_branch .LBB118_269
.LBB118_266:                            ;   in Loop: Header=BB118_269 Depth=2
	s_wait_alu 0xfffe
	s_or_b32 exec_lo, exec_lo, s56
	s_wait_loadcnt_dscnt 0x0
	s_barrier_signal -1
	s_barrier_wait -1
	global_inv scope:SCOPE_SE
	ds_load_b128 v[4:7], v19 offset:3072
	s_wait_loadcnt_dscnt 0x0
	s_barrier_signal -1
	s_barrier_wait -1
	global_inv scope:SCOPE_SE
	v_cmp_eq_f64_e32 vcc_lo, 0, v[4:5]
	s_cbranch_vccz .LBB118_272
; %bb.267:                              ;   in Loop: Header=BB118_269 Depth=2
	v_add_co_u32 v8, vcc_lo, v8, s66
	s_wait_alu 0xfffd
	v_add_co_ci_u32_e64 v9, null, 0, v9, vcc_lo
	s_mov_b32 s56, 0
	v_cmp_le_u64_e32 vcc_lo, s[4:5], v[8:9]
	s_or_not1_b32 s57, vcc_lo, exec_lo
.LBB118_268:                            ;   in Loop: Header=BB118_269 Depth=2
	s_wait_alu 0xfffe
	s_and_b32 s57, exec_lo, s57
	s_wait_alu 0xfffe
	s_or_b32 s11, s57, s11
	s_and_not1_b32 s13, s13, exec_lo
	s_and_b32 s56, s56, exec_lo
	s_wait_alu 0xfffe
	s_or_b32 s13, s13, s56
	s_and_not1_b32 exec_lo, exec_lo, s11
	s_cbranch_execz .LBB118_273
.LBB118_269:                            ;   Parent Loop BB118_32 Depth=1
                                        ; =>  This Inner Loop Header: Depth=2
	s_mov_b32 s56, exec_lo
	s_delay_alu instid0(VALU_DEP_1)
	v_cmpx_gt_u64_e64 s[24:25], v[8:9]
	s_cbranch_execz .LBB118_266
; %bb.270:                              ;   in Loop: Header=BB118_269 Depth=2
	v_mul_lo_u32 v2, v9, s50
	v_mul_lo_u32 v6, v8, s51
	v_mad_co_u64_u32 v[4:5], null, v8, s50, 0
	s_delay_alu instid0(VALU_DEP_1) | instskip(NEXT) | instid1(VALU_DEP_1)
	v_add3_u32 v5, v5, v6, v2
	v_lshlrev_b64_e32 v[4:5], 3, v[4:5]
	s_delay_alu instid0(VALU_DEP_1) | instskip(SKIP_1) | instid1(VALU_DEP_2)
	v_add_co_u32 v4, vcc_lo, s58, v4
	s_wait_alu 0xfffd
	v_add_co_ci_u32_e64 v5, null, s59, v5, vcc_lo
	global_load_b64 v[4:5], v[4:5], off
	s_wait_loadcnt 0x0
	v_cmp_o_f64_e32 vcc_lo, v[4:5], v[4:5]
	v_ashrrev_i32_e32 v2, 31, v5
	s_delay_alu instid0(VALU_DEP_1) | instskip(SKIP_1) | instid1(VALU_DEP_2)
	v_or_b32_e32 v6, 0x80000000, v2
	v_xor_b32_e32 v2, v2, v4
	v_xor_b32_e32 v6, v6, v5
	s_wait_alu 0xfffd
	s_delay_alu instid0(VALU_DEP_1) | instskip(NEXT) | instid1(VALU_DEP_1)
	v_cndmask_b32_e32 v6, -1, v6, vcc_lo
	v_dual_cndmask_b32 v2, -1, v2 :: v_dual_and_b32 v7, v6, v25
	s_delay_alu instid0(VALU_DEP_1) | instskip(NEXT) | instid1(VALU_DEP_1)
	v_and_b32_e32 v6, v2, v24
	v_cmp_eq_u64_e32 vcc_lo, v[6:7], v[22:23]
	s_and_b32 exec_lo, exec_lo, vcc_lo
	s_cbranch_execz .LBB118_266
; %bb.271:                              ;   in Loop: Header=BB118_269 Depth=2
	v_mov_b32_e32 v2, v19
	ds_store_b128 v19, v[2:5] offset:3072
	s_branch .LBB118_266
.LBB118_272:                            ;   in Loop: Header=BB118_269 Depth=2
	s_mov_b32 s57, -1
	s_mov_b32 s56, -1
                                        ; implicit-def: $vgpr8_vgpr9
	s_branch .LBB118_268
.LBB118_273:                            ;   in Loop: Header=BB118_32 Depth=1
	s_or_b32 exec_lo, exec_lo, s11
	s_delay_alu instid0(SALU_CYCLE_1)
	s_and_not1_b32 s4, s12, exec_lo
	s_wait_alu 0xfffe
	s_and_b32 s5, s13, exec_lo
	s_wait_alu 0xfffe
	s_or_b32 s12, s4, s5
.LBB118_274:                            ;   in Loop: Header=BB118_32 Depth=1
	s_or_b32 exec_lo, exec_lo, s10
	s_mov_b32 s79, 0
	s_mov_b32 s80, -1
.LBB118_275:                            ;   in Loop: Header=BB118_32 Depth=1
	s_wait_alu 0xfffe
	s_or_not1_b32 s5, s12, exec_lo
.LBB118_276:                            ;   in Loop: Header=BB118_32 Depth=1
	s_wait_alu 0xfffe
	s_or_b32 exec_lo, exec_lo, s17
	s_mov_b32 s10, 0
	s_and_saveexec_b32 s4, s5
	s_cbranch_execz .LBB118_287
; %bb.277:                              ;   in Loop: Header=BB118_32 Depth=1
	v_mov_b32_e32 v4, 1
	v_dual_mov_b32 v5, 0 :: v_dual_mov_b32 v14, 1
	s_xor_b32 s10, s16, -1
	s_wait_alu 0xfffe
	s_and_saveexec_b32 s5, s10
	s_cbranch_execz .LBB118_286
; %bb.278:                              ;   in Loop: Header=BB118_32 Depth=1
	s_mov_b32 s10, exec_lo
	v_cmpx_ge_u64_e64 s[6:7], v[10:11]
	s_wait_alu 0xfffe
	s_xor_b32 s10, exec_lo, s10
	s_cbranch_execz .LBB118_283
; %bb.279:                              ;   in Loop: Header=BB118_32 Depth=1
	ds_load_b64 v[4:5], v19 offset:5120
	v_or_b32_e32 v23, s9, v23
	v_or_b32_e32 v22, s8, v22
	;; [unrolled: 1-line block ×4, first 2 shown]
	s_wait_dscnt 0x0
	v_cmp_ne_u64_e32 vcc_lo, 0, v[4:5]
	s_cbranch_vccnz .LBB118_283
; %bb.280:                              ;   in Loop: Header=BB118_32 Depth=1
	s_and_saveexec_b32 s8, s3
; %bb.281:                              ;   in Loop: Header=BB118_32 Depth=1
	v_dual_mov_b32 v4, s6 :: v_dual_mov_b32 v5, s7
	ds_store_b64 v19, v[4:5] offset:5128
; %bb.282:                              ;   in Loop: Header=BB118_32 Depth=1
	s_wait_alu 0xfffe
	s_or_b32 exec_lo, exec_lo, s8
	s_wait_loadcnt_dscnt 0x0
	s_barrier_signal -1
	s_barrier_wait -1
	global_inv scope:SCOPE_SE
.LBB118_283:                            ;   in Loop: Header=BB118_32 Depth=1
	s_wait_alu 0xfffe
	s_and_not1_saveexec_b32 s8, s10
; %bb.284:                              ;   in Loop: Header=BB118_32 Depth=1
	v_sub_co_u32 v10, vcc_lo, v10, s6
	s_wait_alu 0xfffd
	v_subrev_co_ci_u32_e64 v11, null, s7, v11, vcc_lo
; %bb.285:                              ;   in Loop: Header=BB118_32 Depth=1
	s_wait_alu 0xfffe
	s_or_b32 exec_lo, exec_lo, s8
	v_mov_b32_e32 v4, v10
	s_delay_alu instid0(VALU_DEP_2)
	v_dual_mov_b32 v14, 8 :: v_dual_mov_b32 v5, v11
.LBB118_286:                            ;   in Loop: Header=BB118_32 Depth=1
	s_wait_alu 0xfffe
	s_or_b32 exec_lo, exec_lo, s5
	s_delay_alu instid0(VALU_DEP_1)
	v_dual_mov_b32 v11, v5 :: v_dual_mov_b32 v10, v4
	s_mov_b32 s10, exec_lo
.LBB118_287:                            ;   in Loop: Header=BB118_32 Depth=1
	s_wait_alu 0xfffe
	s_or_b32 exec_lo, exec_lo, s4
	s_delay_alu instid0(SALU_CYCLE_1)
	s_or_not1_b32 s4, s10, exec_lo
.LBB118_288:                            ;   in Loop: Header=BB118_32 Depth=1
	s_wait_alu 0xfffe
	s_or_b32 exec_lo, exec_lo, s15
	v_dual_mov_b32 v8, v10 :: v_dual_mov_b32 v9, v11
	s_and_not1_b32 s5, s78, exec_lo
	s_and_b32 s6, s80, exec_lo
	s_and_not1_b32 s7, s77, exec_lo
	s_and_b32 s8, s79, exec_lo
	s_wait_alu 0xfffe
	s_or_b32 s78, s5, s6
	s_or_b32 s77, s7, s8
	s_and_b32 s5, s4, exec_lo
.LBB118_289:                            ;   in Loop: Header=BB118_32 Depth=1
	s_wait_alu 0xfffe
	s_or_b32 exec_lo, exec_lo, s14
	s_delay_alu instid0(SALU_CYCLE_1)
	s_or_not1_b32 s4, s5, exec_lo
.LBB118_290:                            ;   in Loop: Header=BB118_32 Depth=1
	s_or_b32 exec_lo, exec_lo, s76
	v_dual_mov_b32 v13, v9 :: v_dual_mov_b32 v12, v8
	s_and_not1_b32 s5, s22, exec_lo
	s_and_b32 s6, s78, exec_lo
	s_and_not1_b32 s7, s21, exec_lo
	s_and_b32 s8, s77, exec_lo
	s_wait_alu 0xfffe
	s_or_b32 s22, s5, s6
	s_or_b32 s21, s7, s8
	s_and_b32 s5, s4, exec_lo
.LBB118_291:                            ;   in Loop: Header=BB118_32 Depth=1
	s_wait_alu 0xfffe
	s_or_b32 exec_lo, exec_lo, s23
	s_delay_alu instid0(SALU_CYCLE_1)
	s_or_not1_b32 s4, s5, exec_lo
.LBB118_292:                            ;   in Loop: Header=BB118_32 Depth=1
	s_wait_alu 0xfffe
	s_or_b32 exec_lo, exec_lo, s20
	s_mov_b32 s5, 0
	s_and_saveexec_b32 s6, s4
	s_wait_alu 0xfffe
	s_xor_b32 s4, exec_lo, s6
	s_cbranch_execz .LBB118_30
; %bb.293:                              ;   in Loop: Header=BB118_32 Depth=1
	v_and_b32_e32 v2, 7, v14
	s_mov_b32 s6, -1
	s_mov_b32 s5, -1
	s_mov_b32 s7, exec_lo
	s_delay_alu instid0(VALU_DEP_1)
	v_cmpx_eq_u32_e32 0, v2
	s_cbranch_execz .LBB118_29
; %bb.294:                              ;   in Loop: Header=BB118_32 Depth=1
	s_xor_b32 s96, s96, 1
	s_add_co_i32 s8, s93, -2
	s_cmp_eq_u32 s93, 0
	s_wait_alu 0xfffe
	s_mov_b32 s93, s8
	s_cselect_b32 s6, -1, 0
	s_xor_b32 s5, exec_lo, -1
	s_wait_alu 0xfffe
	s_or_not1_b32 s6, s6, exec_lo
	s_branch .LBB118_29
.LBB118_295:                            ;   in Loop: Header=BB118_32 Depth=1
                                        ; implicit-def: $sgpr12_sgpr13
	s_branch .LBB118_246
.LBB118_296:                            ;   in Loop: Header=BB118_32 Depth=1
                                        ; implicit-def: $sgpr4_sgpr5
	s_branch .LBB118_263
.LBB118_297:
	s_or_b32 exec_lo, exec_lo, s94
	s_wait_alu 0xfffe
	s_xor_b32 s3, s102, -1
	s_xor_b32 s1, s100, -1
	;; [unrolled: 1-line block ×3, first 2 shown]
	s_mov_b32 s0, 0
	s_and_saveexec_b32 s5, s1
	s_wait_alu 0xfffe
	s_xor_b32 s1, exec_lo, s5
	s_cbranch_execnz .LBB118_302
; %bb.298:
	s_and_not1_saveexec_b32 s1, s1
	s_cbranch_execnz .LBB118_315
.LBB118_299:
	s_or_b32 exec_lo, exec_lo, s1
	s_and_saveexec_b32 s1, s0
.LBB118_300:
	; divergent unreachable
.LBB118_301:
	s_endpgm
.LBB118_302:
	s_and_saveexec_b32 s0, s3
	s_delay_alu instid0(SALU_CYCLE_1)
	s_xor_b32 s3, exec_lo, s0
	s_cbranch_execz .LBB118_313
; %bb.303:
	s_and_saveexec_b32 s0, s4
	s_delay_alu instid0(SALU_CYCLE_1)
	s_xor_b32 s0, exec_lo, s0
; %bb.304:
	v_lshrrev_b32_e32 v2, 31, v23
	s_delay_alu instid0(VALU_DEP_1) | instskip(SKIP_2) | instid1(VALU_DEP_2)
	v_add_co_u32 v2, s4, v2, -1
	s_wait_alu 0xf1ff
	v_add_co_ci_u32_e64 v3, null, 0, -1, s4
	v_xor_b32_e32 v6, v2, v22
	s_delay_alu instid0(VALU_DEP_2) | instskip(NEXT) | instid1(VALU_DEP_1)
	v_or_b32_e32 v3, 0x80000000, v3
	v_xor_b32_e32 v7, v3, v23
; %bb.305:
	s_or_b32 exec_lo, exec_lo, s0
	s_mul_u64 s[4:5], s[54:55], s[36:37]
	s_mul_u64 s[6:7], s[54:55], s[44:45]
	s_wait_alu 0xfffe
	s_sub_nc_u64 s[4:5], s[52:53], s[4:5]
	s_mul_u64 s[8:9], s[52:53], s[38:39]
	s_wait_alu 0xfffe
	s_mul_u64 s[4:5], s[4:5], s[46:47]
	s_lshl_b64 s[6:7], s[6:7], 3
	s_sub_nc_u64 s[8:9], s[34:35], s[8:9]
	s_wait_alu 0xfffe
	s_add_nc_u64 s[6:7], s[64:65], s[6:7]
	s_lshl_b64 s[4:5], s[4:5], 3
	s_mul_u64 s[8:9], s[8:9], s[60:61]
	v_mov_b32_e32 v2, 0
	s_wait_alu 0xfffe
	s_add_nc_u64 s[4:5], s[6:7], s[4:5]
	s_lshl_b64 s[6:7], s[8:9], 3
	s_wait_alu 0xfffe
	s_add_nc_u64 s[4:5], s[4:5], s[6:7]
	global_store_b64 v2, v[6:7], s[4:5]
	s_and_saveexec_b32 s4, s2
	s_cbranch_execz .LBB118_312
; %bb.306:
	v_cmp_u_f64_e32 vcc_lo, v[6:7], v[6:7]
	s_mov_b32 s2, 0
                                        ; implicit-def: $sgpr5
                                        ; implicit-def: $sgpr8
                                        ; implicit-def: $sgpr7
	s_xor_b32 s6, vcc_lo, -1
	s_branch .LBB118_308
.LBB118_307:                            ;   in Loop: Header=BB118_308 Depth=1
	s_or_b32 exec_lo, exec_lo, s0
	s_wait_alu 0xfffe
	s_and_b32 s0, exec_lo, s8
	s_delay_alu instid0(SALU_CYCLE_1)
	s_or_b32 s2, s0, s2
	s_and_not1_b32 s0, s5, exec_lo
	s_and_b32 s5, s7, exec_lo
	s_wait_alu 0xfffe
	s_or_b32 s5, s0, s5
	s_and_not1_b32 exec_lo, exec_lo, s2
	s_cbranch_execz .LBB118_310
.LBB118_308:                            ; =>This Inner Loop Header: Depth=1
	v_dual_mov_b32 v3, v1 :: v_dual_mov_b32 v2, v0
	s_or_b32 s7, s7, exec_lo
	s_or_b32 s8, s8, exec_lo
	s_delay_alu instid0(VALU_DEP_1) | instskip(NEXT) | instid1(VALU_DEP_2)
	v_mul_lo_u32 v4, v3, s50
	v_mul_lo_u32 v5, v2, s51
	v_mad_co_u64_u32 v[0:1], null, v2, s50, 0
	s_delay_alu instid0(VALU_DEP_1) | instskip(NEXT) | instid1(VALU_DEP_1)
	v_add3_u32 v1, v1, v5, v4
	v_lshlrev_b64_e32 v[0:1], 3, v[0:1]
	s_delay_alu instid0(VALU_DEP_1) | instskip(SKIP_1) | instid1(VALU_DEP_2)
	v_add_co_u32 v0, vcc_lo, s58, v0
	s_wait_alu 0xfffd
	v_add_co_ci_u32_e64 v1, null, s59, v1, vcc_lo
	global_load_b64 v[0:1], v[0:1], off
	s_wait_loadcnt 0x0
	v_cmp_o_f64_e32 vcc_lo, v[0:1], v[0:1]
	v_cmp_neq_f64_e64 s0, v[0:1], v[6:7]
                                        ; implicit-def: $vgpr0_vgpr1
	s_wait_alu 0xfffe
	s_or_b32 s9, vcc_lo, s6
	s_wait_alu 0xfffe
	s_and_b32 s9, s0, s9
	s_wait_alu 0xfffe
	s_and_saveexec_b32 s0, s9
	s_cbranch_execz .LBB118_307
; %bb.309:                              ;   in Loop: Header=BB118_308 Depth=1
	v_add_co_u32 v0, vcc_lo, v2, s66
	s_wait_alu 0xfffd
	v_add_co_ci_u32_e64 v1, null, 0, v3, vcc_lo
	s_and_not1_b32 s8, s8, exec_lo
	s_and_not1_b32 s7, s7, exec_lo
	v_cmp_le_u64_e32 vcc_lo, s[24:25], v[0:1]
	s_and_b32 s9, vcc_lo, exec_lo
	s_wait_alu 0xfffe
	s_or_b32 s8, s8, s9
	s_branch .LBB118_307
.LBB118_310:
	s_or_b32 exec_lo, exec_lo, s2
	s_wait_alu 0xfffe
	s_and_saveexec_b32 s0, s5
	s_delay_alu instid0(SALU_CYCLE_1)
	s_xor_b32 s0, exec_lo, s0
	s_cbranch_execz .LBB118_312
; %bb.311:
	v_readlane_b32 s12, v46, 2
	v_readlane_b32 s13, v46, 3
	s_mul_u64 s[8:9], s[48:49], s[40:41]
	s_mul_u64 s[6:7], s[48:49], s[28:29]
	s_wait_alu 0xfffe
	s_lshl_b64 s[8:9], s[8:9], 3
	s_sub_nc_u64 s[6:7], s[26:27], s[6:7]
	s_wait_alu 0xfffe
	s_add_nc_u64 s[8:9], s[12:13], s[8:9]
	v_readlane_b32 s12, v46, 0
	v_readlane_b32 s13, v46, 1
	s_mul_u64 s[10:11], s[26:27], s[30:31]
	s_mul_u64 s[6:7], s[6:7], s[42:43]
	s_wait_alu 0xfffe
	s_sub_nc_u64 s[10:11], s[34:35], s[10:11]
	s_lshl_b64 s[6:7], s[6:7], 3
	s_wait_alu 0xfffe
	s_mul_u64 s[10:11], s[10:11], s[12:13]
	v_mov_b32_e32 v0, 0
	s_add_nc_u64 s[6:7], s[8:9], s[6:7]
	s_wait_alu 0xfffe
	s_lshl_b64 s[8:9], s[10:11], 3
	s_wait_alu 0xfffe
	s_add_nc_u64 s[6:7], s[6:7], s[8:9]
	global_store_b64 v0, v[2:3], s[6:7]
.LBB118_312:
	s_wait_alu 0xfffe
	s_or_b32 exec_lo, exec_lo, s4
.LBB118_313:
	s_wait_alu 0xfffe
	s_or_saveexec_b32 s0, s3
	s_mov_b32 s2, 0
	s_xor_b32 exec_lo, exec_lo, s0
	s_cbranch_execnz .LBB118_316
.LBB118_314:
	s_or_b32 exec_lo, exec_lo, s0
	s_wait_alu 0xfffe
	s_and_b32 s0, s2, exec_lo
	s_and_not1_saveexec_b32 s1, s1
	s_cbranch_execz .LBB118_299
.LBB118_315:
	s_or_b32 s0, s0, exec_lo
	s_trap 2
	s_or_b32 exec_lo, exec_lo, s1
	s_and_saveexec_b32 s1, s0
	s_cbranch_execnz .LBB118_300
	s_branch .LBB118_301
.LBB118_316:
	s_mov_b32 s2, exec_lo
	s_trap 2
	s_branch .LBB118_314
	.section	.rodata,"a",@progbits
	.p2align	6, 0x0
	.amdhsa_kernel _ZN2at6native12_GLOBAL__N_112gatherMedianIdmLi3EEEvNS_4cuda6detail10TensorInfoIT_T0_EENS5_IlS7_EENS5_IKS6_S7_EES7_S7_S7_b
		.amdhsa_group_segment_fixed_size 5152
		.amdhsa_private_segment_fixed_size 0
		.amdhsa_kernarg_size 1536
		.amdhsa_user_sgpr_count 2
		.amdhsa_user_sgpr_dispatch_ptr 0
		.amdhsa_user_sgpr_queue_ptr 0
		.amdhsa_user_sgpr_kernarg_segment_ptr 1
		.amdhsa_user_sgpr_dispatch_id 0
		.amdhsa_user_sgpr_private_segment_size 0
		.amdhsa_wavefront_size32 1
		.amdhsa_uses_dynamic_stack 0
		.amdhsa_enable_private_segment 0
		.amdhsa_system_sgpr_workgroup_id_x 1
		.amdhsa_system_sgpr_workgroup_id_y 1
		.amdhsa_system_sgpr_workgroup_id_z 1
		.amdhsa_system_sgpr_workgroup_info 0
		.amdhsa_system_vgpr_workitem_id 0
		.amdhsa_next_free_vgpr 47
		.amdhsa_next_free_sgpr 105
		.amdhsa_reserve_vcc 1
		.amdhsa_float_round_mode_32 0
		.amdhsa_float_round_mode_16_64 0
		.amdhsa_float_denorm_mode_32 3
		.amdhsa_float_denorm_mode_16_64 3
		.amdhsa_fp16_overflow 0
		.amdhsa_workgroup_processor_mode 1
		.amdhsa_memory_ordered 1
		.amdhsa_forward_progress 1
		.amdhsa_inst_pref_size 155
		.amdhsa_round_robin_scheduling 0
		.amdhsa_exception_fp_ieee_invalid_op 0
		.amdhsa_exception_fp_denorm_src 0
		.amdhsa_exception_fp_ieee_div_zero 0
		.amdhsa_exception_fp_ieee_overflow 0
		.amdhsa_exception_fp_ieee_underflow 0
		.amdhsa_exception_fp_ieee_inexact 0
		.amdhsa_exception_int_div_zero 0
	.end_amdhsa_kernel
	.section	.text._ZN2at6native12_GLOBAL__N_112gatherMedianIdmLi3EEEvNS_4cuda6detail10TensorInfoIT_T0_EENS5_IlS7_EENS5_IKS6_S7_EES7_S7_S7_b,"axG",@progbits,_ZN2at6native12_GLOBAL__N_112gatherMedianIdmLi3EEEvNS_4cuda6detail10TensorInfoIT_T0_EENS5_IlS7_EENS5_IKS6_S7_EES7_S7_S7_b,comdat
.Lfunc_end118:
	.size	_ZN2at6native12_GLOBAL__N_112gatherMedianIdmLi3EEEvNS_4cuda6detail10TensorInfoIT_T0_EENS5_IlS7_EENS5_IKS6_S7_EES7_S7_S7_b, .Lfunc_end118-_ZN2at6native12_GLOBAL__N_112gatherMedianIdmLi3EEEvNS_4cuda6detail10TensorInfoIT_T0_EENS5_IlS7_EENS5_IKS6_S7_EES7_S7_S7_b
                                        ; -- End function
	.set _ZN2at6native12_GLOBAL__N_112gatherMedianIdmLi3EEEvNS_4cuda6detail10TensorInfoIT_T0_EENS5_IlS7_EENS5_IKS6_S7_EES7_S7_S7_b.num_vgpr, 47
	.set _ZN2at6native12_GLOBAL__N_112gatherMedianIdmLi3EEEvNS_4cuda6detail10TensorInfoIT_T0_EENS5_IlS7_EENS5_IKS6_S7_EES7_S7_S7_b.num_agpr, 0
	.set _ZN2at6native12_GLOBAL__N_112gatherMedianIdmLi3EEEvNS_4cuda6detail10TensorInfoIT_T0_EENS5_IlS7_EENS5_IKS6_S7_EES7_S7_S7_b.numbered_sgpr, 105
	.set _ZN2at6native12_GLOBAL__N_112gatherMedianIdmLi3EEEvNS_4cuda6detail10TensorInfoIT_T0_EENS5_IlS7_EENS5_IKS6_S7_EES7_S7_S7_b.num_named_barrier, 0
	.set _ZN2at6native12_GLOBAL__N_112gatherMedianIdmLi3EEEvNS_4cuda6detail10TensorInfoIT_T0_EENS5_IlS7_EENS5_IKS6_S7_EES7_S7_S7_b.private_seg_size, 0
	.set _ZN2at6native12_GLOBAL__N_112gatherMedianIdmLi3EEEvNS_4cuda6detail10TensorInfoIT_T0_EENS5_IlS7_EENS5_IKS6_S7_EES7_S7_S7_b.uses_vcc, 1
	.set _ZN2at6native12_GLOBAL__N_112gatherMedianIdmLi3EEEvNS_4cuda6detail10TensorInfoIT_T0_EENS5_IlS7_EENS5_IKS6_S7_EES7_S7_S7_b.uses_flat_scratch, 0
	.set _ZN2at6native12_GLOBAL__N_112gatherMedianIdmLi3EEEvNS_4cuda6detail10TensorInfoIT_T0_EENS5_IlS7_EENS5_IKS6_S7_EES7_S7_S7_b.has_dyn_sized_stack, 0
	.set _ZN2at6native12_GLOBAL__N_112gatherMedianIdmLi3EEEvNS_4cuda6detail10TensorInfoIT_T0_EENS5_IlS7_EENS5_IKS6_S7_EES7_S7_S7_b.has_recursion, 0
	.set _ZN2at6native12_GLOBAL__N_112gatherMedianIdmLi3EEEvNS_4cuda6detail10TensorInfoIT_T0_EENS5_IlS7_EENS5_IKS6_S7_EES7_S7_S7_b.has_indirect_call, 0
	.section	.AMDGPU.csdata,"",@progbits
; Kernel info:
; codeLenInByte = 19776
; TotalNumSgprs: 107
; NumVgprs: 47
; ScratchSize: 0
; MemoryBound: 0
; FloatMode: 240
; IeeeMode: 1
; LDSByteSize: 5152 bytes/workgroup (compile time only)
; SGPRBlocks: 0
; VGPRBlocks: 5
; NumSGPRsForWavesPerEU: 107
; NumVGPRsForWavesPerEU: 47
; Occupancy: 16
; WaveLimiterHint : 1
; COMPUTE_PGM_RSRC2:SCRATCH_EN: 0
; COMPUTE_PGM_RSRC2:USER_SGPR: 2
; COMPUTE_PGM_RSRC2:TRAP_HANDLER: 0
; COMPUTE_PGM_RSRC2:TGID_X_EN: 1
; COMPUTE_PGM_RSRC2:TGID_Y_EN: 1
; COMPUTE_PGM_RSRC2:TGID_Z_EN: 1
; COMPUTE_PGM_RSRC2:TIDIG_COMP_CNT: 0
	.section	.text._ZN2at6native12_GLOBAL__N_112gatherMedianIdmLin1EEEvNS_4cuda6detail10TensorInfoIT_T0_EENS5_IlS7_EENS5_IKS6_S7_EES7_S7_S7_b,"axG",@progbits,_ZN2at6native12_GLOBAL__N_112gatherMedianIdmLin1EEEvNS_4cuda6detail10TensorInfoIT_T0_EENS5_IlS7_EENS5_IKS6_S7_EES7_S7_S7_b,comdat
	.globl	_ZN2at6native12_GLOBAL__N_112gatherMedianIdmLin1EEEvNS_4cuda6detail10TensorInfoIT_T0_EENS5_IlS7_EENS5_IKS6_S7_EES7_S7_S7_b ; -- Begin function _ZN2at6native12_GLOBAL__N_112gatherMedianIdmLin1EEEvNS_4cuda6detail10TensorInfoIT_T0_EENS5_IlS7_EENS5_IKS6_S7_EES7_S7_S7_b
	.p2align	8
	.type	_ZN2at6native12_GLOBAL__N_112gatherMedianIdmLin1EEEvNS_4cuda6detail10TensorInfoIT_T0_EENS5_IlS7_EENS5_IKS6_S7_EES7_S7_S7_b,@function
_ZN2at6native12_GLOBAL__N_112gatherMedianIdmLin1EEEvNS_4cuda6detail10TensorInfoIT_T0_EENS5_IlS7_EENS5_IKS6_S7_EES7_S7_S7_b: ; @_ZN2at6native12_GLOBAL__N_112gatherMedianIdmLin1EEEvNS_4cuda6detail10TensorInfoIT_T0_EENS5_IlS7_EENS5_IKS6_S7_EES7_S7_S7_b
; %bb.0:
	s_clause 0x1
	s_load_b64 s[6:7], s[0:1], 0x500
	s_load_b128 s[24:27], s[0:1], 0x4e0
	s_lshr_b32 s2, ttmp7, 16
	s_and_b32 s3, ttmp7, 0xffff
	s_wait_kmcnt 0x0
	s_mul_i32 s2, s7, s2
	s_delay_alu instid0(SALU_CYCLE_1) | instskip(SKIP_2) | instid1(SALU_CYCLE_1)
	s_add_co_i32 s2, s2, s3
	s_mov_b32 s3, 0
	s_mul_i32 s2, s2, s6
	s_add_co_i32 s2, s2, ttmp9
	s_delay_alu instid0(SALU_CYCLE_1)
	v_cmp_le_u64_e64 s4, s[26:27], s[2:3]
	s_and_b32 vcc_lo, exec_lo, s4
	s_cbranch_vccnz .LBB119_314
; %bb.1:
	s_clause 0x1
	s_load_b32 s5, s[0:1], 0x198
	s_load_b64 s[28:29], s[0:1], 0x4f0
	s_mov_b64 s[26:27], 0
	s_mov_b64 s[34:35], s[2:3]
	s_wait_kmcnt 0x0
	s_cmp_lt_i32 s5, 2
	s_cbranch_scc1 .LBB119_9
; %bb.2:
	s_mov_b32 s4, 0
	s_add_co_i32 s8, s5, -1
	s_mov_b32 s9, s4
	s_add_co_i32 s7, s5, 1
	s_lshl_b64 s[8:9], s[8:9], 3
	s_mov_b64 s[10:11], s[2:3]
	s_add_nc_u64 s[8:9], s[0:1], s[8:9]
	s_delay_alu instid0(SALU_CYCLE_1)
	s_add_nc_u64 s[8:9], s[8:9], 8
.LBB119_3:                              ; =>This Inner Loop Header: Depth=1
	s_load_b64 s[12:13], s[8:9], 0x0
                                        ; implicit-def: $sgpr34_sgpr35
	s_wait_kmcnt 0x0
	s_or_b64 s[14:15], s[10:11], s[12:13]
	s_delay_alu instid0(SALU_CYCLE_1)
	s_mov_b32 s5, s15
	s_wait_alu 0xfffe
	s_cmp_lg_u64 s[4:5], 0
	s_mov_b32 s5, -1
	s_cbranch_scc0 .LBB119_5
; %bb.4:                                ;   in Loop: Header=BB119_3 Depth=1
	s_cvt_f32_u32 s5, s12
	s_cvt_f32_u32 s14, s13
	s_sub_nc_u64 s[16:17], 0, s[12:13]
	s_mov_b32 s19, s4
	s_mov_b32 s23, s4
	s_wait_alu 0xfffe
	s_fmamk_f32 s5, s14, 0x4f800000, s5
	s_wait_alu 0xfffe
	s_delay_alu instid0(SALU_CYCLE_2) | instskip(NEXT) | instid1(TRANS32_DEP_1)
	v_s_rcp_f32 s5, s5
	s_mul_f32 s5, s5, 0x5f7ffffc
	s_wait_alu 0xfffe
	s_delay_alu instid0(SALU_CYCLE_2) | instskip(NEXT) | instid1(SALU_CYCLE_3)
	s_mul_f32 s14, s5, 0x2f800000
	s_trunc_f32 s14, s14
	s_delay_alu instid0(SALU_CYCLE_3) | instskip(SKIP_2) | instid1(SALU_CYCLE_1)
	s_fmamk_f32 s5, s14, 0xcf800000, s5
	s_cvt_u32_f32 s15, s14
	s_wait_alu 0xfffe
	s_cvt_u32_f32 s14, s5
	s_delay_alu instid0(SALU_CYCLE_3) | instskip(NEXT) | instid1(SALU_CYCLE_1)
	s_mul_u64 s[20:21], s[16:17], s[14:15]
	s_mul_hi_u32 s31, s14, s21
	s_mul_i32 s30, s14, s21
	s_mul_hi_u32 s18, s14, s20
	s_mul_i32 s22, s15, s20
	s_add_nc_u64 s[18:19], s[18:19], s[30:31]
	s_mul_hi_u32 s5, s15, s20
	s_mul_hi_u32 s33, s15, s21
	s_add_co_u32 s18, s18, s22
	s_wait_alu 0xfffe
	s_add_co_ci_u32 s22, s19, s5
	s_mul_i32 s20, s15, s21
	s_add_co_ci_u32 s21, s33, 0
	s_delay_alu instid0(SALU_CYCLE_1)
	s_add_nc_u64 s[18:19], s[22:23], s[20:21]
	s_mov_b32 s21, s4
	s_add_co_u32 s14, s14, s18
	s_cselect_b32 s5, -1, 0
	s_wait_alu 0xfffe
	s_cmp_lg_u32 s5, 0
	s_add_co_ci_u32 s15, s15, s19
	s_mov_b32 s19, s4
	s_mul_u64 s[16:17], s[16:17], s[14:15]
	s_delay_alu instid0(SALU_CYCLE_1)
	s_mul_hi_u32 s23, s14, s17
	s_mul_i32 s22, s14, s17
	s_mul_hi_u32 s18, s14, s16
	s_mul_i32 s20, s15, s16
	s_add_nc_u64 s[18:19], s[18:19], s[22:23]
	s_mul_hi_u32 s5, s15, s16
	s_mul_hi_u32 s30, s15, s17
	s_mul_i32 s16, s15, s17
	s_add_co_u32 s17, s18, s20
	s_wait_alu 0xfffe
	s_add_co_ci_u32 s20, s19, s5
	s_add_co_ci_u32 s17, s30, 0
	s_mov_b32 s19, s4
	s_add_nc_u64 s[16:17], s[20:21], s[16:17]
	s_delay_alu instid0(SALU_CYCLE_1)
	s_add_co_u32 s5, s14, s16
	s_cselect_b32 s14, -1, 0
	s_wait_alu 0xfffe
	s_mul_hi_u32 s18, s10, s5
	s_cmp_lg_u32 s14, 0
	s_mul_hi_u32 s20, s11, s5
	s_add_co_ci_u32 s16, s15, s17
	s_mul_i32 s5, s11, s5
	s_mul_hi_u32 s15, s10, s16
	s_mul_i32 s14, s10, s16
	s_mul_hi_u32 s17, s11, s16
	s_add_nc_u64 s[14:15], s[18:19], s[14:15]
	s_mul_i32 s16, s11, s16
	s_wait_alu 0xfffe
	s_add_co_u32 s5, s14, s5
	s_add_co_ci_u32 s20, s15, s20
	s_add_co_ci_u32 s17, s17, 0
	s_delay_alu instid0(SALU_CYCLE_1) | instskip(NEXT) | instid1(SALU_CYCLE_1)
	s_add_nc_u64 s[14:15], s[20:21], s[16:17]
	s_mul_u64 s[16:17], s[12:13], s[14:15]
	s_delay_alu instid0(SALU_CYCLE_1)
	s_sub_co_u32 s5, s10, s16
	s_cselect_b32 s16, -1, 0
	s_sub_co_i32 s18, s11, s17
	s_cmp_lg_u32 s16, 0
	s_sub_co_ci_u32 s18, s18, s13
	s_wait_alu 0xfffe
	s_sub_co_u32 s19, s5, s12
	s_cselect_b32 s20, -1, 0
	s_delay_alu instid0(SALU_CYCLE_1) | instskip(SKIP_1) | instid1(SALU_CYCLE_1)
	s_cmp_lg_u32 s20, 0
	s_sub_co_ci_u32 s18, s18, 0
	s_cmp_ge_u32 s18, s13
	s_cselect_b32 s20, -1, 0
	s_cmp_ge_u32 s19, s12
	s_cselect_b32 s21, -1, 0
	s_cmp_eq_u32 s18, s13
	s_add_nc_u64 s[18:19], s[14:15], 1
	s_cselect_b32 s22, s21, s20
	s_add_nc_u64 s[20:21], s[14:15], 2
	s_cmp_lg_u32 s22, 0
	s_cselect_b32 s18, s20, s18
	s_cselect_b32 s19, s21, s19
	s_cmp_lg_u32 s16, 0
	s_sub_co_ci_u32 s16, s11, s17
	s_delay_alu instid0(SALU_CYCLE_1)
	s_cmp_ge_u32 s16, s13
	s_cselect_b32 s17, -1, 0
	s_cmp_ge_u32 s5, s12
	s_cselect_b32 s5, -1, 0
	s_cmp_eq_u32 s16, s13
	s_wait_alu 0xfffe
	s_cselect_b32 s5, s5, s17
	s_wait_alu 0xfffe
	s_cmp_lg_u32 s5, 0
	s_mov_b32 s5, 0
	s_cselect_b32 s35, s19, s15
	s_cselect_b32 s34, s18, s14
.LBB119_5:                              ;   in Loop: Header=BB119_3 Depth=1
	s_wait_alu 0xfffe
	s_and_not1_b32 vcc_lo, exec_lo, s5
	s_cbranch_vccnz .LBB119_7
; %bb.6:                                ;   in Loop: Header=BB119_3 Depth=1
	v_cvt_f32_u32_e32 v1, s12
	s_sub_co_i32 s14, 0, s12
	s_mov_b32 s35, s4
	s_delay_alu instid0(VALU_DEP_1) | instskip(NEXT) | instid1(TRANS32_DEP_1)
	v_rcp_iflag_f32_e32 v1, v1
	v_mul_f32_e32 v1, 0x4f7ffffe, v1
	s_delay_alu instid0(VALU_DEP_1) | instskip(NEXT) | instid1(VALU_DEP_1)
	v_cvt_u32_f32_e32 v1, v1
	v_readfirstlane_b32 s5, v1
	s_mul_i32 s14, s14, s5
	s_delay_alu instid0(SALU_CYCLE_1) | instskip(NEXT) | instid1(SALU_CYCLE_1)
	s_mul_hi_u32 s14, s5, s14
	s_add_co_i32 s5, s5, s14
	s_wait_alu 0xfffe
	s_mul_hi_u32 s5, s10, s5
	s_wait_alu 0xfffe
	s_mul_i32 s14, s5, s12
	s_add_co_i32 s15, s5, 1
	s_sub_co_i32 s14, s10, s14
	s_delay_alu instid0(SALU_CYCLE_1)
	s_sub_co_i32 s16, s14, s12
	s_cmp_ge_u32 s14, s12
	s_cselect_b32 s5, s15, s5
	s_cselect_b32 s14, s16, s14
	s_wait_alu 0xfffe
	s_add_co_i32 s15, s5, 1
	s_cmp_ge_u32 s14, s12
	s_cselect_b32 s34, s15, s5
.LBB119_7:                              ;   in Loop: Header=BB119_3 Depth=1
	s_load_b64 s[14:15], s[8:9], 0xc8
	s_mul_u64 s[12:13], s[34:35], s[12:13]
	s_add_co_i32 s7, s7, -1
	s_wait_alu 0xfffe
	s_sub_nc_u64 s[10:11], s[10:11], s[12:13]
	s_cmp_gt_u32 s7, 2
	s_add_nc_u64 s[8:9], s[8:9], -8
	s_wait_kmcnt 0x0
	s_mul_u64 s[10:11], s[14:15], s[10:11]
	s_delay_alu instid0(SALU_CYCLE_1)
	s_add_nc_u64 s[26:27], s[10:11], s[26:27]
	s_cbranch_scc0 .LBB119_9
; %bb.8:                                ;   in Loop: Header=BB119_3 Depth=1
	s_mov_b64 s[10:11], s[34:35]
	s_branch .LBB119_3
.LBB119_9:
	s_load_b32 s7, s[0:1], 0x338
	s_add_nc_u64 s[8:9], s[0:1], 0x500
	s_add_nc_u64 s[4:5], s[0:1], 0x1a0
	s_mov_b64 s[30:31], 0
	s_mov_b64 s[36:37], s[2:3]
	s_wait_kmcnt 0x0
	s_cmp_lt_i32 s7, 2
	s_cbranch_scc1 .LBB119_17
; %bb.10:
	s_mov_b32 s10, 0
	s_add_co_i32 s12, s7, -1
	s_mov_b32 s13, s10
	s_add_co_i32 s7, s7, 1
	s_wait_alu 0xfffe
	s_lshl_b64 s[12:13], s[12:13], 3
	s_mov_b64 s[14:15], s[2:3]
	s_wait_alu 0xfffe
	s_add_nc_u64 s[12:13], s[4:5], s[12:13]
	s_wait_alu 0xfffe
	s_add_nc_u64 s[12:13], s[12:13], 8
.LBB119_11:                             ; =>This Inner Loop Header: Depth=1
	s_load_b64 s[16:17], s[12:13], 0x0
                                        ; implicit-def: $sgpr36_sgpr37
	s_wait_kmcnt 0x0
	s_or_b64 s[18:19], s[14:15], s[16:17]
	s_delay_alu instid0(SALU_CYCLE_1)
	s_mov_b32 s11, s19
	s_wait_alu 0xfffe
	s_cmp_lg_u64 s[10:11], 0
	s_mov_b32 s11, -1
	s_cbranch_scc0 .LBB119_13
; %bb.12:                               ;   in Loop: Header=BB119_11 Depth=1
	s_cvt_f32_u32 s11, s16
	s_cvt_f32_u32 s18, s17
	s_sub_nc_u64 s[20:21], 0, s[16:17]
	s_mov_b32 s23, s10
	s_mov_b32 s39, s10
	s_wait_alu 0xfffe
	s_fmamk_f32 s11, s18, 0x4f800000, s11
	s_wait_alu 0xfffe
	s_delay_alu instid0(SALU_CYCLE_2) | instskip(NEXT) | instid1(TRANS32_DEP_1)
	v_s_rcp_f32 s11, s11
	s_mul_f32 s11, s11, 0x5f7ffffc
	s_wait_alu 0xfffe
	s_delay_alu instid0(SALU_CYCLE_2) | instskip(NEXT) | instid1(SALU_CYCLE_3)
	s_mul_f32 s18, s11, 0x2f800000
	s_trunc_f32 s18, s18
	s_delay_alu instid0(SALU_CYCLE_3) | instskip(SKIP_2) | instid1(SALU_CYCLE_1)
	s_fmamk_f32 s11, s18, 0xcf800000, s11
	s_cvt_u32_f32 s19, s18
	s_wait_alu 0xfffe
	s_cvt_u32_f32 s18, s11
	s_delay_alu instid0(SALU_CYCLE_3) | instskip(NEXT) | instid1(SALU_CYCLE_1)
	s_mul_u64 s[36:37], s[20:21], s[18:19]
	s_mul_hi_u32 s41, s18, s37
	s_mul_i32 s40, s18, s37
	s_mul_hi_u32 s22, s18, s36
	s_mul_i32 s33, s19, s36
	s_add_nc_u64 s[22:23], s[22:23], s[40:41]
	s_mul_hi_u32 s11, s19, s36
	s_mul_hi_u32 s42, s19, s37
	s_add_co_u32 s22, s22, s33
	s_wait_alu 0xfffe
	s_add_co_ci_u32 s38, s23, s11
	s_mul_i32 s36, s19, s37
	s_add_co_ci_u32 s37, s42, 0
	s_delay_alu instid0(SALU_CYCLE_1)
	s_add_nc_u64 s[22:23], s[38:39], s[36:37]
	s_mov_b32 s37, s10
	s_add_co_u32 s18, s18, s22
	s_cselect_b32 s11, -1, 0
	s_wait_alu 0xfffe
	s_cmp_lg_u32 s11, 0
	s_add_co_ci_u32 s19, s19, s23
	s_mov_b32 s23, s10
	s_mul_u64 s[20:21], s[20:21], s[18:19]
	s_delay_alu instid0(SALU_CYCLE_1)
	s_mul_hi_u32 s39, s18, s21
	s_mul_i32 s38, s18, s21
	s_mul_hi_u32 s22, s18, s20
	s_mul_i32 s33, s19, s20
	s_add_nc_u64 s[22:23], s[22:23], s[38:39]
	s_mul_hi_u32 s11, s19, s20
	s_mul_hi_u32 s40, s19, s21
	s_mul_i32 s20, s19, s21
	s_add_co_u32 s21, s22, s33
	s_wait_alu 0xfffe
	s_add_co_ci_u32 s36, s23, s11
	s_add_co_ci_u32 s21, s40, 0
	s_mov_b32 s23, s10
	s_add_nc_u64 s[20:21], s[36:37], s[20:21]
	s_delay_alu instid0(SALU_CYCLE_1)
	s_add_co_u32 s11, s18, s20
	s_cselect_b32 s18, -1, 0
	s_wait_alu 0xfffe
	s_mul_hi_u32 s22, s14, s11
	s_cmp_lg_u32 s18, 0
	s_mul_hi_u32 s33, s15, s11
	s_add_co_ci_u32 s20, s19, s21
	s_mul_i32 s11, s15, s11
	s_mul_hi_u32 s19, s14, s20
	s_mul_i32 s18, s14, s20
	s_mul_hi_u32 s21, s15, s20
	s_add_nc_u64 s[18:19], s[22:23], s[18:19]
	s_mul_i32 s20, s15, s20
	s_wait_alu 0xfffe
	s_add_co_u32 s11, s18, s11
	s_add_co_ci_u32 s36, s19, s33
	s_add_co_ci_u32 s21, s21, 0
	s_delay_alu instid0(SALU_CYCLE_1) | instskip(NEXT) | instid1(SALU_CYCLE_1)
	s_add_nc_u64 s[18:19], s[36:37], s[20:21]
	s_mul_u64 s[20:21], s[16:17], s[18:19]
	s_delay_alu instid0(SALU_CYCLE_1)
	s_sub_co_u32 s11, s14, s20
	s_cselect_b32 s20, -1, 0
	s_sub_co_i32 s22, s15, s21
	s_cmp_lg_u32 s20, 0
	s_sub_co_ci_u32 s22, s22, s17
	s_wait_alu 0xfffe
	s_sub_co_u32 s23, s11, s16
	s_cselect_b32 s33, -1, 0
	s_delay_alu instid0(SALU_CYCLE_1) | instskip(SKIP_1) | instid1(SALU_CYCLE_1)
	s_cmp_lg_u32 s33, 0
	s_sub_co_ci_u32 s22, s22, 0
	s_cmp_ge_u32 s22, s17
	s_cselect_b32 s33, -1, 0
	s_cmp_ge_u32 s23, s16
	s_cselect_b32 s36, -1, 0
	s_cmp_eq_u32 s22, s17
	s_add_nc_u64 s[22:23], s[18:19], 1
	s_cselect_b32 s33, s36, s33
	s_add_nc_u64 s[36:37], s[18:19], 2
	s_cmp_lg_u32 s33, 0
	s_cselect_b32 s22, s36, s22
	s_cselect_b32 s23, s37, s23
	s_cmp_lg_u32 s20, 0
	s_sub_co_ci_u32 s20, s15, s21
	s_delay_alu instid0(SALU_CYCLE_1)
	s_cmp_ge_u32 s20, s17
	s_cselect_b32 s21, -1, 0
	s_cmp_ge_u32 s11, s16
	s_cselect_b32 s11, -1, 0
	s_cmp_eq_u32 s20, s17
	s_wait_alu 0xfffe
	s_cselect_b32 s11, s11, s21
	s_wait_alu 0xfffe
	s_cmp_lg_u32 s11, 0
	s_mov_b32 s11, 0
	s_cselect_b32 s37, s23, s19
	s_cselect_b32 s36, s22, s18
.LBB119_13:                             ;   in Loop: Header=BB119_11 Depth=1
	s_wait_alu 0xfffe
	s_and_not1_b32 vcc_lo, exec_lo, s11
	s_cbranch_vccnz .LBB119_15
; %bb.14:                               ;   in Loop: Header=BB119_11 Depth=1
	v_cvt_f32_u32_e32 v1, s16
	s_sub_co_i32 s18, 0, s16
	s_mov_b32 s37, s10
	s_delay_alu instid0(VALU_DEP_1) | instskip(NEXT) | instid1(TRANS32_DEP_1)
	v_rcp_iflag_f32_e32 v1, v1
	v_mul_f32_e32 v1, 0x4f7ffffe, v1
	s_delay_alu instid0(VALU_DEP_1) | instskip(NEXT) | instid1(VALU_DEP_1)
	v_cvt_u32_f32_e32 v1, v1
	v_readfirstlane_b32 s11, v1
	s_mul_i32 s18, s18, s11
	s_delay_alu instid0(SALU_CYCLE_1) | instskip(NEXT) | instid1(SALU_CYCLE_1)
	s_mul_hi_u32 s18, s11, s18
	s_add_co_i32 s11, s11, s18
	s_wait_alu 0xfffe
	s_mul_hi_u32 s11, s14, s11
	s_wait_alu 0xfffe
	s_mul_i32 s18, s11, s16
	s_add_co_i32 s19, s11, 1
	s_sub_co_i32 s18, s14, s18
	s_delay_alu instid0(SALU_CYCLE_1)
	s_sub_co_i32 s20, s18, s16
	s_cmp_ge_u32 s18, s16
	s_cselect_b32 s11, s19, s11
	s_cselect_b32 s18, s20, s18
	s_wait_alu 0xfffe
	s_add_co_i32 s19, s11, 1
	s_cmp_ge_u32 s18, s16
	s_cselect_b32 s36, s19, s11
.LBB119_15:                             ;   in Loop: Header=BB119_11 Depth=1
	s_load_b64 s[18:19], s[12:13], 0xc8
	s_mul_u64 s[16:17], s[36:37], s[16:17]
	s_add_co_i32 s7, s7, -1
	s_wait_alu 0xfffe
	s_sub_nc_u64 s[14:15], s[14:15], s[16:17]
	s_cmp_gt_u32 s7, 2
	s_add_nc_u64 s[12:13], s[12:13], -8
	s_wait_kmcnt 0x0
	s_mul_u64 s[14:15], s[18:19], s[14:15]
	s_delay_alu instid0(SALU_CYCLE_1)
	s_add_nc_u64 s[30:31], s[14:15], s[30:31]
	s_cbranch_scc0 .LBB119_17
; %bb.16:                               ;   in Loop: Header=BB119_11 Depth=1
	s_mov_b64 s[14:15], s[36:37]
	s_branch .LBB119_11
.LBB119_17:
	s_clause 0x1
	s_load_b64 s[38:39], s[0:1], 0xd0
	s_load_b32 s7, s[0:1], 0x4d8
	s_mov_b64 s[10:11], 0
	s_wait_kmcnt 0x0
	s_cmp_lt_i32 s7, 2
	s_cbranch_scc1 .LBB119_25
; %bb.18:
	s_mov_b32 s12, 0
	s_add_co_i32 s10, s7, -1
	s_wait_alu 0xfffe
	s_mov_b32 s11, s12
	s_add_nc_u64 s[14:15], s[0:1], 0x340
	s_wait_alu 0xfffe
	s_lshl_b64 s[10:11], s[10:11], 3
	s_add_co_i32 s7, s7, 1
	s_wait_alu 0xfffe
	s_add_nc_u64 s[10:11], s[14:15], s[10:11]
	s_wait_alu 0xfffe
	s_add_nc_u64 s[14:15], s[10:11], 8
	s_mov_b64 s[10:11], 0
.LBB119_19:                             ; =>This Inner Loop Header: Depth=1
	s_load_b64 s[16:17], s[14:15], 0x0
	s_wait_kmcnt 0x0
	s_or_b64 s[18:19], s[2:3], s[16:17]
	s_delay_alu instid0(SALU_CYCLE_1)
	s_mov_b32 s13, s19
                                        ; implicit-def: $sgpr18_sgpr19
	s_wait_alu 0xfffe
	s_cmp_lg_u64 s[12:13], 0
	s_mov_b32 s13, -1
	s_cbranch_scc0 .LBB119_21
; %bb.20:                               ;   in Loop: Header=BB119_19 Depth=1
	s_cvt_f32_u32 s13, s16
	s_cvt_f32_u32 s18, s17
	s_sub_nc_u64 s[20:21], 0, s[16:17]
	s_mov_b32 s23, s12
	s_mov_b32 s43, s12
	s_wait_alu 0xfffe
	s_fmamk_f32 s13, s18, 0x4f800000, s13
	s_wait_alu 0xfffe
	s_delay_alu instid0(SALU_CYCLE_2) | instskip(NEXT) | instid1(TRANS32_DEP_1)
	v_s_rcp_f32 s13, s13
	s_mul_f32 s13, s13, 0x5f7ffffc
	s_wait_alu 0xfffe
	s_delay_alu instid0(SALU_CYCLE_2) | instskip(NEXT) | instid1(SALU_CYCLE_3)
	s_mul_f32 s18, s13, 0x2f800000
	s_trunc_f32 s18, s18
	s_delay_alu instid0(SALU_CYCLE_3) | instskip(SKIP_2) | instid1(SALU_CYCLE_1)
	s_fmamk_f32 s13, s18, 0xcf800000, s13
	s_cvt_u32_f32 s19, s18
	s_wait_alu 0xfffe
	s_cvt_u32_f32 s18, s13
	s_delay_alu instid0(SALU_CYCLE_3) | instskip(NEXT) | instid1(SALU_CYCLE_1)
	s_mul_u64 s[40:41], s[20:21], s[18:19]
	s_mul_hi_u32 s45, s18, s41
	s_mul_i32 s44, s18, s41
	s_mul_hi_u32 s22, s18, s40
	s_mul_i32 s33, s19, s40
	s_add_nc_u64 s[22:23], s[22:23], s[44:45]
	s_mul_hi_u32 s13, s19, s40
	s_mul_hi_u32 s46, s19, s41
	s_add_co_u32 s22, s22, s33
	s_wait_alu 0xfffe
	s_add_co_ci_u32 s42, s23, s13
	s_mul_i32 s40, s19, s41
	s_add_co_ci_u32 s41, s46, 0
	s_delay_alu instid0(SALU_CYCLE_1)
	s_add_nc_u64 s[22:23], s[42:43], s[40:41]
	s_mov_b32 s41, s12
	s_add_co_u32 s18, s18, s22
	s_cselect_b32 s13, -1, 0
	s_wait_alu 0xfffe
	s_cmp_lg_u32 s13, 0
	s_add_co_ci_u32 s19, s19, s23
	s_mov_b32 s23, s12
	s_mul_u64 s[20:21], s[20:21], s[18:19]
	s_delay_alu instid0(SALU_CYCLE_1)
	s_mul_hi_u32 s43, s18, s21
	s_mul_i32 s42, s18, s21
	s_mul_hi_u32 s22, s18, s20
	s_mul_i32 s33, s19, s20
	s_add_nc_u64 s[22:23], s[22:23], s[42:43]
	s_mul_hi_u32 s13, s19, s20
	s_mul_hi_u32 s44, s19, s21
	s_mul_i32 s20, s19, s21
	s_add_co_u32 s21, s22, s33
	s_wait_alu 0xfffe
	s_add_co_ci_u32 s40, s23, s13
	s_add_co_ci_u32 s21, s44, 0
	s_mov_b32 s23, s12
	s_add_nc_u64 s[20:21], s[40:41], s[20:21]
	s_delay_alu instid0(SALU_CYCLE_1)
	s_add_co_u32 s13, s18, s20
	s_cselect_b32 s18, -1, 0
	s_wait_alu 0xfffe
	s_mul_hi_u32 s22, s2, s13
	s_cmp_lg_u32 s18, 0
	s_mul_hi_u32 s33, s3, s13
	s_add_co_ci_u32 s20, s19, s21
	s_mul_i32 s13, s3, s13
	s_mul_hi_u32 s19, s2, s20
	s_mul_i32 s18, s2, s20
	s_mul_hi_u32 s21, s3, s20
	s_add_nc_u64 s[18:19], s[22:23], s[18:19]
	s_mul_i32 s20, s3, s20
	s_wait_alu 0xfffe
	s_add_co_u32 s13, s18, s13
	s_add_co_ci_u32 s40, s19, s33
	s_add_co_ci_u32 s21, s21, 0
	s_delay_alu instid0(SALU_CYCLE_1) | instskip(NEXT) | instid1(SALU_CYCLE_1)
	s_add_nc_u64 s[18:19], s[40:41], s[20:21]
	s_mul_u64 s[20:21], s[16:17], s[18:19]
	s_delay_alu instid0(SALU_CYCLE_1)
	s_sub_co_u32 s13, s2, s20
	s_cselect_b32 s20, -1, 0
	s_sub_co_i32 s22, s3, s21
	s_cmp_lg_u32 s20, 0
	s_sub_co_ci_u32 s22, s22, s17
	s_wait_alu 0xfffe
	s_sub_co_u32 s23, s13, s16
	s_cselect_b32 s33, -1, 0
	s_delay_alu instid0(SALU_CYCLE_1) | instskip(SKIP_1) | instid1(SALU_CYCLE_1)
	s_cmp_lg_u32 s33, 0
	s_sub_co_ci_u32 s22, s22, 0
	s_cmp_ge_u32 s22, s17
	s_cselect_b32 s33, -1, 0
	s_cmp_ge_u32 s23, s16
	s_cselect_b32 s40, -1, 0
	s_cmp_eq_u32 s22, s17
	s_add_nc_u64 s[22:23], s[18:19], 1
	s_cselect_b32 s33, s40, s33
	s_add_nc_u64 s[40:41], s[18:19], 2
	s_cmp_lg_u32 s33, 0
	s_cselect_b32 s22, s40, s22
	s_cselect_b32 s23, s41, s23
	s_cmp_lg_u32 s20, 0
	s_sub_co_ci_u32 s20, s3, s21
	s_delay_alu instid0(SALU_CYCLE_1)
	s_cmp_ge_u32 s20, s17
	s_cselect_b32 s21, -1, 0
	s_cmp_ge_u32 s13, s16
	s_cselect_b32 s13, -1, 0
	s_cmp_eq_u32 s20, s17
	s_wait_alu 0xfffe
	s_cselect_b32 s13, s13, s21
	s_wait_alu 0xfffe
	s_cmp_lg_u32 s13, 0
	s_mov_b32 s13, 0
	s_cselect_b32 s19, s23, s19
	s_cselect_b32 s18, s22, s18
.LBB119_21:                             ;   in Loop: Header=BB119_19 Depth=1
	s_wait_alu 0xfffe
	s_and_not1_b32 vcc_lo, exec_lo, s13
	s_cbranch_vccnz .LBB119_23
; %bb.22:                               ;   in Loop: Header=BB119_19 Depth=1
	v_cvt_f32_u32_e32 v1, s16
	s_sub_co_i32 s18, 0, s16
	s_delay_alu instid0(VALU_DEP_1) | instskip(NEXT) | instid1(TRANS32_DEP_1)
	v_rcp_iflag_f32_e32 v1, v1
	v_mul_f32_e32 v1, 0x4f7ffffe, v1
	s_delay_alu instid0(VALU_DEP_1) | instskip(NEXT) | instid1(VALU_DEP_1)
	v_cvt_u32_f32_e32 v1, v1
	v_readfirstlane_b32 s13, v1
	s_mul_i32 s18, s18, s13
	s_delay_alu instid0(SALU_CYCLE_1) | instskip(NEXT) | instid1(SALU_CYCLE_1)
	s_mul_hi_u32 s18, s13, s18
	s_add_co_i32 s13, s13, s18
	s_wait_alu 0xfffe
	s_mul_hi_u32 s13, s2, s13
	s_wait_alu 0xfffe
	s_mul_i32 s18, s13, s16
	s_add_co_i32 s19, s13, 1
	s_sub_co_i32 s18, s2, s18
	s_delay_alu instid0(SALU_CYCLE_1)
	s_sub_co_i32 s20, s18, s16
	s_cmp_ge_u32 s18, s16
	s_cselect_b32 s13, s19, s13
	s_cselect_b32 s18, s20, s18
	s_wait_alu 0xfffe
	s_add_co_i32 s19, s13, 1
	s_cmp_ge_u32 s18, s16
	s_cselect_b32 s18, s19, s13
	s_mov_b32 s19, s12
.LBB119_23:                             ;   in Loop: Header=BB119_19 Depth=1
	s_load_b64 s[20:21], s[14:15], 0xc8
	s_mul_u64 s[16:17], s[18:19], s[16:17]
	s_add_co_i32 s7, s7, -1
	s_wait_alu 0xfffe
	s_sub_nc_u64 s[2:3], s[2:3], s[16:17]
	s_cmp_gt_u32 s7, 2
	s_add_nc_u64 s[14:15], s[14:15], -8
	s_wait_kmcnt 0x0
	s_wait_alu 0xfffe
	s_mul_u64 s[2:3], s[20:21], s[2:3]
	s_wait_alu 0xfffe
	s_add_nc_u64 s[10:11], s[2:3], s[10:11]
	s_cbranch_scc0 .LBB119_26
; %bb.24:                               ;   in Loop: Header=BB119_19 Depth=1
	s_mov_b64 s[2:3], s[18:19]
	s_branch .LBB119_19
.LBB119_25:
	s_mov_b64 s[18:19], s[2:3]
.LBB119_26:
	s_clause 0x2
	s_load_b64 s[40:41], s[4:5], 0xd0
	s_load_b64 s[4:5], s[0:1], 0x410
	;; [unrolled: 1-line block ×3, first 2 shown]
	v_dual_mov_b32 v1, 0 :: v_dual_mov_b32 v2, 0
	v_mov_b32_e32 v3, 0
	s_delay_alu instid0(VALU_DEP_2)
	v_cmp_gt_u64_e64 s2, s[24:25], v[0:1]
	s_wait_kmcnt 0x0
	s_mul_u64 s[4:5], s[4:5], s[18:19]
	s_and_saveexec_b32 s7, s2
	s_cbranch_execz .LBB119_30
; %bb.27:
	v_mad_co_u64_u32 v[2:3], null, s28, v0, 0
	s_load_b32 s3, s[8:9], 0xc
	s_lshl_b64 s[18:19], s[10:11], 3
	s_lshl_b64 s[16:17], s[4:5], 3
	s_add_nc_u64 s[18:19], s[12:13], s[18:19]
	s_mov_b32 s15, 0
	s_wait_alu 0xfffe
	s_add_nc_u64 s[16:17], s[18:19], s[16:17]
	v_mad_co_u64_u32 v[3:4], null, s29, v0, v[3:4]
	v_dual_mov_b32 v7, v1 :: v_dual_mov_b32 v6, v0
	s_delay_alu instid0(VALU_DEP_2)
	v_lshlrev_b64_e32 v[4:5], 3, v[2:3]
	v_mov_b32_e32 v2, 0
	v_mov_b32_e32 v3, 0
	s_wait_kmcnt 0x0
	s_and_b32 s14, s3, 0xffff
	s_wait_alu 0xfffe
	v_add_co_u32 v4, vcc_lo, s16, v4
	s_delay_alu instid0(VALU_DEP_1)
	v_add_co_ci_u32_e64 v5, null, s17, v5, vcc_lo
	s_mul_u64 s[16:17], s[28:29], s[14:15]
	s_wait_alu 0xfffe
	s_lshl_b64 s[16:17], s[16:17], 3
.LBB119_28:                             ; =>This Inner Loop Header: Depth=1
	global_load_b64 v[8:9], v[4:5], off
	v_add_co_u32 v6, vcc_lo, v6, s14
	s_wait_alu 0xfffd
	v_add_co_ci_u32_e64 v7, null, 0, v7, vcc_lo
	s_wait_alu 0xfffe
	v_add_co_u32 v4, vcc_lo, v4, s16
	s_wait_alu 0xfffd
	v_add_co_ci_u32_e64 v5, null, s17, v5, vcc_lo
	s_wait_loadcnt 0x0
	v_cmp_u_f64_e32 vcc_lo, v[8:9], v[8:9]
	s_wait_alu 0xfffd
	v_cndmask_b32_e64 v8, 0, 1, vcc_lo
	v_cmp_le_u64_e32 vcc_lo, s[24:25], v[6:7]
	s_delay_alu instid0(VALU_DEP_2)
	v_add_co_u32 v2, s3, v2, v8
	s_wait_alu 0xf1ff
	v_add_co_ci_u32_e64 v3, null, 0, v3, s3
	s_or_b32 s15, vcc_lo, s15
	s_wait_alu 0xfffe
	s_and_not1_b32 exec_lo, exec_lo, s15
	s_cbranch_execnz .LBB119_28
; %bb.29:
	s_or_b32 exec_lo, exec_lo, s15
.LBB119_30:
	s_delay_alu instid0(SALU_CYCLE_1)
	s_or_b32 exec_lo, exec_lo, s7
	s_clause 0x1
	s_load_b64 s[44:45], s[0:1], 0x0
	s_load_b64 s[42:43], s[0:1], 0x1a0
	v_cmp_eq_u32_e64 s3, 0, v0
	s_and_saveexec_b32 s7, s3
; %bb.31:
	v_mov_b32_e32 v4, 0
	s_delay_alu instid0(VALU_DEP_1)
	v_mov_b32_e32 v5, v4
	ds_store_b64 v4, v[4:5] offset:5136
; %bb.32:
	s_or_b32 exec_lo, exec_lo, s7
	s_mov_b64 s[14:15], 0
	s_mov_b32 s7, exec_lo
	s_wait_dscnt 0x0
	s_barrier_signal -1
	s_barrier_wait -1
	global_inv scope:SCOPE_SE
	v_cmpx_ne_u64_e32 0, v[2:3]
	s_cbranch_execz .LBB119_37
; %bb.33:
	s_mov_b32 s16, exec_lo
.LBB119_34:                             ; =>This Inner Loop Header: Depth=1
	s_wait_alu 0xfffe
	s_ctz_i32_b32 s17, s16
	s_wait_alu 0xfffe
	v_readlane_b32 s19, v3, s17
	v_readlane_b32 s18, v2, s17
	s_lshl_b32 s17, 1, s17
	s_wait_alu 0xfffe
	s_and_not1_b32 s16, s16, s17
	s_wait_alu 0xfffe
	s_cmp_lg_u32 s16, 0
	s_add_nc_u64 s[14:15], s[14:15], s[18:19]
	s_cbranch_scc1 .LBB119_34
; %bb.35:
	v_mbcnt_lo_u32_b32 v2, exec_lo, 0
	s_mov_b32 s16, exec_lo
	s_delay_alu instid0(VALU_DEP_1)
	v_cmpx_eq_u32_e32 0, v2
	s_wait_alu 0xfffe
	s_xor_b32 s16, exec_lo, s16
; %bb.36:
	v_mov_b32_e32 v2, s14
	v_dual_mov_b32 v4, 0 :: v_dual_mov_b32 v3, s15
	ds_add_u64 v4, v[2:3] offset:5136
.LBB119_37:
	s_or_b32 exec_lo, exec_lo, s7
	v_dual_mov_b32 v2, 0 :: v_dual_mov_b32 v37, s25
	s_wait_loadcnt_dscnt 0x0
	s_barrier_signal -1
	s_barrier_wait -1
	global_inv scope:SCOPE_SE
	ds_load_b64 v[2:3], v2 offset:5136
	s_load_b32 s0, s[0:1], 0x4f8
	v_mov_b32_e32 v36, s24
	s_wait_dscnt 0x0
	v_cmp_gt_i64_e32 vcc_lo, 1, v[2:3]
	s_wait_kmcnt 0x0
	s_bitcmp1_b32 s0, 0
	s_cselect_b32 s0, -1, 0
	s_delay_alu instid0(SALU_CYCLE_1) | instskip(NEXT) | instid1(SALU_CYCLE_1)
	s_or_b32 s0, s0, vcc_lo
	s_and_not1_b32 vcc_lo, exec_lo, s0
	s_wait_alu 0xfffe
	s_cbranch_vccnz .LBB119_39
; %bb.38:
	v_not_b32_e32 v2, v2
	v_not_b32_e32 v3, v3
	s_delay_alu instid0(VALU_DEP_2) | instskip(SKIP_1) | instid1(VALU_DEP_2)
	v_add_co_u32 v2, vcc_lo, s24, v2
	s_wait_alu 0xfffd
	v_add_co_ci_u32_e64 v3, null, s25, v3, vcc_lo
	s_delay_alu instid0(VALU_DEP_1) | instskip(NEXT) | instid1(VALU_DEP_1)
	v_lshrrev_b64 v[2:3], 1, v[2:3]
	v_add_co_u32 v36, vcc_lo, v2, 1
	s_wait_alu 0xfffd
	s_delay_alu instid0(VALU_DEP_2)
	v_add_co_ci_u32_e64 v37, null, 0, v3, vcc_lo
.LBB119_39:
	s_and_saveexec_b32 s0, s3
	s_cbranch_execz .LBB119_41
; %bb.40:
	v_dual_mov_b32 v2, 0 :: v_dual_mov_b32 v5, s25
	s_delay_alu instid0(VALU_DEP_1)
	v_dual_mov_b32 v4, s24 :: v_dual_mov_b32 v3, v2
	ds_store_b32 v2, v2 offset:5144
	ds_store_b128 v2, v[2:5] offset:5120
.LBB119_41:
	s_or_b32 exec_lo, exec_lo, s0
	v_mbcnt_lo_u32_b32 v46, -1, 0
	s_lshl_b64 s[14:15], s[4:5], 3
	s_lshl_b64 s[50:51], s[10:11], 3
	s_wait_alu 0xfffe
	s_add_nc_u64 s[10:11], s[12:13], s[14:15]
	s_wait_loadcnt_dscnt 0x0
	v_lshlrev_b64_e64 v[6:7], v46, -1
	s_barrier_signal -1
	s_barrier_wait -1
	global_inv scope:SCOPE_SE
	s_load_b32 s5, s[8:9], 0xc
	v_mad_co_u64_u32 v[2:3], null, s28, v0, 0
	v_not_b32_e32 v49, v6
	v_lshlrev_b32_e32 v6, 5, v0
	v_cmp_gt_u32_e32 vcc_lo, 32, v0
	v_cmp_gt_i32_e64 s4, 4, v46
	s_add_nc_u64 s[54:55], s[10:11], s[50:51]
	v_dual_mov_b32 v21, 0 :: v_dual_lshlrev_b32 v18, 2, v0
	v_or_b32_e32 v11, 16, v6
	v_mad_co_u64_u32 v[3:4], null, s29, v0, v[3:4]
	s_and_b32 s82, vcc_lo, s4
	s_mov_b32 s53, 0
	v_mad_co_u64_u32 v[26:27], null, s28, v11, s[10:11]
	v_cmp_lt_u64_e64 s33, 0x180, s[24:25]
	s_mov_b32 s47, s53
	v_lshlrev_b64_e32 v[4:5], 3, v[2:3]
	s_wait_kmcnt 0x0
	s_and_b32 s46, s5, 0xffff
	s_bfe_u32 s4, s5, 0xb0005
	s_cmp_gt_u32 s46, 31
	v_mov_b32_e32 v7, v27
	v_or_b32_e32 v9, 24, v6
	v_or_b32_e32 v12, 8, v6
	s_cselect_b32 s83, -1, 0
	s_cmp_lt_u32 ttmp9, s6
	s_movk_i32 s5, 0x3e0
	v_mad_co_u64_u32 v[24:25], null, s28, v9, s[10:11]
	v_lshlrev_b32_e32 v47, 3, v0
	v_mad_co_u64_u32 v[28:29], null, s28, v12, s[10:11]
	s_cselect_b32 s52, 12, 18
	s_wait_alu 0xfffe
	s_add_co_i32 s6, s4, -1
	s_bfe_u32 s84, s46, 0x30005
	v_mov_b32_e32 v6, v25
	s_and_b32 s6, s6, 0xffff
	v_lshlrev_b64_e32 v[2:3], 5, v[2:3]
	s_cmp_gt_u32 s6, 6
	v_and_or_b32 v50, v0, s5, 0xc00
	v_mad_co_u64_u32 v[9:10], null, s29, v9, v[6:7]
	v_mov_b32_e32 v8, v29
	s_cselect_b32 s85, -1, 0
	s_and_b32 s86, s4, 0x7f8
	s_add_nc_u64 s[4:5], s[14:15], s[50:51]
	s_cmp_lg_u32 s84, 0
	v_add_co_u32 v22, vcc_lo, s54, v4
	s_delay_alu instid0(VALU_DEP_3)
	v_mov_b32_e32 v25, v9
	v_mad_co_u64_u32 v[6:7], null, s29, v11, v[7:8]
	v_mad_co_u64_u32 v[7:8], null, s29, v12, v[8:9]
	s_wait_alu 0xfffe
	s_add_nc_u64 s[60:61], s[12:13], s[4:5]
	s_add_nc_u64 s[4:5], s[12:13], s[50:51]
	s_cselect_b32 s87, -1, 0
	s_lshl_b64 s[62:63], s[28:29], 3
	s_lshl_b64 s[64:65], s[28:29], 5
	s_wait_alu 0xfffd
	v_add_co_ci_u32_e64 v23, null, s55, v5, vcc_lo
	v_add_co_u32 v30, vcc_lo, s10, v2
	s_wait_alu 0xfffe
	s_add_nc_u64 s[4:5], s[4:5], s[14:15]
	v_mul_lo_u32 v53, 0, s62
	v_mul_lo_u32 v54, 0, s64
	s_wait_alu 0xfffd
	v_add_co_ci_u32_e64 v31, null, s11, v3, vcc_lo
	s_wait_alu 0xfffe
	v_add_co_u32 v16, vcc_lo, s4, v4
	v_dual_mov_b32 v27, v6 :: v_dual_mov_b32 v32, 0
	v_dual_mov_b32 v29, v7 :: v_dual_mov_b32 v6, 0
	v_dual_mov_b32 v34, 0 :: v_dual_lshlrev_b32 v51, 5, v0
	v_cmp_gt_u32_e64 s0, 2, v0
	v_cmp_eq_u32_e64 s1, 0, v46
	v_dual_mov_b32 v19, v21 :: v_dual_add_nc_u32 v48, 0xc00, v47
	v_lshl_or_b32 v52, v46, 3, 0xc00
	s_wait_alu 0xfffd
	v_add_co_ci_u32_e64 v17, null, s5, v5, vcc_lo
	v_mov_b32_e32 v33, 0
	v_mov_b32_e32 v7, 0
	;; [unrolled: 1-line block ×4, first 2 shown]
	s_add_nc_u64 s[56:57], s[46:47], -1
	s_mul_u64 s[6:7], s[28:29], s[46:47]
	s_add_nc_u64 s[58:59], s[56:57], s[24:25]
	s_lshl_b32 s88, s46, 3
	s_lshl_b64 s[48:49], s[6:7], 3
	s_mov_b32 s89, 62
	s_add_nc_u64 s[66:67], s[8:9], s[52:53]
	s_mov_b32 s91, 0x4f800000
	s_mov_b32 s90, 0
	;; [unrolled: 1-line block ×3, first 2 shown]
                                        ; implicit-def: $sgpr96
                                        ; implicit-def: $sgpr98
                                        ; implicit-def: $sgpr93
                                        ; implicit-def: $sgpr95
                                        ; implicit-def: $sgpr97
                                        ; implicit-def: $sgpr94
	s_branch .LBB119_45
.LBB119_42:                             ;   in Loop: Header=BB119_45 Depth=1
	s_wait_alu 0xfffe
	s_or_b32 exec_lo, exec_lo, s7
	s_delay_alu instid0(SALU_CYCLE_1)
	s_and_b32 s5, s5, exec_lo
	s_and_not1_b32 s22, s22, exec_lo
	s_and_not1_b32 s21, s21, exec_lo
	s_or_not1_b32 s19, s6, exec_lo
.LBB119_43:                             ;   in Loop: Header=BB119_45 Depth=1
	s_wait_alu 0xfffe
	s_or_b32 exec_lo, exec_lo, s4
	s_delay_alu instid0(SALU_CYCLE_1)
	s_and_not1_b32 s4, s94, exec_lo
	s_and_b32 s5, s5, exec_lo
	s_and_not1_b32 s6, s95, exec_lo
	s_wait_alu 0xfffe
	s_or_b32 s94, s4, s5
	s_and_not1_b32 s4, s97, exec_lo
	s_and_b32 s5, s22, exec_lo
	s_and_b32 s7, s21, exec_lo
	s_wait_alu 0xfffe
	s_or_b32 s97, s4, s5
	s_or_b32 s95, s6, s7
	s_or_not1_b32 s19, s19, exec_lo
.LBB119_44:                             ;   in Loop: Header=BB119_45 Depth=1
	s_or_b32 exec_lo, exec_lo, s18
	s_delay_alu instid0(SALU_CYCLE_1)
	s_and_b32 s4, exec_lo, s19
	v_dual_mov_b32 v37, v13 :: v_dual_mov_b32 v36, v12
	s_wait_alu 0xfffe
	s_or_b32 s90, s4, s90
	s_and_not1_b32 s4, s93, exec_lo
	s_and_b32 s5, s94, exec_lo
	s_and_not1_b32 s6, s98, exec_lo
	s_wait_alu 0xfffe
	s_or_b32 s93, s4, s5
	s_and_b32 s4, s97, exec_lo
	s_and_not1_b32 s5, s96, exec_lo
	s_and_b32 s7, s95, exec_lo
	s_wait_alu 0xfffe
	s_or_b32 s98, s6, s4
	s_or_b32 s96, s5, s7
	s_and_not1_b32 exec_lo, exec_lo, s90
	s_cbranch_execz .LBB119_310
.LBB119_45:                             ; =>This Loop Header: Depth=1
                                        ;     Child Loop BB119_51 Depth 2
                                        ;     Child Loop BB119_64 Depth 2
	;; [unrolled: 1-line block ×16, first 2 shown]
	ds_load_b128 v[8:11], v21 offset:5120
	s_wait_dscnt 0x0
	v_readfirstlane_b32 s69, v9
	v_readfirstlane_b32 s68, v8
	s_cmp_lg_u64 s[68:69], 0
	s_cbranch_scc1 .LBB119_72
; %bb.46:                               ;   in Loop: Header=BB119_45 Depth=1
	s_and_b32 vcc_lo, exec_lo, s33
	s_wait_alu 0xfffe
	s_cbranch_vccz .LBB119_59
; %bb.47:                               ;   in Loop: Header=BB119_45 Depth=1
	v_cmp_gt_u64_e32 vcc_lo, 0x181, v[10:11]
	s_mov_b32 s6, 0
	s_mov_b32 s4, 0
	s_cbranch_vccz .LBB119_60
; %bb.48:                               ;   in Loop: Header=BB119_45 Depth=1
	s_and_saveexec_b32 s7, s2
	s_cbranch_execz .LBB119_172
; %bb.49:                               ;   in Loop: Header=BB119_45 Depth=1
	global_load_u16 v2, v21, s[66:67]
	global_load_b64 v[8:9], v[22:23], off
	s_mov_b32 s8, 0
	s_wait_loadcnt 0x1
	v_and_b32_e32 v2, 0xffff, v2
	s_delay_alu instid0(VALU_DEP_1) | instskip(SKIP_2) | instid1(VALU_DEP_3)
	v_add_nc_u32_e32 v10, v0, v2
	v_mul_lo_u32 v12, v2, s63
	v_mul_hi_u32 v13, v2, s62
	v_mad_co_u64_u32 v[4:5], null, s62, v10, s[60:61]
	s_delay_alu instid0(VALU_DEP_1) | instskip(NEXT) | instid1(VALU_DEP_4)
	v_mad_co_u64_u32 v[10:11], null, s63, v10, v[5:6]
	v_add_nc_u32_e32 v5, v12, v53
	s_delay_alu instid0(VALU_DEP_1) | instskip(NEXT) | instid1(VALU_DEP_3)
	v_add_nc_u32_e32 v15, v5, v13
	v_mov_b32_e32 v5, v10
	v_mul_lo_u32 v14, v2, s62
	v_dual_mov_b32 v11, v1 :: v_dual_mov_b32 v10, v0
	s_branch .LBB119_51
.LBB119_50:                             ;   in Loop: Header=BB119_51 Depth=2
	s_wait_alu 0xfffe
	s_or_b32 exec_lo, exec_lo, s5
	v_add_co_u32 v4, vcc_lo, v4, v14
	s_wait_alu 0xfffd
	v_add_co_ci_u32_e64 v5, null, v5, v15, vcc_lo
	v_dual_mov_b32 v8, v12 :: v_dual_mov_b32 v9, v13
	s_and_not1_b32 exec_lo, exec_lo, s8
	s_cbranch_execz .LBB119_172
.LBB119_51:                             ;   Parent Loop BB119_45 Depth=1
                                        ; =>  This Inner Loop Header: Depth=2
	s_delay_alu instid0(VALU_DEP_1)
	v_add_co_u32 v10, vcc_lo, v10, v2
	v_mov_b32_e32 v12, 0
	s_wait_alu 0xfffd
	v_add_co_ci_u32_e64 v11, null, 0, v11, vcc_lo
	v_mov_b32_e32 v13, 0
	s_mov_b32 s5, exec_lo
	s_delay_alu instid0(VALU_DEP_2)
	v_cmp_le_u64_e32 vcc_lo, s[24:25], v[10:11]
	v_cmpx_gt_u64_e64 s[24:25], v[10:11]
	s_cbranch_execz .LBB119_53
; %bb.52:                               ;   in Loop: Header=BB119_51 Depth=2
	global_load_b64 v[12:13], v[4:5], off
.LBB119_53:                             ;   in Loop: Header=BB119_51 Depth=2
	s_wait_alu 0xfffe
	s_or_b32 exec_lo, exec_lo, s5
	s_wait_loadcnt 0x0
	v_cmp_o_f64_e64 s4, v[8:9], v[8:9]
	s_wait_dscnt 0x0
	v_ashrrev_i32_e32 v20, 31, v9
	s_delay_alu instid0(VALU_DEP_1) | instskip(SKIP_1) | instid1(VALU_DEP_2)
	v_or_b32_e32 v38, 0x80000000, v20
	v_xor_b32_e32 v20, v20, v8
	v_xor_b32_e32 v38, v38, v9
	s_wait_alu 0xf1ff
	s_delay_alu instid0(VALU_DEP_1) | instskip(NEXT) | instid1(VALU_DEP_3)
	v_cndmask_b32_e64 v38, -1, v38, s4
	v_cndmask_b32_e64 v20, -1, v20, s4
	s_delay_alu instid0(VALU_DEP_2) | instskip(NEXT) | instid1(VALU_DEP_2)
	v_and_b32_e32 v39, v38, v35
	v_and_b32_e32 v38, v20, v34
	v_mov_b32_e32 v20, 0
	s_delay_alu instid0(VALU_DEP_2)
	v_cmp_eq_u64_e64 s4, v[38:39], v[32:33]
	s_cmp_lg_u32 s4, 0
	s_cselect_b32 s5, -1, 0
	s_wait_alu 0xfffe
	s_and_b32 s5, s1, s5
	s_wait_alu 0xfffe
	s_and_saveexec_b32 s9, s5
	s_cbranch_execz .LBB119_57
; %bb.54:                               ;   in Loop: Header=BB119_51 Depth=2
	s_mov_b32 s12, exec_lo
	s_bcnt1_i32_b32 s10, s4
	s_wait_alu 0xfffe
	v_mbcnt_lo_u32_b32 v20, s12, 0
	s_mov_b32 s11, exec_lo
                                        ; implicit-def: $vgpr38
	s_delay_alu instid0(VALU_DEP_1)
	v_cmpx_eq_u32_e32 0, v20
; %bb.55:                               ;   in Loop: Header=BB119_51 Depth=2
	s_bcnt1_i32_b32 s5, s12
	s_wait_alu 0xfffe
	s_mul_i32 s5, s10, s5
	s_wait_alu 0xfffe
	v_mov_b32_e32 v38, s5
	ds_add_rtn_u32 v38, v21, v38 offset:5144
; %bb.56:                               ;   in Loop: Header=BB119_51 Depth=2
	s_or_b32 exec_lo, exec_lo, s11
	s_wait_dscnt 0x0
	v_readfirstlane_b32 s5, v38
	s_wait_alu 0xf1ff
	s_delay_alu instid0(VALU_DEP_1)
	v_mad_u32_u24 v20, s10, v20, s5
.LBB119_57:                             ;   in Loop: Header=BB119_51 Depth=2
	s_wait_alu 0xfffe
	s_or_b32 exec_lo, exec_lo, s9
	ds_bpermute_b32 v20, v21, v20
	s_and_b32 s5, exec_lo, vcc_lo
	s_wait_alu 0xfffe
	s_or_b32 s8, s5, s8
	s_and_saveexec_b32 s5, s4
	s_cbranch_execz .LBB119_50
; %bb.58:                               ;   in Loop: Header=BB119_51 Depth=2
	v_and_b32_e32 v38, s4, v49
	s_delay_alu instid0(VALU_DEP_1) | instskip(NEXT) | instid1(VALU_DEP_1)
	v_bcnt_u32_b32 v38, v38, 0
	v_lshlrev_b32_e32 v38, 3, v38
	s_wait_dscnt 0x0
	s_delay_alu instid0(VALU_DEP_1)
	v_lshl_add_u32 v20, v20, 3, v38
	ds_store_b64 v20, v[8:9]
	s_branch .LBB119_50
.LBB119_59:                             ;   in Loop: Header=BB119_45 Depth=1
	s_mov_b32 s6, -1
	s_mov_b32 s4, 0
.LBB119_60:                             ;   in Loop: Header=BB119_45 Depth=1
	s_wait_alu 0xfffe
	s_and_b32 vcc_lo, exec_lo, s6
	s_wait_alu 0xfffe
	s_cbranch_vccz .LBB119_70
.LBB119_61:                             ;   in Loop: Header=BB119_45 Depth=1
	s_and_saveexec_b32 s5, s2
	s_cbranch_execz .LBB119_67
; %bb.62:                               ;   in Loop: Header=BB119_45 Depth=1
	global_load_u16 v2, v21, s[66:67]
	global_load_b64 v[4:5], v[22:23], off
	v_mov_b32_e32 v8, v0
	s_mov_b32 s6, exec_lo
	s_wait_loadcnt 0x1
	v_and_b32_e32 v2, 0xffff, v2
	s_delay_alu instid0(VALU_DEP_1) | instskip(NEXT) | instid1(VALU_DEP_1)
	v_add_nc_u32_e32 v20, v2, v0
	v_cmpx_gt_u64_e64 s[24:25], v[20:21]
	s_cbranch_execz .LBB119_66
; %bb.63:                               ;   in Loop: Header=BB119_45 Depth=1
	v_mul_lo_u32 v11, v2, s63
	v_mad_co_u64_u32 v[8:9], null, s62, v20, s[60:61]
	v_mul_hi_u32 v12, v2, s62
	v_mul_lo_u32 v38, v2, s62
	v_mov_b32_e32 v15, v1
	s_mov_b32 s7, 0
	v_dual_mov_b32 v14, v0 :: v_dual_add_nc_u32 v13, v11, v53
	v_mad_co_u64_u32 v[9:10], null, s63, v20, v[9:10]
	v_dual_mov_b32 v10, v20 :: v_dual_mov_b32 v11, v21
	s_delay_alu instid0(VALU_DEP_3)
	v_add_nc_u32_e32 v20, v13, v12
.LBB119_64:                             ;   Parent Loop BB119_45 Depth=1
                                        ; =>  This Inner Loop Header: Depth=2
	global_load_b64 v[12:13], v[8:9], off
	v_dual_mov_b32 v40, v11 :: v_dual_mov_b32 v39, v10
	v_lshlrev_b32_e32 v14, 3, v14
	s_delay_alu instid0(VALU_DEP_2) | instskip(SKIP_1) | instid1(VALU_DEP_3)
	v_add_co_u32 v10, vcc_lo, v39, v2
	s_wait_alu 0xfffd
	v_add_co_ci_u32_e64 v11, null, 0, v40, vcc_lo
	v_add_co_u32 v8, vcc_lo, v8, v38
	s_wait_loadcnt 0x1
	ds_store_b64 v14, v[4:5]
	v_cmp_le_u64_e64 s4, s[24:25], v[10:11]
	s_wait_alu 0xfffd
	v_add_co_ci_u32_e64 v9, null, v9, v20, vcc_lo
	v_dual_mov_b32 v14, v39 :: v_dual_mov_b32 v15, v40
	s_wait_alu 0xfffe
	s_delay_alu instid0(VALU_DEP_3)
	s_or_b32 s7, s4, s7
	s_wait_loadcnt 0x0
	v_dual_mov_b32 v4, v12 :: v_dual_mov_b32 v5, v13
	s_wait_alu 0xfffe
	s_and_not1_b32 exec_lo, exec_lo, s7
	s_cbranch_execnz .LBB119_64
; %bb.65:                               ;   in Loop: Header=BB119_45 Depth=1
	s_or_b32 exec_lo, exec_lo, s7
	v_sub_nc_u32_e32 v8, v10, v2
	v_dual_mov_b32 v4, v12 :: v_dual_mov_b32 v5, v13
.LBB119_66:                             ;   in Loop: Header=BB119_45 Depth=1
	s_wait_alu 0xfffe
	s_or_b32 exec_lo, exec_lo, s6
	s_delay_alu instid0(VALU_DEP_2)
	v_lshlrev_b32_e32 v2, 3, v8
	s_wait_loadcnt 0x0
	ds_store_b64 v2, v[4:5]
.LBB119_67:                             ;   in Loop: Header=BB119_45 Depth=1
	s_wait_alu 0xfffe
	s_or_b32 exec_lo, exec_lo, s5
	s_wait_loadcnt_dscnt 0x0
	s_barrier_signal -1
	s_barrier_wait -1
	global_inv scope:SCOPE_SE
	s_and_saveexec_b32 s4, s3
; %bb.68:                               ;   in Loop: Header=BB119_45 Depth=1
	v_dual_mov_b32 v4, s24 :: v_dual_mov_b32 v5, s25
	ds_store_b64 v21, v[4:5] offset:5120
; %bb.69:                               ;   in Loop: Header=BB119_45 Depth=1
	s_wait_alu 0xfffe
	s_or_b32 exec_lo, exec_lo, s4
	s_mov_b32 s4, -1
	s_wait_loadcnt_dscnt 0x0
	s_barrier_signal -1
	s_barrier_wait -1
.LBB119_70:                             ;   in Loop: Header=BB119_45 Depth=1
	s_wait_alu 0xfffe
	s_and_b32 vcc_lo, exec_lo, s4
	s_mov_b64 s[68:69], 0
	s_wait_alu 0xfffe
	s_cbranch_vccz .LBB119_72
; %bb.71:                               ;   in Loop: Header=BB119_45 Depth=1
	s_wait_loadcnt 0x0
	global_inv scope:SCOPE_SE
	ds_load_b64 v[4:5], v21 offset:5120
	s_wait_dscnt 0x0
	v_readfirstlane_b32 s68, v4
.LBB119_72:                             ;   in Loop: Header=BB119_45 Depth=1
	s_delay_alu instid0(VALU_DEP_1)
	s_cmp_lt_i32 s68, 1
	s_mov_b32 s4, -1
                                        ; implicit-def: $vgpr8_vgpr9
                                        ; implicit-def: $vgpr12_vgpr13
	s_cbranch_scc1 .LBB119_82
; %bb.73:                               ;   in Loop: Header=BB119_45 Depth=1
	s_wait_alu 0xfffe
	s_and_b32 vcc_lo, exec_lo, s4
	s_wait_alu 0xfffe
	s_cbranch_vccnz .LBB119_96
.LBB119_74:                             ;   in Loop: Header=BB119_45 Depth=1
	s_lshl_b32 s4, s92, 7
	s_and_saveexec_b32 s5, s1
	s_cbranch_execz .LBB119_76
.LBB119_75:                             ;   in Loop: Header=BB119_45 Depth=1
	s_wait_alu 0xfffe
	v_lshl_add_u32 v2, s4, 3, v50
	ds_store_b128 v2, v[8:11]
	ds_store_b128 v2, v[12:15] offset:16
.LBB119_76:                             ;   in Loop: Header=BB119_45 Depth=1
	s_wait_alu 0xfffe
	s_or_b32 exec_lo, exec_lo, s5
	s_wait_loadcnt_dscnt 0x0
	s_barrier_signal -1
	s_barrier_wait -1
	global_inv scope:SCOPE_SE
	s_and_saveexec_b32 s5, s82
	s_cbranch_execz .LBB119_110
; %bb.77:                               ;   in Loop: Header=BB119_45 Depth=1
	v_mov_b32_e32 v4, 0
	v_mov_b32_e32 v5, 0
	s_and_not1_b32 vcc_lo, exec_lo, s83
	s_wait_alu 0xfffe
	s_cbranch_vccnz .LBB119_109
; %bb.78:                               ;   in Loop: Header=BB119_45 Depth=1
	v_mov_b32_e32 v4, 0
	v_mov_b32_e32 v5, 0
	s_and_not1_b32 vcc_lo, exec_lo, s85
	s_wait_alu 0xfffe
	s_cbranch_vccnz .LBB119_106
; %bb.79:                               ;   in Loop: Header=BB119_45 Depth=1
	v_lshl_add_u32 v2, s92, 10, v52
	s_mov_b32 s6, 0
.LBB119_80:                             ;   Parent Loop BB119_45 Depth=1
                                        ; =>  This Inner Loop Header: Depth=2
	ds_load_2addr_b64 v[8:11], v2 offset1:4
	ds_load_2addr_b64 v[12:15], v2 offset0:8 offset1:12
	ds_load_2addr_b64 v[38:41], v2 offset0:16 offset1:20
	s_wait_alu 0xfffe
	s_add_co_i32 s6, s6, 8
	s_wait_alu 0xfffe
	s_cmp_eq_u32 s86, s6
	s_wait_dscnt 0x2
	v_add_co_u32 v4, vcc_lo, v8, v4
	s_wait_alu 0xfffd
	v_add_co_ci_u32_e64 v5, null, v9, v5, vcc_lo
	s_delay_alu instid0(VALU_DEP_2) | instskip(SKIP_1) | instid1(VALU_DEP_2)
	v_add_co_u32 v4, vcc_lo, v10, v4
	s_wait_alu 0xfffd
	v_add_co_ci_u32_e64 v5, null, v11, v5, vcc_lo
	ds_load_2addr_b64 v[8:11], v2 offset0:24 offset1:28
	s_wait_dscnt 0x2
	v_add_co_u32 v4, vcc_lo, v12, v4
	s_wait_alu 0xfffd
	v_add_co_ci_u32_e64 v5, null, v13, v5, vcc_lo
	v_add_nc_u32_e32 v2, 0x100, v2
	s_delay_alu instid0(VALU_DEP_3) | instskip(SKIP_1) | instid1(VALU_DEP_3)
	v_add_co_u32 v4, vcc_lo, v14, v4
	s_wait_alu 0xfffd
	v_add_co_ci_u32_e64 v5, null, v15, v5, vcc_lo
	s_wait_dscnt 0x1
	s_delay_alu instid0(VALU_DEP_2) | instskip(SKIP_1) | instid1(VALU_DEP_2)
	v_add_co_u32 v4, vcc_lo, v38, v4
	s_wait_alu 0xfffd
	v_add_co_ci_u32_e64 v5, null, v39, v5, vcc_lo
	s_delay_alu instid0(VALU_DEP_2) | instskip(SKIP_1) | instid1(VALU_DEP_2)
	v_add_co_u32 v4, vcc_lo, v40, v4
	s_wait_alu 0xfffd
	v_add_co_ci_u32_e64 v5, null, v41, v5, vcc_lo
	s_wait_dscnt 0x0
	s_delay_alu instid0(VALU_DEP_2) | instskip(SKIP_1) | instid1(VALU_DEP_2)
	v_add_co_u32 v4, vcc_lo, v8, v4
	s_wait_alu 0xfffd
	v_add_co_ci_u32_e64 v5, null, v9, v5, vcc_lo
	s_delay_alu instid0(VALU_DEP_2) | instskip(SKIP_1) | instid1(VALU_DEP_2)
	v_add_co_u32 v4, vcc_lo, v10, v4
	s_wait_alu 0xfffd
	v_add_co_ci_u32_e64 v5, null, v11, v5, vcc_lo
	s_cbranch_scc0 .LBB119_80
; %bb.81:                               ;   in Loop: Header=BB119_45 Depth=1
	s_mov_b32 s6, s86
	s_and_not1_b32 vcc_lo, exec_lo, s87
	s_wait_alu 0xfffe
	s_cbranch_vccz .LBB119_107
	s_branch .LBB119_109
.LBB119_82:                             ;   in Loop: Header=BB119_45 Depth=1
	global_load_u16 v2, v21, s[66:67]
	s_mov_b32 s5, s25
	s_wait_loadcnt 0x0
	v_readfirstlane_b32 s4, v2
	s_wait_alu 0xfffe
	s_and_b32 s6, 0xffff, s4
	s_mov_b32 s4, s53
	s_wait_alu 0xfffe
	s_lshl_b32 s70, s6, 2
	s_cmp_lg_u64 s[4:5], 0
	s_cbranch_scc0 .LBB119_105
; %bb.83:                               ;   in Loop: Header=BB119_45 Depth=1
	s_wait_alu 0xfffe
	s_cvt_f32_u32 s4, s70
	s_mov_b32 s71, s53
	s_wait_alu 0xfffe
	s_sub_nc_u64 s[6:7], 0, s[70:71]
	s_fmamk_f32 s4, s91, 0x0, s4
	s_wait_alu 0xfffe
	s_delay_alu instid0(SALU_CYCLE_2) | instskip(NEXT) | instid1(TRANS32_DEP_1)
	v_s_rcp_f32 s4, s4
	s_mul_f32 s4, s4, 0x5f7ffffc
	s_wait_alu 0xfffe
	s_delay_alu instid0(SALU_CYCLE_2) | instskip(SKIP_1) | instid1(SALU_CYCLE_2)
	s_mul_f32 s5, s4, 0x2f800000
	s_wait_alu 0xfffe
	s_trunc_f32 s5, s5
	s_wait_alu 0xfffe
	s_delay_alu instid0(SALU_CYCLE_2) | instskip(SKIP_2) | instid1(SALU_CYCLE_1)
	s_fmamk_f32 s4, s5, 0xcf800000, s4
	s_cvt_u32_f32 s5, s5
	s_wait_alu 0xfffe
	s_cvt_u32_f32 s4, s4
	s_wait_alu 0xfffe
	s_delay_alu instid0(SALU_CYCLE_2)
	s_mul_u64 s[8:9], s[6:7], s[4:5]
	s_wait_alu 0xfffe
	s_mul_hi_u32 s11, s4, s9
	s_mul_i32 s10, s4, s9
	s_mul_hi_u32 s52, s4, s8
	s_mul_i32 s13, s5, s8
	s_wait_alu 0xfffe
	s_add_nc_u64 s[10:11], s[52:53], s[10:11]
	s_mul_hi_u32 s12, s5, s8
	s_mul_hi_u32 s14, s5, s9
	s_mul_i32 s8, s5, s9
	s_wait_alu 0xfffe
	s_add_co_u32 s9, s10, s13
	s_add_co_ci_u32 s52, s11, s12
	s_add_co_ci_u32 s9, s14, 0
	s_wait_alu 0xfffe
	s_add_nc_u64 s[8:9], s[52:53], s[8:9]
	s_wait_alu 0xfffe
	s_add_co_u32 s4, s4, s8
	s_cselect_b32 s8, -1, 0
	s_wait_alu 0xfffe
	s_cmp_lg_u32 s8, 0
	s_add_co_ci_u32 s5, s5, s9
	s_wait_alu 0xfffe
	s_mul_u64 s[6:7], s[6:7], s[4:5]
	s_wait_alu 0xfffe
	s_mul_hi_u32 s9, s4, s7
	s_mul_i32 s8, s4, s7
	s_mul_hi_u32 s52, s4, s6
	s_mul_i32 s11, s5, s6
	s_wait_alu 0xfffe
	s_add_nc_u64 s[8:9], s[52:53], s[8:9]
	s_mul_hi_u32 s10, s5, s6
	s_mul_hi_u32 s12, s5, s7
	s_mul_i32 s6, s5, s7
	s_wait_alu 0xfffe
	s_add_co_u32 s7, s8, s11
	s_add_co_ci_u32 s52, s9, s10
	s_add_co_ci_u32 s7, s12, 0
	s_wait_alu 0xfffe
	s_add_nc_u64 s[6:7], s[52:53], s[6:7]
	s_wait_alu 0xfffe
	s_add_co_u32 s4, s4, s6
	s_cselect_b32 s6, -1, 0
	s_wait_alu 0xfffe
	s_mul_hi_u32 s52, s24, s4
	s_cmp_lg_u32 s6, 0
	s_mul_hi_u32 s8, s25, s4
	s_add_co_ci_u32 s6, s5, s7
	s_mul_i32 s7, s25, s4
	s_wait_alu 0xfffe
	s_mul_hi_u32 s5, s24, s6
	s_mul_i32 s4, s24, s6
	s_mul_hi_u32 s9, s25, s6
	s_wait_alu 0xfffe
	s_add_nc_u64 s[4:5], s[52:53], s[4:5]
	s_mul_i32 s6, s25, s6
	s_wait_alu 0xfffe
	s_add_co_u32 s4, s4, s7
	s_add_co_ci_u32 s52, s5, s8
	s_add_co_ci_u32 s7, s9, 0
	s_wait_alu 0xfffe
	s_add_nc_u64 s[4:5], s[52:53], s[6:7]
	s_wait_alu 0xfffe
	s_mul_u64 s[4:5], s[70:71], s[4:5]
	s_wait_alu 0xfffe
	s_sub_co_u32 s4, s24, s4
	s_cselect_b32 s6, -1, 0
	s_wait_alu 0xfffe
	s_cmp_lg_u32 s6, 0
	s_sub_co_ci_u32 s5, s25, s5
	s_sub_co_u32 s6, s4, s70
	s_cselect_b32 s7, -1, 0
	s_wait_alu 0xfffe
	s_cmp_lg_u32 s7, 0
	s_sub_co_ci_u32 s7, s5, 0
	;; [unrolled: 5-line block ×3, first 2 shown]
	s_cmp_ge_u32 s6, s70
	s_cselect_b32 s10, -1, 0
	s_cmp_eq_u32 s7, 0
	s_wait_alu 0xfffe
	s_cselect_b32 s10, s10, -1
	s_wait_alu 0xfffe
	s_cmp_lg_u32 s10, 0
	s_cselect_b32 s7, s9, s7
	s_cselect_b32 s6, s8, s6
	s_cmp_ge_u32 s4, s70
	s_cselect_b32 s8, -1, 0
	s_cmp_eq_u32 s5, 0
	s_wait_alu 0xfffe
	s_cselect_b32 s8, s8, -1
	s_wait_alu 0xfffe
	s_cmp_lg_u32 s8, 0
	s_cselect_b32 s5, s7, s5
	s_cselect_b32 s4, s6, s4
	s_cbranch_execnz .LBB119_85
.LBB119_84:                             ;   in Loop: Header=BB119_45 Depth=1
	s_wait_alu 0xfffe
	v_cvt_f32_u32_e32 v4, s70
	s_sub_co_i32 s5, 0, s70
	s_delay_alu instid0(VALU_DEP_1) | instskip(NEXT) | instid1(TRANS32_DEP_1)
	v_rcp_iflag_f32_e32 v4, v4
	v_mul_f32_e32 v4, 0x4f7ffffe, v4
	s_delay_alu instid0(VALU_DEP_1) | instskip(NEXT) | instid1(VALU_DEP_1)
	v_cvt_u32_f32_e32 v4, v4
	v_readfirstlane_b32 s4, v4
	s_wait_alu 0xfffe
	s_mul_i32 s5, s5, s4
	s_wait_alu 0xfffe
	s_mul_hi_u32 s5, s4, s5
	s_wait_alu 0xfffe
	s_add_co_i32 s4, s4, s5
	s_wait_alu 0xfffe
	s_mul_hi_u32 s4, s24, s4
	s_wait_alu 0xfffe
	s_mul_i32 s4, s4, s70
	s_wait_alu 0xfffe
	s_sub_co_i32 s4, s24, s4
	s_wait_alu 0xfffe
	s_sub_co_i32 s5, s4, s70
	s_cmp_ge_u32 s4, s70
	s_wait_alu 0xfffe
	s_cselect_b32 s4, s5, s4
	s_wait_alu 0xfffe
	s_sub_co_i32 s5, s4, s70
	s_cmp_ge_u32 s4, s70
	s_wait_alu 0xfffe
	s_cselect_b32 s52, s5, s4
	s_wait_alu 0xfffe
	s_mov_b64 s[4:5], s[52:53]
.LBB119_85:                             ;   in Loop: Header=BB119_45 Depth=1
	v_mov_b32_e32 v8, 0
	v_dual_mov_b32 v12, 0 :: v_dual_mov_b32 v9, 0
	v_dual_mov_b32 v10, 0 :: v_dual_mov_b32 v13, 0
	;; [unrolled: 1-line block ×3, first 2 shown]
	v_dual_mov_b32 v15, 0 :: v_dual_and_b32 v2, 0xffff, v2
	s_wait_alu 0xfffe
	s_sub_nc_u64 s[72:73], s[24:25], s[4:5]
	s_mov_b32 s69, exec_lo
	s_wait_alu 0xfffe
	v_cmpx_gt_u64_e64 s[72:73], v[18:19]
	s_cbranch_execz .LBB119_89
; %bb.86:                               ;   in Loop: Header=BB119_45 Depth=1
	v_mul_lo_u32 v4, v2, s65
	v_mul_hi_u32 v8, v2, s64
	v_mul_lo_u32 v55, v2, s64
	v_mov_b32_e32 v39, v29
	v_mov_b32_e32 v41, v27
	v_dual_mov_b32 v43, v25 :: v_dual_mov_b32 v40, v26
	v_mov_b32_e32 v42, v24
	v_dual_mov_b32 v4, v30 :: v_dual_add_nc_u32 v9, v4, v54
	v_dual_mov_b32 v5, v31 :: v_dual_mov_b32 v38, v28
	s_mov_b64 s[74:75], 0
	s_delay_alu instid0(VALU_DEP_2)
	v_dual_mov_b32 v45, v19 :: v_dual_add_nc_u32 v56, v9, v8
	v_mov_b32_e32 v44, v18
	s_mov_b32 s71, 0
	s_mov_b64 s[76:77], 0
	s_mov_b64 s[78:79], 0
	;; [unrolled: 1-line block ×3, first 2 shown]
.LBB119_87:                             ;   Parent Loop BB119_45 Depth=1
                                        ; =>  This Inner Loop Header: Depth=2
	v_add_co_u32 v8, vcc_lo, v4, s50
	s_wait_alu 0xfffd
	v_add_co_ci_u32_e64 v9, null, s51, v5, vcc_lo
	v_add_co_u32 v10, vcc_lo, v38, s50
	s_wait_alu 0xfffd
	v_add_co_ci_u32_e64 v11, null, s51, v39, vcc_lo
	;; [unrolled: 3-line block ×4, first 2 shown]
	global_load_b64 v[8:9], v[8:9], off
	global_load_b64 v[10:11], v[10:11], off
	;; [unrolled: 1-line block ×4, first 2 shown]
	v_add_co_u32 v44, vcc_lo, v44, s70
	s_wait_alu 0xfffd
	v_add_co_ci_u32_e64 v45, null, 0, v45, vcc_lo
	v_add_co_u32 v42, vcc_lo, v42, v55
	s_wait_alu 0xfffd
	v_add_co_ci_u32_e64 v43, null, v43, v56, vcc_lo
	;; [unrolled: 3-line block ×5, first 2 shown]
	v_cmp_le_u64_e32 vcc_lo, s[72:73], v[44:45]
	s_wait_loadcnt 0x3
	v_cmp_o_f64_e64 s4, v[8:9], v[8:9]
	s_wait_loadcnt 0x2
	v_cmp_o_f64_e64 s5, v[10:11], v[10:11]
	;; [unrolled: 2-line block ×4, first 2 shown]
	v_ashrrev_i32_e32 v20, 31, v9
	v_ashrrev_i32_e32 v57, 31, v11
	v_ashrrev_i32_e32 v59, 31, v13
	v_ashrrev_i32_e32 v61, 31, v15
	s_delay_alu instid0(VALU_DEP_4) | instskip(NEXT) | instid1(VALU_DEP_4)
	v_or_b32_e32 v63, 0x80000000, v20
	v_or_b32_e32 v64, 0x80000000, v57
	s_delay_alu instid0(VALU_DEP_4) | instskip(NEXT) | instid1(VALU_DEP_4)
	v_or_b32_e32 v65, 0x80000000, v59
	v_or_b32_e32 v66, 0x80000000, v61
	v_xor_b32_e32 v20, v20, v8
	v_xor_b32_e32 v63, v63, v9
	;; [unrolled: 1-line block ×8, first 2 shown]
	s_wait_alu 0xf1ff
	v_cndmask_b32_e64 v9, -1, v63, s4
	v_cndmask_b32_e64 v11, -1, v8, s5
	;; [unrolled: 1-line block ×7, first 2 shown]
	v_dual_mov_b32 v58, v21 :: v_dual_and_b32 v63, v8, v34
	v_and_b32_e32 v64, v9, v35
	v_lshrrev_b64 v[8:9], s89, v[8:9]
	v_cndmask_b32_e64 v14, -1, v61, s7
	v_dual_mov_b32 v60, v21 :: v_dual_and_b32 v65, v10, v34
	v_lshrrev_b64 v[9:10], s89, v[10:11]
	v_and_b32_e32 v66, v11, v35
	v_lshrrev_b64 v[10:11], s89, v[12:13]
	v_dual_mov_b32 v62, v21 :: v_dual_and_b32 v67, v12, v34
	v_lshrrev_b64 v[11:12], s89, v[14:15]
	v_and_b32_e32 v20, 3, v8
	v_and_b32_e32 v57, 3, v9
	v_and_b32_e32 v68, v13, v35
	v_and_b32_e32 v59, 3, v10
	v_cmp_eq_u64_e64 s4, v[63:64], v[32:33]
	v_cmp_eq_u64_e64 s8, 0, v[20:21]
	v_and_b32_e32 v70, v15, v35
	v_and_b32_e32 v69, v14, v34
	;; [unrolled: 1-line block ×3, first 2 shown]
	v_cmp_eq_u64_e64 s5, v[65:66], v[32:33]
	v_cmp_eq_u64_e64 s9, 0, v[57:58]
	v_cmp_eq_u64_e64 s6, v[67:68], v[32:33]
	v_cmp_eq_u64_e64 s10, 0, v[59:60]
	v_cmp_eq_u64_e64 s7, v[69:70], v[32:33]
	v_cmp_eq_u64_e64 s11, 0, v[61:62]
	s_and_b32 s8, s4, s8
	v_cmp_eq_u64_e64 s12, 1, v[20:21]
	s_wait_alu 0xfffe
	v_cndmask_b32_e64 v8, 0, 1, s8
	s_and_b32 s8, s5, s9
	v_cmp_eq_u64_e64 s13, 1, v[57:58]
	s_wait_alu 0xfffe
	v_cndmask_b32_e64 v9, 0, 1, s8
	;; [unrolled: 4-line block ×4, first 2 shown]
	s_and_b32 s8, s4, s12
	v_cmp_eq_u64_e64 s16, 2, v[20:21]
	v_cmp_eq_u64_e64 s20, 3, v[20:21]
	s_wait_alu 0xfffe
	v_cndmask_b32_e64 v12, 0, 1, s8
	s_and_b32 s8, s5, s13
	v_cmp_eq_u64_e64 s21, 3, v[57:58]
	s_wait_alu 0xfffe
	v_cndmask_b32_e64 v13, 0, 1, s8
	s_and_b32 s8, s6, s14
	v_cmp_eq_u64_e64 s17, 2, v[57:58]
	v_cmp_eq_u64_e64 s22, 3, v[59:60]
	s_wait_alu 0xfffe
	v_cndmask_b32_e64 v14, 0, 1, s8
	s_and_b32 s8, s7, s15
	v_cmp_eq_u64_e64 s18, 2, v[59:60]
	v_cmp_eq_u64_e64 s23, 3, v[61:62]
	s_wait_alu 0xfffe
	v_cndmask_b32_e64 v15, 0, 1, s8
	s_and_b32 s8, s4, s16
	s_and_b32 s4, s4, s20
	v_cmp_eq_u64_e64 s19, 2, v[61:62]
	s_wait_alu 0xfffe
	v_cndmask_b32_e64 v60, 0, 1, s4
	s_and_b32 s4, s5, s21
	v_cndmask_b32_e64 v20, 0, 1, s8
	s_and_b32 s8, s5, s17
	s_wait_alu 0xfffe
	v_cndmask_b32_e64 v61, 0, 1, s4
	s_and_b32 s4, s6, s22
	v_cndmask_b32_e64 v57, 0, 1, s8
	s_and_b32 s8, s6, s18
	s_wait_alu 0xfffe
	v_cndmask_b32_e64 v62, 0, 1, s4
	s_and_b32 s4, s7, s23
	v_cndmask_b32_e64 v58, 0, 1, s8
	s_and_b32 s8, s7, s19
	s_wait_alu 0xfffe
	v_cndmask_b32_e64 v63, 0, 1, s4
	v_cmp_ne_u32_e64 s4, 0, v8
	v_cmp_ne_u32_e64 s5, 0, v9
	v_cndmask_b32_e64 v59, 0, 1, s8
	v_cmp_ne_u32_e64 s6, 0, v10
	v_cmp_ne_u32_e64 s8, 0, v12
	;; [unrolled: 1-line block ×7, first 2 shown]
	s_bcnt1_i32_b32 s4, s4
	s_bcnt1_i32_b32 s5, s5
	v_cmp_ne_u32_e64 s11, 0, v15
	v_cmp_ne_u32_e64 s14, 0, v58
	;; [unrolled: 1-line block ×4, first 2 shown]
	s_bcnt1_i32_b32 s6, s6
	s_bcnt1_i32_b32 s8, s8
	;; [unrolled: 1-line block ×3, first 2 shown]
	s_wait_alu 0xfffe
	s_add_co_i32 s4, s5, s4
	v_cmp_ne_u32_e64 s15, 0, v59
	v_cmp_ne_u32_e64 s18, 0, v62
	s_bcnt1_i32_b32 s7, s7
	s_bcnt1_i32_b32 s10, s10
	;; [unrolled: 1-line block ×4, first 2 shown]
	s_add_co_i32 s5, s9, s8
	s_wait_alu 0xfffe
	s_add_co_i32 s4, s4, s6
	v_cmp_ne_u32_e64 s19, 0, v63
	s_bcnt1_i32_b32 s11, s11
	s_bcnt1_i32_b32 s14, s14
	;; [unrolled: 1-line block ×4, first 2 shown]
	s_add_co_i32 s8, s13, s12
	s_add_co_i32 s5, s5, s10
	s_wait_alu 0xfffe
	s_add_co_i32 s52, s4, s7
	s_bcnt1_i32_b32 s15, s15
	s_bcnt1_i32_b32 s18, s18
	s_add_co_i32 s9, s17, s16
	s_add_co_i32 s6, s8, s14
	s_wait_alu 0xfffe
	s_add_nc_u64 s[80:81], s[80:81], s[52:53]
	s_add_co_i32 s52, s5, s11
	s_bcnt1_i32_b32 s19, s19
	s_add_co_i32 s8, s9, s18
	s_wait_alu 0xfffe
	s_add_nc_u64 s[78:79], s[78:79], s[52:53]
	s_add_co_i32 s52, s6, s15
	v_mov_b32_e32 v8, s80
	s_wait_alu 0xfffe
	s_add_nc_u64 s[76:77], s[76:77], s[52:53]
	s_add_co_i32 s52, s8, s19
	v_mov_b32_e32 v10, s78
	s_wait_alu 0xfffe
	s_add_nc_u64 s[74:75], s[74:75], s[52:53]
	v_mov_b32_e32 v12, s76
	s_wait_alu 0xfffe
	v_dual_mov_b32 v14, s74 :: v_dual_mov_b32 v9, s81
	v_mov_b32_e32 v11, s79
	v_mov_b32_e32 v13, s77
	;; [unrolled: 1-line block ×3, first 2 shown]
	s_or_b32 s71, vcc_lo, s71
	s_wait_alu 0xfffe
	s_and_not1_b32 exec_lo, exec_lo, s71
	s_cbranch_execnz .LBB119_87
; %bb.88:                               ;   in Loop: Header=BB119_45 Depth=1
	s_or_b32 exec_lo, exec_lo, s71
.LBB119_89:                             ;   in Loop: Header=BB119_45 Depth=1
	s_delay_alu instid0(SALU_CYCLE_1)
	s_or_b32 exec_lo, exec_lo, s69
	v_add_co_u32 v4, s4, s72, v0
	s_wait_alu 0xf1ff
	v_add_co_ci_u32_e64 v5, null, s73, 0, s4
	s_mov_b32 s8, exec_lo
	v_cmpx_gt_u64_e64 s[24:25], v[4:5]
	s_cbranch_execz .LBB119_95
; %bb.90:                               ;   in Loop: Header=BB119_45 Depth=1
	v_mul_lo_u32 v20, v5, s28
	v_mul_lo_u32 v40, v4, s29
	v_mad_co_u64_u32 v[38:39], null, v4, s28, 0
	s_mov_b32 s9, 0
	v_add3_u32 v39, v39, v40, v20
	s_delay_alu instid0(VALU_DEP_1) | instskip(NEXT) | instid1(VALU_DEP_1)
	v_lshlrev_b64_e32 v[38:39], 3, v[38:39]
	v_add_co_u32 v38, vcc_lo, s54, v38
	s_wait_alu 0xfffd
	s_delay_alu instid0(VALU_DEP_2)
	v_add_co_ci_u32_e64 v39, null, s55, v39, vcc_lo
	global_load_b64 v[40:41], v[38:39], off
	s_branch .LBB119_92
.LBB119_91:                             ;   in Loop: Header=BB119_92 Depth=2
	s_wait_alu 0xfffe
	s_or_b32 exec_lo, exec_lo, s5
	s_wait_loadcnt 0x0
	v_cmp_o_f64_e64 s4, v[40:41], v[40:41]
	v_ashrrev_i32_e32 v20, 31, v41
	s_and_b32 s6, exec_lo, vcc_lo
	s_wait_alu 0xfffe
	s_or_b32 s9, s6, s9
	s_delay_alu instid0(VALU_DEP_1) | instskip(SKIP_1) | instid1(VALU_DEP_2)
	v_or_b32_e32 v42, 0x80000000, v20
	v_xor_b32_e32 v20, v20, v40
	v_xor_b32_e32 v42, v42, v41
	s_delay_alu instid0(VALU_DEP_1) | instskip(NEXT) | instid1(VALU_DEP_3)
	v_cndmask_b32_e64 v41, -1, v42, s4
	v_cndmask_b32_e64 v40, -1, v20, s4
	s_delay_alu instid0(VALU_DEP_1) | instskip(SKIP_2) | instid1(VALU_DEP_3)
	v_lshrrev_b64 v[42:43], s89, v[40:41]
	v_and_b32_e32 v41, v41, v35
	v_and_b32_e32 v40, v40, v34
	;; [unrolled: 1-line block ×3, first 2 shown]
	s_delay_alu instid0(VALU_DEP_2) | instskip(NEXT) | instid1(VALU_DEP_2)
	v_cmp_eq_u64_e64 s4, v[40:41], v[32:33]
	v_cmp_eq_u64_e64 s5, 0, v[20:21]
	v_cmp_eq_u64_e32 vcc_lo, 1, v[20:21]
	v_cmp_eq_u64_e64 s6, 2, v[20:21]
	v_cmp_eq_u64_e64 s7, 3, v[20:21]
	s_and_b32 s5, s4, s5
	s_wait_alu 0xfffe
	v_cndmask_b32_e64 v20, 0, 1, s5
	s_and_b32 s5, s4, vcc_lo
	s_wait_alu 0xfffe
	v_cndmask_b32_e64 v40, 0, 1, s5
	s_and_b32 s5, s4, s6
	s_and_b32 s4, s4, s7
	s_wait_alu 0xfffe
	v_cndmask_b32_e64 v41, 0, 1, s5
	v_cmp_ne_u32_e32 vcc_lo, 0, v20
	v_cndmask_b32_e64 v42, 0, 1, s4
	v_cmp_ne_u32_e64 s4, 0, v40
	s_delay_alu instid0(VALU_DEP_4)
	v_cmp_ne_u32_e64 s5, 0, v41
	s_bcnt1_i32_b32 s7, vcc_lo
	v_cmp_ne_u32_e64 s6, 0, v42
	s_bcnt1_i32_b32 s4, s4
	s_wait_alu 0xfffe
	v_add_co_u32 v8, vcc_lo, v8, s7
	s_bcnt1_i32_b32 s5, s5
	s_wait_alu 0xfffd
	v_add_co_ci_u32_e64 v9, null, 0, v9, vcc_lo
	v_add_co_u32 v10, vcc_lo, v10, s4
	s_bcnt1_i32_b32 s6, s6
	s_wait_alu 0xfffd
	v_add_co_ci_u32_e64 v11, null, 0, v11, vcc_lo
	s_wait_alu 0xfffe
	v_add_co_u32 v12, vcc_lo, v12, s5
	s_wait_alu 0xfffd
	v_add_co_ci_u32_e64 v13, null, 0, v13, vcc_lo
	v_add_co_u32 v14, vcc_lo, v14, s6
	v_mov_b32_e32 v41, v39
	s_wait_alu 0xfffd
	v_add_co_ci_u32_e64 v15, null, 0, v15, vcc_lo
	v_mov_b32_e32 v40, v38
	s_and_not1_b32 exec_lo, exec_lo, s9
	s_cbranch_execz .LBB119_94
.LBB119_92:                             ;   Parent Loop BB119_45 Depth=1
                                        ; =>  This Inner Loop Header: Depth=2
	v_add_co_u32 v4, vcc_lo, v4, v2
	v_mov_b32_e32 v38, 0
	s_wait_alu 0xfffd
	v_add_co_ci_u32_e64 v5, null, 0, v5, vcc_lo
	v_mov_b32_e32 v39, 0
	s_mov_b32 s5, exec_lo
	s_delay_alu instid0(VALU_DEP_2)
	v_cmp_le_u64_e32 vcc_lo, s[24:25], v[4:5]
	v_cmpx_gt_u64_e64 s[24:25], v[4:5]
	s_cbranch_execz .LBB119_91
; %bb.93:                               ;   in Loop: Header=BB119_92 Depth=2
	v_mul_lo_u32 v20, v5, s28
	v_mul_lo_u32 v42, v4, s29
	v_mad_co_u64_u32 v[38:39], null, v4, s28, 0
	s_delay_alu instid0(VALU_DEP_1) | instskip(NEXT) | instid1(VALU_DEP_1)
	v_add3_u32 v39, v39, v42, v20
	v_lshlrev_b64_e32 v[38:39], 3, v[38:39]
	s_delay_alu instid0(VALU_DEP_1) | instskip(SKIP_1) | instid1(VALU_DEP_2)
	v_add_co_u32 v38, s4, s54, v38
	s_wait_alu 0xf1ff
	v_add_co_ci_u32_e64 v39, null, s55, v39, s4
	global_load_b64 v[38:39], v[38:39], off
	s_branch .LBB119_91
.LBB119_94:                             ;   in Loop: Header=BB119_45 Depth=1
	s_or_b32 exec_lo, exec_lo, s9
.LBB119_95:                             ;   in Loop: Header=BB119_45 Depth=1
	s_wait_alu 0xfffe
	s_or_b32 exec_lo, exec_lo, s8
	s_branch .LBB119_74
.LBB119_96:                             ;   in Loop: Header=BB119_45 Depth=1
	global_load_u16 v2, v21, s[66:67]
	v_mov_b32_e32 v8, 0
	v_mov_b32_e32 v10, 0
	;; [unrolled: 1-line block ×3, first 2 shown]
	v_dual_mov_b32 v14, 0 :: v_dual_mov_b32 v11, 0
	v_mov_b32_e32 v13, 0
	v_mov_b32_e32 v15, 0
	s_mov_b32 s80, exec_lo
	v_mov_b32_e32 v9, 0
	s_wait_loadcnt 0x0
	v_readfirstlane_b32 s4, v2
	v_and_b32_e32 v2, 0xffff, v2
	s_and_b32 s69, 0xffff, s4
	s_delay_alu instid0(SALU_CYCLE_1) | instskip(SKIP_4) | instid1(SALU_CYCLE_1)
	s_lshl_b32 s79, s69, 2
	s_wait_alu 0xfffe
	s_cvt_f32_u32 s4, s79
	s_sub_co_i32 s5, 0, s79
	s_wait_alu 0xfffe
	v_rcp_iflag_f32_e32 v4, s4
	s_delay_alu instid0(TRANS32_DEP_1) | instskip(SKIP_2) | instid1(SALU_CYCLE_2)
	v_readfirstlane_b32 s4, v4
	s_mul_f32 s4, s4, 0x4f7ffffe
	s_wait_alu 0xfffe
	s_cvt_u32_f32 s4, s4
	s_wait_alu 0xfffe
	s_delay_alu instid0(SALU_CYCLE_2)
	s_mul_i32 s5, s5, s4
	s_wait_alu 0xfffe
	s_mul_hi_u32 s5, s4, s5
	s_wait_alu 0xfffe
	s_add_co_i32 s4, s4, s5
	s_wait_alu 0xfffe
	s_mul_hi_u32 s4, s68, s4
	s_wait_alu 0xfffe
	s_mul_i32 s5, s4, s79
	s_add_co_i32 s6, s4, 1
	s_wait_alu 0xfffe
	s_sub_co_i32 s5, s68, s5
	s_wait_alu 0xfffe
	s_sub_co_i32 s7, s5, s79
	s_cmp_ge_u32 s5, s79
	s_cselect_b32 s4, s6, s4
	s_wait_alu 0xfffe
	s_cselect_b32 s5, s7, s5
	s_add_co_i32 s6, s4, 1
	s_wait_alu 0xfffe
	s_cmp_ge_u32 s5, s79
	s_cselect_b32 s78, s6, s4
	s_wait_alu 0xfffe
	v_mul_hi_u32 v5, s78, v2
	v_mul_lo_u32 v4, s78, v2
	s_delay_alu instid0(VALU_DEP_1) | instskip(NEXT) | instid1(VALU_DEP_1)
	v_lshlrev_b64_e32 v[4:5], 2, v[4:5]
	v_cmpx_gt_u64_e64 v[4:5], v[18:19]
	s_cbranch_execz .LBB119_100
; %bb.97:                               ;   in Loop: Header=BB119_45 Depth=1
	v_dual_mov_b32 v40, v51 :: v_dual_mov_b32 v39, v19
	v_mov_b32_e32 v38, v18
	s_lshl_b32 s81, s69, 5
	s_mov_b64 s[70:71], 0
	s_mov_b32 s99, 0
	s_mov_b64 s[72:73], 0
	s_mov_b64 s[74:75], 0
	;; [unrolled: 1-line block ×3, first 2 shown]
.LBB119_98:                             ;   Parent Loop BB119_45 Depth=1
                                        ; =>  This Inner Loop Header: Depth=2
	ds_load_b128 v[8:11], v40
	ds_load_b128 v[12:15], v40 offset:16
	v_add_co_u32 v38, vcc_lo, v38, s79
	s_wait_alu 0xfffd
	v_add_co_ci_u32_e64 v39, null, 0, v39, vcc_lo
	s_delay_alu instid0(VALU_DEP_1)
	v_cmp_ge_u64_e32 vcc_lo, v[38:39], v[4:5]
	s_wait_dscnt 0x1
	v_cmp_o_f64_e64 s4, v[8:9], v[8:9]
	v_cmp_o_f64_e64 s5, v[10:11], v[10:11]
	s_wait_dscnt 0x0
	v_cmp_o_f64_e64 s6, v[12:13], v[12:13]
	v_cmp_o_f64_e64 s7, v[14:15], v[14:15]
	v_ashrrev_i32_e32 v20, 31, v9
	v_ashrrev_i32_e32 v41, 31, v11
	;; [unrolled: 1-line block ×4, first 2 shown]
	s_delay_alu instid0(VALU_DEP_4) | instskip(NEXT) | instid1(VALU_DEP_4)
	v_or_b32_e32 v55, 0x80000000, v20
	v_or_b32_e32 v57, 0x80000000, v41
	s_delay_alu instid0(VALU_DEP_4) | instskip(NEXT) | instid1(VALU_DEP_4)
	v_or_b32_e32 v58, 0x80000000, v43
	v_or_b32_e32 v59, 0x80000000, v45
	v_xor_b32_e32 v20, v20, v8
	v_xor_b32_e32 v55, v55, v9
	;; [unrolled: 1-line block ×8, first 2 shown]
	s_wait_alu 0xf1ff
	v_cndmask_b32_e64 v9, -1, v55, s4
	v_cndmask_b32_e64 v11, -1, v8, s5
	;; [unrolled: 1-line block ×7, first 2 shown]
	v_dual_mov_b32 v42, v21 :: v_dual_and_b32 v57, v8, v34
	v_and_b32_e32 v58, v9, v35
	v_lshrrev_b64 v[8:9], s89, v[8:9]
	v_cndmask_b32_e64 v14, -1, v45, s7
	v_dual_mov_b32 v44, v21 :: v_dual_and_b32 v59, v10, v34
	v_lshrrev_b64 v[9:10], s89, v[10:11]
	v_and_b32_e32 v60, v11, v35
	v_lshrrev_b64 v[10:11], s89, v[12:13]
	v_dual_mov_b32 v56, v21 :: v_dual_and_b32 v61, v12, v34
	v_lshrrev_b64 v[11:12], s89, v[14:15]
	v_and_b32_e32 v20, 3, v8
	v_and_b32_e32 v41, 3, v9
	;; [unrolled: 1-line block ×4, first 2 shown]
	v_cmp_eq_u64_e64 s4, v[57:58], v[32:33]
	v_cmp_eq_u64_e64 s8, 0, v[20:21]
	v_and_b32_e32 v64, v15, v35
	v_and_b32_e32 v63, v14, v34
	;; [unrolled: 1-line block ×3, first 2 shown]
	v_cmp_eq_u64_e64 s5, v[59:60], v[32:33]
	v_cmp_eq_u64_e64 s9, 0, v[41:42]
	;; [unrolled: 1-line block ×6, first 2 shown]
	s_and_b32 s8, s4, s8
	v_cmp_eq_u64_e64 s12, 1, v[20:21]
	s_wait_alu 0xfffe
	v_cndmask_b32_e64 v8, 0, 1, s8
	s_and_b32 s8, s5, s9
	v_cmp_eq_u64_e64 s13, 1, v[41:42]
	s_wait_alu 0xfffe
	v_cndmask_b32_e64 v9, 0, 1, s8
	;; [unrolled: 4-line block ×4, first 2 shown]
	s_and_b32 s8, s4, s12
	v_cmp_eq_u64_e64 s16, 2, v[20:21]
	v_cmp_eq_u64_e64 s20, 3, v[20:21]
	s_wait_alu 0xfffe
	v_cndmask_b32_e64 v12, 0, 1, s8
	s_and_b32 s8, s5, s13
	v_cmp_eq_u64_e64 s21, 3, v[41:42]
	s_wait_alu 0xfffe
	v_cndmask_b32_e64 v13, 0, 1, s8
	s_and_b32 s8, s6, s14
	v_cmp_eq_u64_e64 s17, 2, v[41:42]
	v_cmp_eq_u64_e64 s22, 3, v[43:44]
	s_wait_alu 0xfffe
	v_cndmask_b32_e64 v14, 0, 1, s8
	s_and_b32 s8, s7, s15
	v_cmp_eq_u64_e64 s18, 2, v[43:44]
	v_cmp_eq_u64_e64 s23, 3, v[55:56]
	s_wait_alu 0xfffe
	v_cndmask_b32_e64 v15, 0, 1, s8
	s_and_b32 s8, s4, s16
	s_and_b32 s4, s4, s20
	v_cmp_eq_u64_e64 s19, 2, v[55:56]
	s_wait_alu 0xfffe
	v_cndmask_b32_e64 v44, 0, 1, s4
	s_and_b32 s4, s5, s21
	v_cndmask_b32_e64 v20, 0, 1, s8
	s_and_b32 s8, s5, s17
	s_wait_alu 0xfffe
	v_cndmask_b32_e64 v45, 0, 1, s4
	s_and_b32 s4, s6, s22
	v_cndmask_b32_e64 v41, 0, 1, s8
	s_and_b32 s8, s6, s18
	;; [unrolled: 5-line block ×3, first 2 shown]
	s_wait_alu 0xfffe
	v_cndmask_b32_e64 v56, 0, 1, s4
	v_cmp_ne_u32_e64 s4, 0, v8
	v_cmp_ne_u32_e64 s5, 0, v9
	v_cndmask_b32_e64 v43, 0, 1, s8
	v_cmp_ne_u32_e64 s6, 0, v10
	v_cmp_ne_u32_e64 s8, 0, v12
	;; [unrolled: 1-line block ×7, first 2 shown]
	s_bcnt1_i32_b32 s4, s4
	s_bcnt1_i32_b32 s5, s5
	v_cmp_ne_u32_e64 s11, 0, v15
	v_cmp_ne_u32_e64 s14, 0, v42
	;; [unrolled: 1-line block ×4, first 2 shown]
	s_bcnt1_i32_b32 s6, s6
	s_bcnt1_i32_b32 s8, s8
	;; [unrolled: 1-line block ×3, first 2 shown]
	s_wait_alu 0xfffe
	s_add_co_i32 s4, s5, s4
	v_cmp_ne_u32_e64 s15, 0, v43
	v_cmp_ne_u32_e64 s18, 0, v55
	s_bcnt1_i32_b32 s7, s7
	s_bcnt1_i32_b32 s10, s10
	;; [unrolled: 1-line block ×4, first 2 shown]
	s_add_co_i32 s5, s9, s8
	s_wait_alu 0xfffe
	s_add_co_i32 s4, s4, s6
	v_cmp_ne_u32_e64 s19, 0, v56
	s_bcnt1_i32_b32 s11, s11
	s_bcnt1_i32_b32 s14, s14
	s_bcnt1_i32_b32 s16, s16
	s_bcnt1_i32_b32 s17, s17
	s_add_co_i32 s8, s13, s12
	s_add_co_i32 s5, s5, s10
	s_wait_alu 0xfffe
	s_add_co_i32 s52, s4, s7
	s_bcnt1_i32_b32 s15, s15
	s_bcnt1_i32_b32 s18, s18
	s_add_co_i32 s9, s17, s16
	s_add_co_i32 s6, s8, s14
	s_wait_alu 0xfffe
	s_add_nc_u64 s[76:77], s[76:77], s[52:53]
	s_add_co_i32 s52, s5, s11
	s_bcnt1_i32_b32 s19, s19
	s_add_co_i32 s8, s9, s18
	s_wait_alu 0xfffe
	s_add_nc_u64 s[74:75], s[74:75], s[52:53]
	s_add_co_i32 s52, s6, s15
	v_mov_b32_e32 v8, s76
	s_wait_alu 0xfffe
	s_add_nc_u64 s[72:73], s[72:73], s[52:53]
	s_add_co_i32 s52, s8, s19
	v_mov_b32_e32 v10, s74
	s_wait_alu 0xfffe
	s_add_nc_u64 s[70:71], s[70:71], s[52:53]
	v_mov_b32_e32 v12, s72
	s_wait_alu 0xfffe
	v_mov_b32_e32 v14, s70
	v_dual_mov_b32 v9, s77 :: v_dual_add_nc_u32 v40, s81, v40
	v_mov_b32_e32 v11, s75
	v_mov_b32_e32 v13, s73
	;; [unrolled: 1-line block ×3, first 2 shown]
	s_or_b32 s99, vcc_lo, s99
	s_delay_alu instid0(SALU_CYCLE_1)
	s_and_not1_b32 exec_lo, exec_lo, s99
	s_cbranch_execnz .LBB119_98
; %bb.99:                               ;   in Loop: Header=BB119_45 Depth=1
	s_or_b32 exec_lo, exec_lo, s99
.LBB119_100:                            ;   in Loop: Header=BB119_45 Depth=1
	s_delay_alu instid0(SALU_CYCLE_1)
	s_or_b32 exec_lo, exec_lo, s80
	v_add_co_u32 v4, vcc_lo, v4, v0
	s_wait_alu 0xfffd
	v_add_co_ci_u32_e64 v5, null, 0, v5, vcc_lo
	s_and_b32 s52, s68, 0x7fffffff
	s_mov_b32 s9, exec_lo
	s_wait_alu 0xfffe
	v_cmpx_gt_u64_e64 s[52:53], v[4:5]
	s_cbranch_execz .LBB119_104
; %bb.101:                              ;   in Loop: Header=BB119_45 Depth=1
	s_mul_i32 s78, s78, s69
	s_lshl_b32 s11, s69, 3
	s_wait_alu 0xfffe
	v_lshl_add_u32 v38, s78, 5, v47
	s_mov_b32 s10, 0
.LBB119_102:                            ;   Parent Loop BB119_45 Depth=1
                                        ; =>  This Inner Loop Header: Depth=2
	ds_load_b64 v[39:40], v38
	v_add_co_u32 v4, s4, v4, v2
	s_wait_alu 0xf1ff
	v_add_co_ci_u32_e64 v5, null, 0, v5, s4
	s_delay_alu instid0(VALU_DEP_1) | instskip(SKIP_3) | instid1(VALU_DEP_1)
	v_cmp_le_u64_e64 s4, s[52:53], v[4:5]
	s_wait_dscnt 0x0
	v_cmp_o_f64_e32 vcc_lo, v[39:40], v[39:40]
	v_ashrrev_i32_e32 v20, 31, v40
	v_or_b32_e32 v41, 0x80000000, v20
	v_xor_b32_e32 v20, v20, v39
	v_add_nc_u32_e32 v38, s11, v38
	s_delay_alu instid0(VALU_DEP_3) | instskip(SKIP_1) | instid1(VALU_DEP_1)
	v_xor_b32_e32 v41, v41, v40
	s_wait_alu 0xfffd
	v_dual_cndmask_b32 v39, -1, v20 :: v_dual_cndmask_b32 v40, -1, v41
	s_delay_alu instid0(VALU_DEP_1) | instskip(NEXT) | instid1(VALU_DEP_2)
	v_and_b32_e32 v41, v39, v34
	v_and_b32_e32 v42, v40, v35
	v_lshrrev_b64 v[39:40], s89, v[39:40]
	s_delay_alu instid0(VALU_DEP_2) | instskip(NEXT) | instid1(VALU_DEP_2)
	v_cmp_eq_u64_e32 vcc_lo, v[41:42], v[32:33]
	v_and_b32_e32 v20, 3, v39
	s_delay_alu instid0(VALU_DEP_1)
	v_cmp_eq_u64_e64 s5, 0, v[20:21]
	v_cmp_eq_u64_e64 s6, 1, v[20:21]
	;; [unrolled: 1-line block ×4, first 2 shown]
	s_and_b32 s5, vcc_lo, s5
	s_wait_alu 0xfffe
	v_cndmask_b32_e64 v20, 0, 1, s5
	s_and_b32 s5, vcc_lo, s6
	s_wait_alu 0xfffe
	v_cndmask_b32_e64 v39, 0, 1, s5
	;; [unrolled: 3-line block ×3, first 2 shown]
	s_and_b32 s5, vcc_lo, s8
	v_cmp_ne_u32_e32 vcc_lo, 0, v20
	s_wait_alu 0xfffe
	v_cndmask_b32_e64 v41, 0, 1, s5
	v_cmp_ne_u32_e64 s5, 0, v39
	v_cmp_ne_u32_e64 s6, 0, v40
	s_bcnt1_i32_b32 s8, vcc_lo
	v_cmp_ne_u32_e64 s7, 0, v41
	s_bcnt1_i32_b32 s5, s5
	s_wait_alu 0xfffe
	v_add_co_u32 v8, vcc_lo, v8, s8
	s_bcnt1_i32_b32 s6, s6
	s_wait_alu 0xfffd
	v_add_co_ci_u32_e64 v9, null, 0, v9, vcc_lo
	v_add_co_u32 v10, vcc_lo, v10, s5
	s_bcnt1_i32_b32 s7, s7
	s_wait_alu 0xfffd
	v_add_co_ci_u32_e64 v11, null, 0, v11, vcc_lo
	s_wait_alu 0xfffe
	v_add_co_u32 v12, vcc_lo, v12, s6
	s_wait_alu 0xfffd
	v_add_co_ci_u32_e64 v13, null, 0, v13, vcc_lo
	v_add_co_u32 v14, vcc_lo, v14, s7
	s_wait_alu 0xfffd
	v_add_co_ci_u32_e64 v15, null, 0, v15, vcc_lo
	s_or_b32 s10, s4, s10
	s_wait_alu 0xfffe
	s_and_not1_b32 exec_lo, exec_lo, s10
	s_cbranch_execnz .LBB119_102
; %bb.103:                              ;   in Loop: Header=BB119_45 Depth=1
	s_or_b32 exec_lo, exec_lo, s10
.LBB119_104:                            ;   in Loop: Header=BB119_45 Depth=1
	s_wait_alu 0xfffe
	s_or_b32 exec_lo, exec_lo, s9
	s_lshl_b32 s4, s92, 7
	s_and_saveexec_b32 s5, s1
	s_cbranch_execnz .LBB119_75
	s_branch .LBB119_76
.LBB119_105:                            ;   in Loop: Header=BB119_45 Depth=1
                                        ; implicit-def: $sgpr4_sgpr5
	s_branch .LBB119_84
.LBB119_106:                            ;   in Loop: Header=BB119_45 Depth=1
	s_mov_b32 s6, 0
	s_and_not1_b32 vcc_lo, exec_lo, s87
	s_wait_alu 0xfffe
	s_cbranch_vccnz .LBB119_109
.LBB119_107:                            ;   in Loop: Header=BB119_45 Depth=1
	s_lshl_b32 s7, s92, 10
	s_lshl_b32 s6, s6, 5
	s_wait_alu 0xfffe
	v_add3_u32 v2, s7, s6, v52
	s_mov_b32 s6, s84
.LBB119_108:                            ;   Parent Loop BB119_45 Depth=1
                                        ; =>  This Inner Loop Header: Depth=2
	ds_load_b64 v[8:9], v2
	v_add_nc_u32_e32 v2, 32, v2
	s_wait_alu 0xfffe
	s_add_co_i32 s6, s6, -1
	s_wait_alu 0xfffe
	s_cmp_lg_u32 s6, 0
	s_wait_dscnt 0x0
	v_add_co_u32 v4, vcc_lo, v8, v4
	s_wait_alu 0xfffd
	v_add_co_ci_u32_e64 v5, null, v9, v5, vcc_lo
	s_cbranch_scc1 .LBB119_108
.LBB119_109:                            ;   in Loop: Header=BB119_45 Depth=1
	v_add_lshl_u32 v2, s4, v46, 3
	ds_store_b64 v2, v[4:5] offset:3072
.LBB119_110:                            ;   in Loop: Header=BB119_45 Depth=1
	s_wait_alu 0xfffe
	s_or_b32 exec_lo, exec_lo, s5
	s_lshl_b32 s4, s4, 3
	s_wait_loadcnt_dscnt 0x0
	s_wait_alu 0xfffe
	v_mov_b32_e32 v2, s4
	s_barrier_signal -1
	s_barrier_wait -1
	global_inv scope:SCOPE_SE
	v_cmp_eq_u64_e32 vcc_lo, 1, v[36:37]
	ds_load_b128 v[8:11], v2 offset:3072
	ds_load_b128 v[12:15], v2 offset:3088
	s_lshl_b64 s[8:9], 3, s89
	s_mov_b32 s19, -1
	s_wait_alu 0xfffe
	s_not_b64 s[12:13], s[8:9]
                                        ; implicit-def: $sgpr22
                                        ; implicit-def: $sgpr21
	s_wait_dscnt 0x1
	v_cmp_eq_u64_e64 s4, 1, v[8:9]
	s_wait_dscnt 0x0
	v_readfirstlane_b32 s10, v12
	v_readfirstlane_b32 s11, v13
	;; [unrolled: 1-line block ×4, first 2 shown]
	s_and_b32 s20, s4, vcc_lo
	s_mov_b32 s4, -1
	s_and_saveexec_b32 s18, s20
	s_cbranch_execz .LBB119_144
; %bb.111:                              ;   in Loop: Header=BB119_45 Depth=1
	ds_load_b64 v[4:5], v21 offset:5120
	s_wait_loadcnt_dscnt 0x0
	s_barrier_signal -1
	s_barrier_wait -1
	global_inv scope:SCOPE_SE
	v_readfirstlane_b32 s4, v4
	v_readfirstlane_b32 s5, v5
	s_and_saveexec_b32 s14, s0
; %bb.112:                              ;   in Loop: Header=BB119_45 Depth=1
	v_mov_b32_e32 v20, v21
	ds_store_b64 v48, v[20:21]
; %bb.113:                              ;   in Loop: Header=BB119_45 Depth=1
	s_wait_alu 0xfffe
	s_or_b32 exec_lo, exec_lo, s14
	v_and_b32_e32 v33, s13, v33
	v_and_b32_e32 v32, s12, v32
	v_or_b32_e32 v35, s9, v35
	v_or_b32_e32 v34, s8, v34
	s_mov_b32 s21, -1
	s_mov_b32 s22, 0
	s_cmp_eq_u64 s[4:5], 0
	s_mov_b32 s16, 0
	s_mov_b32 s17, -1
	s_wait_loadcnt_dscnt 0x0
	s_barrier_signal -1
	s_barrier_wait -1
	global_inv scope:SCOPE_SE
                                        ; implicit-def: $vgpr6_vgpr7
	s_cbranch_scc1 .LBB119_128
; %bb.114:                              ;   in Loop: Header=BB119_45 Depth=1
	s_add_nc_u64 s[14:15], s[4:5], s[56:57]
	s_mov_b32 s16, s53
	s_wait_alu 0xfffe
	s_mov_b32 s17, s15
	s_wait_alu 0xfffe
	s_cmp_lg_u64 s[16:17], 0
	s_cbranch_scc0 .LBB119_171
; %bb.115:                              ;   in Loop: Header=BB119_45 Depth=1
	s_cvt_f32_u32 s16, s46
	s_sub_nc_u64 s[68:69], 0, s[46:47]
	s_wait_alu 0xfffe
	s_delay_alu instid0(SALU_CYCLE_1) | instskip(SKIP_1) | instid1(SALU_CYCLE_2)
	s_fmamk_f32 s16, s91, 0x0, s16
	s_wait_alu 0xfffe
	v_s_rcp_f32 s16, s16
	s_delay_alu instid0(TRANS32_DEP_1) | instskip(SKIP_1) | instid1(SALU_CYCLE_2)
	s_mul_f32 s16, s16, 0x5f7ffffc
	s_wait_alu 0xfffe
	s_mul_f32 s17, s16, 0x2f800000
	s_wait_alu 0xfffe
	s_delay_alu instid0(SALU_CYCLE_2) | instskip(SKIP_1) | instid1(SALU_CYCLE_2)
	s_trunc_f32 s17, s17
	s_wait_alu 0xfffe
	s_fmamk_f32 s16, s17, 0xcf800000, s16
	s_cvt_u32_f32 s17, s17
	s_wait_alu 0xfffe
	s_delay_alu instid0(SALU_CYCLE_1) | instskip(SKIP_1) | instid1(SALU_CYCLE_2)
	s_cvt_u32_f32 s16, s16
	s_wait_alu 0xfffe
	s_mul_u64 s[70:71], s[68:69], s[16:17]
	s_wait_alu 0xfffe
	s_mul_hi_u32 s73, s16, s71
	s_mul_i32 s72, s16, s71
	s_mul_hi_u32 s52, s16, s70
	s_mul_i32 s74, s17, s70
	s_wait_alu 0xfffe
	s_add_nc_u64 s[72:73], s[52:53], s[72:73]
	s_mul_hi_u32 s23, s17, s70
	s_mul_hi_u32 s75, s17, s71
	s_wait_alu 0xfffe
	s_add_co_u32 s52, s72, s74
	s_add_co_ci_u32 s52, s73, s23
	s_mul_i32 s70, s17, s71
	s_add_co_ci_u32 s71, s75, 0
	s_wait_alu 0xfffe
	s_add_nc_u64 s[70:71], s[52:53], s[70:71]
	s_wait_alu 0xfffe
	s_add_co_u32 s16, s16, s70
	s_cselect_b32 s23, -1, 0
	s_delay_alu instid0(SALU_CYCLE_1) | instskip(SKIP_3) | instid1(SALU_CYCLE_1)
	s_cmp_lg_u32 s23, 0
	s_add_co_ci_u32 s17, s17, s71
	s_wait_alu 0xfffe
	s_mul_u64 s[68:69], s[68:69], s[16:17]
	s_mul_hi_u32 s71, s16, s69
	s_mul_i32 s70, s16, s69
	s_mul_hi_u32 s52, s16, s68
	s_mul_i32 s72, s17, s68
	s_wait_alu 0xfffe
	s_add_nc_u64 s[70:71], s[52:53], s[70:71]
	s_mul_hi_u32 s23, s17, s68
	s_mul_hi_u32 s73, s17, s69
	s_wait_alu 0xfffe
	s_add_co_u32 s52, s70, s72
	s_add_co_ci_u32 s52, s71, s23
	s_mul_i32 s68, s17, s69
	s_add_co_ci_u32 s69, s73, 0
	s_wait_alu 0xfffe
	s_add_nc_u64 s[68:69], s[52:53], s[68:69]
	s_delay_alu instid0(SALU_CYCLE_1)
	s_add_co_u32 s16, s16, s68
	s_cselect_b32 s23, -1, 0
	s_wait_alu 0xfffe
	s_mul_hi_u32 s52, s14, s16
	s_cmp_lg_u32 s23, 0
	s_mul_hi_u32 s23, s15, s16
	s_add_co_ci_u32 s68, s17, s69
	s_mul_i32 s69, s15, s16
	s_mul_hi_u32 s17, s14, s68
	s_mul_i32 s16, s14, s68
	s_mul_hi_u32 s70, s15, s68
	s_wait_alu 0xfffe
	s_add_nc_u64 s[16:17], s[52:53], s[16:17]
	s_mul_i32 s68, s15, s68
	s_wait_alu 0xfffe
	s_add_co_u32 s16, s16, s69
	s_add_co_ci_u32 s52, s17, s23
	s_add_co_ci_u32 s69, s70, 0
	s_wait_alu 0xfffe
	s_add_nc_u64 s[16:17], s[52:53], s[68:69]
	s_wait_alu 0xfffe
	s_mul_u64 s[16:17], s[46:47], s[16:17]
	s_wait_alu 0xfffe
	s_sub_co_u32 s16, s14, s16
	s_cselect_b32 s23, -1, 0
	s_delay_alu instid0(SALU_CYCLE_1)
	s_cmp_lg_u32 s23, 0
	s_sub_co_ci_u32 s17, s15, s17
	s_wait_alu 0xfffe
	s_sub_co_u32 s23, s16, s46
	s_cselect_b32 s52, -1, 0
	s_wait_alu 0xfffe
	s_cmp_lg_u32 s52, 0
	s_sub_co_ci_u32 s52, s17, 0
	s_sub_co_u32 s68, s23, s46
	s_cselect_b32 s69, -1, 0
	s_delay_alu instid0(SALU_CYCLE_1)
	s_cmp_lg_u32 s69, 0
	s_wait_alu 0xfffe
	s_sub_co_ci_u32 s69, s52, 0
	s_cmp_ge_u32 s23, s46
	s_cselect_b32 s70, -1, 0
	s_cmp_eq_u32 s52, 0
	s_wait_alu 0xfffe
	s_cselect_b32 s70, s70, -1
	s_wait_alu 0xfffe
	s_cmp_lg_u32 s70, 0
	s_cselect_b32 s52, s69, s52
	s_cselect_b32 s23, s68, s23
	s_cmp_ge_u32 s16, s46
	s_cselect_b32 s68, -1, 0
	s_cmp_eq_u32 s17, 0
	s_cselect_b32 s68, s68, -1
	s_delay_alu instid0(SALU_CYCLE_1)
	s_cmp_lg_u32 s68, 0
	s_wait_alu 0xfffe
	s_cselect_b32 s17, s52, s17
	s_cselect_b32 s16, s23, s16
	s_cbranch_execnz .LBB119_117
.LBB119_116:                            ;   in Loop: Header=BB119_45 Depth=1
	v_cvt_f32_u32_e32 v2, s46
	s_sub_co_i32 s17, 0, s46
	s_delay_alu instid0(VALU_DEP_1) | instskip(NEXT) | instid1(TRANS32_DEP_1)
	v_rcp_iflag_f32_e32 v2, v2
	v_mul_f32_e32 v2, 0x4f7ffffe, v2
	s_delay_alu instid0(VALU_DEP_1) | instskip(NEXT) | instid1(VALU_DEP_1)
	v_cvt_u32_f32_e32 v2, v2
	v_readfirstlane_b32 s16, v2
	s_wait_alu 0xfffe
	s_mul_i32 s17, s17, s16
	s_wait_alu 0xfffe
	s_mul_hi_u32 s17, s16, s17
	s_wait_alu 0xfffe
	s_add_co_i32 s16, s16, s17
	s_wait_alu 0xfffe
	s_mul_hi_u32 s16, s14, s16
	s_wait_alu 0xfffe
	s_mul_i32 s16, s16, s46
	s_wait_alu 0xfffe
	s_sub_co_i32 s16, s14, s16
	s_wait_alu 0xfffe
	s_sub_co_i32 s17, s16, s46
	s_cmp_ge_u32 s16, s46
	s_wait_alu 0xfffe
	s_cselect_b32 s16, s17, s16
	s_wait_alu 0xfffe
	s_sub_co_i32 s17, s16, s46
	s_cmp_ge_u32 s16, s46
	s_wait_alu 0xfffe
	s_cselect_b32 s52, s17, s16
	s_wait_alu 0xfffe
	s_mov_b64 s[16:17], s[52:53]
.LBB119_117:                            ;   in Loop: Header=BB119_45 Depth=1
	s_wait_alu 0xfffe
	s_sub_nc_u64 s[14:15], s[14:15], s[16:17]
	s_mov_b32 s17, 0
	s_mov_b32 s16, 0
	s_mov_b32 s23, exec_lo
                                        ; implicit-def: $vgpr6_vgpr7
	s_wait_alu 0xfffe
	v_cmpx_gt_u64_e64 s[14:15], v[0:1]
	s_cbranch_execz .LBB119_127
; %bb.118:                              ;   in Loop: Header=BB119_45 Depth=1
	v_dual_mov_b32 v14, v47 :: v_dual_mov_b32 v13, v1
	v_mov_b32_e32 v12, v0
                                        ; implicit-def: $sgpr52
	s_branch .LBB119_122
.LBB119_119:                            ;   in Loop: Header=BB119_122 Depth=2
	s_or_b32 exec_lo, exec_lo, s68
	s_wait_loadcnt_dscnt 0x0
	s_barrier_signal -1
	s_barrier_wait -1
	global_inv scope:SCOPE_SE
	ds_load_b128 v[4:7], v21 offset:3072
	s_wait_loadcnt_dscnt 0x0
	s_barrier_signal -1
	s_barrier_wait -1
	global_inv scope:SCOPE_SE
	v_cmp_neq_f64_e32 vcc_lo, 0, v[4:5]
	s_cbranch_vccnz .LBB119_125
; %bb.120:                              ;   in Loop: Header=BB119_122 Depth=2
	v_add_co_u32 v12, vcc_lo, v12, s46
	s_wait_alu 0xfffd
	v_add_co_ci_u32_e64 v13, null, 0, v13, vcc_lo
	v_add_nc_u32_e32 v14, s88, v14
	s_mov_b32 s68, 0
	s_delay_alu instid0(VALU_DEP_2)
	v_cmp_le_u64_e32 vcc_lo, s[14:15], v[12:13]
	s_or_not1_b32 s69, vcc_lo, exec_lo
.LBB119_121:                            ;   in Loop: Header=BB119_122 Depth=2
	s_delay_alu instid0(SALU_CYCLE_1) | instskip(NEXT) | instid1(SALU_CYCLE_1)
	s_and_b32 s69, exec_lo, s69
	s_or_b32 s16, s69, s16
	s_wait_alu 0xfffe
	s_and_not1_b32 s52, s52, exec_lo
	s_and_b32 s68, s68, exec_lo
	s_wait_alu 0xfffe
	s_or_b32 s52, s52, s68
	s_and_not1_b32 exec_lo, exec_lo, s16
	s_cbranch_execz .LBB119_126
.LBB119_122:                            ;   Parent Loop BB119_45 Depth=1
                                        ; =>  This Inner Loop Header: Depth=2
	s_mov_b32 s68, exec_lo
	s_delay_alu instid0(VALU_DEP_1)
	v_cmpx_gt_u64_e64 s[4:5], v[12:13]
	s_cbranch_execz .LBB119_119
; %bb.123:                              ;   in Loop: Header=BB119_122 Depth=2
	ds_load_b64 v[4:5], v14
	s_wait_dscnt 0x0
	v_cmp_o_f64_e32 vcc_lo, v[4:5], v[4:5]
	v_ashrrev_i32_e32 v2, 31, v5
	s_delay_alu instid0(VALU_DEP_1) | instskip(SKIP_1) | instid1(VALU_DEP_2)
	v_or_b32_e32 v6, 0x80000000, v2
	v_xor_b32_e32 v2, v2, v4
	v_xor_b32_e32 v6, v6, v5
	s_wait_alu 0xfffd
	s_delay_alu instid0(VALU_DEP_1) | instskip(NEXT) | instid1(VALU_DEP_1)
	v_cndmask_b32_e32 v6, -1, v6, vcc_lo
	v_dual_cndmask_b32 v2, -1, v2 :: v_dual_and_b32 v7, v6, v35
	s_delay_alu instid0(VALU_DEP_1) | instskip(NEXT) | instid1(VALU_DEP_1)
	v_and_b32_e32 v6, v2, v34
	v_cmp_eq_u64_e32 vcc_lo, v[6:7], v[32:33]
	s_and_b32 exec_lo, exec_lo, vcc_lo
	s_cbranch_execz .LBB119_119
; %bb.124:                              ;   in Loop: Header=BB119_122 Depth=2
	v_mov_b32_e32 v2, v21
	ds_store_b128 v21, v[2:5] offset:3072
	s_branch .LBB119_119
.LBB119_125:                            ;   in Loop: Header=BB119_122 Depth=2
	s_mov_b32 s69, -1
	s_mov_b32 s68, -1
                                        ; implicit-def: $vgpr12_vgpr13
                                        ; implicit-def: $vgpr14
	s_branch .LBB119_121
.LBB119_126:                            ;   in Loop: Header=BB119_45 Depth=1
	s_or_b32 exec_lo, exec_lo, s16
	s_wait_alu 0xfffe
	s_and_b32 s16, s52, exec_lo
.LBB119_127:                            ;   in Loop: Header=BB119_45 Depth=1
	s_or_b32 exec_lo, exec_lo, s23
.LBB119_128:                            ;   in Loop: Header=BB119_45 Depth=1
	s_wait_alu 0xfffe
	s_and_b32 vcc_lo, exec_lo, s17
	s_wait_alu 0xfffe
	s_cbranch_vccz .LBB119_143
; %bb.129:                              ;   in Loop: Header=BB119_45 Depth=1
	s_mov_b32 s4, s53
	s_mov_b32 s5, s59
	s_wait_alu 0xfffe
	s_cmp_lg_u64 s[4:5], 0
	s_cbranch_scc0 .LBB119_175
; %bb.130:                              ;   in Loop: Header=BB119_45 Depth=1
	s_cvt_f32_u32 s4, s46
	s_sub_nc_u64 s[14:15], 0, s[46:47]
	s_wait_alu 0xfffe
	s_delay_alu instid0(SALU_CYCLE_1) | instskip(SKIP_1) | instid1(SALU_CYCLE_2)
	s_fmamk_f32 s4, s91, 0x0, s4
	s_wait_alu 0xfffe
	v_s_rcp_f32 s4, s4
	s_delay_alu instid0(TRANS32_DEP_1) | instskip(SKIP_1) | instid1(SALU_CYCLE_2)
	s_mul_f32 s4, s4, 0x5f7ffffc
	s_wait_alu 0xfffe
	s_mul_f32 s5, s4, 0x2f800000
	s_wait_alu 0xfffe
	s_delay_alu instid0(SALU_CYCLE_2) | instskip(SKIP_1) | instid1(SALU_CYCLE_2)
	s_trunc_f32 s5, s5
	s_wait_alu 0xfffe
	s_fmamk_f32 s4, s5, 0xcf800000, s4
	s_cvt_u32_f32 s5, s5
	s_wait_alu 0xfffe
	s_delay_alu instid0(SALU_CYCLE_1) | instskip(SKIP_1) | instid1(SALU_CYCLE_2)
	s_cvt_u32_f32 s4, s4
	s_wait_alu 0xfffe
	s_mul_u64 s[22:23], s[14:15], s[4:5]
	s_delay_alu instid0(SALU_CYCLE_1)
	s_mul_hi_u32 s69, s4, s23
	s_mul_i32 s68, s4, s23
	s_mul_hi_u32 s52, s4, s22
	s_mul_i32 s21, s5, s22
	s_wait_alu 0xfffe
	s_add_nc_u64 s[68:69], s[52:53], s[68:69]
	s_mul_hi_u32 s17, s5, s22
	s_mul_hi_u32 s70, s5, s23
	s_add_co_u32 s21, s68, s21
	s_wait_alu 0xfffe
	s_add_co_ci_u32 s52, s69, s17
	s_mul_i32 s22, s5, s23
	s_add_co_ci_u32 s23, s70, 0
	s_wait_alu 0xfffe
	s_add_nc_u64 s[22:23], s[52:53], s[22:23]
	s_delay_alu instid0(SALU_CYCLE_1)
	s_add_co_u32 s4, s4, s22
	s_cselect_b32 s17, -1, 0
	s_wait_alu 0xfffe
	s_cmp_lg_u32 s17, 0
	s_add_co_ci_u32 s5, s5, s23
	s_wait_alu 0xfffe
	s_mul_u64 s[14:15], s[14:15], s[4:5]
	s_wait_alu 0xfffe
	s_mul_hi_u32 s23, s4, s15
	s_mul_i32 s22, s4, s15
	s_mul_hi_u32 s52, s4, s14
	s_mul_i32 s21, s5, s14
	s_wait_alu 0xfffe
	s_add_nc_u64 s[22:23], s[52:53], s[22:23]
	s_mul_hi_u32 s17, s5, s14
	s_mul_hi_u32 s68, s5, s15
	s_mul_i32 s14, s5, s15
	s_add_co_u32 s15, s22, s21
	s_wait_alu 0xfffe
	s_add_co_ci_u32 s52, s23, s17
	s_add_co_ci_u32 s15, s68, 0
	s_wait_alu 0xfffe
	s_add_nc_u64 s[14:15], s[52:53], s[14:15]
	s_wait_alu 0xfffe
	s_add_co_u32 s4, s4, s14
	s_cselect_b32 s14, -1, 0
	s_wait_alu 0xfffe
	s_mul_hi_u32 s52, s58, s4
	s_cmp_lg_u32 s14, 0
	s_mul_hi_u32 s17, s59, s4
	s_add_co_ci_u32 s14, s5, s15
	s_mul_i32 s15, s59, s4
	s_wait_alu 0xfffe
	s_mul_hi_u32 s5, s58, s14
	s_mul_i32 s4, s58, s14
	s_mul_hi_u32 s21, s59, s14
	s_wait_alu 0xfffe
	s_add_nc_u64 s[4:5], s[52:53], s[4:5]
	s_mul_i32 s14, s59, s14
	s_wait_alu 0xfffe
	s_add_co_u32 s4, s4, s15
	s_add_co_ci_u32 s52, s5, s17
	s_add_co_ci_u32 s15, s21, 0
	s_wait_alu 0xfffe
	s_add_nc_u64 s[4:5], s[52:53], s[14:15]
	s_wait_alu 0xfffe
	s_mul_u64 s[4:5], s[46:47], s[4:5]
	s_wait_alu 0xfffe
	s_sub_co_u32 s4, s58, s4
	s_cselect_b32 s14, -1, 0
	s_wait_alu 0xfffe
	s_cmp_lg_u32 s14, 0
	s_sub_co_ci_u32 s5, s59, s5
	s_sub_co_u32 s14, s4, s46
	s_cselect_b32 s15, -1, 0
	s_wait_alu 0xfffe
	s_cmp_lg_u32 s15, 0
	s_sub_co_ci_u32 s15, s5, 0
	s_sub_co_u32 s17, s14, s46
	s_cselect_b32 s21, -1, 0
	s_delay_alu instid0(SALU_CYCLE_1)
	s_cmp_lg_u32 s21, 0
	s_wait_alu 0xfffe
	s_sub_co_ci_u32 s21, s15, 0
	s_cmp_ge_u32 s14, s46
	s_cselect_b32 s22, -1, 0
	s_cmp_eq_u32 s15, 0
	s_cselect_b32 s22, s22, -1
	s_delay_alu instid0(SALU_CYCLE_1)
	s_cmp_lg_u32 s22, 0
	s_cselect_b32 s15, s21, s15
	s_cselect_b32 s14, s17, s14
	s_cmp_ge_u32 s4, s46
	s_cselect_b32 s17, -1, 0
	s_cmp_eq_u32 s5, 0
	s_wait_alu 0xfffe
	s_cselect_b32 s17, s17, -1
	s_wait_alu 0xfffe
	s_cmp_lg_u32 s17, 0
	s_cselect_b32 s5, s15, s5
	s_cselect_b32 s4, s14, s4
	s_cbranch_execnz .LBB119_132
.LBB119_131:                            ;   in Loop: Header=BB119_45 Depth=1
	v_cvt_f32_u32_e32 v2, s46
	s_sub_co_i32 s5, 0, s46
	s_delay_alu instid0(VALU_DEP_1) | instskip(NEXT) | instid1(TRANS32_DEP_1)
	v_rcp_iflag_f32_e32 v2, v2
	v_mul_f32_e32 v2, 0x4f7ffffe, v2
	s_delay_alu instid0(VALU_DEP_1) | instskip(NEXT) | instid1(VALU_DEP_1)
	v_cvt_u32_f32_e32 v2, v2
	v_readfirstlane_b32 s4, v2
	s_wait_alu 0xfffe
	s_mul_i32 s5, s5, s4
	s_wait_alu 0xfffe
	s_mul_hi_u32 s5, s4, s5
	s_wait_alu 0xfffe
	s_add_co_i32 s4, s4, s5
	s_wait_alu 0xfffe
	s_mul_hi_u32 s4, s58, s4
	s_wait_alu 0xfffe
	s_mul_i32 s4, s4, s46
	s_wait_alu 0xfffe
	s_sub_co_i32 s4, s58, s4
	s_wait_alu 0xfffe
	s_sub_co_i32 s5, s4, s46
	s_cmp_ge_u32 s4, s46
	s_wait_alu 0xfffe
	s_cselect_b32 s4, s5, s4
	s_wait_alu 0xfffe
	s_sub_co_i32 s5, s4, s46
	s_cmp_ge_u32 s4, s46
	s_wait_alu 0xfffe
	s_cselect_b32 s52, s5, s4
	s_wait_alu 0xfffe
	s_mov_b64 s[4:5], s[52:53]
.LBB119_132:                            ;   in Loop: Header=BB119_45 Depth=1
	s_wait_alu 0xfffe
	s_sub_nc_u64 s[14:15], s[58:59], s[4:5]
	s_mov_b32 s5, exec_lo
                                        ; implicit-def: $vgpr6_vgpr7
	s_wait_alu 0xfffe
	v_cmpx_gt_u64_e64 s[14:15], v[0:1]
	s_cbranch_execz .LBB119_142
; %bb.133:                              ;   in Loop: Header=BB119_45 Depth=1
	v_dual_mov_b32 v12, v16 :: v_dual_mov_b32 v13, v17
	v_dual_mov_b32 v15, v1 :: v_dual_mov_b32 v14, v0
	s_mov_b32 s21, 0
                                        ; implicit-def: $sgpr17
	s_branch .LBB119_137
.LBB119_134:                            ;   in Loop: Header=BB119_137 Depth=2
	s_wait_alu 0xfffe
	s_or_b32 exec_lo, exec_lo, s4
	s_wait_loadcnt_dscnt 0x0
	s_barrier_signal -1
	s_barrier_wait -1
	global_inv scope:SCOPE_SE
	ds_load_b128 v[4:7], v21 offset:3072
	s_wait_loadcnt_dscnt 0x0
	s_barrier_signal -1
	s_barrier_wait -1
	global_inv scope:SCOPE_SE
	v_cmp_neq_f64_e32 vcc_lo, 0, v[4:5]
	s_cbranch_vccnz .LBB119_140
; %bb.135:                              ;   in Loop: Header=BB119_137 Depth=2
	v_add_co_u32 v14, vcc_lo, v14, s46
	s_wait_alu 0xfffd
	v_add_co_ci_u32_e64 v15, null, 0, v15, vcc_lo
	v_add_co_u32 v12, s4, v12, s48
	s_wait_alu 0xf1ff
	v_add_co_ci_u32_e64 v13, null, s49, v13, s4
	s_delay_alu instid0(VALU_DEP_3)
	v_cmp_le_u64_e32 vcc_lo, s[14:15], v[14:15]
	s_mov_b32 s4, 0
	s_or_not1_b32 s22, vcc_lo, exec_lo
.LBB119_136:                            ;   in Loop: Header=BB119_137 Depth=2
	s_delay_alu instid0(SALU_CYCLE_1) | instskip(NEXT) | instid1(SALU_CYCLE_1)
	s_and_b32 s22, exec_lo, s22
	s_or_b32 s21, s22, s21
	s_and_not1_b32 s17, s17, exec_lo
	s_wait_alu 0xfffe
	s_and_b32 s4, s4, exec_lo
	s_wait_alu 0xfffe
	s_or_b32 s17, s17, s4
	s_and_not1_b32 exec_lo, exec_lo, s21
	s_cbranch_execz .LBB119_141
.LBB119_137:                            ;   Parent Loop BB119_45 Depth=1
                                        ; =>  This Inner Loop Header: Depth=2
	s_mov_b32 s4, exec_lo
	s_delay_alu instid0(VALU_DEP_1)
	v_cmpx_gt_u64_e64 s[24:25], v[14:15]
	s_cbranch_execz .LBB119_134
; %bb.138:                              ;   in Loop: Header=BB119_137 Depth=2
	global_load_b64 v[4:5], v[12:13], off
	s_wait_loadcnt 0x0
	v_cmp_o_f64_e32 vcc_lo, v[4:5], v[4:5]
	v_ashrrev_i32_e32 v2, 31, v5
	s_delay_alu instid0(VALU_DEP_1) | instskip(SKIP_1) | instid1(VALU_DEP_2)
	v_or_b32_e32 v6, 0x80000000, v2
	v_xor_b32_e32 v2, v2, v4
	v_xor_b32_e32 v6, v6, v5
	s_wait_alu 0xfffd
	s_delay_alu instid0(VALU_DEP_1) | instskip(NEXT) | instid1(VALU_DEP_1)
	v_cndmask_b32_e32 v6, -1, v6, vcc_lo
	v_dual_cndmask_b32 v2, -1, v2 :: v_dual_and_b32 v7, v6, v35
	s_delay_alu instid0(VALU_DEP_1) | instskip(NEXT) | instid1(VALU_DEP_1)
	v_and_b32_e32 v6, v2, v34
	v_cmp_eq_u64_e32 vcc_lo, v[6:7], v[32:33]
	s_and_b32 exec_lo, exec_lo, vcc_lo
	s_cbranch_execz .LBB119_134
; %bb.139:                              ;   in Loop: Header=BB119_137 Depth=2
	v_mov_b32_e32 v2, v21
	ds_store_b128 v21, v[2:5] offset:3072
	s_branch .LBB119_134
.LBB119_140:                            ;   in Loop: Header=BB119_137 Depth=2
	s_mov_b32 s22, -1
	s_mov_b32 s4, -1
                                        ; implicit-def: $vgpr14_vgpr15
                                        ; implicit-def: $vgpr12_vgpr13
	s_branch .LBB119_136
.LBB119_141:                            ;   in Loop: Header=BB119_45 Depth=1
	s_or_b32 exec_lo, exec_lo, s21
	s_delay_alu instid0(SALU_CYCLE_1)
	s_and_not1_b32 s4, s16, exec_lo
	s_wait_alu 0xfffe
	s_and_b32 s14, s17, exec_lo
	s_wait_alu 0xfffe
	s_or_b32 s16, s4, s14
.LBB119_142:                            ;   in Loop: Header=BB119_45 Depth=1
	s_or_b32 exec_lo, exec_lo, s5
	s_mov_b32 s21, 0
	s_mov_b32 s22, -1
.LBB119_143:                            ;   in Loop: Header=BB119_45 Depth=1
	s_wait_alu 0xfffe
	s_or_not1_b32 s4, s16, exec_lo
.LBB119_144:                            ;   in Loop: Header=BB119_45 Depth=1
	s_or_b32 exec_lo, exec_lo, s18
	s_delay_alu instid0(SALU_CYCLE_1)
	s_and_not1_b32 s5, s97, exec_lo
	s_and_b32 s14, s22, exec_lo
	s_and_not1_b32 s15, s95, exec_lo
	s_and_b32 s16, s21, exec_lo
	s_and_not1_b32 s94, s94, exec_lo
	s_wait_alu 0xfffe
	s_or_b32 s97, s5, s14
	s_or_b32 s95, s15, s16
                                        ; implicit-def: $vgpr12_vgpr13
	s_and_saveexec_b32 s18, s4
	s_cbranch_execz .LBB119_44
; %bb.145:                              ;   in Loop: Header=BB119_45 Depth=1
	v_mov_b32_e32 v12, 1
	v_dual_mov_b32 v13, 0 :: v_dual_mov_b32 v38, 1
	s_xor_b32 s14, s20, -1
	s_mov_b32 s5, 0
	s_wait_alu 0xfffe
	s_and_saveexec_b32 s4, s14
	s_cbranch_execz .LBB119_154
; %bb.146:                              ;   in Loop: Header=BB119_45 Depth=1
	s_mov_b32 s5, exec_lo
	v_cmpx_le_u64_e64 v[36:37], v[8:9]
	s_wait_alu 0xfffe
	s_xor_b32 s5, exec_lo, s5
	s_cbranch_execz .LBB119_151
; %bb.147:                              ;   in Loop: Header=BB119_45 Depth=1
	ds_load_b64 v[4:5], v21 offset:5120
	v_and_b32_e32 v33, s13, v33
	v_and_b32_e32 v32, s12, v32
	v_or_b32_e32 v35, s9, v35
	v_or_b32_e32 v34, s8, v34
	s_wait_dscnt 0x0
	v_cmp_ne_u64_e32 vcc_lo, 0, v[4:5]
	s_cbranch_vccnz .LBB119_151
; %bb.148:                              ;   in Loop: Header=BB119_45 Depth=1
	s_and_saveexec_b32 s14, s3
; %bb.149:                              ;   in Loop: Header=BB119_45 Depth=1
	ds_store_b64 v21, v[8:9] offset:5128
; %bb.150:                              ;   in Loop: Header=BB119_45 Depth=1
	s_wait_alu 0xfffe
	s_or_b32 exec_lo, exec_lo, s14
	s_wait_loadcnt_dscnt 0x0
	s_barrier_signal -1
	s_barrier_wait -1
	global_inv scope:SCOPE_SE
.LBB119_151:                            ;   in Loop: Header=BB119_45 Depth=1
	s_wait_alu 0xfffe
	s_or_saveexec_b32 s5, s5
	v_mov_b32_e32 v38, 8
	s_mov_b32 s14, 0
	s_wait_alu 0xfffe
	s_xor_b32 exec_lo, exec_lo, s5
; %bb.152:                              ;   in Loop: Header=BB119_45 Depth=1
	v_sub_co_u32 v36, vcc_lo, v36, v8
	s_wait_alu 0xfffd
	v_sub_co_ci_u32_e64 v37, null, v37, v9, vcc_lo
	v_mov_b32_e32 v38, 0
	s_mov_b32 s14, exec_lo
; %bb.153:                              ;   in Loop: Header=BB119_45 Depth=1
	s_or_b32 exec_lo, exec_lo, s5
	s_delay_alu instid0(VALU_DEP_2)
	v_dual_mov_b32 v12, v36 :: v_dual_mov_b32 v13, v37
	s_wait_alu 0xfffe
	s_and_b32 s5, s14, exec_lo
.LBB119_154:                            ;   in Loop: Header=BB119_45 Depth=1
	s_wait_alu 0xfffe
	s_or_b32 exec_lo, exec_lo, s4
	s_mov_b32 s19, -1
	s_mov_b32 s4, -1
                                        ; implicit-def: $sgpr21
                                        ; implicit-def: $sgpr22
	s_and_saveexec_b32 s14, s5
	s_wait_alu 0xfffe
	s_xor_b32 s20, exec_lo, s14
	s_cbranch_execz .LBB119_305
; %bb.155:                              ;   in Loop: Header=BB119_45 Depth=1
	v_cmp_eq_u64_e32 vcc_lo, 1, v[10:11]
	v_cmp_eq_u64_e64 s4, 1, v[12:13]
                                        ; implicit-def: $sgpr22
                                        ; implicit-def: $sgpr21
	s_and_b32 s68, vcc_lo, s4
	s_mov_b32 s4, -1
	s_and_saveexec_b32 s23, s68
	s_cbranch_execz .LBB119_194
; %bb.156:                              ;   in Loop: Header=BB119_45 Depth=1
	ds_load_b64 v[4:5], v21 offset:5120
	s_wait_loadcnt_dscnt 0x0
	s_barrier_signal -1
	s_barrier_wait -1
	global_inv scope:SCOPE_SE
	v_readfirstlane_b32 s4, v4
	v_readfirstlane_b32 s5, v5
	s_and_saveexec_b32 s14, s0
; %bb.157:                              ;   in Loop: Header=BB119_45 Depth=1
	v_mov_b32_e32 v20, v21
	ds_store_b64 v48, v[20:21]
; %bb.158:                              ;   in Loop: Header=BB119_45 Depth=1
	s_wait_alu 0xfffe
	s_or_b32 exec_lo, exec_lo, s14
	v_and_b32_e32 v2, s13, v33
	v_and_b32_e32 v4, s12, v32
	s_lshl_b64 s[14:15], 1, s89
	v_or_b32_e32 v35, s9, v35
	v_or_b32_e32 v34, s8, v34
	s_wait_alu 0xfffe
	v_or_b32_e32 v33, s15, v2
	v_or_b32_e32 v32, s14, v4
	s_mov_b32 s21, -1
	s_mov_b32 s22, 0
	s_cmp_eq_u64 s[4:5], 0
	s_mov_b32 s16, 0
	s_mov_b32 s17, -1
	s_wait_loadcnt_dscnt 0x0
	s_barrier_signal -1
	s_barrier_wait -1
	global_inv scope:SCOPE_SE
                                        ; implicit-def: $vgpr6_vgpr7
	s_cbranch_scc1 .LBB119_178
; %bb.159:                              ;   in Loop: Header=BB119_45 Depth=1
	s_add_nc_u64 s[14:15], s[4:5], s[56:57]
	s_mov_b32 s16, s53
	s_wait_alu 0xfffe
	s_mov_b32 s17, s15
	s_wait_alu 0xfffe
	s_cmp_lg_u64 s[16:17], 0
	s_cbranch_scc0 .LBB119_222
; %bb.160:                              ;   in Loop: Header=BB119_45 Depth=1
	s_cvt_f32_u32 s16, s46
	s_sub_nc_u64 s[70:71], 0, s[46:47]
	s_wait_alu 0xfffe
	s_delay_alu instid0(SALU_CYCLE_1) | instskip(SKIP_1) | instid1(SALU_CYCLE_2)
	s_fmamk_f32 s16, s91, 0x0, s16
	s_wait_alu 0xfffe
	v_s_rcp_f32 s16, s16
	s_delay_alu instid0(TRANS32_DEP_1) | instskip(SKIP_1) | instid1(SALU_CYCLE_2)
	s_mul_f32 s16, s16, 0x5f7ffffc
	s_wait_alu 0xfffe
	s_mul_f32 s17, s16, 0x2f800000
	s_wait_alu 0xfffe
	s_delay_alu instid0(SALU_CYCLE_2) | instskip(SKIP_1) | instid1(SALU_CYCLE_2)
	s_trunc_f32 s17, s17
	s_wait_alu 0xfffe
	s_fmamk_f32 s16, s17, 0xcf800000, s16
	s_cvt_u32_f32 s17, s17
	s_wait_alu 0xfffe
	s_delay_alu instid0(SALU_CYCLE_1) | instskip(SKIP_1) | instid1(SALU_CYCLE_2)
	s_cvt_u32_f32 s16, s16
	s_wait_alu 0xfffe
	s_mul_u64 s[72:73], s[70:71], s[16:17]
	s_wait_alu 0xfffe
	s_mul_hi_u32 s75, s16, s73
	s_mul_i32 s74, s16, s73
	s_mul_hi_u32 s52, s16, s72
	s_mul_i32 s76, s17, s72
	s_wait_alu 0xfffe
	s_add_nc_u64 s[74:75], s[52:53], s[74:75]
	s_mul_hi_u32 s69, s17, s72
	s_mul_hi_u32 s77, s17, s73
	s_wait_alu 0xfffe
	s_add_co_u32 s52, s74, s76
	s_add_co_ci_u32 s52, s75, s69
	s_mul_i32 s72, s17, s73
	s_add_co_ci_u32 s73, s77, 0
	s_wait_alu 0xfffe
	s_add_nc_u64 s[72:73], s[52:53], s[72:73]
	s_wait_alu 0xfffe
	s_add_co_u32 s16, s16, s72
	s_cselect_b32 s52, -1, 0
	s_wait_alu 0xfffe
	s_cmp_lg_u32 s52, 0
	s_add_co_ci_u32 s17, s17, s73
	s_wait_alu 0xfffe
	s_mul_u64 s[70:71], s[70:71], s[16:17]
	s_wait_alu 0xfffe
	s_mul_hi_u32 s73, s16, s71
	s_mul_i32 s72, s16, s71
	s_mul_hi_u32 s52, s16, s70
	s_mul_i32 s74, s17, s70
	s_wait_alu 0xfffe
	s_add_nc_u64 s[72:73], s[52:53], s[72:73]
	s_mul_hi_u32 s69, s17, s70
	s_mul_hi_u32 s75, s17, s71
	s_wait_alu 0xfffe
	s_add_co_u32 s52, s72, s74
	s_add_co_ci_u32 s52, s73, s69
	s_mul_i32 s70, s17, s71
	s_add_co_ci_u32 s71, s75, 0
	s_wait_alu 0xfffe
	s_add_nc_u64 s[70:71], s[52:53], s[70:71]
	s_wait_alu 0xfffe
	s_add_co_u32 s16, s16, s70
	s_cselect_b32 s69, -1, 0
	s_wait_alu 0xfffe
	s_mul_hi_u32 s52, s14, s16
	s_cmp_lg_u32 s69, 0
	s_mul_hi_u32 s69, s15, s16
	s_add_co_ci_u32 s70, s17, s71
	s_mul_i32 s71, s15, s16
	s_wait_alu 0xfffe
	s_mul_hi_u32 s17, s14, s70
	s_mul_i32 s16, s14, s70
	s_mul_hi_u32 s72, s15, s70
	s_wait_alu 0xfffe
	s_add_nc_u64 s[16:17], s[52:53], s[16:17]
	s_mul_i32 s70, s15, s70
	s_wait_alu 0xfffe
	s_add_co_u32 s16, s16, s71
	s_add_co_ci_u32 s52, s17, s69
	s_add_co_ci_u32 s71, s72, 0
	s_wait_alu 0xfffe
	s_add_nc_u64 s[16:17], s[52:53], s[70:71]
	s_wait_alu 0xfffe
	s_mul_u64 s[16:17], s[46:47], s[16:17]
	s_wait_alu 0xfffe
	s_sub_co_u32 s16, s14, s16
	s_cselect_b32 s52, -1, 0
	s_wait_alu 0xfffe
	s_cmp_lg_u32 s52, 0
	s_sub_co_ci_u32 s17, s15, s17
	s_sub_co_u32 s52, s16, s46
	s_cselect_b32 s69, -1, 0
	s_delay_alu instid0(SALU_CYCLE_1)
	s_cmp_lg_u32 s69, 0
	s_wait_alu 0xfffe
	s_sub_co_ci_u32 s69, s17, 0
	s_sub_co_u32 s70, s52, s46
	s_cselect_b32 s71, -1, 0
	s_wait_alu 0xfffe
	s_cmp_lg_u32 s71, 0
	s_sub_co_ci_u32 s71, s69, 0
	s_cmp_ge_u32 s52, s46
	s_cselect_b32 s72, -1, 0
	s_cmp_eq_u32 s69, 0
	s_wait_alu 0xfffe
	s_cselect_b32 s72, s72, -1
	s_wait_alu 0xfffe
	s_cmp_lg_u32 s72, 0
	s_cselect_b32 s69, s71, s69
	s_cselect_b32 s52, s70, s52
	s_cmp_ge_u32 s16, s46
	s_cselect_b32 s70, -1, 0
	s_cmp_eq_u32 s17, 0
	s_wait_alu 0xfffe
	s_cselect_b32 s70, s70, -1
	s_wait_alu 0xfffe
	s_cmp_lg_u32 s70, 0
	s_cselect_b32 s17, s69, s17
	s_cselect_b32 s16, s52, s16
	s_cbranch_execnz .LBB119_162
.LBB119_161:                            ;   in Loop: Header=BB119_45 Depth=1
	v_cvt_f32_u32_e32 v2, s46
	s_sub_co_i32 s17, 0, s46
	s_delay_alu instid0(VALU_DEP_1) | instskip(NEXT) | instid1(TRANS32_DEP_1)
	v_rcp_iflag_f32_e32 v2, v2
	v_mul_f32_e32 v2, 0x4f7ffffe, v2
	s_delay_alu instid0(VALU_DEP_1) | instskip(NEXT) | instid1(VALU_DEP_1)
	v_cvt_u32_f32_e32 v2, v2
	v_readfirstlane_b32 s16, v2
	s_wait_alu 0xfffe
	s_mul_i32 s17, s17, s16
	s_wait_alu 0xfffe
	s_mul_hi_u32 s17, s16, s17
	s_wait_alu 0xfffe
	s_add_co_i32 s16, s16, s17
	s_wait_alu 0xfffe
	s_mul_hi_u32 s16, s14, s16
	s_wait_alu 0xfffe
	s_mul_i32 s16, s16, s46
	s_wait_alu 0xfffe
	s_sub_co_i32 s16, s14, s16
	s_wait_alu 0xfffe
	s_sub_co_i32 s17, s16, s46
	s_cmp_ge_u32 s16, s46
	s_wait_alu 0xfffe
	s_cselect_b32 s16, s17, s16
	s_wait_alu 0xfffe
	s_sub_co_i32 s17, s16, s46
	s_cmp_ge_u32 s16, s46
	s_wait_alu 0xfffe
	s_cselect_b32 s52, s17, s16
	s_wait_alu 0xfffe
	s_mov_b64 s[16:17], s[52:53]
.LBB119_162:                            ;   in Loop: Header=BB119_45 Depth=1
	s_wait_alu 0xfffe
	s_sub_nc_u64 s[14:15], s[14:15], s[16:17]
	s_mov_b32 s17, 0
	s_mov_b32 s16, 0
	s_mov_b32 s52, exec_lo
                                        ; implicit-def: $vgpr6_vgpr7
	s_wait_alu 0xfffe
	v_cmpx_gt_u64_e64 s[14:15], v[0:1]
	s_cbranch_execz .LBB119_177
; %bb.163:                              ;   in Loop: Header=BB119_45 Depth=1
	v_dual_mov_b32 v14, v47 :: v_dual_mov_b32 v9, v1
	v_mov_b32_e32 v8, v0
                                        ; implicit-def: $sgpr69
	s_branch .LBB119_167
.LBB119_164:                            ;   in Loop: Header=BB119_167 Depth=2
	s_wait_alu 0xfffe
	s_or_b32 exec_lo, exec_lo, s70
	s_wait_loadcnt_dscnt 0x0
	s_barrier_signal -1
	s_barrier_wait -1
	global_inv scope:SCOPE_SE
	ds_load_b128 v[4:7], v21 offset:3072
	s_wait_loadcnt_dscnt 0x0
	s_barrier_signal -1
	s_barrier_wait -1
	global_inv scope:SCOPE_SE
	v_cmp_neq_f64_e32 vcc_lo, 0, v[4:5]
	s_cbranch_vccnz .LBB119_170
; %bb.165:                              ;   in Loop: Header=BB119_167 Depth=2
	v_add_co_u32 v8, vcc_lo, v8, s46
	s_wait_alu 0xfffd
	v_add_co_ci_u32_e64 v9, null, 0, v9, vcc_lo
	v_add_nc_u32_e32 v14, s88, v14
	s_mov_b32 s70, 0
	s_delay_alu instid0(VALU_DEP_2)
	v_cmp_le_u64_e32 vcc_lo, s[14:15], v[8:9]
	s_or_not1_b32 s71, vcc_lo, exec_lo
.LBB119_166:                            ;   in Loop: Header=BB119_167 Depth=2
	s_wait_alu 0xfffe
	s_and_b32 s71, exec_lo, s71
	s_wait_alu 0xfffe
	s_or_b32 s16, s71, s16
	s_and_not1_b32 s69, s69, exec_lo
	s_and_b32 s70, s70, exec_lo
	s_wait_alu 0xfffe
	s_or_b32 s69, s69, s70
	s_and_not1_b32 exec_lo, exec_lo, s16
	s_cbranch_execz .LBB119_176
.LBB119_167:                            ;   Parent Loop BB119_45 Depth=1
                                        ; =>  This Inner Loop Header: Depth=2
	s_mov_b32 s70, exec_lo
	s_delay_alu instid0(VALU_DEP_1)
	v_cmpx_gt_u64_e64 s[4:5], v[8:9]
	s_cbranch_execz .LBB119_164
; %bb.168:                              ;   in Loop: Header=BB119_167 Depth=2
	ds_load_b64 v[4:5], v14
	s_wait_dscnt 0x0
	v_cmp_o_f64_e32 vcc_lo, v[4:5], v[4:5]
	v_ashrrev_i32_e32 v2, 31, v5
	s_delay_alu instid0(VALU_DEP_1) | instskip(SKIP_1) | instid1(VALU_DEP_2)
	v_or_b32_e32 v6, 0x80000000, v2
	v_xor_b32_e32 v2, v2, v4
	v_xor_b32_e32 v6, v6, v5
	s_wait_alu 0xfffd
	s_delay_alu instid0(VALU_DEP_1) | instskip(NEXT) | instid1(VALU_DEP_1)
	v_cndmask_b32_e32 v6, -1, v6, vcc_lo
	v_dual_cndmask_b32 v2, -1, v2 :: v_dual_and_b32 v7, v6, v35
	s_delay_alu instid0(VALU_DEP_1) | instskip(NEXT) | instid1(VALU_DEP_1)
	v_and_b32_e32 v6, v2, v34
	v_cmp_eq_u64_e32 vcc_lo, v[6:7], v[32:33]
	s_and_b32 exec_lo, exec_lo, vcc_lo
	s_cbranch_execz .LBB119_164
; %bb.169:                              ;   in Loop: Header=BB119_167 Depth=2
	v_mov_b32_e32 v2, v21
	ds_store_b128 v21, v[2:5] offset:3072
	s_branch .LBB119_164
.LBB119_170:                            ;   in Loop: Header=BB119_167 Depth=2
	s_mov_b32 s71, -1
	s_mov_b32 s70, -1
                                        ; implicit-def: $vgpr8_vgpr9
                                        ; implicit-def: $vgpr14
	s_branch .LBB119_166
.LBB119_171:                            ;   in Loop: Header=BB119_45 Depth=1
                                        ; implicit-def: $sgpr16_sgpr17
	s_branch .LBB119_116
.LBB119_172:                            ;   in Loop: Header=BB119_45 Depth=1
	s_wait_alu 0xfffe
	s_or_b32 exec_lo, exec_lo, s7
	s_wait_loadcnt_dscnt 0x0
	s_barrier_signal -1
	s_barrier_wait -1
	global_inv scope:SCOPE_SE
	s_and_saveexec_b32 s4, s3
	s_cbranch_execz .LBB119_174
; %bb.173:                              ;   in Loop: Header=BB119_45 Depth=1
	ds_load_b32 v4, v21 offset:5144
	s_wait_dscnt 0x0
	v_ashrrev_i32_e32 v5, 31, v4
	ds_store_b64 v21, v[4:5] offset:5120
.LBB119_174:                            ;   in Loop: Header=BB119_45 Depth=1
	s_wait_alu 0xfffe
	s_or_b32 exec_lo, exec_lo, s4
	s_wait_loadcnt_dscnt 0x0
	s_barrier_signal -1
	s_mov_b32 s4, -1
	s_barrier_wait -1
	s_and_b32 vcc_lo, exec_lo, s6
	s_wait_alu 0xfffe
	s_cbranch_vccnz .LBB119_61
	s_branch .LBB119_70
.LBB119_175:                            ;   in Loop: Header=BB119_45 Depth=1
                                        ; implicit-def: $sgpr4_sgpr5
	s_branch .LBB119_131
.LBB119_176:                            ;   in Loop: Header=BB119_45 Depth=1
	s_or_b32 exec_lo, exec_lo, s16
	s_delay_alu instid0(SALU_CYCLE_1)
	s_and_b32 s16, s69, exec_lo
.LBB119_177:                            ;   in Loop: Header=BB119_45 Depth=1
	s_or_b32 exec_lo, exec_lo, s52
.LBB119_178:                            ;   in Loop: Header=BB119_45 Depth=1
	s_wait_alu 0xfffe
	s_and_b32 vcc_lo, exec_lo, s17
	s_wait_alu 0xfffe
	s_cbranch_vccz .LBB119_193
; %bb.179:                              ;   in Loop: Header=BB119_45 Depth=1
	s_mov_b32 s4, s53
	s_mov_b32 s5, s59
	s_wait_alu 0xfffe
	s_cmp_lg_u64 s[4:5], 0
	s_cbranch_scc0 .LBB119_223
; %bb.180:                              ;   in Loop: Header=BB119_45 Depth=1
	s_cvt_f32_u32 s4, s46
	s_sub_nc_u64 s[14:15], 0, s[46:47]
	s_wait_alu 0xfffe
	s_delay_alu instid0(SALU_CYCLE_1) | instskip(SKIP_1) | instid1(SALU_CYCLE_2)
	s_fmamk_f32 s4, s91, 0x0, s4
	s_wait_alu 0xfffe
	v_s_rcp_f32 s4, s4
	s_delay_alu instid0(TRANS32_DEP_1) | instskip(SKIP_1) | instid1(SALU_CYCLE_2)
	s_mul_f32 s4, s4, 0x5f7ffffc
	s_wait_alu 0xfffe
	s_mul_f32 s5, s4, 0x2f800000
	s_wait_alu 0xfffe
	s_delay_alu instid0(SALU_CYCLE_2) | instskip(SKIP_1) | instid1(SALU_CYCLE_2)
	s_trunc_f32 s5, s5
	s_wait_alu 0xfffe
	s_fmamk_f32 s4, s5, 0xcf800000, s4
	s_cvt_u32_f32 s5, s5
	s_wait_alu 0xfffe
	s_delay_alu instid0(SALU_CYCLE_1) | instskip(SKIP_1) | instid1(SALU_CYCLE_2)
	s_cvt_u32_f32 s4, s4
	s_wait_alu 0xfffe
	s_mul_u64 s[70:71], s[14:15], s[4:5]
	s_wait_alu 0xfffe
	s_mul_hi_u32 s73, s4, s71
	s_mul_i32 s72, s4, s71
	s_mul_hi_u32 s52, s4, s70
	s_mul_i32 s21, s5, s70
	s_wait_alu 0xfffe
	s_add_nc_u64 s[72:73], s[52:53], s[72:73]
	s_mul_hi_u32 s17, s5, s70
	s_mul_hi_u32 s22, s5, s71
	s_wait_alu 0xfffe
	s_add_co_u32 s21, s72, s21
	s_add_co_ci_u32 s52, s73, s17
	s_mul_i32 s70, s5, s71
	s_add_co_ci_u32 s71, s22, 0
	s_wait_alu 0xfffe
	s_add_nc_u64 s[70:71], s[52:53], s[70:71]
	s_wait_alu 0xfffe
	s_add_co_u32 s4, s4, s70
	s_cselect_b32 s17, -1, 0
	s_wait_alu 0xfffe
	s_cmp_lg_u32 s17, 0
	s_add_co_ci_u32 s5, s5, s71
	s_wait_alu 0xfffe
	s_mul_u64 s[14:15], s[14:15], s[4:5]
	s_wait_alu 0xfffe
	s_mul_hi_u32 s71, s4, s15
	s_mul_i32 s70, s4, s15
	s_mul_hi_u32 s52, s4, s14
	s_mul_i32 s21, s5, s14
	s_wait_alu 0xfffe
	s_add_nc_u64 s[70:71], s[52:53], s[70:71]
	s_mul_hi_u32 s17, s5, s14
	s_mul_hi_u32 s22, s5, s15
	s_mul_i32 s14, s5, s15
	s_wait_alu 0xfffe
	s_add_co_u32 s15, s70, s21
	s_add_co_ci_u32 s52, s71, s17
	s_add_co_ci_u32 s15, s22, 0
	s_wait_alu 0xfffe
	s_add_nc_u64 s[14:15], s[52:53], s[14:15]
	s_wait_alu 0xfffe
	s_add_co_u32 s4, s4, s14
	s_cselect_b32 s14, -1, 0
	s_wait_alu 0xfffe
	s_mul_hi_u32 s52, s58, s4
	s_cmp_lg_u32 s14, 0
	s_mul_hi_u32 s17, s59, s4
	s_add_co_ci_u32 s14, s5, s15
	s_mul_i32 s15, s59, s4
	s_wait_alu 0xfffe
	s_mul_hi_u32 s5, s58, s14
	s_mul_i32 s4, s58, s14
	s_mul_hi_u32 s21, s59, s14
	s_wait_alu 0xfffe
	s_add_nc_u64 s[4:5], s[52:53], s[4:5]
	s_mul_i32 s14, s59, s14
	s_wait_alu 0xfffe
	s_add_co_u32 s4, s4, s15
	s_add_co_ci_u32 s52, s5, s17
	s_add_co_ci_u32 s15, s21, 0
	s_wait_alu 0xfffe
	s_add_nc_u64 s[4:5], s[52:53], s[14:15]
	s_wait_alu 0xfffe
	s_mul_u64 s[4:5], s[46:47], s[4:5]
	s_wait_alu 0xfffe
	s_sub_co_u32 s4, s58, s4
	s_cselect_b32 s14, -1, 0
	s_wait_alu 0xfffe
	s_cmp_lg_u32 s14, 0
	s_sub_co_ci_u32 s5, s59, s5
	s_sub_co_u32 s14, s4, s46
	s_cselect_b32 s15, -1, 0
	s_wait_alu 0xfffe
	s_cmp_lg_u32 s15, 0
	s_sub_co_ci_u32 s15, s5, 0
	s_sub_co_u32 s17, s14, s46
	s_cselect_b32 s21, -1, 0
	s_delay_alu instid0(SALU_CYCLE_1)
	s_cmp_lg_u32 s21, 0
	s_wait_alu 0xfffe
	s_sub_co_ci_u32 s21, s15, 0
	s_cmp_ge_u32 s14, s46
	s_cselect_b32 s22, -1, 0
	s_cmp_eq_u32 s15, 0
	s_cselect_b32 s22, s22, -1
	s_delay_alu instid0(SALU_CYCLE_1)
	s_cmp_lg_u32 s22, 0
	s_cselect_b32 s15, s21, s15
	s_cselect_b32 s14, s17, s14
	s_cmp_ge_u32 s4, s46
	s_cselect_b32 s17, -1, 0
	s_cmp_eq_u32 s5, 0
	s_wait_alu 0xfffe
	s_cselect_b32 s17, s17, -1
	s_wait_alu 0xfffe
	s_cmp_lg_u32 s17, 0
	s_cselect_b32 s5, s15, s5
	s_cselect_b32 s4, s14, s4
	s_cbranch_execnz .LBB119_182
.LBB119_181:                            ;   in Loop: Header=BB119_45 Depth=1
	v_cvt_f32_u32_e32 v2, s46
	s_sub_co_i32 s5, 0, s46
	s_delay_alu instid0(VALU_DEP_1) | instskip(NEXT) | instid1(TRANS32_DEP_1)
	v_rcp_iflag_f32_e32 v2, v2
	v_mul_f32_e32 v2, 0x4f7ffffe, v2
	s_delay_alu instid0(VALU_DEP_1) | instskip(NEXT) | instid1(VALU_DEP_1)
	v_cvt_u32_f32_e32 v2, v2
	v_readfirstlane_b32 s4, v2
	s_wait_alu 0xfffe
	s_mul_i32 s5, s5, s4
	s_wait_alu 0xfffe
	s_mul_hi_u32 s5, s4, s5
	s_wait_alu 0xfffe
	s_add_co_i32 s4, s4, s5
	s_wait_alu 0xfffe
	s_mul_hi_u32 s4, s58, s4
	s_wait_alu 0xfffe
	s_mul_i32 s4, s4, s46
	s_wait_alu 0xfffe
	s_sub_co_i32 s4, s58, s4
	s_wait_alu 0xfffe
	s_sub_co_i32 s5, s4, s46
	s_cmp_ge_u32 s4, s46
	s_wait_alu 0xfffe
	s_cselect_b32 s4, s5, s4
	s_wait_alu 0xfffe
	s_sub_co_i32 s5, s4, s46
	s_cmp_ge_u32 s4, s46
	s_wait_alu 0xfffe
	s_cselect_b32 s52, s5, s4
	s_wait_alu 0xfffe
	s_mov_b64 s[4:5], s[52:53]
.LBB119_182:                            ;   in Loop: Header=BB119_45 Depth=1
	s_wait_alu 0xfffe
	s_sub_nc_u64 s[14:15], s[58:59], s[4:5]
	s_mov_b32 s5, exec_lo
                                        ; implicit-def: $vgpr6_vgpr7
	s_wait_alu 0xfffe
	v_cmpx_gt_u64_e64 s[14:15], v[0:1]
	s_cbranch_execz .LBB119_192
; %bb.183:                              ;   in Loop: Header=BB119_45 Depth=1
	v_dual_mov_b32 v8, v16 :: v_dual_mov_b32 v9, v17
	v_dual_mov_b32 v15, v1 :: v_dual_mov_b32 v14, v0
	s_mov_b32 s17, 0
                                        ; implicit-def: $sgpr21
	s_branch .LBB119_187
.LBB119_184:                            ;   in Loop: Header=BB119_187 Depth=2
	s_wait_alu 0xfffe
	s_or_b32 exec_lo, exec_lo, s4
	s_wait_loadcnt_dscnt 0x0
	s_barrier_signal -1
	s_barrier_wait -1
	global_inv scope:SCOPE_SE
	ds_load_b128 v[4:7], v21 offset:3072
	s_wait_loadcnt_dscnt 0x0
	s_barrier_signal -1
	s_barrier_wait -1
	global_inv scope:SCOPE_SE
	v_cmp_eq_f64_e32 vcc_lo, 0, v[4:5]
	s_cbranch_vccz .LBB119_190
; %bb.185:                              ;   in Loop: Header=BB119_187 Depth=2
	v_add_co_u32 v14, vcc_lo, v14, s46
	s_wait_alu 0xfffd
	v_add_co_ci_u32_e64 v15, null, 0, v15, vcc_lo
	v_add_co_u32 v8, s4, v8, s48
	s_wait_alu 0xf1ff
	v_add_co_ci_u32_e64 v9, null, s49, v9, s4
	s_delay_alu instid0(VALU_DEP_3)
	v_cmp_le_u64_e32 vcc_lo, s[14:15], v[14:15]
	s_mov_b32 s4, 0
	s_or_not1_b32 s22, vcc_lo, exec_lo
.LBB119_186:                            ;   in Loop: Header=BB119_187 Depth=2
	s_delay_alu instid0(SALU_CYCLE_1) | instskip(NEXT) | instid1(SALU_CYCLE_1)
	s_and_b32 s22, exec_lo, s22
	s_or_b32 s17, s22, s17
	s_and_not1_b32 s21, s21, exec_lo
	s_wait_alu 0xfffe
	s_and_b32 s4, s4, exec_lo
	s_wait_alu 0xfffe
	s_or_b32 s21, s21, s4
	s_and_not1_b32 exec_lo, exec_lo, s17
	s_cbranch_execz .LBB119_191
.LBB119_187:                            ;   Parent Loop BB119_45 Depth=1
                                        ; =>  This Inner Loop Header: Depth=2
	s_mov_b32 s4, exec_lo
	s_delay_alu instid0(VALU_DEP_1)
	v_cmpx_gt_u64_e64 s[24:25], v[14:15]
	s_cbranch_execz .LBB119_184
; %bb.188:                              ;   in Loop: Header=BB119_187 Depth=2
	global_load_b64 v[4:5], v[8:9], off
	s_wait_loadcnt 0x0
	v_cmp_o_f64_e32 vcc_lo, v[4:5], v[4:5]
	v_ashrrev_i32_e32 v2, 31, v5
	s_delay_alu instid0(VALU_DEP_1) | instskip(SKIP_1) | instid1(VALU_DEP_2)
	v_or_b32_e32 v6, 0x80000000, v2
	v_xor_b32_e32 v2, v2, v4
	v_xor_b32_e32 v6, v6, v5
	s_wait_alu 0xfffd
	s_delay_alu instid0(VALU_DEP_1) | instskip(NEXT) | instid1(VALU_DEP_1)
	v_cndmask_b32_e32 v6, -1, v6, vcc_lo
	v_dual_cndmask_b32 v2, -1, v2 :: v_dual_and_b32 v7, v6, v35
	s_delay_alu instid0(VALU_DEP_1) | instskip(NEXT) | instid1(VALU_DEP_1)
	v_and_b32_e32 v6, v2, v34
	v_cmp_eq_u64_e32 vcc_lo, v[6:7], v[32:33]
	s_and_b32 exec_lo, exec_lo, vcc_lo
	s_cbranch_execz .LBB119_184
; %bb.189:                              ;   in Loop: Header=BB119_187 Depth=2
	v_mov_b32_e32 v2, v21
	ds_store_b128 v21, v[2:5] offset:3072
	s_branch .LBB119_184
.LBB119_190:                            ;   in Loop: Header=BB119_187 Depth=2
	s_mov_b32 s22, -1
	s_mov_b32 s4, -1
                                        ; implicit-def: $vgpr14_vgpr15
                                        ; implicit-def: $vgpr8_vgpr9
	s_branch .LBB119_186
.LBB119_191:                            ;   in Loop: Header=BB119_45 Depth=1
	s_or_b32 exec_lo, exec_lo, s17
	s_delay_alu instid0(SALU_CYCLE_1)
	s_and_not1_b32 s4, s16, exec_lo
	s_and_b32 s14, s21, exec_lo
	s_wait_alu 0xfffe
	s_or_b32 s16, s4, s14
.LBB119_192:                            ;   in Loop: Header=BB119_45 Depth=1
	s_or_b32 exec_lo, exec_lo, s5
	s_mov_b32 s21, 0
	s_mov_b32 s22, -1
.LBB119_193:                            ;   in Loop: Header=BB119_45 Depth=1
	s_wait_alu 0xfffe
	s_or_not1_b32 s4, s16, exec_lo
.LBB119_194:                            ;   in Loop: Header=BB119_45 Depth=1
	s_or_b32 exec_lo, exec_lo, s23
	s_mov_b32 s5, 0
	s_wait_alu 0xfffe
	s_and_saveexec_b32 s23, s4
	s_cbranch_execz .LBB119_304
; %bb.195:                              ;   in Loop: Header=BB119_45 Depth=1
	v_mov_b32_e32 v8, 1
	v_dual_mov_b32 v9, 0 :: v_dual_mov_b32 v38, 1
	s_xor_b32 s14, s68, -1
	s_wait_alu 0xfffe
	s_and_saveexec_b32 s4, s14
	s_cbranch_execz .LBB119_205
; %bb.196:                              ;   in Loop: Header=BB119_45 Depth=1
	s_mov_b32 s5, exec_lo
	v_cmpx_le_u64_e64 v[12:13], v[10:11]
	s_wait_alu 0xfffe
	s_xor_b32 s5, exec_lo, s5
	s_cbranch_execz .LBB119_202
; %bb.197:                              ;   in Loop: Header=BB119_45 Depth=1
	ds_load_b64 v[4:5], v21 offset:5120
	v_and_b32_e32 v2, s13, v33
	v_and_b32_e32 v8, s12, v32
	s_lshl_b64 s[14:15], 1, s89
	v_or_b32_e32 v35, s9, v35
	v_or_b32_e32 v34, s8, v34
	s_wait_alu 0xfffe
	v_or_b32_e32 v33, s15, v2
	v_or_b32_e32 v32, s14, v8
	s_wait_dscnt 0x0
	v_cmp_ne_u64_e32 vcc_lo, 0, v[4:5]
	s_cbranch_vccnz .LBB119_201
; %bb.198:                              ;   in Loop: Header=BB119_45 Depth=1
	s_and_saveexec_b32 s14, s3
; %bb.199:                              ;   in Loop: Header=BB119_45 Depth=1
	ds_store_b64 v21, v[10:11] offset:5128
; %bb.200:                              ;   in Loop: Header=BB119_45 Depth=1
	s_wait_alu 0xfffe
	s_or_b32 exec_lo, exec_lo, s14
	s_wait_loadcnt_dscnt 0x0
	s_barrier_signal -1
	s_barrier_wait -1
	global_inv scope:SCOPE_SE
.LBB119_201:                            ;   in Loop: Header=BB119_45 Depth=1
                                        ; implicit-def: $vgpr8_vgpr9_vgpr10_vgpr11
.LBB119_202:                            ;   in Loop: Header=BB119_45 Depth=1
	s_wait_alu 0xfffe
	s_or_saveexec_b32 s5, s5
	v_mov_b32_e32 v38, 8
	s_mov_b32 s14, 0
	s_wait_alu 0xfffe
	s_xor_b32 exec_lo, exec_lo, s5
; %bb.203:                              ;   in Loop: Header=BB119_45 Depth=1
	v_sub_co_u32 v12, vcc_lo, v12, v10
	s_wait_alu 0xfffd
	v_sub_co_ci_u32_e64 v13, null, v13, v11, vcc_lo
	v_mov_b32_e32 v38, 0
	s_mov_b32 s14, exec_lo
; %bb.204:                              ;   in Loop: Header=BB119_45 Depth=1
	s_or_b32 exec_lo, exec_lo, s5
	s_delay_alu instid0(VALU_DEP_2)
	v_dual_mov_b32 v8, v12 :: v_dual_mov_b32 v9, v13
	s_wait_alu 0xfffe
	s_and_b32 s5, s14, exec_lo
.LBB119_205:                            ;   in Loop: Header=BB119_45 Depth=1
	s_wait_alu 0xfffe
	s_or_b32 exec_lo, exec_lo, s4
	s_mov_b32 s4, -1
                                        ; implicit-def: $sgpr69
                                        ; implicit-def: $sgpr70
	s_and_saveexec_b32 s68, s5
	s_cbranch_execz .LBB119_303
; %bb.206:                              ;   in Loop: Header=BB119_45 Depth=1
	v_cmp_eq_u64_e32 vcc_lo, 1, v[8:9]
	s_cmp_eq_u64 s[10:11], 1
                                        ; implicit-def: $sgpr70
                                        ; implicit-def: $sgpr69
	s_cselect_b32 s4, -1, 0
	s_wait_alu 0xfffe
	s_and_b32 s71, s4, vcc_lo
	s_mov_b32 s4, -1
	s_wait_alu 0xfffe
	s_and_saveexec_b32 s72, s71
	s_cbranch_execz .LBB119_242
; %bb.207:                              ;   in Loop: Header=BB119_45 Depth=1
	ds_load_b64 v[4:5], v21 offset:5120
	s_wait_loadcnt_dscnt 0x0
	s_barrier_signal -1
	s_barrier_wait -1
	global_inv scope:SCOPE_SE
	v_readfirstlane_b32 s4, v4
	v_readfirstlane_b32 s5, v5
	s_and_saveexec_b32 s14, s0
; %bb.208:                              ;   in Loop: Header=BB119_45 Depth=1
	v_mov_b32_e32 v20, v21
	ds_store_b64 v48, v[20:21]
; %bb.209:                              ;   in Loop: Header=BB119_45 Depth=1
	s_wait_alu 0xfffe
	s_or_b32 exec_lo, exec_lo, s14
	v_and_b32_e32 v2, s13, v33
	v_and_b32_e32 v4, s12, v32
	s_lshl_b64 s[14:15], 2, s89
	v_or_b32_e32 v35, s9, v35
	v_or_b32_e32 v34, s8, v34
	s_wait_alu 0xfffe
	v_or_b32_e32 v33, s15, v2
	v_or_b32_e32 v32, s14, v4
	s_mov_b32 s69, -1
	s_mov_b32 s70, 0
	s_cmp_eq_u64 s[4:5], 0
	s_mov_b32 s16, 0
	s_mov_b32 s17, -1
	s_wait_loadcnt_dscnt 0x0
	s_barrier_signal -1
	s_barrier_wait -1
	global_inv scope:SCOPE_SE
                                        ; implicit-def: $vgpr6_vgpr7
	s_cbranch_scc1 .LBB119_226
; %bb.210:                              ;   in Loop: Header=BB119_45 Depth=1
	s_add_nc_u64 s[14:15], s[4:5], s[56:57]
	s_mov_b32 s16, s53
	s_wait_alu 0xfffe
	s_mov_b32 s17, s15
	s_wait_alu 0xfffe
	s_cmp_lg_u64 s[16:17], 0
	s_cbranch_scc0 .LBB119_269
; %bb.211:                              ;   in Loop: Header=BB119_45 Depth=1
	s_cvt_f32_u32 s16, s46
	s_sub_nc_u64 s[74:75], 0, s[46:47]
	s_wait_alu 0xfffe
	s_delay_alu instid0(SALU_CYCLE_1) | instskip(SKIP_1) | instid1(SALU_CYCLE_2)
	s_fmamk_f32 s16, s91, 0x0, s16
	s_wait_alu 0xfffe
	v_s_rcp_f32 s16, s16
	s_delay_alu instid0(TRANS32_DEP_1) | instskip(SKIP_1) | instid1(SALU_CYCLE_2)
	s_mul_f32 s16, s16, 0x5f7ffffc
	s_wait_alu 0xfffe
	s_mul_f32 s17, s16, 0x2f800000
	s_wait_alu 0xfffe
	s_delay_alu instid0(SALU_CYCLE_2) | instskip(SKIP_1) | instid1(SALU_CYCLE_2)
	s_trunc_f32 s17, s17
	s_wait_alu 0xfffe
	s_fmamk_f32 s16, s17, 0xcf800000, s16
	s_cvt_u32_f32 s17, s17
	s_wait_alu 0xfffe
	s_delay_alu instid0(SALU_CYCLE_1) | instskip(SKIP_1) | instid1(SALU_CYCLE_2)
	s_cvt_u32_f32 s16, s16
	s_wait_alu 0xfffe
	s_mul_u64 s[76:77], s[74:75], s[16:17]
	s_wait_alu 0xfffe
	s_mul_hi_u32 s79, s16, s77
	s_mul_i32 s78, s16, s77
	s_mul_hi_u32 s52, s16, s76
	s_mul_i32 s80, s17, s76
	s_wait_alu 0xfffe
	s_add_nc_u64 s[78:79], s[52:53], s[78:79]
	s_mul_hi_u32 s73, s17, s76
	s_mul_hi_u32 s81, s17, s77
	s_wait_alu 0xfffe
	s_add_co_u32 s52, s78, s80
	s_add_co_ci_u32 s52, s79, s73
	s_mul_i32 s76, s17, s77
	s_add_co_ci_u32 s77, s81, 0
	s_wait_alu 0xfffe
	s_add_nc_u64 s[76:77], s[52:53], s[76:77]
	s_wait_alu 0xfffe
	s_add_co_u32 s16, s16, s76
	s_cselect_b32 s52, -1, 0
	s_wait_alu 0xfffe
	s_cmp_lg_u32 s52, 0
	s_add_co_ci_u32 s17, s17, s77
	s_wait_alu 0xfffe
	s_mul_u64 s[74:75], s[74:75], s[16:17]
	s_wait_alu 0xfffe
	s_mul_hi_u32 s77, s16, s75
	s_mul_i32 s76, s16, s75
	s_mul_hi_u32 s52, s16, s74
	s_mul_i32 s78, s17, s74
	s_wait_alu 0xfffe
	s_add_nc_u64 s[76:77], s[52:53], s[76:77]
	s_mul_hi_u32 s73, s17, s74
	s_mul_hi_u32 s79, s17, s75
	s_wait_alu 0xfffe
	s_add_co_u32 s52, s76, s78
	s_add_co_ci_u32 s52, s77, s73
	s_mul_i32 s74, s17, s75
	s_add_co_ci_u32 s75, s79, 0
	s_wait_alu 0xfffe
	s_add_nc_u64 s[74:75], s[52:53], s[74:75]
	s_wait_alu 0xfffe
	s_add_co_u32 s16, s16, s74
	s_cselect_b32 s73, -1, 0
	s_wait_alu 0xfffe
	s_mul_hi_u32 s52, s14, s16
	s_cmp_lg_u32 s73, 0
	s_mul_hi_u32 s73, s15, s16
	s_add_co_ci_u32 s74, s17, s75
	s_mul_i32 s75, s15, s16
	s_wait_alu 0xfffe
	s_mul_hi_u32 s17, s14, s74
	s_mul_i32 s16, s14, s74
	s_mul_hi_u32 s76, s15, s74
	s_wait_alu 0xfffe
	s_add_nc_u64 s[16:17], s[52:53], s[16:17]
	s_mul_i32 s74, s15, s74
	s_wait_alu 0xfffe
	s_add_co_u32 s16, s16, s75
	s_add_co_ci_u32 s52, s17, s73
	s_add_co_ci_u32 s75, s76, 0
	s_wait_alu 0xfffe
	s_add_nc_u64 s[16:17], s[52:53], s[74:75]
	s_wait_alu 0xfffe
	s_mul_u64 s[16:17], s[46:47], s[16:17]
	s_wait_alu 0xfffe
	s_sub_co_u32 s16, s14, s16
	s_cselect_b32 s52, -1, 0
	s_wait_alu 0xfffe
	s_cmp_lg_u32 s52, 0
	s_sub_co_ci_u32 s17, s15, s17
	s_sub_co_u32 s52, s16, s46
	s_cselect_b32 s73, -1, 0
	s_wait_alu 0xfffe
	s_cmp_lg_u32 s73, 0
	s_sub_co_ci_u32 s73, s17, 0
	;; [unrolled: 5-line block ×3, first 2 shown]
	s_cmp_ge_u32 s52, s46
	s_cselect_b32 s76, -1, 0
	s_cmp_eq_u32 s73, 0
	s_wait_alu 0xfffe
	s_cselect_b32 s76, s76, -1
	s_wait_alu 0xfffe
	s_cmp_lg_u32 s76, 0
	s_cselect_b32 s73, s75, s73
	s_cselect_b32 s52, s74, s52
	s_cmp_ge_u32 s16, s46
	s_cselect_b32 s74, -1, 0
	s_cmp_eq_u32 s17, 0
	s_wait_alu 0xfffe
	s_cselect_b32 s74, s74, -1
	s_wait_alu 0xfffe
	s_cmp_lg_u32 s74, 0
	s_cselect_b32 s17, s73, s17
	s_cselect_b32 s16, s52, s16
	s_cbranch_execnz .LBB119_213
.LBB119_212:                            ;   in Loop: Header=BB119_45 Depth=1
	v_cvt_f32_u32_e32 v2, s46
	s_sub_co_i32 s17, 0, s46
	s_delay_alu instid0(VALU_DEP_1) | instskip(NEXT) | instid1(TRANS32_DEP_1)
	v_rcp_iflag_f32_e32 v2, v2
	v_mul_f32_e32 v2, 0x4f7ffffe, v2
	s_delay_alu instid0(VALU_DEP_1) | instskip(NEXT) | instid1(VALU_DEP_1)
	v_cvt_u32_f32_e32 v2, v2
	v_readfirstlane_b32 s16, v2
	s_wait_alu 0xfffe
	s_mul_i32 s17, s17, s16
	s_wait_alu 0xfffe
	s_mul_hi_u32 s17, s16, s17
	s_wait_alu 0xfffe
	s_add_co_i32 s16, s16, s17
	s_wait_alu 0xfffe
	s_mul_hi_u32 s16, s14, s16
	s_wait_alu 0xfffe
	s_mul_i32 s16, s16, s46
	s_wait_alu 0xfffe
	s_sub_co_i32 s16, s14, s16
	s_wait_alu 0xfffe
	s_sub_co_i32 s17, s16, s46
	s_cmp_ge_u32 s16, s46
	s_wait_alu 0xfffe
	s_cselect_b32 s16, s17, s16
	s_wait_alu 0xfffe
	s_sub_co_i32 s17, s16, s46
	s_cmp_ge_u32 s16, s46
	s_wait_alu 0xfffe
	s_cselect_b32 s52, s17, s16
	s_wait_alu 0xfffe
	s_mov_b64 s[16:17], s[52:53]
.LBB119_213:                            ;   in Loop: Header=BB119_45 Depth=1
	s_wait_alu 0xfffe
	s_sub_nc_u64 s[14:15], s[14:15], s[16:17]
	s_mov_b32 s17, 0
	s_mov_b32 s16, 0
	s_mov_b32 s52, exec_lo
                                        ; implicit-def: $vgpr6_vgpr7
	s_wait_alu 0xfffe
	v_cmpx_gt_u64_e64 s[14:15], v[0:1]
	s_cbranch_execz .LBB119_225
; %bb.214:                              ;   in Loop: Header=BB119_45 Depth=1
	v_dual_mov_b32 v12, v47 :: v_dual_mov_b32 v11, v1
	v_mov_b32_e32 v10, v0
                                        ; implicit-def: $sgpr73
	s_branch .LBB119_218
.LBB119_215:                            ;   in Loop: Header=BB119_218 Depth=2
	s_wait_alu 0xfffe
	s_or_b32 exec_lo, exec_lo, s74
	s_wait_loadcnt_dscnt 0x0
	s_barrier_signal -1
	s_barrier_wait -1
	global_inv scope:SCOPE_SE
	ds_load_b128 v[4:7], v21 offset:3072
	s_wait_loadcnt_dscnt 0x0
	s_barrier_signal -1
	s_barrier_wait -1
	global_inv scope:SCOPE_SE
	v_cmp_neq_f64_e32 vcc_lo, 0, v[4:5]
	s_cbranch_vccnz .LBB119_221
; %bb.216:                              ;   in Loop: Header=BB119_218 Depth=2
	v_add_co_u32 v10, vcc_lo, v10, s46
	s_wait_alu 0xfffd
	v_add_co_ci_u32_e64 v11, null, 0, v11, vcc_lo
	v_add_nc_u32_e32 v12, s88, v12
	s_mov_b32 s74, 0
	s_delay_alu instid0(VALU_DEP_2)
	v_cmp_le_u64_e32 vcc_lo, s[14:15], v[10:11]
	s_or_not1_b32 s75, vcc_lo, exec_lo
.LBB119_217:                            ;   in Loop: Header=BB119_218 Depth=2
	s_wait_alu 0xfffe
	s_and_b32 s75, exec_lo, s75
	s_wait_alu 0xfffe
	s_or_b32 s16, s75, s16
	s_and_not1_b32 s73, s73, exec_lo
	s_and_b32 s74, s74, exec_lo
	s_wait_alu 0xfffe
	s_or_b32 s73, s73, s74
	s_and_not1_b32 exec_lo, exec_lo, s16
	s_cbranch_execz .LBB119_224
.LBB119_218:                            ;   Parent Loop BB119_45 Depth=1
                                        ; =>  This Inner Loop Header: Depth=2
	s_mov_b32 s74, exec_lo
	s_delay_alu instid0(VALU_DEP_1)
	v_cmpx_gt_u64_e64 s[4:5], v[10:11]
	s_cbranch_execz .LBB119_215
; %bb.219:                              ;   in Loop: Header=BB119_218 Depth=2
	ds_load_b64 v[4:5], v12
	s_wait_dscnt 0x0
	v_cmp_o_f64_e32 vcc_lo, v[4:5], v[4:5]
	v_ashrrev_i32_e32 v2, 31, v5
	s_delay_alu instid0(VALU_DEP_1) | instskip(SKIP_1) | instid1(VALU_DEP_2)
	v_or_b32_e32 v6, 0x80000000, v2
	v_xor_b32_e32 v2, v2, v4
	v_xor_b32_e32 v6, v6, v5
	s_wait_alu 0xfffd
	s_delay_alu instid0(VALU_DEP_1) | instskip(NEXT) | instid1(VALU_DEP_1)
	v_cndmask_b32_e32 v6, -1, v6, vcc_lo
	v_dual_cndmask_b32 v2, -1, v2 :: v_dual_and_b32 v7, v6, v35
	s_delay_alu instid0(VALU_DEP_1) | instskip(NEXT) | instid1(VALU_DEP_1)
	v_and_b32_e32 v6, v2, v34
	v_cmp_eq_u64_e32 vcc_lo, v[6:7], v[32:33]
	s_and_b32 exec_lo, exec_lo, vcc_lo
	s_cbranch_execz .LBB119_215
; %bb.220:                              ;   in Loop: Header=BB119_218 Depth=2
	v_mov_b32_e32 v2, v21
	ds_store_b128 v21, v[2:5] offset:3072
	s_branch .LBB119_215
.LBB119_221:                            ;   in Loop: Header=BB119_218 Depth=2
	s_mov_b32 s75, -1
	s_mov_b32 s74, -1
                                        ; implicit-def: $vgpr10_vgpr11
                                        ; implicit-def: $vgpr12
	s_branch .LBB119_217
.LBB119_222:                            ;   in Loop: Header=BB119_45 Depth=1
                                        ; implicit-def: $sgpr16_sgpr17
	s_branch .LBB119_161
.LBB119_223:                            ;   in Loop: Header=BB119_45 Depth=1
                                        ; implicit-def: $sgpr4_sgpr5
	s_branch .LBB119_181
.LBB119_224:                            ;   in Loop: Header=BB119_45 Depth=1
	s_or_b32 exec_lo, exec_lo, s16
	s_wait_alu 0xfffe
	s_and_b32 s16, s73, exec_lo
.LBB119_225:                            ;   in Loop: Header=BB119_45 Depth=1
	s_or_b32 exec_lo, exec_lo, s52
.LBB119_226:                            ;   in Loop: Header=BB119_45 Depth=1
	s_wait_alu 0xfffe
	s_and_b32 vcc_lo, exec_lo, s17
	s_wait_alu 0xfffe
	s_cbranch_vccz .LBB119_241
; %bb.227:                              ;   in Loop: Header=BB119_45 Depth=1
	s_mov_b32 s4, s53
	s_mov_b32 s5, s59
	s_wait_alu 0xfffe
	s_cmp_lg_u64 s[4:5], 0
	s_cbranch_scc0 .LBB119_270
; %bb.228:                              ;   in Loop: Header=BB119_45 Depth=1
	s_cvt_f32_u32 s4, s46
	s_sub_nc_u64 s[14:15], 0, s[46:47]
	s_wait_alu 0xfffe
	s_delay_alu instid0(SALU_CYCLE_1) | instskip(SKIP_1) | instid1(SALU_CYCLE_2)
	s_fmamk_f32 s4, s91, 0x0, s4
	s_wait_alu 0xfffe
	v_s_rcp_f32 s4, s4
	s_delay_alu instid0(TRANS32_DEP_1) | instskip(SKIP_1) | instid1(SALU_CYCLE_2)
	s_mul_f32 s4, s4, 0x5f7ffffc
	s_wait_alu 0xfffe
	s_mul_f32 s5, s4, 0x2f800000
	s_wait_alu 0xfffe
	s_delay_alu instid0(SALU_CYCLE_2) | instskip(SKIP_1) | instid1(SALU_CYCLE_2)
	s_trunc_f32 s5, s5
	s_wait_alu 0xfffe
	s_fmamk_f32 s4, s5, 0xcf800000, s4
	s_cvt_u32_f32 s5, s5
	s_wait_alu 0xfffe
	s_delay_alu instid0(SALU_CYCLE_1) | instskip(SKIP_1) | instid1(SALU_CYCLE_2)
	s_cvt_u32_f32 s4, s4
	s_wait_alu 0xfffe
	s_mul_u64 s[74:75], s[14:15], s[4:5]
	s_wait_alu 0xfffe
	s_mul_hi_u32 s77, s4, s75
	s_mul_i32 s76, s4, s75
	s_mul_hi_u32 s52, s4, s74
	s_mul_i32 s69, s5, s74
	s_wait_alu 0xfffe
	s_add_nc_u64 s[76:77], s[52:53], s[76:77]
	s_mul_hi_u32 s17, s5, s74
	s_mul_hi_u32 s70, s5, s75
	s_wait_alu 0xfffe
	s_add_co_u32 s52, s76, s69
	s_add_co_ci_u32 s52, s77, s17
	s_mul_i32 s74, s5, s75
	s_add_co_ci_u32 s75, s70, 0
	s_wait_alu 0xfffe
	s_add_nc_u64 s[74:75], s[52:53], s[74:75]
	s_wait_alu 0xfffe
	s_add_co_u32 s4, s4, s74
	s_cselect_b32 s17, -1, 0
	s_wait_alu 0xfffe
	s_cmp_lg_u32 s17, 0
	s_add_co_ci_u32 s5, s5, s75
	s_wait_alu 0xfffe
	s_mul_u64 s[14:15], s[14:15], s[4:5]
	s_wait_alu 0xfffe
	s_mul_hi_u32 s75, s4, s15
	s_mul_i32 s74, s4, s15
	s_mul_hi_u32 s52, s4, s14
	s_mul_i32 s69, s5, s14
	s_wait_alu 0xfffe
	s_add_nc_u64 s[74:75], s[52:53], s[74:75]
	s_mul_hi_u32 s17, s5, s14
	s_mul_hi_u32 s70, s5, s15
	s_mul_i32 s14, s5, s15
	s_wait_alu 0xfffe
	s_add_co_u32 s15, s74, s69
	s_add_co_ci_u32 s52, s75, s17
	s_add_co_ci_u32 s15, s70, 0
	s_wait_alu 0xfffe
	s_add_nc_u64 s[14:15], s[52:53], s[14:15]
	s_wait_alu 0xfffe
	s_add_co_u32 s4, s4, s14
	s_cselect_b32 s14, -1, 0
	s_wait_alu 0xfffe
	s_mul_hi_u32 s52, s58, s4
	s_cmp_lg_u32 s14, 0
	s_mul_hi_u32 s17, s59, s4
	s_add_co_ci_u32 s14, s5, s15
	s_mul_i32 s15, s59, s4
	s_wait_alu 0xfffe
	s_mul_hi_u32 s5, s58, s14
	s_mul_i32 s4, s58, s14
	s_mul_hi_u32 s69, s59, s14
	s_wait_alu 0xfffe
	s_add_nc_u64 s[4:5], s[52:53], s[4:5]
	s_mul_i32 s14, s59, s14
	s_wait_alu 0xfffe
	s_add_co_u32 s4, s4, s15
	s_add_co_ci_u32 s52, s5, s17
	s_add_co_ci_u32 s15, s69, 0
	s_wait_alu 0xfffe
	s_add_nc_u64 s[4:5], s[52:53], s[14:15]
	s_wait_alu 0xfffe
	s_mul_u64 s[4:5], s[46:47], s[4:5]
	s_wait_alu 0xfffe
	s_sub_co_u32 s4, s58, s4
	s_cselect_b32 s14, -1, 0
	s_wait_alu 0xfffe
	s_cmp_lg_u32 s14, 0
	s_sub_co_ci_u32 s5, s59, s5
	s_sub_co_u32 s14, s4, s46
	s_cselect_b32 s15, -1, 0
	s_wait_alu 0xfffe
	s_cmp_lg_u32 s15, 0
	s_sub_co_ci_u32 s15, s5, 0
	;; [unrolled: 5-line block ×3, first 2 shown]
	s_cmp_ge_u32 s14, s46
	s_cselect_b32 s69, -1, 0
	s_cmp_eq_u32 s15, 0
	s_cselect_b32 s69, s69, -1
	s_delay_alu instid0(SALU_CYCLE_1)
	s_cmp_lg_u32 s69, 0
	s_wait_alu 0xfffe
	s_cselect_b32 s15, s52, s15
	s_cselect_b32 s14, s17, s14
	s_cmp_ge_u32 s4, s46
	s_cselect_b32 s17, -1, 0
	s_cmp_eq_u32 s5, 0
	s_wait_alu 0xfffe
	s_cselect_b32 s17, s17, -1
	s_wait_alu 0xfffe
	s_cmp_lg_u32 s17, 0
	s_cselect_b32 s5, s15, s5
	s_cselect_b32 s4, s14, s4
	s_cbranch_execnz .LBB119_230
.LBB119_229:                            ;   in Loop: Header=BB119_45 Depth=1
	v_cvt_f32_u32_e32 v2, s46
	s_sub_co_i32 s5, 0, s46
	s_delay_alu instid0(VALU_DEP_1) | instskip(NEXT) | instid1(TRANS32_DEP_1)
	v_rcp_iflag_f32_e32 v2, v2
	v_mul_f32_e32 v2, 0x4f7ffffe, v2
	s_delay_alu instid0(VALU_DEP_1) | instskip(NEXT) | instid1(VALU_DEP_1)
	v_cvt_u32_f32_e32 v2, v2
	v_readfirstlane_b32 s4, v2
	s_wait_alu 0xfffe
	s_mul_i32 s5, s5, s4
	s_wait_alu 0xfffe
	s_mul_hi_u32 s5, s4, s5
	s_wait_alu 0xfffe
	s_add_co_i32 s4, s4, s5
	s_wait_alu 0xfffe
	s_mul_hi_u32 s4, s58, s4
	s_wait_alu 0xfffe
	s_mul_i32 s4, s4, s46
	s_wait_alu 0xfffe
	s_sub_co_i32 s4, s58, s4
	s_wait_alu 0xfffe
	s_sub_co_i32 s5, s4, s46
	s_cmp_ge_u32 s4, s46
	s_wait_alu 0xfffe
	s_cselect_b32 s4, s5, s4
	s_wait_alu 0xfffe
	s_sub_co_i32 s5, s4, s46
	s_cmp_ge_u32 s4, s46
	s_wait_alu 0xfffe
	s_cselect_b32 s52, s5, s4
	s_wait_alu 0xfffe
	s_mov_b64 s[4:5], s[52:53]
.LBB119_230:                            ;   in Loop: Header=BB119_45 Depth=1
	s_wait_alu 0xfffe
	s_sub_nc_u64 s[14:15], s[58:59], s[4:5]
	s_mov_b32 s5, exec_lo
                                        ; implicit-def: $vgpr6_vgpr7
	s_wait_alu 0xfffe
	v_cmpx_gt_u64_e64 s[14:15], v[0:1]
	s_cbranch_execz .LBB119_240
; %bb.231:                              ;   in Loop: Header=BB119_45 Depth=1
	v_dual_mov_b32 v10, v16 :: v_dual_mov_b32 v11, v17
	v_dual_mov_b32 v13, v1 :: v_dual_mov_b32 v12, v0
	s_mov_b32 s17, 0
                                        ; implicit-def: $sgpr52
	s_branch .LBB119_235
.LBB119_232:                            ;   in Loop: Header=BB119_235 Depth=2
	s_wait_alu 0xfffe
	s_or_b32 exec_lo, exec_lo, s4
	s_wait_loadcnt_dscnt 0x0
	s_barrier_signal -1
	s_barrier_wait -1
	global_inv scope:SCOPE_SE
	ds_load_b128 v[4:7], v21 offset:3072
	s_wait_loadcnt_dscnt 0x0
	s_barrier_signal -1
	s_barrier_wait -1
	global_inv scope:SCOPE_SE
	v_cmp_eq_f64_e32 vcc_lo, 0, v[4:5]
	s_cbranch_vccz .LBB119_238
; %bb.233:                              ;   in Loop: Header=BB119_235 Depth=2
	v_add_co_u32 v12, vcc_lo, v12, s46
	s_wait_alu 0xfffd
	v_add_co_ci_u32_e64 v13, null, 0, v13, vcc_lo
	v_add_co_u32 v10, s4, v10, s48
	s_wait_alu 0xf1ff
	v_add_co_ci_u32_e64 v11, null, s49, v11, s4
	s_delay_alu instid0(VALU_DEP_3)
	v_cmp_le_u64_e32 vcc_lo, s[14:15], v[12:13]
	s_mov_b32 s4, 0
	s_or_not1_b32 s69, vcc_lo, exec_lo
.LBB119_234:                            ;   in Loop: Header=BB119_235 Depth=2
	s_delay_alu instid0(SALU_CYCLE_1) | instskip(NEXT) | instid1(SALU_CYCLE_1)
	s_and_b32 s69, exec_lo, s69
	s_or_b32 s17, s69, s17
	s_and_not1_b32 s52, s52, exec_lo
	s_wait_alu 0xfffe
	s_and_b32 s4, s4, exec_lo
	s_wait_alu 0xfffe
	s_or_b32 s52, s52, s4
	s_and_not1_b32 exec_lo, exec_lo, s17
	s_cbranch_execz .LBB119_239
.LBB119_235:                            ;   Parent Loop BB119_45 Depth=1
                                        ; =>  This Inner Loop Header: Depth=2
	s_mov_b32 s4, exec_lo
	s_delay_alu instid0(VALU_DEP_1)
	v_cmpx_gt_u64_e64 s[24:25], v[12:13]
	s_cbranch_execz .LBB119_232
; %bb.236:                              ;   in Loop: Header=BB119_235 Depth=2
	global_load_b64 v[4:5], v[10:11], off
	s_wait_loadcnt 0x0
	v_cmp_o_f64_e32 vcc_lo, v[4:5], v[4:5]
	v_ashrrev_i32_e32 v2, 31, v5
	s_delay_alu instid0(VALU_DEP_1) | instskip(SKIP_1) | instid1(VALU_DEP_2)
	v_or_b32_e32 v6, 0x80000000, v2
	v_xor_b32_e32 v2, v2, v4
	v_xor_b32_e32 v6, v6, v5
	s_wait_alu 0xfffd
	s_delay_alu instid0(VALU_DEP_1) | instskip(NEXT) | instid1(VALU_DEP_1)
	v_cndmask_b32_e32 v6, -1, v6, vcc_lo
	v_dual_cndmask_b32 v2, -1, v2 :: v_dual_and_b32 v7, v6, v35
	s_delay_alu instid0(VALU_DEP_1) | instskip(NEXT) | instid1(VALU_DEP_1)
	v_and_b32_e32 v6, v2, v34
	v_cmp_eq_u64_e32 vcc_lo, v[6:7], v[32:33]
	s_and_b32 exec_lo, exec_lo, vcc_lo
	s_cbranch_execz .LBB119_232
; %bb.237:                              ;   in Loop: Header=BB119_235 Depth=2
	v_mov_b32_e32 v2, v21
	ds_store_b128 v21, v[2:5] offset:3072
	s_branch .LBB119_232
.LBB119_238:                            ;   in Loop: Header=BB119_235 Depth=2
	s_mov_b32 s69, -1
	s_mov_b32 s4, -1
                                        ; implicit-def: $vgpr12_vgpr13
                                        ; implicit-def: $vgpr10_vgpr11
	s_branch .LBB119_234
.LBB119_239:                            ;   in Loop: Header=BB119_45 Depth=1
	s_or_b32 exec_lo, exec_lo, s17
	s_delay_alu instid0(SALU_CYCLE_1)
	s_and_not1_b32 s4, s16, exec_lo
	s_wait_alu 0xfffe
	s_and_b32 s14, s52, exec_lo
	s_wait_alu 0xfffe
	s_or_b32 s16, s4, s14
.LBB119_240:                            ;   in Loop: Header=BB119_45 Depth=1
	s_or_b32 exec_lo, exec_lo, s5
	s_mov_b32 s69, 0
	s_mov_b32 s70, -1
.LBB119_241:                            ;   in Loop: Header=BB119_45 Depth=1
	s_wait_alu 0xfffe
	s_or_not1_b32 s4, s16, exec_lo
.LBB119_242:                            ;   in Loop: Header=BB119_45 Depth=1
	s_wait_alu 0xfffe
	s_or_b32 exec_lo, exec_lo, s72
	s_mov_b32 s5, 0
	s_and_saveexec_b32 s14, s4
	s_cbranch_execz .LBB119_302
; %bb.243:                              ;   in Loop: Header=BB119_45 Depth=1
	v_mov_b32_e32 v10, 1
	v_dual_mov_b32 v11, 0 :: v_dual_mov_b32 v38, 1
	s_xor_b32 s15, s71, -1
	s_wait_alu 0xfffe
	s_and_saveexec_b32 s4, s15
	s_cbranch_execz .LBB119_252
; %bb.244:                              ;   in Loop: Header=BB119_45 Depth=1
	s_mov_b32 s5, exec_lo
	v_cmpx_ge_u64_e64 s[10:11], v[8:9]
	s_wait_alu 0xfffe
	s_xor_b32 s5, exec_lo, s5
	s_cbranch_execz .LBB119_249
; %bb.245:                              ;   in Loop: Header=BB119_45 Depth=1
	ds_load_b64 v[4:5], v21 offset:5120
	v_and_b32_e32 v2, s13, v33
	v_and_b32_e32 v10, s12, v32
	s_lshl_b64 s[12:13], 2, s89
	v_or_b32_e32 v35, s9, v35
	v_or_b32_e32 v34, s8, v34
	s_wait_alu 0xfffe
	v_or_b32_e32 v33, s13, v2
	v_or_b32_e32 v32, s12, v10
	s_wait_dscnt 0x0
	v_cmp_ne_u64_e32 vcc_lo, 0, v[4:5]
	s_cbranch_vccnz .LBB119_249
; %bb.246:                              ;   in Loop: Header=BB119_45 Depth=1
	s_and_saveexec_b32 s12, s3
; %bb.247:                              ;   in Loop: Header=BB119_45 Depth=1
	v_dual_mov_b32 v4, s10 :: v_dual_mov_b32 v5, s11
	ds_store_b64 v21, v[4:5] offset:5128
; %bb.248:                              ;   in Loop: Header=BB119_45 Depth=1
	s_wait_alu 0xfffe
	s_or_b32 exec_lo, exec_lo, s12
	s_wait_loadcnt_dscnt 0x0
	s_barrier_signal -1
	s_barrier_wait -1
	global_inv scope:SCOPE_SE
.LBB119_249:                            ;   in Loop: Header=BB119_45 Depth=1
	s_wait_alu 0xfffe
	s_or_saveexec_b32 s5, s5
	v_mov_b32_e32 v38, 8
	s_mov_b32 s12, 0
	s_wait_alu 0xfffe
	s_xor_b32 exec_lo, exec_lo, s5
; %bb.250:                              ;   in Loop: Header=BB119_45 Depth=1
	v_sub_co_u32 v8, vcc_lo, v8, s10
	s_wait_alu 0xfffd
	v_subrev_co_ci_u32_e64 v9, null, s11, v9, vcc_lo
	v_mov_b32_e32 v38, 0
	s_mov_b32 s12, exec_lo
; %bb.251:                              ;   in Loop: Header=BB119_45 Depth=1
	s_or_b32 exec_lo, exec_lo, s5
	s_delay_alu instid0(VALU_DEP_2)
	v_dual_mov_b32 v11, v9 :: v_dual_mov_b32 v10, v8
	s_wait_alu 0xfffe
	s_and_b32 s5, s12, exec_lo
.LBB119_252:                            ;   in Loop: Header=BB119_45 Depth=1
	s_wait_alu 0xfffe
	s_or_b32 exec_lo, exec_lo, s4
	s_mov_b32 s4, -1
                                        ; implicit-def: $sgpr72
                                        ; implicit-def: $sgpr71
	s_and_saveexec_b32 s15, s5
	s_cbranch_execz .LBB119_301
; %bb.253:                              ;   in Loop: Header=BB119_45 Depth=1
	v_cmp_eq_u64_e32 vcc_lo, 1, v[10:11]
	s_cmp_eq_u64 s[6:7], 1
	s_mov_b32 s5, -1
	s_cselect_b32 s4, -1, 0
                                        ; implicit-def: $sgpr72
                                        ; implicit-def: $sgpr71
	s_wait_alu 0xfffe
	s_and_b32 s16, s4, vcc_lo
	s_wait_alu 0xfffe
	s_and_saveexec_b32 s17, s16
	s_cbranch_execz .LBB119_289
; %bb.254:                              ;   in Loop: Header=BB119_45 Depth=1
	ds_load_b64 v[4:5], v21 offset:5120
	s_wait_loadcnt_dscnt 0x0
	s_barrier_signal -1
	s_barrier_wait -1
	global_inv scope:SCOPE_SE
	v_readfirstlane_b32 s4, v4
	v_readfirstlane_b32 s5, v5
	s_and_saveexec_b32 s10, s0
; %bb.255:                              ;   in Loop: Header=BB119_45 Depth=1
	v_mov_b32_e32 v20, v21
	ds_store_b64 v48, v[20:21]
; %bb.256:                              ;   in Loop: Header=BB119_45 Depth=1
	s_wait_alu 0xfffe
	s_or_b32 exec_lo, exec_lo, s10
	v_or_b32_e32 v33, s9, v33
	v_or_b32_e32 v32, s8, v32
	;; [unrolled: 1-line block ×4, first 2 shown]
	s_mov_b32 s71, -1
	s_mov_b32 s72, 0
	s_cmp_eq_u64 s[4:5], 0
	s_mov_b32 s12, 0
	s_mov_b32 s13, -1
	s_wait_loadcnt_dscnt 0x0
	s_barrier_signal -1
	s_barrier_wait -1
	global_inv scope:SCOPE_SE
                                        ; implicit-def: $vgpr6_vgpr7
	s_cbranch_scc1 .LBB119_273
; %bb.257:                              ;   in Loop: Header=BB119_45 Depth=1
	s_add_nc_u64 s[10:11], s[4:5], s[56:57]
	s_mov_b32 s12, s53
	s_wait_alu 0xfffe
	s_mov_b32 s13, s11
	s_wait_alu 0xfffe
	s_cmp_lg_u64 s[12:13], 0
	s_cbranch_scc0 .LBB119_308
; %bb.258:                              ;   in Loop: Header=BB119_45 Depth=1
	s_cvt_f32_u32 s12, s46
	s_sub_nc_u64 s[74:75], 0, s[46:47]
	s_wait_alu 0xfffe
	s_delay_alu instid0(SALU_CYCLE_1) | instskip(SKIP_1) | instid1(SALU_CYCLE_2)
	s_fmamk_f32 s12, s91, 0x0, s12
	s_wait_alu 0xfffe
	v_s_rcp_f32 s12, s12
	s_delay_alu instid0(TRANS32_DEP_1) | instskip(SKIP_1) | instid1(SALU_CYCLE_2)
	s_mul_f32 s12, s12, 0x5f7ffffc
	s_wait_alu 0xfffe
	s_mul_f32 s13, s12, 0x2f800000
	s_wait_alu 0xfffe
	s_delay_alu instid0(SALU_CYCLE_2) | instskip(SKIP_1) | instid1(SALU_CYCLE_2)
	s_trunc_f32 s13, s13
	s_wait_alu 0xfffe
	s_fmamk_f32 s12, s13, 0xcf800000, s12
	s_cvt_u32_f32 s13, s13
	s_wait_alu 0xfffe
	s_delay_alu instid0(SALU_CYCLE_1) | instskip(SKIP_1) | instid1(SALU_CYCLE_2)
	s_cvt_u32_f32 s12, s12
	s_wait_alu 0xfffe
	s_mul_u64 s[76:77], s[74:75], s[12:13]
	s_wait_alu 0xfffe
	s_mul_hi_u32 s79, s12, s77
	s_mul_i32 s78, s12, s77
	s_mul_hi_u32 s52, s12, s76
	s_mul_i32 s80, s13, s76
	s_wait_alu 0xfffe
	s_add_nc_u64 s[78:79], s[52:53], s[78:79]
	s_mul_hi_u32 s73, s13, s76
	s_mul_hi_u32 s81, s13, s77
	s_wait_alu 0xfffe
	s_add_co_u32 s52, s78, s80
	s_add_co_ci_u32 s52, s79, s73
	s_mul_i32 s76, s13, s77
	s_add_co_ci_u32 s77, s81, 0
	s_wait_alu 0xfffe
	s_add_nc_u64 s[76:77], s[52:53], s[76:77]
	s_wait_alu 0xfffe
	s_add_co_u32 s12, s12, s76
	s_cselect_b32 s52, -1, 0
	s_wait_alu 0xfffe
	s_cmp_lg_u32 s52, 0
	s_add_co_ci_u32 s13, s13, s77
	s_wait_alu 0xfffe
	s_mul_u64 s[74:75], s[74:75], s[12:13]
	s_wait_alu 0xfffe
	s_mul_hi_u32 s77, s12, s75
	s_mul_i32 s76, s12, s75
	s_mul_hi_u32 s52, s12, s74
	s_mul_i32 s78, s13, s74
	s_wait_alu 0xfffe
	s_add_nc_u64 s[76:77], s[52:53], s[76:77]
	s_mul_hi_u32 s73, s13, s74
	s_mul_hi_u32 s79, s13, s75
	s_wait_alu 0xfffe
	s_add_co_u32 s52, s76, s78
	s_add_co_ci_u32 s52, s77, s73
	s_mul_i32 s74, s13, s75
	s_add_co_ci_u32 s75, s79, 0
	s_wait_alu 0xfffe
	s_add_nc_u64 s[74:75], s[52:53], s[74:75]
	s_wait_alu 0xfffe
	s_add_co_u32 s12, s12, s74
	s_cselect_b32 s73, -1, 0
	s_wait_alu 0xfffe
	s_mul_hi_u32 s52, s10, s12
	s_cmp_lg_u32 s73, 0
	s_mul_hi_u32 s73, s11, s12
	s_add_co_ci_u32 s74, s13, s75
	s_mul_i32 s75, s11, s12
	s_wait_alu 0xfffe
	s_mul_hi_u32 s13, s10, s74
	s_mul_i32 s12, s10, s74
	s_mul_hi_u32 s76, s11, s74
	s_wait_alu 0xfffe
	s_add_nc_u64 s[12:13], s[52:53], s[12:13]
	s_mul_i32 s74, s11, s74
	s_wait_alu 0xfffe
	s_add_co_u32 s12, s12, s75
	s_add_co_ci_u32 s52, s13, s73
	s_add_co_ci_u32 s75, s76, 0
	s_wait_alu 0xfffe
	s_add_nc_u64 s[12:13], s[52:53], s[74:75]
	s_wait_alu 0xfffe
	s_mul_u64 s[12:13], s[46:47], s[12:13]
	s_wait_alu 0xfffe
	s_sub_co_u32 s12, s10, s12
	s_cselect_b32 s52, -1, 0
	s_wait_alu 0xfffe
	s_cmp_lg_u32 s52, 0
	s_sub_co_ci_u32 s13, s11, s13
	s_sub_co_u32 s52, s12, s46
	s_cselect_b32 s73, -1, 0
	s_wait_alu 0xfffe
	s_cmp_lg_u32 s73, 0
	s_sub_co_ci_u32 s73, s13, 0
	;; [unrolled: 5-line block ×3, first 2 shown]
	s_cmp_ge_u32 s52, s46
	s_cselect_b32 s76, -1, 0
	s_cmp_eq_u32 s73, 0
	s_wait_alu 0xfffe
	s_cselect_b32 s76, s76, -1
	s_wait_alu 0xfffe
	s_cmp_lg_u32 s76, 0
	s_cselect_b32 s73, s75, s73
	s_cselect_b32 s52, s74, s52
	s_cmp_ge_u32 s12, s46
	s_cselect_b32 s74, -1, 0
	s_cmp_eq_u32 s13, 0
	s_wait_alu 0xfffe
	s_cselect_b32 s74, s74, -1
	s_wait_alu 0xfffe
	s_cmp_lg_u32 s74, 0
	s_cselect_b32 s13, s73, s13
	s_cselect_b32 s12, s52, s12
	s_cbranch_execnz .LBB119_260
.LBB119_259:                            ;   in Loop: Header=BB119_45 Depth=1
	v_cvt_f32_u32_e32 v2, s46
	s_sub_co_i32 s13, 0, s46
	s_delay_alu instid0(VALU_DEP_1) | instskip(NEXT) | instid1(TRANS32_DEP_1)
	v_rcp_iflag_f32_e32 v2, v2
	v_mul_f32_e32 v2, 0x4f7ffffe, v2
	s_delay_alu instid0(VALU_DEP_1) | instskip(NEXT) | instid1(VALU_DEP_1)
	v_cvt_u32_f32_e32 v2, v2
	v_readfirstlane_b32 s12, v2
	s_wait_alu 0xfffe
	s_mul_i32 s13, s13, s12
	s_wait_alu 0xfffe
	s_mul_hi_u32 s13, s12, s13
	s_wait_alu 0xfffe
	s_add_co_i32 s12, s12, s13
	s_wait_alu 0xfffe
	s_mul_hi_u32 s12, s10, s12
	s_wait_alu 0xfffe
	s_mul_i32 s12, s12, s46
	s_wait_alu 0xfffe
	s_sub_co_i32 s12, s10, s12
	s_wait_alu 0xfffe
	s_sub_co_i32 s13, s12, s46
	s_cmp_ge_u32 s12, s46
	s_wait_alu 0xfffe
	s_cselect_b32 s12, s13, s12
	s_wait_alu 0xfffe
	s_sub_co_i32 s13, s12, s46
	s_cmp_ge_u32 s12, s46
	s_wait_alu 0xfffe
	s_cselect_b32 s52, s13, s12
	s_wait_alu 0xfffe
	s_mov_b64 s[12:13], s[52:53]
.LBB119_260:                            ;   in Loop: Header=BB119_45 Depth=1
	s_wait_alu 0xfffe
	s_sub_nc_u64 s[10:11], s[10:11], s[12:13]
	s_mov_b32 s13, 0
	s_mov_b32 s12, 0
	s_mov_b32 s52, exec_lo
                                        ; implicit-def: $vgpr6_vgpr7
	s_wait_alu 0xfffe
	v_cmpx_gt_u64_e64 s[10:11], v[0:1]
	s_cbranch_execz .LBB119_272
; %bb.261:                              ;   in Loop: Header=BB119_45 Depth=1
	v_dual_mov_b32 v12, v47 :: v_dual_mov_b32 v9, v1
	v_mov_b32_e32 v8, v0
                                        ; implicit-def: $sgpr73
	s_branch .LBB119_265
.LBB119_262:                            ;   in Loop: Header=BB119_265 Depth=2
	s_wait_alu 0xfffe
	s_or_b32 exec_lo, exec_lo, s74
	s_wait_loadcnt_dscnt 0x0
	s_barrier_signal -1
	s_barrier_wait -1
	global_inv scope:SCOPE_SE
	ds_load_b128 v[4:7], v21 offset:3072
	s_wait_loadcnt_dscnt 0x0
	s_barrier_signal -1
	s_barrier_wait -1
	global_inv scope:SCOPE_SE
	v_cmp_neq_f64_e32 vcc_lo, 0, v[4:5]
	s_cbranch_vccnz .LBB119_268
; %bb.263:                              ;   in Loop: Header=BB119_265 Depth=2
	v_add_co_u32 v8, vcc_lo, v8, s46
	s_wait_alu 0xfffd
	v_add_co_ci_u32_e64 v9, null, 0, v9, vcc_lo
	v_add_nc_u32_e32 v12, s88, v12
	s_mov_b32 s74, 0
	s_delay_alu instid0(VALU_DEP_2)
	v_cmp_le_u64_e32 vcc_lo, s[10:11], v[8:9]
	s_or_not1_b32 s75, vcc_lo, exec_lo
.LBB119_264:                            ;   in Loop: Header=BB119_265 Depth=2
	s_wait_alu 0xfffe
	s_and_b32 s75, exec_lo, s75
	s_wait_alu 0xfffe
	s_or_b32 s12, s75, s12
	s_and_not1_b32 s73, s73, exec_lo
	s_and_b32 s74, s74, exec_lo
	s_wait_alu 0xfffe
	s_or_b32 s73, s73, s74
	s_and_not1_b32 exec_lo, exec_lo, s12
	s_cbranch_execz .LBB119_271
.LBB119_265:                            ;   Parent Loop BB119_45 Depth=1
                                        ; =>  This Inner Loop Header: Depth=2
	s_mov_b32 s74, exec_lo
	s_delay_alu instid0(VALU_DEP_1)
	v_cmpx_gt_u64_e64 s[4:5], v[8:9]
	s_cbranch_execz .LBB119_262
; %bb.266:                              ;   in Loop: Header=BB119_265 Depth=2
	ds_load_b64 v[4:5], v12
	s_wait_dscnt 0x0
	v_cmp_o_f64_e32 vcc_lo, v[4:5], v[4:5]
	v_ashrrev_i32_e32 v2, 31, v5
	s_delay_alu instid0(VALU_DEP_1) | instskip(SKIP_1) | instid1(VALU_DEP_2)
	v_or_b32_e32 v6, 0x80000000, v2
	v_xor_b32_e32 v2, v2, v4
	v_xor_b32_e32 v6, v6, v5
	s_wait_alu 0xfffd
	s_delay_alu instid0(VALU_DEP_1) | instskip(NEXT) | instid1(VALU_DEP_1)
	v_cndmask_b32_e32 v6, -1, v6, vcc_lo
	v_dual_cndmask_b32 v2, -1, v2 :: v_dual_and_b32 v7, v6, v35
	s_delay_alu instid0(VALU_DEP_1) | instskip(NEXT) | instid1(VALU_DEP_1)
	v_and_b32_e32 v6, v2, v34
	v_cmp_eq_u64_e32 vcc_lo, v[6:7], v[32:33]
	s_and_b32 exec_lo, exec_lo, vcc_lo
	s_cbranch_execz .LBB119_262
; %bb.267:                              ;   in Loop: Header=BB119_265 Depth=2
	v_mov_b32_e32 v2, v21
	ds_store_b128 v21, v[2:5] offset:3072
	s_branch .LBB119_262
.LBB119_268:                            ;   in Loop: Header=BB119_265 Depth=2
	s_mov_b32 s75, -1
	s_mov_b32 s74, -1
                                        ; implicit-def: $vgpr8_vgpr9
                                        ; implicit-def: $vgpr12
	s_branch .LBB119_264
.LBB119_269:                            ;   in Loop: Header=BB119_45 Depth=1
                                        ; implicit-def: $sgpr16_sgpr17
	s_branch .LBB119_212
.LBB119_270:                            ;   in Loop: Header=BB119_45 Depth=1
                                        ; implicit-def: $sgpr4_sgpr5
	s_branch .LBB119_229
.LBB119_271:                            ;   in Loop: Header=BB119_45 Depth=1
	s_or_b32 exec_lo, exec_lo, s12
	s_wait_alu 0xfffe
	s_and_b32 s12, s73, exec_lo
.LBB119_272:                            ;   in Loop: Header=BB119_45 Depth=1
	s_or_b32 exec_lo, exec_lo, s52
.LBB119_273:                            ;   in Loop: Header=BB119_45 Depth=1
	s_wait_alu 0xfffe
	s_and_b32 vcc_lo, exec_lo, s13
	s_wait_alu 0xfffe
	s_cbranch_vccz .LBB119_288
; %bb.274:                              ;   in Loop: Header=BB119_45 Depth=1
	s_mov_b32 s4, s53
	s_mov_b32 s5, s59
	s_wait_alu 0xfffe
	s_cmp_lg_u64 s[4:5], 0
	s_cbranch_scc0 .LBB119_309
; %bb.275:                              ;   in Loop: Header=BB119_45 Depth=1
	s_cvt_f32_u32 s4, s46
	s_sub_nc_u64 s[10:11], 0, s[46:47]
	s_wait_alu 0xfffe
	s_delay_alu instid0(SALU_CYCLE_1) | instskip(SKIP_1) | instid1(SALU_CYCLE_2)
	s_fmamk_f32 s4, s91, 0x0, s4
	s_wait_alu 0xfffe
	v_s_rcp_f32 s4, s4
	s_delay_alu instid0(TRANS32_DEP_1) | instskip(SKIP_1) | instid1(SALU_CYCLE_2)
	s_mul_f32 s4, s4, 0x5f7ffffc
	s_wait_alu 0xfffe
	s_mul_f32 s5, s4, 0x2f800000
	s_wait_alu 0xfffe
	s_delay_alu instid0(SALU_CYCLE_2) | instskip(SKIP_1) | instid1(SALU_CYCLE_2)
	s_trunc_f32 s5, s5
	s_wait_alu 0xfffe
	s_fmamk_f32 s4, s5, 0xcf800000, s4
	s_cvt_u32_f32 s5, s5
	s_wait_alu 0xfffe
	s_delay_alu instid0(SALU_CYCLE_1) | instskip(SKIP_1) | instid1(SALU_CYCLE_2)
	s_cvt_u32_f32 s4, s4
	s_wait_alu 0xfffe
	s_mul_u64 s[72:73], s[10:11], s[4:5]
	s_wait_alu 0xfffe
	s_mul_hi_u32 s75, s4, s73
	s_mul_i32 s74, s4, s73
	s_mul_hi_u32 s52, s4, s72
	s_mul_i32 s71, s5, s72
	s_wait_alu 0xfffe
	s_add_nc_u64 s[74:75], s[52:53], s[74:75]
	s_mul_hi_u32 s13, s5, s72
	s_mul_hi_u32 s76, s5, s73
	s_wait_alu 0xfffe
	s_add_co_u32 s52, s74, s71
	s_add_co_ci_u32 s52, s75, s13
	s_mul_i32 s72, s5, s73
	s_add_co_ci_u32 s73, s76, 0
	s_wait_alu 0xfffe
	s_add_nc_u64 s[72:73], s[52:53], s[72:73]
	s_wait_alu 0xfffe
	s_add_co_u32 s4, s4, s72
	s_cselect_b32 s13, -1, 0
	s_wait_alu 0xfffe
	s_cmp_lg_u32 s13, 0
	s_add_co_ci_u32 s5, s5, s73
	s_wait_alu 0xfffe
	s_mul_u64 s[10:11], s[10:11], s[4:5]
	s_wait_alu 0xfffe
	s_mul_hi_u32 s73, s4, s11
	s_mul_i32 s72, s4, s11
	s_mul_hi_u32 s52, s4, s10
	s_mul_i32 s71, s5, s10
	s_wait_alu 0xfffe
	s_add_nc_u64 s[72:73], s[52:53], s[72:73]
	s_mul_hi_u32 s13, s5, s10
	s_mul_hi_u32 s74, s5, s11
	s_mul_i32 s10, s5, s11
	s_wait_alu 0xfffe
	s_add_co_u32 s11, s72, s71
	s_add_co_ci_u32 s52, s73, s13
	s_add_co_ci_u32 s11, s74, 0
	s_wait_alu 0xfffe
	s_add_nc_u64 s[10:11], s[52:53], s[10:11]
	s_wait_alu 0xfffe
	s_add_co_u32 s4, s4, s10
	s_cselect_b32 s10, -1, 0
	s_wait_alu 0xfffe
	s_mul_hi_u32 s52, s58, s4
	s_cmp_lg_u32 s10, 0
	s_mul_hi_u32 s13, s59, s4
	s_add_co_ci_u32 s10, s5, s11
	s_mul_i32 s11, s59, s4
	s_wait_alu 0xfffe
	s_mul_hi_u32 s5, s58, s10
	s_mul_i32 s4, s58, s10
	s_mul_hi_u32 s71, s59, s10
	s_wait_alu 0xfffe
	s_add_nc_u64 s[4:5], s[52:53], s[4:5]
	s_mul_i32 s10, s59, s10
	s_wait_alu 0xfffe
	s_add_co_u32 s4, s4, s11
	s_add_co_ci_u32 s52, s5, s13
	s_add_co_ci_u32 s11, s71, 0
	s_wait_alu 0xfffe
	s_add_nc_u64 s[4:5], s[52:53], s[10:11]
	s_wait_alu 0xfffe
	s_mul_u64 s[4:5], s[46:47], s[4:5]
	s_wait_alu 0xfffe
	s_sub_co_u32 s4, s58, s4
	s_cselect_b32 s10, -1, 0
	s_wait_alu 0xfffe
	s_cmp_lg_u32 s10, 0
	s_sub_co_ci_u32 s5, s59, s5
	s_sub_co_u32 s10, s4, s46
	s_cselect_b32 s11, -1, 0
	s_wait_alu 0xfffe
	s_cmp_lg_u32 s11, 0
	s_sub_co_ci_u32 s11, s5, 0
	;; [unrolled: 5-line block ×3, first 2 shown]
	s_cmp_ge_u32 s10, s46
	s_cselect_b32 s71, -1, 0
	s_cmp_eq_u32 s11, 0
	s_wait_alu 0xfffe
	s_cselect_b32 s71, s71, -1
	s_wait_alu 0xfffe
	s_cmp_lg_u32 s71, 0
	s_cselect_b32 s11, s52, s11
	s_cselect_b32 s10, s13, s10
	s_cmp_ge_u32 s4, s46
	s_cselect_b32 s13, -1, 0
	s_cmp_eq_u32 s5, 0
	s_wait_alu 0xfffe
	s_cselect_b32 s13, s13, -1
	s_wait_alu 0xfffe
	s_cmp_lg_u32 s13, 0
	s_cselect_b32 s5, s11, s5
	s_cselect_b32 s4, s10, s4
	s_cbranch_execnz .LBB119_277
.LBB119_276:                            ;   in Loop: Header=BB119_45 Depth=1
	v_cvt_f32_u32_e32 v2, s46
	s_sub_co_i32 s5, 0, s46
	s_delay_alu instid0(VALU_DEP_1) | instskip(NEXT) | instid1(TRANS32_DEP_1)
	v_rcp_iflag_f32_e32 v2, v2
	v_mul_f32_e32 v2, 0x4f7ffffe, v2
	s_delay_alu instid0(VALU_DEP_1) | instskip(NEXT) | instid1(VALU_DEP_1)
	v_cvt_u32_f32_e32 v2, v2
	v_readfirstlane_b32 s4, v2
	s_wait_alu 0xfffe
	s_mul_i32 s5, s5, s4
	s_wait_alu 0xfffe
	s_mul_hi_u32 s5, s4, s5
	s_wait_alu 0xfffe
	s_add_co_i32 s4, s4, s5
	s_wait_alu 0xfffe
	s_mul_hi_u32 s4, s58, s4
	s_wait_alu 0xfffe
	s_mul_i32 s4, s4, s46
	s_wait_alu 0xfffe
	s_sub_co_i32 s4, s58, s4
	s_wait_alu 0xfffe
	s_sub_co_i32 s5, s4, s46
	s_cmp_ge_u32 s4, s46
	s_wait_alu 0xfffe
	s_cselect_b32 s4, s5, s4
	s_wait_alu 0xfffe
	s_sub_co_i32 s5, s4, s46
	s_cmp_ge_u32 s4, s46
	s_wait_alu 0xfffe
	s_cselect_b32 s52, s5, s4
	s_wait_alu 0xfffe
	s_mov_b64 s[4:5], s[52:53]
.LBB119_277:                            ;   in Loop: Header=BB119_45 Depth=1
	s_wait_alu 0xfffe
	s_sub_nc_u64 s[10:11], s[58:59], s[4:5]
	s_mov_b32 s5, exec_lo
                                        ; implicit-def: $vgpr6_vgpr7
	s_wait_alu 0xfffe
	v_cmpx_gt_u64_e64 s[10:11], v[0:1]
	s_cbranch_execz .LBB119_287
; %bb.278:                              ;   in Loop: Header=BB119_45 Depth=1
	v_dual_mov_b32 v8, v16 :: v_dual_mov_b32 v9, v17
	v_dual_mov_b32 v13, v1 :: v_dual_mov_b32 v12, v0
	s_mov_b32 s13, 0
                                        ; implicit-def: $sgpr52
	s_branch .LBB119_282
.LBB119_279:                            ;   in Loop: Header=BB119_282 Depth=2
	s_wait_alu 0xfffe
	s_or_b32 exec_lo, exec_lo, s4
	s_wait_loadcnt_dscnt 0x0
	s_barrier_signal -1
	s_barrier_wait -1
	global_inv scope:SCOPE_SE
	ds_load_b128 v[4:7], v21 offset:3072
	s_wait_loadcnt_dscnt 0x0
	s_barrier_signal -1
	s_barrier_wait -1
	global_inv scope:SCOPE_SE
	v_cmp_eq_f64_e32 vcc_lo, 0, v[4:5]
	s_cbranch_vccz .LBB119_285
; %bb.280:                              ;   in Loop: Header=BB119_282 Depth=2
	v_add_co_u32 v12, vcc_lo, v12, s46
	s_wait_alu 0xfffd
	v_add_co_ci_u32_e64 v13, null, 0, v13, vcc_lo
	v_add_co_u32 v8, s4, v8, s48
	s_wait_alu 0xf1ff
	v_add_co_ci_u32_e64 v9, null, s49, v9, s4
	s_delay_alu instid0(VALU_DEP_3)
	v_cmp_le_u64_e32 vcc_lo, s[10:11], v[12:13]
	s_mov_b32 s4, 0
	s_or_not1_b32 s71, vcc_lo, exec_lo
.LBB119_281:                            ;   in Loop: Header=BB119_282 Depth=2
	s_wait_alu 0xfffe
	s_and_b32 s71, exec_lo, s71
	s_wait_alu 0xfffe
	s_or_b32 s13, s71, s13
	s_and_not1_b32 s52, s52, exec_lo
	s_and_b32 s4, s4, exec_lo
	s_wait_alu 0xfffe
	s_or_b32 s52, s52, s4
	s_and_not1_b32 exec_lo, exec_lo, s13
	s_cbranch_execz .LBB119_286
.LBB119_282:                            ;   Parent Loop BB119_45 Depth=1
                                        ; =>  This Inner Loop Header: Depth=2
	s_mov_b32 s4, exec_lo
	s_delay_alu instid0(VALU_DEP_1)
	v_cmpx_gt_u64_e64 s[24:25], v[12:13]
	s_cbranch_execz .LBB119_279
; %bb.283:                              ;   in Loop: Header=BB119_282 Depth=2
	global_load_b64 v[4:5], v[8:9], off
	s_wait_loadcnt 0x0
	v_cmp_o_f64_e32 vcc_lo, v[4:5], v[4:5]
	v_ashrrev_i32_e32 v2, 31, v5
	s_delay_alu instid0(VALU_DEP_1) | instskip(SKIP_1) | instid1(VALU_DEP_2)
	v_or_b32_e32 v6, 0x80000000, v2
	v_xor_b32_e32 v2, v2, v4
	v_xor_b32_e32 v6, v6, v5
	s_wait_alu 0xfffd
	s_delay_alu instid0(VALU_DEP_1) | instskip(NEXT) | instid1(VALU_DEP_1)
	v_cndmask_b32_e32 v6, -1, v6, vcc_lo
	v_dual_cndmask_b32 v2, -1, v2 :: v_dual_and_b32 v7, v6, v35
	s_delay_alu instid0(VALU_DEP_1) | instskip(NEXT) | instid1(VALU_DEP_1)
	v_and_b32_e32 v6, v2, v34
	v_cmp_eq_u64_e32 vcc_lo, v[6:7], v[32:33]
	s_and_b32 exec_lo, exec_lo, vcc_lo
	s_cbranch_execz .LBB119_279
; %bb.284:                              ;   in Loop: Header=BB119_282 Depth=2
	v_mov_b32_e32 v2, v21
	ds_store_b128 v21, v[2:5] offset:3072
	s_branch .LBB119_279
.LBB119_285:                            ;   in Loop: Header=BB119_282 Depth=2
	s_mov_b32 s71, -1
	s_mov_b32 s4, -1
                                        ; implicit-def: $vgpr12_vgpr13
                                        ; implicit-def: $vgpr8_vgpr9
	s_branch .LBB119_281
.LBB119_286:                            ;   in Loop: Header=BB119_45 Depth=1
	s_or_b32 exec_lo, exec_lo, s13
	s_delay_alu instid0(SALU_CYCLE_1)
	s_and_not1_b32 s4, s12, exec_lo
	s_wait_alu 0xfffe
	s_and_b32 s10, s52, exec_lo
	s_wait_alu 0xfffe
	s_or_b32 s12, s4, s10
.LBB119_287:                            ;   in Loop: Header=BB119_45 Depth=1
	s_or_b32 exec_lo, exec_lo, s5
	s_mov_b32 s71, 0
	s_mov_b32 s72, -1
.LBB119_288:                            ;   in Loop: Header=BB119_45 Depth=1
	s_wait_alu 0xfffe
	s_or_not1_b32 s5, s12, exec_lo
.LBB119_289:                            ;   in Loop: Header=BB119_45 Depth=1
	s_wait_alu 0xfffe
	s_or_b32 exec_lo, exec_lo, s17
	s_mov_b32 s10, 0
	s_and_saveexec_b32 s4, s5
	s_cbranch_execz .LBB119_300
; %bb.290:                              ;   in Loop: Header=BB119_45 Depth=1
	v_mov_b32_e32 v4, 1
	v_dual_mov_b32 v5, 0 :: v_dual_mov_b32 v38, 1
	s_xor_b32 s10, s16, -1
	s_wait_alu 0xfffe
	s_and_saveexec_b32 s5, s10
	s_cbranch_execz .LBB119_299
; %bb.291:                              ;   in Loop: Header=BB119_45 Depth=1
	s_mov_b32 s10, exec_lo
	v_cmpx_ge_u64_e64 s[6:7], v[10:11]
	s_wait_alu 0xfffe
	s_xor_b32 s10, exec_lo, s10
	s_cbranch_execz .LBB119_296
; %bb.292:                              ;   in Loop: Header=BB119_45 Depth=1
	ds_load_b64 v[4:5], v21 offset:5120
	v_or_b32_e32 v33, s9, v33
	v_or_b32_e32 v32, s8, v32
	;; [unrolled: 1-line block ×4, first 2 shown]
	s_wait_dscnt 0x0
	v_cmp_ne_u64_e32 vcc_lo, 0, v[4:5]
	s_cbranch_vccnz .LBB119_296
; %bb.293:                              ;   in Loop: Header=BB119_45 Depth=1
	s_and_saveexec_b32 s8, s3
; %bb.294:                              ;   in Loop: Header=BB119_45 Depth=1
	v_dual_mov_b32 v4, s6 :: v_dual_mov_b32 v5, s7
	ds_store_b64 v21, v[4:5] offset:5128
; %bb.295:                              ;   in Loop: Header=BB119_45 Depth=1
	s_wait_alu 0xfffe
	s_or_b32 exec_lo, exec_lo, s8
	s_wait_loadcnt_dscnt 0x0
	s_barrier_signal -1
	s_barrier_wait -1
	global_inv scope:SCOPE_SE
.LBB119_296:                            ;   in Loop: Header=BB119_45 Depth=1
	s_wait_alu 0xfffe
	s_and_not1_saveexec_b32 s8, s10
; %bb.297:                              ;   in Loop: Header=BB119_45 Depth=1
	v_sub_co_u32 v10, vcc_lo, v10, s6
	s_wait_alu 0xfffd
	v_subrev_co_ci_u32_e64 v11, null, s7, v11, vcc_lo
; %bb.298:                              ;   in Loop: Header=BB119_45 Depth=1
	s_wait_alu 0xfffe
	s_or_b32 exec_lo, exec_lo, s8
	v_mov_b32_e32 v4, v10
	s_delay_alu instid0(VALU_DEP_2)
	v_dual_mov_b32 v38, 8 :: v_dual_mov_b32 v5, v11
.LBB119_299:                            ;   in Loop: Header=BB119_45 Depth=1
	s_wait_alu 0xfffe
	s_or_b32 exec_lo, exec_lo, s5
	s_delay_alu instid0(VALU_DEP_1)
	v_dual_mov_b32 v11, v5 :: v_dual_mov_b32 v10, v4
	s_mov_b32 s10, exec_lo
.LBB119_300:                            ;   in Loop: Header=BB119_45 Depth=1
	s_wait_alu 0xfffe
	s_or_b32 exec_lo, exec_lo, s4
	s_delay_alu instid0(SALU_CYCLE_1)
	s_or_not1_b32 s4, s10, exec_lo
.LBB119_301:                            ;   in Loop: Header=BB119_45 Depth=1
	s_wait_alu 0xfffe
	s_or_b32 exec_lo, exec_lo, s15
	v_dual_mov_b32 v8, v10 :: v_dual_mov_b32 v9, v11
	s_and_not1_b32 s5, s70, exec_lo
	s_and_b32 s6, s72, exec_lo
	s_and_not1_b32 s7, s69, exec_lo
	s_and_b32 s8, s71, exec_lo
	s_wait_alu 0xfffe
	s_or_b32 s70, s5, s6
	s_or_b32 s69, s7, s8
	s_and_b32 s5, s4, exec_lo
.LBB119_302:                            ;   in Loop: Header=BB119_45 Depth=1
	s_wait_alu 0xfffe
	s_or_b32 exec_lo, exec_lo, s14
	s_delay_alu instid0(SALU_CYCLE_1)
	s_or_not1_b32 s4, s5, exec_lo
.LBB119_303:                            ;   in Loop: Header=BB119_45 Depth=1
	s_or_b32 exec_lo, exec_lo, s68
	v_dual_mov_b32 v13, v9 :: v_dual_mov_b32 v12, v8
	s_and_not1_b32 s5, s22, exec_lo
	s_and_b32 s6, s70, exec_lo
	s_and_not1_b32 s7, s21, exec_lo
	s_and_b32 s8, s69, exec_lo
	s_wait_alu 0xfffe
	s_or_b32 s22, s5, s6
	s_or_b32 s21, s7, s8
	s_and_b32 s5, s4, exec_lo
.LBB119_304:                            ;   in Loop: Header=BB119_45 Depth=1
	s_or_b32 exec_lo, exec_lo, s23
	s_wait_alu 0xfffe
	s_or_not1_b32 s4, s5, exec_lo
.LBB119_305:                            ;   in Loop: Header=BB119_45 Depth=1
	s_or_b32 exec_lo, exec_lo, s20
	s_mov_b32 s5, 0
	s_wait_alu 0xfffe
	s_and_saveexec_b32 s6, s4
	s_wait_alu 0xfffe
	s_xor_b32 s4, exec_lo, s6
	s_cbranch_execz .LBB119_43
; %bb.306:                              ;   in Loop: Header=BB119_45 Depth=1
	v_and_b32_e32 v2, 7, v38
	s_mov_b32 s6, -1
	s_mov_b32 s5, -1
	s_mov_b32 s7, exec_lo
	s_delay_alu instid0(VALU_DEP_1)
	v_cmpx_eq_u32_e32 0, v2
	s_cbranch_execz .LBB119_42
; %bb.307:                              ;   in Loop: Header=BB119_45 Depth=1
	s_xor_b32 s92, s92, 1
	s_add_co_i32 s8, s89, -2
	s_cmp_eq_u32 s89, 0
	s_wait_alu 0xfffe
	s_mov_b32 s89, s8
	s_cselect_b32 s6, -1, 0
	s_xor_b32 s5, exec_lo, -1
	s_wait_alu 0xfffe
	s_or_not1_b32 s6, s6, exec_lo
	s_branch .LBB119_42
.LBB119_308:                            ;   in Loop: Header=BB119_45 Depth=1
                                        ; implicit-def: $sgpr12_sgpr13
	s_branch .LBB119_259
.LBB119_309:                            ;   in Loop: Header=BB119_45 Depth=1
                                        ; implicit-def: $sgpr4_sgpr5
	s_branch .LBB119_276
.LBB119_310:
	s_or_b32 exec_lo, exec_lo, s90
	s_xor_b32 s3, s98, -1
	s_xor_b32 s1, s96, -1
	s_xor_b32 s4, s93, -1
	s_mov_b32 s0, 0
	s_and_saveexec_b32 s5, s1
	s_wait_alu 0xfffe
	s_xor_b32 s1, exec_lo, s5
	s_cbranch_execnz .LBB119_315
; %bb.311:
	s_and_not1_saveexec_b32 s1, s1
	s_cbranch_execnz .LBB119_328
.LBB119_312:
	s_wait_alu 0xfffe
	s_or_b32 exec_lo, exec_lo, s1
	s_and_saveexec_b32 s1, s0
.LBB119_313:
	; divergent unreachable
.LBB119_314:
	s_endpgm
.LBB119_315:
	s_and_saveexec_b32 s0, s3
	s_delay_alu instid0(SALU_CYCLE_1)
	s_xor_b32 s3, exec_lo, s0
	s_cbranch_execz .LBB119_326
; %bb.316:
	s_and_saveexec_b32 s0, s4
	s_delay_alu instid0(SALU_CYCLE_1)
	s_xor_b32 s0, exec_lo, s0
; %bb.317:
	v_lshrrev_b32_e32 v2, 31, v33
	s_delay_alu instid0(VALU_DEP_1) | instskip(SKIP_2) | instid1(VALU_DEP_2)
	v_add_co_u32 v2, s4, v2, -1
	s_wait_alu 0xf1ff
	v_add_co_ci_u32_e64 v3, null, 0, -1, s4
	v_xor_b32_e32 v6, v2, v32
	s_delay_alu instid0(VALU_DEP_2) | instskip(NEXT) | instid1(VALU_DEP_1)
	v_or_b32_e32 v3, 0x80000000, v3
	v_xor_b32_e32 v7, v3, v33
; %bb.318:
	s_or_b32 exec_lo, exec_lo, s0
	s_mul_u64 s[4:5], s[38:39], s[34:35]
	v_mov_b32_e32 v2, 0
	s_wait_alu 0xfffe
	s_lshl_b64 s[4:5], s[4:5], 3
	s_lshl_b64 s[6:7], s[26:27], 3
	s_wait_alu 0xfffe
	s_add_nc_u64 s[4:5], s[44:45], s[4:5]
	s_wait_alu 0xfffe
	s_add_nc_u64 s[4:5], s[4:5], s[6:7]
	global_store_b64 v2, v[6:7], s[4:5]
	s_and_saveexec_b32 s4, s2
	s_cbranch_execz .LBB119_325
; %bb.319:
	v_cmp_u_f64_e32 vcc_lo, v[6:7], v[6:7]
	s_mov_b32 s2, 0
                                        ; implicit-def: $sgpr5
                                        ; implicit-def: $sgpr8
                                        ; implicit-def: $sgpr7
	s_xor_b32 s6, vcc_lo, -1
	s_branch .LBB119_321
.LBB119_320:                            ;   in Loop: Header=BB119_321 Depth=1
	s_wait_alu 0xfffe
	s_or_b32 exec_lo, exec_lo, s9
	s_delay_alu instid0(SALU_CYCLE_1)
	s_and_b32 s0, exec_lo, s8
	s_wait_alu 0xfffe
	s_or_b32 s2, s0, s2
	s_and_not1_b32 s0, s5, exec_lo
	s_and_b32 s5, s7, exec_lo
	s_wait_alu 0xfffe
	s_or_b32 s5, s0, s5
	s_and_not1_b32 exec_lo, exec_lo, s2
	s_cbranch_execz .LBB119_323
.LBB119_321:                            ; =>This Inner Loop Header: Depth=1
	global_load_b64 v[2:3], v[16:17], off
	s_or_b32 s7, s7, exec_lo
	s_or_b32 s8, s8, exec_lo
	s_wait_loadcnt 0x0
	v_cmp_o_f64_e32 vcc_lo, v[2:3], v[2:3]
	v_cmp_neq_f64_e64 s0, v[2:3], v[6:7]
	v_dual_mov_b32 v3, v1 :: v_dual_mov_b32 v2, v0
                                        ; implicit-def: $vgpr0_vgpr1
	s_wait_alu 0xfffe
	s_or_b32 s9, vcc_lo, s6
	s_wait_alu 0xfffe
	s_and_b32 s0, s0, s9
	s_wait_alu 0xfffe
	s_and_saveexec_b32 s9, s0
	s_cbranch_execz .LBB119_320
; %bb.322:                              ;   in Loop: Header=BB119_321 Depth=1
	v_add_co_u32 v0, vcc_lo, v2, s46
	s_wait_alu 0xfffd
	v_add_co_ci_u32_e64 v1, null, 0, v3, vcc_lo
	v_add_co_u32 v16, s0, v16, s48
	s_wait_alu 0xf1ff
	v_add_co_ci_u32_e64 v17, null, s49, v17, s0
	s_delay_alu instid0(VALU_DEP_3)
	v_cmp_le_u64_e32 vcc_lo, s[24:25], v[0:1]
	s_and_not1_b32 s0, s8, exec_lo
	s_and_not1_b32 s7, s7, exec_lo
	s_and_b32 s8, vcc_lo, exec_lo
	s_wait_alu 0xfffe
	s_or_b32 s8, s0, s8
	s_branch .LBB119_320
.LBB119_323:
	s_or_b32 exec_lo, exec_lo, s2
	s_wait_alu 0xfffe
	s_and_saveexec_b32 s0, s5
	s_wait_alu 0xfffe
	s_xor_b32 s0, exec_lo, s0
	s_cbranch_execz .LBB119_325
; %bb.324:
	s_mul_u64 s[6:7], s[40:41], s[36:37]
	v_mov_b32_e32 v0, 0
	s_wait_alu 0xfffe
	s_lshl_b64 s[6:7], s[6:7], 3
	s_lshl_b64 s[8:9], s[30:31], 3
	s_wait_alu 0xfffe
	s_add_nc_u64 s[6:7], s[42:43], s[6:7]
	s_wait_alu 0xfffe
	s_add_nc_u64 s[6:7], s[6:7], s[8:9]
	global_store_b64 v0, v[2:3], s[6:7]
.LBB119_325:
	s_wait_alu 0xfffe
	s_or_b32 exec_lo, exec_lo, s4
.LBB119_326:
	s_wait_alu 0xfffe
	s_or_saveexec_b32 s0, s3
	s_mov_b32 s2, 0
	s_wait_alu 0xfffe
	s_xor_b32 exec_lo, exec_lo, s0
	s_cbranch_execnz .LBB119_329
.LBB119_327:
	s_or_b32 exec_lo, exec_lo, s0
	s_wait_alu 0xfffe
	s_and_b32 s0, s2, exec_lo
	s_and_not1_saveexec_b32 s1, s1
	s_cbranch_execz .LBB119_312
.LBB119_328:
	s_wait_alu 0xfffe
	s_or_b32 s0, s0, exec_lo
	s_trap 2
	s_or_b32 exec_lo, exec_lo, s1
	s_wait_alu 0xfffe
	s_and_saveexec_b32 s1, s0
	s_cbranch_execnz .LBB119_313
	s_branch .LBB119_314
.LBB119_329:
	s_mov_b32 s2, exec_lo
	s_trap 2
	s_branch .LBB119_327
	.section	.rodata,"a",@progbits
	.p2align	6, 0x0
	.amdhsa_kernel _ZN2at6native12_GLOBAL__N_112gatherMedianIdmLin1EEEvNS_4cuda6detail10TensorInfoIT_T0_EENS5_IlS7_EENS5_IKS6_S7_EES7_S7_S7_b
		.amdhsa_group_segment_fixed_size 5152
		.amdhsa_private_segment_fixed_size 0
		.amdhsa_kernarg_size 1536
		.amdhsa_user_sgpr_count 2
		.amdhsa_user_sgpr_dispatch_ptr 0
		.amdhsa_user_sgpr_queue_ptr 0
		.amdhsa_user_sgpr_kernarg_segment_ptr 1
		.amdhsa_user_sgpr_dispatch_id 0
		.amdhsa_user_sgpr_private_segment_size 0
		.amdhsa_wavefront_size32 1
		.amdhsa_uses_dynamic_stack 0
		.amdhsa_enable_private_segment 0
		.amdhsa_system_sgpr_workgroup_id_x 1
		.amdhsa_system_sgpr_workgroup_id_y 1
		.amdhsa_system_sgpr_workgroup_id_z 1
		.amdhsa_system_sgpr_workgroup_info 0
		.amdhsa_system_vgpr_workitem_id 0
		.amdhsa_next_free_vgpr 71
		.amdhsa_next_free_sgpr 100
		.amdhsa_reserve_vcc 1
		.amdhsa_float_round_mode_32 0
		.amdhsa_float_round_mode_16_64 0
		.amdhsa_float_denorm_mode_32 3
		.amdhsa_float_denorm_mode_16_64 3
		.amdhsa_fp16_overflow 0
		.amdhsa_workgroup_processor_mode 1
		.amdhsa_memory_ordered 1
		.amdhsa_forward_progress 1
		.amdhsa_inst_pref_size 167
		.amdhsa_round_robin_scheduling 0
		.amdhsa_exception_fp_ieee_invalid_op 0
		.amdhsa_exception_fp_denorm_src 0
		.amdhsa_exception_fp_ieee_div_zero 0
		.amdhsa_exception_fp_ieee_overflow 0
		.amdhsa_exception_fp_ieee_underflow 0
		.amdhsa_exception_fp_ieee_inexact 0
		.amdhsa_exception_int_div_zero 0
	.end_amdhsa_kernel
	.section	.text._ZN2at6native12_GLOBAL__N_112gatherMedianIdmLin1EEEvNS_4cuda6detail10TensorInfoIT_T0_EENS5_IlS7_EENS5_IKS6_S7_EES7_S7_S7_b,"axG",@progbits,_ZN2at6native12_GLOBAL__N_112gatherMedianIdmLin1EEEvNS_4cuda6detail10TensorInfoIT_T0_EENS5_IlS7_EENS5_IKS6_S7_EES7_S7_S7_b,comdat
.Lfunc_end119:
	.size	_ZN2at6native12_GLOBAL__N_112gatherMedianIdmLin1EEEvNS_4cuda6detail10TensorInfoIT_T0_EENS5_IlS7_EENS5_IKS6_S7_EES7_S7_S7_b, .Lfunc_end119-_ZN2at6native12_GLOBAL__N_112gatherMedianIdmLin1EEEvNS_4cuda6detail10TensorInfoIT_T0_EENS5_IlS7_EENS5_IKS6_S7_EES7_S7_S7_b
                                        ; -- End function
	.set _ZN2at6native12_GLOBAL__N_112gatherMedianIdmLin1EEEvNS_4cuda6detail10TensorInfoIT_T0_EENS5_IlS7_EENS5_IKS6_S7_EES7_S7_S7_b.num_vgpr, 71
	.set _ZN2at6native12_GLOBAL__N_112gatherMedianIdmLin1EEEvNS_4cuda6detail10TensorInfoIT_T0_EENS5_IlS7_EENS5_IKS6_S7_EES7_S7_S7_b.num_agpr, 0
	.set _ZN2at6native12_GLOBAL__N_112gatherMedianIdmLin1EEEvNS_4cuda6detail10TensorInfoIT_T0_EENS5_IlS7_EENS5_IKS6_S7_EES7_S7_S7_b.numbered_sgpr, 100
	.set _ZN2at6native12_GLOBAL__N_112gatherMedianIdmLin1EEEvNS_4cuda6detail10TensorInfoIT_T0_EENS5_IlS7_EENS5_IKS6_S7_EES7_S7_S7_b.num_named_barrier, 0
	.set _ZN2at6native12_GLOBAL__N_112gatherMedianIdmLin1EEEvNS_4cuda6detail10TensorInfoIT_T0_EENS5_IlS7_EENS5_IKS6_S7_EES7_S7_S7_b.private_seg_size, 0
	.set _ZN2at6native12_GLOBAL__N_112gatherMedianIdmLin1EEEvNS_4cuda6detail10TensorInfoIT_T0_EENS5_IlS7_EENS5_IKS6_S7_EES7_S7_S7_b.uses_vcc, 1
	.set _ZN2at6native12_GLOBAL__N_112gatherMedianIdmLin1EEEvNS_4cuda6detail10TensorInfoIT_T0_EENS5_IlS7_EENS5_IKS6_S7_EES7_S7_S7_b.uses_flat_scratch, 0
	.set _ZN2at6native12_GLOBAL__N_112gatherMedianIdmLin1EEEvNS_4cuda6detail10TensorInfoIT_T0_EENS5_IlS7_EENS5_IKS6_S7_EES7_S7_S7_b.has_dyn_sized_stack, 0
	.set _ZN2at6native12_GLOBAL__N_112gatherMedianIdmLin1EEEvNS_4cuda6detail10TensorInfoIT_T0_EENS5_IlS7_EENS5_IKS6_S7_EES7_S7_S7_b.has_recursion, 0
	.set _ZN2at6native12_GLOBAL__N_112gatherMedianIdmLin1EEEvNS_4cuda6detail10TensorInfoIT_T0_EENS5_IlS7_EENS5_IKS6_S7_EES7_S7_S7_b.has_indirect_call, 0
	.section	.AMDGPU.csdata,"",@progbits
; Kernel info:
; codeLenInByte = 21332
; TotalNumSgprs: 102
; NumVgprs: 71
; ScratchSize: 0
; MemoryBound: 0
; FloatMode: 240
; IeeeMode: 1
; LDSByteSize: 5152 bytes/workgroup (compile time only)
; SGPRBlocks: 0
; VGPRBlocks: 8
; NumSGPRsForWavesPerEU: 102
; NumVGPRsForWavesPerEU: 71
; Occupancy: 16
; WaveLimiterHint : 1
; COMPUTE_PGM_RSRC2:SCRATCH_EN: 0
; COMPUTE_PGM_RSRC2:USER_SGPR: 2
; COMPUTE_PGM_RSRC2:TRAP_HANDLER: 0
; COMPUTE_PGM_RSRC2:TGID_X_EN: 1
; COMPUTE_PGM_RSRC2:TGID_Y_EN: 1
; COMPUTE_PGM_RSRC2:TGID_Z_EN: 1
; COMPUTE_PGM_RSRC2:TIDIG_COMP_CNT: 0
	.section	.text._ZN2at6native12_GLOBAL__N_112gatherMedianIfjLi1EEEvNS_4cuda6detail10TensorInfoIT_T0_EENS5_IlS7_EENS5_IKS6_S7_EES7_S7_S7_b,"axG",@progbits,_ZN2at6native12_GLOBAL__N_112gatherMedianIfjLi1EEEvNS_4cuda6detail10TensorInfoIT_T0_EENS5_IlS7_EENS5_IKS6_S7_EES7_S7_S7_b,comdat
	.globl	_ZN2at6native12_GLOBAL__N_112gatherMedianIfjLi1EEEvNS_4cuda6detail10TensorInfoIT_T0_EENS5_IlS7_EENS5_IKS6_S7_EES7_S7_S7_b ; -- Begin function _ZN2at6native12_GLOBAL__N_112gatherMedianIfjLi1EEEvNS_4cuda6detail10TensorInfoIT_T0_EENS5_IlS7_EENS5_IKS6_S7_EES7_S7_S7_b
	.p2align	8
	.type	_ZN2at6native12_GLOBAL__N_112gatherMedianIfjLi1EEEvNS_4cuda6detail10TensorInfoIT_T0_EENS5_IlS7_EENS5_IKS6_S7_EES7_S7_S7_b,@function
_ZN2at6native12_GLOBAL__N_112gatherMedianIfjLi1EEEvNS_4cuda6detail10TensorInfoIT_T0_EENS5_IlS7_EENS5_IKS6_S7_EES7_S7_S7_b: ; @_ZN2at6native12_GLOBAL__N_112gatherMedianIfjLi1EEEvNS_4cuda6detail10TensorInfoIT_T0_EENS5_IlS7_EENS5_IKS6_S7_EES7_S7_S7_b
; %bb.0:
	s_clause 0x1
	s_load_b64 s[4:5], s[0:1], 0x298
	s_load_b128 s[28:31], s[0:1], 0x288
	s_lshr_b32 s2, ttmp7, 16
	s_and_b32 s3, ttmp7, 0xffff
	s_wait_kmcnt 0x0
	s_mul_i32 s2, s5, s2
	s_delay_alu instid0(SALU_CYCLE_1) | instskip(NEXT) | instid1(SALU_CYCLE_1)
	s_add_co_i32 s2, s2, s3
	s_mul_i32 s27, s2, s4
	s_delay_alu instid0(SALU_CYCLE_1) | instskip(NEXT) | instid1(SALU_CYCLE_1)
	s_add_co_i32 s27, s27, ttmp9
	s_cmp_ge_u32 s27, s29
	s_cbranch_scc1 .LBB120_252
; %bb.1:
	s_clause 0x1
	s_load_b32 s2, s[0:1], 0x21c
	s_load_b64 s[10:11], s[0:1], 0x1b0
	s_mov_b32 s7, 0
	v_mov_b32_e32 v3, 0
	s_add_nc_u64 s[8:9], s[0:1], 0x298
	s_wait_kmcnt 0x0
	s_mul_i32 s6, s2, s27
	v_cmp_gt_u32_e64 s2, s28, v0
	s_lshl_b64 s[12:13], s[6:7], 2
	s_delay_alu instid0(SALU_CYCLE_1)
	s_add_nc_u64 s[34:35], s[10:11], s[12:13]
	s_and_saveexec_b32 s5, s2
	s_cbranch_execz .LBB120_5
; %bb.2:
	s_load_b32 s3, s[8:9], 0xc
	v_mov_b32_e32 v2, 0
	v_mul_lo_u32 v1, v0, s30
	s_delay_alu instid0(VALU_DEP_2) | instskip(SKIP_2) | instid1(SALU_CYCLE_1)
	v_dual_mov_b32 v4, v0 :: v_dual_mov_b32 v3, v2
	s_wait_kmcnt 0x0
	s_and_b32 s6, s3, 0xffff
	s_mul_i32 s10, s30, s6
.LBB120_3:                              ; =>This Inner Loop Header: Depth=1
	s_delay_alu instid0(VALU_DEP_2) | instskip(SKIP_2) | instid1(VALU_DEP_3)
	v_lshlrev_b64_e32 v[5:6], 2, v[1:2]
	v_add_nc_u32_e32 v4, s6, v4
	v_add_nc_u32_e32 v1, s10, v1
	v_add_co_u32 v5, vcc_lo, s34, v5
	s_wait_alu 0xfffd
	s_delay_alu instid0(VALU_DEP_4)
	v_add_co_ci_u32_e64 v6, null, s35, v6, vcc_lo
	v_cmp_le_u32_e32 vcc_lo, s28, v4
	global_load_b32 v5, v[5:6], off
	s_or_b32 s7, vcc_lo, s7
	s_wait_loadcnt 0x0
	v_cmp_u_f32_e64 s3, v5, v5
	s_wait_alu 0xf1ff
	s_delay_alu instid0(VALU_DEP_1)
	v_add_co_ci_u32_e64 v3, null, 0, v3, s3
	s_wait_alu 0xfffe
	s_and_not1_b32 exec_lo, exec_lo, s7
	s_cbranch_execnz .LBB120_3
; %bb.4:
	s_or_b32 exec_lo, exec_lo, s7
.LBB120_5:
	s_delay_alu instid0(SALU_CYCLE_1)
	s_or_b32 exec_lo, exec_lo, s5
	s_clause 0x3
	s_load_b32 s33, s[0:1], 0x144
	s_load_b64 s[36:37], s[0:1], 0xd8
	s_load_b32 s48, s[0:1], 0x6c
	s_load_b64 s[38:39], s[0:1], 0x0
	v_cmp_eq_u32_e64 s0, 0, v0
	s_and_saveexec_b32 s1, s0
; %bb.6:
	v_mov_b32_e32 v1, 0
	s_delay_alu instid0(VALU_DEP_1)
	v_mov_b32_e32 v2, v1
	ds_store_b64 v1, v[1:2] offset:4096
; %bb.7:
	s_or_b32 exec_lo, exec_lo, s1
	s_delay_alu instid0(SALU_CYCLE_1)
	s_mov_b32 s1, exec_lo
	s_wait_dscnt 0x0
	s_barrier_signal -1
	s_barrier_wait -1
	global_inv scope:SCOPE_SE
	v_cmpx_ne_u32_e32 0, v3
	s_cbranch_execz .LBB120_12
; %bb.8:
	v_mov_b32_e32 v1, 0
	s_mov_b32 s3, exec_lo
	s_mov_b64 s[6:7], 0
.LBB120_9:                              ; =>This Inner Loop Header: Depth=1
	s_wait_alu 0xfffe
	s_ctz_i32_b32 s5, s3
	s_wait_alu 0xfffe
	v_readlane_b32 s11, v1, s5
	v_readlane_b32 s10, v3, s5
	s_lshl_b32 s5, 1, s5
	s_wait_alu 0xfffe
	s_and_not1_b32 s3, s3, s5
	s_wait_alu 0xfffe
	s_cmp_lg_u32 s3, 0
	s_add_nc_u64 s[6:7], s[6:7], s[10:11]
	s_cbranch_scc1 .LBB120_9
; %bb.10:
	v_mbcnt_lo_u32_b32 v1, exec_lo, 0
	s_mov_b32 s3, exec_lo
	s_delay_alu instid0(VALU_DEP_1)
	v_cmpx_eq_u32_e32 0, v1
	s_wait_alu 0xfffe
	s_xor_b32 s3, exec_lo, s3
; %bb.11:
	v_mov_b32_e32 v1, s6
	v_dual_mov_b32 v3, 0 :: v_dual_mov_b32 v2, s7
	ds_add_u64 v3, v[1:2] offset:4096
.LBB120_12:
	s_or_b32 exec_lo, exec_lo, s1
	v_mov_b32_e32 v1, 0
	s_wait_loadcnt_dscnt 0x0
	s_barrier_signal -1
	s_barrier_wait -1
	global_inv scope:SCOPE_SE
	ds_load_b64 v[1:2], v1 offset:4096
	s_bitcmp1_b32 s31, 0
	s_mov_b32 s10, s28
	s_cselect_b32 s3, -1, 0
	s_wait_dscnt 0x0
	v_readfirstlane_b32 s6, v1
	v_readfirstlane_b32 s7, v2
	s_wait_alu 0xf1ff
	s_delay_alu instid0(VALU_DEP_1) | instskip(SKIP_2) | instid1(SALU_CYCLE_1)
	v_cmp_lt_i64_e64 s1, s[6:7], 1
	s_wait_alu 0xfffe
	s_or_b32 s1, s3, s1
	s_and_not1_b32 vcc_lo, exec_lo, s1
	s_wait_alu 0xfffe
	s_cbranch_vccnz .LBB120_14
; %bb.13:
	s_not_b64 s[6:7], s[6:7]
	s_mov_b32 s29, 0
	s_wait_alu 0xfffe
	s_add_nc_u64 s[6:7], s[6:7], s[28:29]
	s_mov_b32 s11, s29
	s_wait_alu 0xfffe
	s_lshr_b32 s10, s7, 31
	s_wait_alu 0xfffe
	s_add_nc_u64 s[6:7], s[6:7], s[10:11]
	s_wait_alu 0xfffe
	s_lshr_b64 s[6:7], s[6:7], 1
	s_wait_alu 0xfffe
	s_add_co_i32 s10, s6, 1
.LBB120_14:
	s_and_saveexec_b32 s1, s0
	s_cbranch_execz .LBB120_16
; %bb.15:
	v_dual_mov_b32 v1, 0 :: v_dual_mov_b32 v2, s28
	ds_store_b32 v1, v1 offset:4112
	ds_store_b64 v1, v[1:2] offset:4104
.LBB120_16:
	s_or_b32 exec_lo, exec_lo, s1
	s_wait_loadcnt_dscnt 0x0
	s_barrier_signal -1
	s_barrier_wait -1
	global_inv scope:SCOPE_SE
	s_load_b32 s5, s[8:9], 0xc
	v_mbcnt_lo_u32_b32 v16, -1, 0
	v_cmp_gt_u32_e32 vcc_lo, 32, v0
	v_mov_b32_e32 v7, 0
	v_mul_lo_u32 v5, s30, v0
	v_lshlrev_b32_e32 v17, 2, v0
	v_cmp_gt_i32_e64 s3, 4, v16
	v_lshrrev_b32_e32 v3, 1, v0
	v_mov_b32_e32 v6, v7
	v_cmp_gt_u32_e64 s1, 2, v0
	v_add_nc_u32_e32 v18, 0xc00, v17
	s_and_b32 s31, vcc_lo, s3
	v_dual_mov_b32 v22, 0 :: v_dual_lshlrev_b32 v25, 2, v5
	s_wait_alu 0xfffe
	v_mad_co_u64_u32 v[12:13], null, s30, v17, s[30:31]
	v_dual_mov_b32 v30, 0 :: v_dual_lshlrev_b32 v27, 4, v0
	v_lshl_or_b32 v28, v16, 2, 0xc00
	v_mov_b32_e32 v13, 1.0
	s_wait_kmcnt 0x0
	s_and_b32 s29, s5, 0xffff
	s_bfe_u32 s5, s5, 0xb0005
	s_wait_alu 0xfffe
	s_lshl_b32 s49, s29, 2
	s_add_co_i32 s50, s29, -1
	s_cvt_f32_u32 s3, s49
	s_add_co_i32 s6, s50, s28
	s_cmp_gt_u32 s28, 0x300
	s_cvt_f32_u32 s11, s29
	s_wait_alu 0xfffe
	v_rcp_iflag_f32_e32 v1, s3
	s_cselect_b32 s52, -1, 0
	s_cmp_gt_u32 s29, 31
	v_mov_b32_e32 v15, 0
	s_cselect_b32 s53, -1, 0
	s_cmp_lt_u32 ttmp9, s4
	s_movk_i32 s4, 0x1f0
	s_cselect_b32 s40, 12, 18
	s_add_co_i32 s3, s5, -1
	s_bfe_u32 s54, s29, 0x30005
	v_readfirstlane_b32 s7, v1
	s_wait_alu 0xfffe
	s_and_b32 s3, s3, 0xffff
	v_rcp_iflag_f32_e32 v1, s11
	s_wait_alu 0xfffe
	s_cmp_gt_u32 s3, 6
	v_and_or_b32 v19, v3, s4, 0xc00
	s_mul_f32 s3, s7, 0x4f7ffffe
	s_cselect_b32 s55, -1, 0
	s_and_b32 s56, s5, 0x7f8
	s_cmp_lg_u32 s54, 0
	s_wait_alu 0xfffe
	s_cvt_u32_f32 s3, s3
	s_cselect_b32 s57, -1, 0
	s_sub_co_i32 s5, 0, s49
	v_readfirstlane_b32 s7, v1
	s_wait_alu 0xfffe
	s_mul_i32 s5, s5, s3
	v_lshlrev_b64_e64 v[1:2], v16, -1
	s_wait_alu 0xfffe
	s_mul_hi_u32 s5, s3, s5
	v_lshlrev_b64_e32 v[2:3], 2, v[5:6]
	s_wait_alu 0xfffe
	s_add_co_i32 s42, s3, s5
	s_mul_f32 s7, s7, 0x4f7ffffe
	s_mul_hi_u32 s5, s28, s42
	v_not_b32_e32 v21, v1
	s_wait_alu 0xfffe
	s_mul_i32 s5, s5, s49
	s_cvt_u32_f32 s7, s7
	s_wait_alu 0xfffe
	s_sub_co_i32 s5, s28, s5
	v_add_co_u32 v8, vcc_lo, s34, v2
	s_wait_alu 0xfffe
	s_sub_co_i32 s11, s5, s49
	s_cmp_ge_u32 s5, s49
	s_wait_alu 0xfffd
	v_add_co_ci_u32_e64 v9, null, s35, v3, vcc_lo
	s_wait_alu 0xfffe
	s_cselect_b32 s5, s11, s5
	v_add3_u32 v3, s29, s28, v0
	s_wait_alu 0xfffe
	s_sub_co_i32 s11, s5, s49
	s_cmp_ge_u32 s5, s49
	v_mov_b32_e32 v31, s10
	s_wait_alu 0xfffe
	s_cselect_b32 s11, s11, s5
	s_sub_co_i32 s5, 0, s29
	s_wait_alu 0xfffe
	s_sub_co_i32 s58, s28, s11
	s_mul_i32 s5, s5, s7
	v_add_nc_u32_e32 v20, s58, v0
	s_wait_alu 0xfffe
	s_mul_hi_u32 s4, s7, s5
	v_subrev_nc_u32_e32 v3, s11, v3
	s_wait_alu 0xfffe
	s_add_co_i32 s44, s7, s4
	v_cmp_eq_u32_e64 s3, 0, v16
	v_mul_lo_u32 v6, v20, s30
	s_mul_hi_u32 s4, s6, s44
	v_mul_lo_u32 v26, s30, v3
	s_wait_alu 0xfffe
	s_mul_i32 s4, s4, s29
	v_mov_b32_e32 v29, 0
	s_wait_alu 0xfffe
	s_sub_co_i32 s4, s6, s4
	s_mov_b32 s41, 0
	s_wait_alu 0xfffe
	s_sub_co_i32 s5, s4, s29
	v_lshlrev_b64_e32 v[1:2], 2, v[6:7]
	s_cmp_ge_u32 s4, s29
	s_mul_i32 s51, s30, s29
	s_wait_alu 0xfffe
	s_cselect_b32 s5, s5, s4
	v_cmp_gt_u32_e64 s4, s58, v17
	s_wait_alu 0xfffe
	s_sub_co_i32 s7, s5, s29
	v_add_co_u32 v10, vcc_lo, s34, v1
	s_wait_alu 0xfffd
	v_add_co_ci_u32_e64 v11, null, s35, v2, vcc_lo
	v_or_b32_e32 v1, 2, v17
	v_or_b32_e32 v2, 3, v17
	s_cmp_ge_u32 s5, s29
	s_mov_b32 s43, s41
	s_wait_alu 0xfffe
	s_cselect_b32 s7, s7, s5
	v_mul_lo_u32 v23, s30, v1
	v_mul_lo_u32 v24, s30, v2
	s_wait_alu 0xfffe
	s_sub_co_i32 s59, s6, s7
	v_cmp_gt_u32_e64 s5, s28, v20
	s_wait_alu 0xfffe
	v_cmp_gt_u32_e64 s6, s59, v0
	s_mov_b32 s45, s41
	s_lshl_b32 s60, s51, 2
	s_lshl_b32 s61, s29, 4
	s_mov_b32 s69, 30
	s_add_nc_u64 s[46:47], s[8:9], s[40:41]
	s_mov_b32 s62, 0
                                        ; implicit-def: $sgpr66
                                        ; implicit-def: $sgpr68
                                        ; implicit-def: $sgpr63
                                        ; implicit-def: $sgpr65
                                        ; implicit-def: $sgpr67
                                        ; implicit-def: $sgpr64
	s_branch .LBB120_20
.LBB120_17:                             ;   in Loop: Header=BB120_20 Depth=1
	s_wait_alu 0xfffe
	s_or_b32 exec_lo, exec_lo, s11
	s_delay_alu instid0(SALU_CYCLE_1)
	s_and_b32 s8, s8, exec_lo
	s_and_not1_b32 s13, s13, exec_lo
	s_and_not1_b32 s12, s12, exec_lo
	s_or_not1_b32 s10, s10, exec_lo
.LBB120_18:                             ;   in Loop: Header=BB120_20 Depth=1
	s_wait_alu 0xfffe
	s_or_b32 exec_lo, exec_lo, s7
	s_delay_alu instid0(SALU_CYCLE_1)
	s_and_not1_b32 s7, s64, exec_lo
	s_and_b32 s8, s8, exec_lo
	s_and_not1_b32 s11, s65, exec_lo
	s_wait_alu 0xfffe
	s_or_b32 s64, s7, s8
	s_and_not1_b32 s7, s67, exec_lo
	s_and_b32 s8, s13, exec_lo
	s_and_b32 s12, s12, exec_lo
	s_wait_alu 0xfffe
	s_or_b32 s67, s7, s8
	s_or_b32 s65, s11, s12
	s_or_not1_b32 s11, s10, exec_lo
.LBB120_19:                             ;   in Loop: Header=BB120_20 Depth=1
	s_wait_alu 0xfffe
	s_or_b32 exec_lo, exec_lo, s9
	s_delay_alu instid0(SALU_CYCLE_1)
	s_and_b32 s7, exec_lo, s11
	v_mov_b32_e32 v31, v2
	s_wait_alu 0xfffe
	s_or_b32 s62, s7, s62
	s_and_not1_b32 s7, s63, exec_lo
	s_and_b32 s8, s64, exec_lo
	s_and_not1_b32 s9, s68, exec_lo
	s_wait_alu 0xfffe
	s_or_b32 s63, s7, s8
	s_and_b32 s7, s67, exec_lo
	s_and_not1_b32 s8, s66, exec_lo
	s_and_b32 s10, s65, exec_lo
	s_wait_alu 0xfffe
	s_or_b32 s68, s9, s7
	s_or_b32 s66, s8, s10
	s_mov_b32 s69, s18
	s_and_not1_b32 exec_lo, exec_lo, s62
	s_cbranch_execz .LBB120_248
.LBB120_20:                             ; =>This Loop Header: Depth=1
                                        ;     Child Loop BB120_26 Depth 2
                                        ;     Child Loop BB120_39 Depth 2
	;; [unrolled: 1-line block ×16, first 2 shown]
	ds_load_b64 v[1:2], v7 offset:4104
	s_wait_dscnt 0x0
	v_readfirstlane_b32 s40, v1
	s_cmp_lg_u32 s40, 0
	s_cbranch_scc1 .LBB120_47
; %bb.21:                               ;   in Loop: Header=BB120_20 Depth=1
	s_and_b32 vcc_lo, exec_lo, s52
	s_wait_alu 0xfffe
	s_cbranch_vccz .LBB120_34
; %bb.22:                               ;   in Loop: Header=BB120_20 Depth=1
	v_cmp_gt_u32_e32 vcc_lo, 0x301, v2
	s_mov_b32 s9, 0
	s_mov_b32 s7, 0
	s_cbranch_vccz .LBB120_35
; %bb.23:                               ;   in Loop: Header=BB120_20 Depth=1
	s_and_saveexec_b32 s10, s2
	s_cbranch_execz .LBB120_133
; %bb.24:                               ;   in Loop: Header=BB120_20 Depth=1
	global_load_b32 v1, v[8:9], off
	s_load_u16 s11, s[46:47], 0x0
	s_mov_b32 s13, 0
	s_wait_kmcnt 0x0
	v_add_nc_u32_e32 v2, s11, v0
	s_mul_i32 s12, s30, s11
	s_delay_alu instid0(VALU_DEP_1)
	v_mul_lo_u32 v6, s30, v2
	v_mov_b32_e32 v2, v0
	s_branch .LBB120_26
.LBB120_25:                             ;   in Loop: Header=BB120_26 Depth=2
	s_wait_alu 0xfffe
	s_or_b32 exec_lo, exec_lo, s8
	v_dual_mov_b32 v1, v3 :: v_dual_add_nc_u32 v6, s12, v6
	s_and_not1_b32 exec_lo, exec_lo, s13
	s_cbranch_execz .LBB120_133
.LBB120_26:                             ;   Parent Loop BB120_20 Depth=1
                                        ; =>  This Inner Loop Header: Depth=2
	s_delay_alu instid0(VALU_DEP_1) | instskip(SKIP_3) | instid1(VALU_DEP_2)
	v_dual_mov_b32 v3, 0 :: v_dual_add_nc_u32 v2, s11, v2
	s_wait_dscnt 0x0
	v_mov_b32_e32 v4, 0
	s_mov_b32 s8, exec_lo
	v_cmp_le_u32_e32 vcc_lo, s28, v2
	v_cmpx_gt_u32_e64 s28, v2
	s_cbranch_execz .LBB120_28
; %bb.27:                               ;   in Loop: Header=BB120_26 Depth=2
	v_lshlrev_b64_e32 v[32:33], 2, v[6:7]
	s_delay_alu instid0(VALU_DEP_1) | instskip(SKIP_1) | instid1(VALU_DEP_2)
	v_add_co_u32 v32, s7, s34, v32
	s_wait_alu 0xf1ff
	v_add_co_ci_u32_e64 v33, null, s35, v33, s7
	global_load_b32 v3, v[32:33], off
.LBB120_28:                             ;   in Loop: Header=BB120_26 Depth=2
	s_wait_alu 0xfffe
	s_or_b32 exec_lo, exec_lo, s8
	s_wait_loadcnt 0x0
	v_cmp_lt_i32_e64 s7, -1, v1
	s_wait_alu 0xf1ff
	s_delay_alu instid0(VALU_DEP_1) | instskip(SKIP_1) | instid1(VALU_DEP_2)
	v_cndmask_b32_e64 v14, -1, 0x80000000, s7
	v_cmp_o_f32_e64 s7, v1, v1
	v_xor_b32_e32 v14, v14, v1
	s_wait_alu 0xf1ff
	s_delay_alu instid0(VALU_DEP_1) | instskip(NEXT) | instid1(VALU_DEP_1)
	v_cndmask_b32_e64 v14, -1, v14, s7
	v_and_b32_e32 v14, v14, v30
	s_delay_alu instid0(VALU_DEP_1)
	v_cmp_eq_u32_e64 s7, v14, v22
	s_cmp_lg_u32 s7, 0
	s_cselect_b32 s8, -1, 0
	s_wait_alu 0xfffe
	s_and_b32 s8, s3, s8
	s_wait_alu 0xfffe
	s_and_saveexec_b32 s14, s8
	s_cbranch_execz .LBB120_32
; %bb.29:                               ;   in Loop: Header=BB120_26 Depth=2
	s_mov_b32 s17, exec_lo
	s_bcnt1_i32_b32 s15, s7
	s_wait_alu 0xfffe
	v_mbcnt_lo_u32_b32 v4, s17, 0
	s_mov_b32 s16, exec_lo
                                        ; implicit-def: $vgpr14
	s_delay_alu instid0(VALU_DEP_1)
	v_cmpx_eq_u32_e32 0, v4
; %bb.30:                               ;   in Loop: Header=BB120_26 Depth=2
	s_bcnt1_i32_b32 s8, s17
	s_wait_alu 0xfffe
	s_mul_i32 s8, s15, s8
	s_wait_alu 0xfffe
	v_mov_b32_e32 v14, s8
	ds_add_rtn_u32 v14, v7, v14 offset:4112
; %bb.31:                               ;   in Loop: Header=BB120_26 Depth=2
	s_or_b32 exec_lo, exec_lo, s16
	s_wait_dscnt 0x0
	v_readfirstlane_b32 s8, v14
	s_wait_alu 0xf1ff
	s_delay_alu instid0(VALU_DEP_1)
	v_mad_u32_u24 v4, s15, v4, s8
.LBB120_32:                             ;   in Loop: Header=BB120_26 Depth=2
	s_wait_alu 0xfffe
	s_or_b32 exec_lo, exec_lo, s14
	ds_bpermute_b32 v4, v7, v4
	s_and_b32 s8, exec_lo, vcc_lo
	s_wait_alu 0xfffe
	s_or_b32 s13, s8, s13
	s_and_saveexec_b32 s8, s7
	s_cbranch_execz .LBB120_25
; %bb.33:                               ;   in Loop: Header=BB120_26 Depth=2
	v_and_b32_e32 v14, s7, v21
	s_delay_alu instid0(VALU_DEP_1) | instskip(NEXT) | instid1(VALU_DEP_1)
	v_bcnt_u32_b32 v14, v14, 0
	v_lshlrev_b32_e32 v14, 2, v14
	s_wait_dscnt 0x0
	s_delay_alu instid0(VALU_DEP_1)
	v_lshl_add_u32 v4, v4, 2, v14
	ds_store_b32 v4, v1
	s_branch .LBB120_25
.LBB120_34:                             ;   in Loop: Header=BB120_20 Depth=1
	s_mov_b32 s9, -1
	s_mov_b32 s7, 0
.LBB120_35:                             ;   in Loop: Header=BB120_20 Depth=1
	s_wait_alu 0xfffe
	s_and_b32 vcc_lo, exec_lo, s9
	s_wait_alu 0xfffe
	s_cbranch_vccz .LBB120_45
.LBB120_36:                             ;   in Loop: Header=BB120_20 Depth=1
	s_and_saveexec_b32 s7, s2
	s_cbranch_execz .LBB120_42
; %bb.37:                               ;   in Loop: Header=BB120_20 Depth=1
	global_load_b32 v2, v[8:9], off
	s_load_u16 s9, s[46:47], 0x0
	v_mov_b32_e32 v1, v0
	s_mov_b32 s8, exec_lo
	s_wait_kmcnt 0x0
	v_add_nc_u32_e32 v3, s9, v0
	s_delay_alu instid0(VALU_DEP_1)
	v_cmpx_gt_u32_e64 s28, v3
	s_cbranch_execz .LBB120_41
; %bb.38:                               ;   in Loop: Header=BB120_20 Depth=1
	v_mul_lo_u32 v6, s30, v3
	v_mov_b32_e32 v3, v17
	v_mov_b32_e32 v1, v0
	s_lshl_b32 s10, s9, 2
	s_mul_i32 s12, s30, s9
	s_mov_b32 s11, 0
.LBB120_39:                             ;   Parent Loop BB120_20 Depth=1
                                        ; =>  This Inner Loop Header: Depth=2
	s_delay_alu instid0(VALU_DEP_3)
	v_lshlrev_b64_e32 v[32:33], 2, v[6:7]
	s_wait_loadcnt 0x0
	ds_store_b32 v3, v2
	s_wait_alu 0xfffe
	v_add_nc_u32_e32 v3, s10, v3
	v_add_nc_u32_e32 v6, s12, v6
	v_add_co_u32 v32, vcc_lo, s34, v32
	s_wait_alu 0xfffd
	v_add_co_ci_u32_e64 v33, null, s35, v33, vcc_lo
	global_load_b32 v4, v[32:33], off
	s_wait_loadcnt 0x0
	v_dual_mov_b32 v2, v4 :: v_dual_add_nc_u32 v1, s9, v1
	s_delay_alu instid0(VALU_DEP_1) | instskip(NEXT) | instid1(VALU_DEP_1)
	v_add_nc_u32_e32 v14, s9, v1
	v_cmp_le_u32_e32 vcc_lo, s28, v14
	s_or_b32 s11, vcc_lo, s11
	s_wait_alu 0xfffe
	s_and_not1_b32 exec_lo, exec_lo, s11
	s_cbranch_execnz .LBB120_39
; %bb.40:                               ;   in Loop: Header=BB120_20 Depth=1
	s_or_b32 exec_lo, exec_lo, s11
	v_mov_b32_e32 v2, v4
.LBB120_41:                             ;   in Loop: Header=BB120_20 Depth=1
	s_wait_alu 0xfffe
	s_or_b32 exec_lo, exec_lo, s8
	v_lshlrev_b32_e32 v1, 2, v1
	s_wait_loadcnt 0x0
	ds_store_b32 v1, v2
.LBB120_42:                             ;   in Loop: Header=BB120_20 Depth=1
	s_wait_alu 0xfffe
	s_or_b32 exec_lo, exec_lo, s7
	s_wait_loadcnt_dscnt 0x0
	s_barrier_signal -1
	s_barrier_wait -1
	global_inv scope:SCOPE_SE
	s_and_saveexec_b32 s7, s0
; %bb.43:                               ;   in Loop: Header=BB120_20 Depth=1
	v_mov_b32_e32 v1, s28
	ds_store_b32 v7, v1 offset:4104
; %bb.44:                               ;   in Loop: Header=BB120_20 Depth=1
	s_wait_alu 0xfffe
	s_or_b32 exec_lo, exec_lo, s7
	s_mov_b32 s7, -1
	s_wait_loadcnt_dscnt 0x0
	s_barrier_signal -1
	s_barrier_wait -1
.LBB120_45:                             ;   in Loop: Header=BB120_20 Depth=1
	s_wait_alu 0xfffe
	s_and_b32 vcc_lo, exec_lo, s7
	s_mov_b32 s40, 0
	s_wait_alu 0xfffe
	s_cbranch_vccz .LBB120_47
; %bb.46:                               ;   in Loop: Header=BB120_20 Depth=1
	s_wait_loadcnt 0x0
	global_inv scope:SCOPE_SE
	ds_load_b32 v1, v7 offset:4104
	s_wait_dscnt 0x0
	v_readfirstlane_b32 s40, v1
.LBB120_47:                             ;   in Loop: Header=BB120_20 Depth=1
	s_delay_alu instid0(VALU_DEP_1)
	s_cmp_lt_i32 s40, 1
	s_mov_b32 s7, -1
                                        ; implicit-def: $vgpr1
	s_cbranch_scc1 .LBB120_57
; %bb.48:                               ;   in Loop: Header=BB120_20 Depth=1
	s_wait_alu 0xfffe
	s_and_b32 vcc_lo, exec_lo, s7
	s_wait_alu 0xfffe
	s_cbranch_vccnz .LBB120_68
.LBB120_49:                             ;   in Loop: Header=BB120_20 Depth=1
	v_lshlrev_b32_e32 v6, 7, v29
	s_and_saveexec_b32 s7, s3
.LBB120_50:                             ;   in Loop: Header=BB120_20 Depth=1
	s_delay_alu instid0(VALU_DEP_1)
	v_lshl_add_u32 v14, v6, 2, v19
	ds_store_b128 v14, v[1:4]
.LBB120_51:                             ;   in Loop: Header=BB120_20 Depth=1
	s_wait_alu 0xfffe
	s_or_b32 exec_lo, exec_lo, s7
	s_wait_loadcnt_dscnt 0x0
	s_barrier_signal -1
	s_barrier_wait -1
	global_inv scope:SCOPE_SE
	s_and_saveexec_b32 s7, s31
	s_cbranch_execz .LBB120_81
; %bb.52:                               ;   in Loop: Header=BB120_20 Depth=1
	v_mov_b32_e32 v1, 0
	s_and_not1_b32 vcc_lo, exec_lo, s53
	s_wait_alu 0xfffe
	s_cbranch_vccnz .LBB120_80
; %bb.53:                               ;   in Loop: Header=BB120_20 Depth=1
	s_and_not1_b32 vcc_lo, exec_lo, s55
	s_wait_alu 0xfffe
	s_cbranch_vccnz .LBB120_77
; %bb.54:                               ;   in Loop: Header=BB120_20 Depth=1
	v_lshl_add_u32 v2, v29, 9, v28
	v_mov_b32_e32 v1, 0
	s_mov_b32 s8, 0
.LBB120_55:                             ;   Parent Loop BB120_20 Depth=1
                                        ; =>  This Inner Loop Header: Depth=2
	ds_load_2addr_b32 v[3:4], v2 offset1:4
	ds_load_2addr_b32 v[32:33], v2 offset0:8 offset1:12
	ds_load_2addr_b32 v[34:35], v2 offset0:16 offset1:20
	ds_load_2addr_b32 v[36:37], v2 offset0:24 offset1:28
	v_add_nc_u32_e32 v2, 0x80, v2
	s_wait_alu 0xfffe
	s_add_co_i32 s8, s8, 8
	s_wait_alu 0xfffe
	s_cmp_eq_u32 s56, s8
	s_wait_dscnt 0x3
	v_add3_u32 v1, v3, v1, v4
	s_wait_dscnt 0x2
	s_delay_alu instid0(VALU_DEP_1) | instskip(SKIP_1) | instid1(VALU_DEP_1)
	v_add3_u32 v1, v32, v1, v33
	s_wait_dscnt 0x1
	v_add3_u32 v1, v34, v1, v35
	s_wait_dscnt 0x0
	s_delay_alu instid0(VALU_DEP_1)
	v_add3_u32 v1, v36, v1, v37
	s_cbranch_scc0 .LBB120_55
; %bb.56:                               ;   in Loop: Header=BB120_20 Depth=1
	s_mov_b32 s8, s56
	s_and_not1_b32 vcc_lo, exec_lo, s57
	s_wait_alu 0xfffe
	s_cbranch_vccz .LBB120_78
	s_branch .LBB120_80
.LBB120_57:                             ;   in Loop: Header=BB120_20 Depth=1
	v_dual_mov_b32 v1, 0 :: v_dual_mov_b32 v2, 0
	v_dual_mov_b32 v3, 0 :: v_dual_mov_b32 v4, 0
	s_and_saveexec_b32 s18, s4
	s_cbranch_execz .LBB120_61
; %bb.58:                               ;   in Loop: Header=BB120_20 Depth=1
	v_mov_b32_e32 v14, v17
	s_mov_b32 s19, 0
	s_mov_b32 s20, 0
	;; [unrolled: 1-line block ×6, first 2 shown]
.LBB120_59:                             ;   Parent Loop BB120_20 Depth=1
                                        ; =>  This Inner Loop Header: Depth=2
	s_wait_alu 0xfffe
	v_add_nc_u32_e32 v6, s20, v25
	v_add_nc_u32_e32 v14, s49, v14
	s_delay_alu instid0(VALU_DEP_2) | instskip(SKIP_1) | instid1(VALU_DEP_1)
	v_lshlrev_b64_e32 v[1:2], 2, v[6:7]
	v_add_nc_u32_e32 v6, s20, v12
	v_lshlrev_b64_e32 v[3:4], 2, v[6:7]
	v_add_nc_u32_e32 v6, s20, v23
	s_delay_alu instid0(VALU_DEP_4) | instskip(SKIP_2) | instid1(VALU_DEP_3)
	v_add_co_u32 v1, vcc_lo, s34, v1
	s_wait_alu 0xfffd
	v_add_co_ci_u32_e64 v2, null, s35, v2, vcc_lo
	v_lshlrev_b64_e32 v[32:33], 2, v[6:7]
	v_add_nc_u32_e32 v6, s20, v24
	s_add_co_i32 s20, s20, s60
	global_load_b32 v34, v[1:2], off
	v_add_co_u32 v1, vcc_lo, s34, v3
	s_wait_alu 0xfffd
	v_add_co_ci_u32_e64 v2, null, s35, v4, vcc_lo
	v_add_co_u32 v32, vcc_lo, s34, v32
	s_wait_alu 0xfffd
	v_add_co_ci_u32_e64 v33, null, s35, v33, vcc_lo
	v_lshlrev_b64_e32 v[3:4], 2, v[6:7]
	s_clause 0x1
	global_load_b32 v6, v[1:2], off
	global_load_b32 v32, v[32:33], off
	v_add_co_u32 v1, vcc_lo, s34, v3
	s_wait_alu 0xfffd
	v_add_co_ci_u32_e64 v2, null, s35, v4, vcc_lo
	v_cmp_le_u32_e32 vcc_lo, s58, v14
	global_load_b32 v1, v[1:2], off
	s_wait_loadcnt 0x3
	v_cmp_lt_i32_e64 s7, -1, v34
	s_wait_alu 0xf1ff
	s_delay_alu instid0(VALU_DEP_1) | instskip(SKIP_2) | instid1(VALU_DEP_2)
	v_cndmask_b32_e64 v2, -1, 0x80000000, s7
	s_wait_loadcnt 0x2
	v_cmp_lt_i32_e64 s7, -1, v6
	v_xor_b32_e32 v2, v2, v34
	s_wait_loadcnt 0x1
	v_cmp_lt_i32_e64 s8, -1, v32
	s_wait_alu 0xf1ff
	v_cndmask_b32_e64 v3, -1, 0x80000000, s7
	v_cmp_o_f32_e64 s7, v34, v34
	s_delay_alu instid0(VALU_DEP_3) | instskip(NEXT) | instid1(VALU_DEP_3)
	v_cndmask_b32_e64 v4, -1, 0x80000000, s8
	v_xor_b32_e32 v3, v3, v6
	s_wait_alu 0xf1ff
	s_delay_alu instid0(VALU_DEP_3)
	v_cndmask_b32_e64 v2, -1, v2, s7
	v_cmp_o_f32_e64 s7, v6, v6
	v_xor_b32_e32 v4, v4, v32
	s_wait_loadcnt 0x0
	v_cmp_o_f32_e64 s12, v1, v1
	v_and_b32_e32 v33, v2, v30
	s_wait_alu 0xf1ff
	v_cndmask_b32_e64 v3, -1, v3, s7
	v_cmp_lt_i32_e64 s7, -1, v1
	v_bfe_u32 v2, v2, s69, 2
	s_wait_alu 0xf1ff
	s_delay_alu instid0(VALU_DEP_2) | instskip(SKIP_1) | instid1(VALU_DEP_3)
	v_cndmask_b32_e64 v6, -1, 0x80000000, s7
	v_cmp_o_f32_e64 s7, v32, v32
	v_cmp_eq_u32_e64 s8, 0, v2
	v_and_b32_e32 v32, v3, v30
	v_bfe_u32 v3, v3, s69, 2
	v_xor_b32_e32 v6, v6, v1
	s_wait_alu 0xf1ff
	v_cndmask_b32_e64 v4, -1, v4, s7
	v_cmp_eq_u32_e64 s7, v33, v22
	v_cmp_eq_u32_e64 s9, 1, v2
	;; [unrolled: 1-line block ×4, first 2 shown]
	v_cndmask_b32_e64 v1, -1, v6, s12
	s_and_b32 s8, s7, s8
	v_cmp_eq_u32_e64 s12, v32, v22
	v_cmp_eq_u32_e64 s13, 0, v3
	s_wait_alu 0xfffe
	v_cndmask_b32_e64 v6, 0, 1, s8
	v_cmp_eq_u32_e64 s8, 1, v3
	s_and_b32 s9, s7, s9
	v_and_b32_e32 v2, v4, v30
	v_bfe_u32 v4, v4, s69, 2
	s_wait_alu 0xfffe
	v_cndmask_b32_e64 v32, 0, 1, s9
	v_cmp_eq_u32_e64 s9, 2, v3
	s_and_b32 s10, s7, s10
	s_and_b32 s7, s7, s11
	s_wait_alu 0xfffe
	v_cndmask_b32_e64 v33, 0, 1, s10
	s_and_b32 s13, s12, s13
	s_and_b32 s8, s12, s8
	v_cmp_eq_u32_e64 s10, 3, v3
	v_cndmask_b32_e64 v3, 0, 1, s7
	v_cmp_eq_u32_e64 s7, v2, v22
	v_cmp_eq_u32_e64 s11, 0, v4
	v_cmp_ne_u32_e64 s14, 0, v6
	s_wait_alu 0xfffe
	v_cndmask_b32_e64 v6, 0, 1, s13
	v_cmp_eq_u32_e64 s13, 1, v4
	v_cmp_ne_u32_e64 s15, 0, v32
	v_cndmask_b32_e64 v32, 0, 1, s8
	v_cmp_eq_u32_e64 s8, 2, v4
	s_and_b32 s9, s12, s9
	v_and_b32_e32 v2, v1, v30
	v_bfe_u32 v1, v1, s69, 2
	v_cmp_ne_u32_e64 s16, 0, v33
	s_wait_alu 0xfffe
	v_cndmask_b32_e64 v33, 0, 1, s9
	v_cmp_eq_u32_e64 s9, 3, v4
	s_and_b32 s10, s12, s10
	s_and_b32 s11, s7, s11
	;; [unrolled: 1-line block ×4, first 2 shown]
	v_cmp_ne_u32_e64 s17, 0, v3
	s_wait_alu 0xfffe
	v_cndmask_b32_e64 v3, 0, 1, s10
	v_cmp_eq_u32_e64 s10, v2, v22
	v_cmp_eq_u32_e64 s12, 0, v1
	s_bcnt1_i32_b32 s25, s14
	v_cmp_ne_u32_e64 s14, 0, v6
	v_cndmask_b32_e64 v2, 0, 1, s11
	v_cmp_eq_u32_e64 s11, 1, v1
	v_cndmask_b32_e64 v4, 0, 1, s13
	v_cmp_eq_u32_e64 s13, 2, v1
	v_cndmask_b32_e64 v6, 0, 1, s8
	v_cmp_eq_u32_e64 s8, 3, v1
	s_and_b32 s7, s7, s9
	s_bcnt1_i32_b32 s71, s17
	s_wait_alu 0xfffe
	v_cndmask_b32_e64 v1, 0, 1, s7
	v_cmp_ne_u32_e64 s17, 0, v3
	s_and_b32 s9, s10, s12
	s_and_b32 s11, s10, s11
	;; [unrolled: 1-line block ×4, first 2 shown]
	v_cmp_ne_u32_e64 s7, 0, v2
	s_wait_alu 0xfffe
	v_cndmask_b32_e64 v2, 0, 1, s9
	v_cmp_ne_u32_e64 s9, 0, v4
	v_cndmask_b32_e64 v3, 0, 1, s11
	v_cndmask_b32_e64 v4, 0, 1, s12
	v_cmp_ne_u32_e64 s12, 0, v1
	v_cndmask_b32_e64 v1, 0, 1, s8
	s_bcnt1_i32_b32 s26, s15
	v_cmp_ne_u32_e64 s15, 0, v32
	s_bcnt1_i32_b32 s70, s16
	v_cmp_ne_u32_e64 s16, 0, v33
	s_add_co_i32 s21, s71, s21
	v_cmp_ne_u32_e64 s11, 0, v6
	s_bcnt1_i32_b32 s13, s17
	s_bcnt1_i32_b32 s17, s7
	s_wait_alu 0xfffe
	s_add_co_i32 s13, s21, s13
	v_cmp_ne_u32_e64 s7, 0, v2
	s_bcnt1_i32_b32 s21, s9
	v_cmp_ne_u32_e64 s8, 0, v3
	v_cmp_ne_u32_e64 s9, 0, v4
	;; [unrolled: 1-line block ×3, first 2 shown]
	s_add_co_i32 s24, s25, s24
	s_add_co_i32 s23, s26, s23
	s_add_co_i32 s22, s70, s22
	s_bcnt1_i32_b32 s14, s14
	s_bcnt1_i32_b32 s15, s15
	;; [unrolled: 1-line block ×3, first 2 shown]
	s_wait_alu 0xfffe
	s_add_co_i32 s14, s24, s14
	s_add_co_i32 s15, s23, s15
	;; [unrolled: 1-line block ×3, first 2 shown]
	s_bcnt1_i32_b32 s11, s11
	s_bcnt1_i32_b32 s12, s12
	s_wait_alu 0xfffe
	s_add_co_i32 s14, s14, s17
	s_add_co_i32 s15, s15, s21
	;; [unrolled: 1-line block ×4, first 2 shown]
	s_bcnt1_i32_b32 s7, s7
	s_bcnt1_i32_b32 s8, s8
	;; [unrolled: 1-line block ×4, first 2 shown]
	s_wait_alu 0xfffe
	s_add_co_i32 s24, s14, s7
	s_add_co_i32 s23, s15, s8
	;; [unrolled: 1-line block ×4, first 2 shown]
	s_wait_alu 0xfffe
	v_dual_mov_b32 v1, s24 :: v_dual_mov_b32 v2, s23
	v_dual_mov_b32 v3, s22 :: v_dual_mov_b32 v4, s21
	s_or_b32 s19, vcc_lo, s19
	s_wait_alu 0xfffe
	s_and_not1_b32 exec_lo, exec_lo, s19
	s_cbranch_execnz .LBB120_59
; %bb.60:                               ;   in Loop: Header=BB120_20 Depth=1
	s_or_b32 exec_lo, exec_lo, s19
.LBB120_61:                             ;   in Loop: Header=BB120_20 Depth=1
	s_wait_alu 0xfffe
	s_or_b32 exec_lo, exec_lo, s18
	s_and_saveexec_b32 s11, s5
	s_cbranch_execz .LBB120_67
; %bb.62:                               ;   in Loop: Header=BB120_20 Depth=1
	global_load_b32 v33, v[10:11], off
	v_mov_b32_e32 v6, v26
	v_mov_b32_e32 v14, v20
	s_mov_b32 s12, 0
	s_branch .LBB120_64
.LBB120_63:                             ;   in Loop: Header=BB120_64 Depth=2
	s_wait_alu 0xfffe
	s_or_b32 exec_lo, exec_lo, s8
	s_wait_loadcnt 0x0
	v_cmp_lt_i32_e64 s7, -1, v33
	s_and_b32 s8, exec_lo, vcc_lo
	v_add_nc_u32_e32 v6, s51, v6
	s_wait_alu 0xfffe
	s_or_b32 s12, s8, s12
	v_cndmask_b32_e64 v34, -1, 0x80000000, s7
	v_cmp_o_f32_e64 s7, v33, v33
	s_delay_alu instid0(VALU_DEP_2) | instskip(SKIP_1) | instid1(VALU_DEP_1)
	v_xor_b32_e32 v34, v34, v33
	s_wait_alu 0xf1ff
	v_cndmask_b32_e64 v33, -1, v34, s7
	s_delay_alu instid0(VALU_DEP_1) | instskip(SKIP_1) | instid1(VALU_DEP_2)
	v_and_b32_e32 v34, v33, v30
	v_bfe_u32 v33, v33, s69, 2
	v_cmp_eq_u32_e32 vcc_lo, v34, v22
	s_delay_alu instid0(VALU_DEP_2)
	v_cmp_eq_u32_e64 s7, 0, v33
	v_cmp_eq_u32_e64 s8, 1, v33
	;; [unrolled: 1-line block ×4, first 2 shown]
	s_and_b32 s7, vcc_lo, s7
	s_wait_alu 0xfffe
	v_cndmask_b32_e64 v33, 0, 1, s7
	s_and_b32 s7, vcc_lo, s8
	s_wait_alu 0xfffe
	v_cndmask_b32_e64 v34, 0, 1, s7
	;; [unrolled: 3-line block ×3, first 2 shown]
	s_and_b32 s7, vcc_lo, s10
	v_cmp_ne_u32_e32 vcc_lo, 0, v33
	s_wait_alu 0xfffe
	v_cndmask_b32_e64 v36, 0, 1, s7
	v_cmp_ne_u32_e64 s7, 0, v34
	v_cmp_ne_u32_e64 s8, 0, v35
	v_mov_b32_e32 v33, v32
	s_bcnt1_i32_b32 s10, vcc_lo
	v_cmp_ne_u32_e64 s9, 0, v36
	s_bcnt1_i32_b32 s7, s7
	s_bcnt1_i32_b32 s8, s8
	s_wait_alu 0xfffe
	v_add_nc_u32_e32 v1, s10, v1
	v_add_nc_u32_e32 v2, s7, v2
	s_bcnt1_i32_b32 s9, s9
	v_add_nc_u32_e32 v3, s8, v3
	s_wait_alu 0xfffe
	v_add_nc_u32_e32 v4, s9, v4
	s_and_not1_b32 exec_lo, exec_lo, s12
	s_cbranch_execz .LBB120_66
.LBB120_64:                             ;   Parent Loop BB120_20 Depth=1
                                        ; =>  This Inner Loop Header: Depth=2
	s_delay_alu instid0(VALU_DEP_1) | instskip(SKIP_2) | instid1(VALU_DEP_2)
	v_add_nc_u32_e32 v14, s29, v14
	v_mov_b32_e32 v32, 0
	s_mov_b32 s8, exec_lo
	v_cmp_le_u32_e32 vcc_lo, s28, v14
	v_cmpx_gt_u32_e64 s28, v14
	s_cbranch_execz .LBB120_63
; %bb.65:                               ;   in Loop: Header=BB120_64 Depth=2
	v_lshlrev_b64_e32 v[34:35], 2, v[6:7]
	s_delay_alu instid0(VALU_DEP_1) | instskip(SKIP_1) | instid1(VALU_DEP_2)
	v_add_co_u32 v34, s7, s34, v34
	s_wait_alu 0xf1fe
	v_add_co_ci_u32_e64 v35, null, s35, v35, s7
	global_load_b32 v32, v[34:35], off
	s_branch .LBB120_63
.LBB120_66:                             ;   in Loop: Header=BB120_20 Depth=1
	s_or_b32 exec_lo, exec_lo, s12
.LBB120_67:                             ;   in Loop: Header=BB120_20 Depth=1
	s_wait_alu 0xfffe
	s_or_b32 exec_lo, exec_lo, s11
	s_branch .LBB120_49
.LBB120_68:                             ;   in Loop: Header=BB120_20 Depth=1
	s_mul_u64 s[8:9], s[40:41], s[42:43]
	v_dual_mov_b32 v1, 0 :: v_dual_mov_b32 v2, 0
	s_wait_alu 0xfffe
	s_mul_i32 s7, s9, s49
	v_dual_mov_b32 v3, 0 :: v_dual_mov_b32 v4, 0
	s_wait_alu 0xfffe
	s_sub_co_i32 s7, s40, s7
	s_mov_b32 s71, exec_lo
	s_wait_alu 0xfffe
	s_sub_co_i32 s8, s7, s49
	s_cmp_ge_u32 s7, s49
	s_wait_alu 0xfffe
	s_cselect_b32 s7, s8, s7
	s_wait_alu 0xfffe
	s_sub_co_i32 s8, s7, s49
	s_cmp_ge_u32 s7, s49
	s_wait_alu 0xfffe
	s_cselect_b32 s7, s8, s7
	s_wait_alu 0xfffe
	s_sub_co_i32 s70, s40, s7
	s_wait_alu 0xfffe
	v_cmpx_gt_u32_e64 s70, v17
	s_cbranch_execz .LBB120_72
; %bb.69:                               ;   in Loop: Header=BB120_20 Depth=1
	v_mov_b32_e32 v6, v27
	v_mov_b32_e32 v14, v17
	s_mov_b32 s72, 0
	s_mov_b32 s73, 0
	;; [unrolled: 1-line block ×5, first 2 shown]
.LBB120_70:                             ;   Parent Loop BB120_20 Depth=1
                                        ; =>  This Inner Loop Header: Depth=2
	ds_load_b128 v[1:4], v6
	s_wait_dscnt 0x0
	v_cmp_lt_i32_e64 s7, -1, v1
	v_cmp_o_f32_e64 s10, v1, v1
	v_cmp_o_f32_e64 s8, v3, v3
	;; [unrolled: 1-line block ×3, first 2 shown]
	s_wait_alu 0xf1ff
	v_cndmask_b32_e64 v32, -1, 0x80000000, s7
	v_cmp_lt_i32_e64 s7, -1, v2
	s_delay_alu instid0(VALU_DEP_2) | instskip(SKIP_1) | instid1(VALU_DEP_2)
	v_xor_b32_e32 v32, v32, v1
	s_wait_alu 0xf1ff
	v_cndmask_b32_e64 v33, -1, 0x80000000, s7
	v_cmp_lt_i32_e64 s7, -1, v3
	s_delay_alu instid0(VALU_DEP_3) | instskip(NEXT) | instid1(VALU_DEP_3)
	v_cndmask_b32_e64 v1, -1, v32, s10
	v_xor_b32_e32 v33, v33, v2
	s_wait_alu 0xf1ff
	s_delay_alu instid0(VALU_DEP_3) | instskip(SKIP_4) | instid1(VALU_DEP_3)
	v_cndmask_b32_e64 v34, -1, 0x80000000, s7
	v_cmp_lt_i32_e64 s7, -1, v4
	v_and_b32_e32 v32, v1, v30
	v_bfe_u32 v1, v1, s69, 2
	s_wait_alu 0xf1ff
	v_cndmask_b32_e64 v35, -1, 0x80000000, s7
	v_cmp_o_f32_e64 s7, v2, v2
	v_xor_b32_e32 v2, v34, v3
	v_cmp_eq_u32_e64 s11, 0, v1
	v_cmp_eq_u32_e64 s15, 1, v1
	v_xor_b32_e32 v3, v35, v4
	s_wait_alu 0xf1ff
	v_cndmask_b32_e64 v4, -1, v33, s7
	v_cndmask_b32_e64 v2, -1, v2, s8
	v_cmp_eq_u32_e64 s7, v32, v22
	v_cmp_eq_u32_e64 s19, 2, v1
	v_cndmask_b32_e64 v3, -1, v3, s9
	v_and_b32_e32 v33, v4, v30
	v_bfe_u32 v4, v4, s69, 2
	v_and_b32_e32 v34, v2, v30
	v_bfe_u32 v2, v2, s69, 2
	;; [unrolled: 2-line block ×3, first 2 shown]
	v_cmp_eq_u32_e64 s8, v33, v22
	v_cmp_eq_u32_e64 s12, 0, v4
	;; [unrolled: 1-line block ×4, first 2 shown]
	s_and_b32 s11, s7, s11
	v_cmp_eq_u32_e64 s10, v35, v22
	v_cmp_eq_u32_e64 s14, 0, v3
	;; [unrolled: 1-line block ×3, first 2 shown]
	s_wait_alu 0xfffe
	v_cndmask_b32_e64 v1, 0, 1, s11
	s_and_b32 s11, s8, s12
	v_cmp_eq_u32_e64 s17, 1, v2
	v_cmp_eq_u32_e64 s21, 2, v2
	;; [unrolled: 1-line block ×3, first 2 shown]
	s_wait_alu 0xfffe
	v_cndmask_b32_e64 v2, 0, 1, s11
	s_and_b32 s11, s9, s13
	v_cmp_eq_u32_e64 s16, 1, v4
	v_cmp_eq_u32_e64 s18, 1, v3
	;; [unrolled: 1-line block ×4, first 2 shown]
	s_wait_alu 0xfffe
	v_cndmask_b32_e64 v3, 0, 1, s11
	s_and_b32 s11, s10, s14
	v_cmp_eq_u32_e64 s20, 2, v4
	v_cmp_eq_u32_e64 s24, 3, v4
	s_wait_alu 0xfffe
	v_cndmask_b32_e64 v4, 0, 1, s11
	s_and_b32 s11, s7, s15
	s_wait_alu 0xfffe
	v_cndmask_b32_e64 v32, 0, 1, s11
	s_and_b32 s11, s8, s16
	;; [unrolled: 3-line block ×4, first 2 shown]
	v_cmp_ne_u32_e64 s12, 0, v33
	s_wait_alu 0xfffe
	v_cndmask_b32_e64 v35, 0, 1, s11
	s_and_b32 s11, s7, s19
	s_and_b32 s7, s7, s23
	s_wait_alu 0xfffe
	v_cndmask_b32_e64 v36, 0, 1, s11
	v_cndmask_b32_e64 v40, 0, 1, s7
	s_and_b32 s7, s8, s24
	s_and_b32 s11, s8, s20
	s_wait_alu 0xfffe
	v_cndmask_b32_e64 v41, 0, 1, s7
	s_and_b32 s7, s9, s25
	v_cndmask_b32_e64 v37, 0, 1, s11
	s_wait_alu 0xfffe
	v_cndmask_b32_e64 v42, 0, 1, s7
	s_and_b32 s7, s10, s26
	s_and_b32 s11, s9, s21
	s_wait_alu 0xfffe
	v_cndmask_b32_e64 v43, 0, 1, s7
	v_cmp_ne_u32_e64 s7, 0, v1
	v_cmp_ne_u32_e64 s8, 0, v2
	v_cndmask_b32_e64 v38, 0, 1, s11
	s_and_b32 s11, s10, s22
	v_cmp_ne_u32_e64 s9, 0, v3
	s_wait_alu 0xfffe
	v_cndmask_b32_e64 v39, 0, 1, s11
	v_cmp_ne_u32_e64 s11, 0, v32
	v_cmp_ne_u32_e64 s15, 0, v36
	;; [unrolled: 1-line block ×3, first 2 shown]
	s_bcnt1_i32_b32 s7, s7
	v_cmp_ne_u32_e64 s10, 0, v4
	v_cmp_ne_u32_e64 s16, 0, v37
	;; [unrolled: 1-line block ×3, first 2 shown]
	s_bcnt1_i32_b32 s8, s8
	s_wait_alu 0xfffe
	s_add_co_i32 s7, s7, s76
	v_cmp_ne_u32_e64 s13, 0, v34
	v_cmp_ne_u32_e64 s17, 0, v38
	;; [unrolled: 1-line block ×3, first 2 shown]
	s_bcnt1_i32_b32 s9, s9
	s_wait_alu 0xfffe
	s_add_co_i32 s7, s7, s8
	s_bcnt1_i32_b32 s11, s11
	s_bcnt1_i32_b32 s15, s15
	;; [unrolled: 1-line block ×3, first 2 shown]
	v_cmp_ne_u32_e64 s14, 0, v35
	v_cmp_ne_u32_e64 s18, 0, v39
	;; [unrolled: 1-line block ×3, first 2 shown]
	s_bcnt1_i32_b32 s10, s10
	s_wait_alu 0xfffe
	s_add_co_i32 s7, s7, s9
	s_bcnt1_i32_b32 s12, s12
	s_bcnt1_i32_b32 s16, s16
	;; [unrolled: 1-line block ×3, first 2 shown]
	s_add_co_i32 s11, s11, s75
	s_add_co_i32 s15, s15, s74
	s_add_co_i32 s19, s19, s73
	s_wait_alu 0xfffe
	s_add_co_i32 s76, s7, s10
	s_wait_alu 0xfffe
	v_dual_mov_b32 v1, s76 :: v_dual_add_nc_u32 v14, s49, v14
	s_bcnt1_i32_b32 s13, s13
	s_bcnt1_i32_b32 s17, s17
	s_bcnt1_i32_b32 s21, s21
	s_add_co_i32 s8, s11, s12
	s_add_co_i32 s11, s15, s16
	;; [unrolled: 1-line block ×3, first 2 shown]
	s_bcnt1_i32_b32 s14, s14
	s_bcnt1_i32_b32 s18, s18
	;; [unrolled: 1-line block ×3, first 2 shown]
	s_wait_alu 0xfffe
	s_add_co_i32 s8, s8, s13
	s_add_co_i32 s9, s11, s17
	;; [unrolled: 1-line block ×3, first 2 shown]
	v_cmp_le_u32_e32 vcc_lo, s70, v14
	s_wait_alu 0xfffe
	s_add_co_i32 s75, s8, s14
	s_add_co_i32 s74, s9, s18
	;; [unrolled: 1-line block ×3, first 2 shown]
	s_wait_alu 0xfffe
	v_dual_mov_b32 v3, s74 :: v_dual_add_nc_u32 v6, s61, v6
	v_mov_b32_e32 v2, s75
	v_mov_b32_e32 v4, s73
	s_or_b32 s72, vcc_lo, s72
	s_wait_alu 0xfffe
	s_and_not1_b32 exec_lo, exec_lo, s72
	s_cbranch_execnz .LBB120_70
; %bb.71:                               ;   in Loop: Header=BB120_20 Depth=1
	s_or_b32 exec_lo, exec_lo, s72
.LBB120_72:                             ;   in Loop: Header=BB120_20 Depth=1
	s_delay_alu instid0(SALU_CYCLE_1) | instskip(SKIP_2) | instid1(VALU_DEP_1)
	s_or_b32 exec_lo, exec_lo, s71
	v_add_nc_u32_e32 v6, s70, v0
	s_mov_b32 s12, exec_lo
	v_cmpx_gt_u32_e64 s40, v6
	s_cbranch_execz .LBB120_76
; %bb.73:                               ;   in Loop: Header=BB120_20 Depth=1
	v_lshlrev_b32_e32 v14, 2, v6
	s_mov_b32 s13, 0
.LBB120_74:                             ;   Parent Loop BB120_20 Depth=1
                                        ; =>  This Inner Loop Header: Depth=2
	ds_load_b32 v32, v14
	v_add_nc_u32_e32 v6, s29, v6
	v_add_nc_u32_e32 v14, s49, v14
	s_delay_alu instid0(VALU_DEP_2) | instskip(SKIP_3) | instid1(VALU_DEP_1)
	v_cmp_le_u32_e32 vcc_lo, s40, v6
	s_wait_dscnt 0x0
	v_cmp_lt_i32_e64 s7, -1, v32
	s_wait_alu 0xf1ff
	v_cndmask_b32_e64 v33, -1, 0x80000000, s7
	v_cmp_o_f32_e64 s7, v32, v32
	s_delay_alu instid0(VALU_DEP_2) | instskip(SKIP_1) | instid1(VALU_DEP_1)
	v_xor_b32_e32 v33, v33, v32
	s_wait_alu 0xf1ff
	v_cndmask_b32_e64 v32, -1, v33, s7
	s_delay_alu instid0(VALU_DEP_1) | instskip(SKIP_1) | instid1(VALU_DEP_2)
	v_and_b32_e32 v33, v32, v30
	v_bfe_u32 v32, v32, s69, 2
	v_cmp_eq_u32_e64 s7, v33, v22
	s_delay_alu instid0(VALU_DEP_2)
	v_cmp_eq_u32_e64 s8, 0, v32
	v_cmp_eq_u32_e64 s9, 1, v32
	;; [unrolled: 1-line block ×4, first 2 shown]
	s_and_b32 s8, s7, s8
	s_wait_alu 0xfffe
	v_cndmask_b32_e64 v32, 0, 1, s8
	s_and_b32 s8, s7, s9
	s_wait_alu 0xfffe
	v_cndmask_b32_e64 v33, 0, 1, s8
	s_and_b32 s8, s7, s10
	s_and_b32 s7, s7, s11
	s_wait_alu 0xfffe
	v_cndmask_b32_e64 v34, 0, 1, s8
	v_cndmask_b32_e64 v35, 0, 1, s7
	v_cmp_ne_u32_e64 s7, 0, v32
	v_cmp_ne_u32_e64 s8, 0, v33
	s_delay_alu instid0(VALU_DEP_4) | instskip(NEXT) | instid1(VALU_DEP_4)
	v_cmp_ne_u32_e64 s9, 0, v34
	v_cmp_ne_u32_e64 s10, 0, v35
	s_bcnt1_i32_b32 s7, s7
	s_bcnt1_i32_b32 s8, s8
	s_wait_alu 0xfffe
	v_add_nc_u32_e32 v1, s7, v1
	s_bcnt1_i32_b32 s9, s9
	s_bcnt1_i32_b32 s10, s10
	v_add_nc_u32_e32 v2, s8, v2
	s_wait_alu 0xfffe
	v_add_nc_u32_e32 v3, s9, v3
	v_add_nc_u32_e32 v4, s10, v4
	s_or_b32 s13, vcc_lo, s13
	s_wait_alu 0xfffe
	s_and_not1_b32 exec_lo, exec_lo, s13
	s_cbranch_execnz .LBB120_74
; %bb.75:                               ;   in Loop: Header=BB120_20 Depth=1
	s_or_b32 exec_lo, exec_lo, s13
.LBB120_76:                             ;   in Loop: Header=BB120_20 Depth=1
	s_wait_alu 0xfffe
	s_or_b32 exec_lo, exec_lo, s12
	v_lshlrev_b32_e32 v6, 7, v29
	s_and_saveexec_b32 s7, s3
	s_cbranch_execnz .LBB120_50
	s_branch .LBB120_51
.LBB120_77:                             ;   in Loop: Header=BB120_20 Depth=1
	v_mov_b32_e32 v1, 0
	s_mov_b32 s8, 0
	s_and_not1_b32 vcc_lo, exec_lo, s57
	s_wait_alu 0xfffe
	s_cbranch_vccnz .LBB120_80
.LBB120_78:                             ;   in Loop: Header=BB120_20 Depth=1
	v_lshlrev_b32_e32 v2, 9, v29
	s_lshl_b32 s8, s8, 4
	s_wait_alu 0xfffe
	s_delay_alu instid0(VALU_DEP_1)
	v_add3_u32 v2, v2, s8, v28
	s_mov_b32 s8, s54
.LBB120_79:                             ;   Parent Loop BB120_20 Depth=1
                                        ; =>  This Inner Loop Header: Depth=2
	ds_load_b32 v3, v2
	v_add_nc_u32_e32 v2, 16, v2
	s_wait_alu 0xfffe
	s_add_co_i32 s8, s8, -1
	s_wait_alu 0xfffe
	s_cmp_lg_u32 s8, 0
	s_wait_dscnt 0x0
	v_add_nc_u32_e32 v1, v3, v1
	s_cbranch_scc1 .LBB120_79
.LBB120_80:                             ;   in Loop: Header=BB120_20 Depth=1
	v_add_lshl_u32 v2, v6, v16, 2
	ds_store_b32 v2, v1 offset:3072
.LBB120_81:                             ;   in Loop: Header=BB120_20 Depth=1
	s_wait_alu 0xfffe
	s_or_b32 exec_lo, exec_lo, s7
	v_lshlrev_b32_e32 v1, 2, v6
	s_wait_loadcnt_dscnt 0x0
	s_barrier_signal -1
	s_barrier_wait -1
	global_inv scope:SCOPE_SE
	ds_load_b128 v[1:4], v1 offset:3072
	s_lshl_b32 s8, 3, s69
	v_cmp_eq_u32_e32 vcc_lo, 1, v31
	s_wait_alu 0xfffe
	s_not_b32 s15, s8
	s_mov_b32 s11, -1
	s_mov_b32 s19, -1
                                        ; implicit-def: $sgpr16
                                        ; implicit-def: $sgpr13
	s_wait_dscnt 0x0
	v_readfirstlane_b32 s10, v1
	v_readfirstlane_b32 s17, v2
	;; [unrolled: 1-line block ×4, first 2 shown]
	s_cmp_eq_u32 s10, 1
	s_cselect_b32 s9, -1, 0
	s_wait_alu 0xfffe
	s_and_b32 s12, s9, vcc_lo
	s_wait_alu 0xfffe
	s_and_saveexec_b32 s9, s12
	s_cbranch_execz .LBB120_109
; %bb.82:                               ;   in Loop: Header=BB120_20 Depth=1
	ds_load_b32 v1, v7 offset:4104
	s_wait_loadcnt_dscnt 0x0
	s_barrier_signal -1
	s_barrier_wait -1
	global_inv scope:SCOPE_SE
	v_readfirstlane_b32 s19, v1
	s_and_saveexec_b32 s13, s1
; %bb.83:                               ;   in Loop: Header=BB120_20 Depth=1
	ds_store_b32 v18, v7
; %bb.84:                               ;   in Loop: Header=BB120_20 Depth=1
	s_wait_alu 0xfffe
	s_or_b32 exec_lo, exec_lo, s13
	v_and_b32_e32 v22, s15, v22
	v_or_b32_e32 v30, s8, v30
	s_mov_b32 s13, -1
	s_mov_b32 s16, 0
	s_cmp_eq_u32 s19, 0
	s_mov_b32 s18, 0
	s_mov_b32 s20, -1
	s_wait_loadcnt_dscnt 0x0
	s_barrier_signal -1
	s_barrier_wait -1
	global_inv scope:SCOPE_SE
                                        ; implicit-def: $vgpr15
	s_cbranch_scc1 .LBB120_96
; %bb.85:                               ;   in Loop: Header=BB120_20 Depth=1
	s_add_co_i32 s40, s19, s50
                                        ; implicit-def: $vgpr15
	s_wait_alu 0xfffe
	s_mul_u64 s[20:21], s[40:41], s[44:45]
	s_wait_alu 0xfffe
	s_mul_i32 s18, s21, s29
	s_mov_b32 s21, exec_lo
	s_wait_alu 0xfffe
	s_sub_co_i32 s18, s40, s18
	s_wait_alu 0xfffe
	s_sub_co_i32 s20, s18, s29
	s_cmp_ge_u32 s18, s29
	s_wait_alu 0xfffe
	s_cselect_b32 s18, s20, s18
	s_wait_alu 0xfffe
	s_sub_co_i32 s20, s18, s29
	s_cmp_ge_u32 s18, s29
	s_wait_alu 0xfffe
	s_cselect_b32 s18, s20, s18
	s_mov_b32 s20, 0
	s_wait_alu 0xfffe
	s_sub_co_i32 s22, s40, s18
	s_mov_b32 s18, 0
	s_wait_alu 0xfffe
	v_cmpx_gt_u32_e64 s22, v0
	s_cbranch_execz .LBB120_95
; %bb.86:                               ;   in Loop: Header=BB120_20 Depth=1
	v_dual_mov_b32 v1, v17 :: v_dual_mov_b32 v2, v0
                                        ; implicit-def: $sgpr23
	s_branch .LBB120_90
.LBB120_87:                             ;   in Loop: Header=BB120_90 Depth=2
	s_wait_alu 0xfffe
	s_or_b32 exec_lo, exec_lo, s24
	s_wait_loadcnt_dscnt 0x0
	s_barrier_signal -1
	s_barrier_wait -1
	global_inv scope:SCOPE_SE
	ds_load_b64 v[14:15], v7 offset:3072
	s_wait_loadcnt_dscnt 0x0
	s_barrier_signal -1
	s_barrier_wait -1
	global_inv scope:SCOPE_SE
	v_cmp_neq_f32_e32 vcc_lo, 0, v14
	s_cbranch_vccnz .LBB120_93
; %bb.88:                               ;   in Loop: Header=BB120_90 Depth=2
	v_add_nc_u32_e32 v2, s29, v2
	v_add_nc_u32_e32 v1, s49, v1
	s_mov_b32 s24, 0
	s_delay_alu instid0(VALU_DEP_2)
	v_cmp_le_u32_e32 vcc_lo, s22, v2
	s_or_not1_b32 s25, vcc_lo, exec_lo
.LBB120_89:                             ;   in Loop: Header=BB120_90 Depth=2
	s_wait_alu 0xfffe
	s_and_b32 s25, exec_lo, s25
	s_wait_alu 0xfffe
	s_or_b32 s18, s25, s18
	s_and_not1_b32 s23, s23, exec_lo
	s_and_b32 s24, s24, exec_lo
	s_wait_alu 0xfffe
	s_or_b32 s23, s23, s24
	s_and_not1_b32 exec_lo, exec_lo, s18
	s_cbranch_execz .LBB120_94
.LBB120_90:                             ;   Parent Loop BB120_20 Depth=1
                                        ; =>  This Inner Loop Header: Depth=2
	s_mov_b32 s24, exec_lo
	s_delay_alu instid0(VALU_DEP_1)
	v_cmpx_gt_u32_e64 s19, v2
	s_cbranch_execz .LBB120_87
; %bb.91:                               ;   in Loop: Header=BB120_90 Depth=2
	ds_load_b32 v14, v1
	s_wait_dscnt 0x0
	v_cmp_lt_i32_e32 vcc_lo, -1, v14
	s_wait_alu 0xfffd
	v_cndmask_b32_e64 v3, -1, 0x80000000, vcc_lo
	v_cmp_o_f32_e32 vcc_lo, v14, v14
	s_delay_alu instid0(VALU_DEP_2) | instskip(SKIP_1) | instid1(VALU_DEP_1)
	v_xor_b32_e32 v3, v3, v14
	s_wait_alu 0xfffd
	v_cndmask_b32_e32 v3, -1, v3, vcc_lo
	s_delay_alu instid0(VALU_DEP_1) | instskip(NEXT) | instid1(VALU_DEP_1)
	v_and_b32_e32 v3, v3, v30
	v_cmp_eq_u32_e32 vcc_lo, v3, v22
	s_and_b32 exec_lo, exec_lo, vcc_lo
	s_cbranch_execz .LBB120_87
; %bb.92:                               ;   in Loop: Header=BB120_90 Depth=2
	ds_store_b64 v7, v[13:14] offset:3072
	s_branch .LBB120_87
.LBB120_93:                             ;   in Loop: Header=BB120_90 Depth=2
	s_mov_b32 s25, -1
	s_mov_b32 s24, -1
                                        ; implicit-def: $vgpr2
                                        ; implicit-def: $vgpr1
	s_branch .LBB120_89
.LBB120_94:                             ;   in Loop: Header=BB120_20 Depth=1
	s_or_b32 exec_lo, exec_lo, s18
	s_wait_alu 0xfffe
	s_and_b32 s18, s23, exec_lo
.LBB120_95:                             ;   in Loop: Header=BB120_20 Depth=1
	s_or_b32 exec_lo, exec_lo, s21
.LBB120_96:                             ;   in Loop: Header=BB120_20 Depth=1
	s_wait_alu 0xfffe
	s_and_b32 vcc_lo, exec_lo, s20
	s_wait_alu 0xfffe
	s_cbranch_vccz .LBB120_108
; %bb.97:                               ;   in Loop: Header=BB120_20 Depth=1
                                        ; implicit-def: $vgpr15
	s_and_saveexec_b32 s13, s6
	s_cbranch_execz .LBB120_107
; %bb.98:                               ;   in Loop: Header=BB120_20 Depth=1
	v_dual_mov_b32 v6, v5 :: v_dual_mov_b32 v1, v0
	s_mov_b32 s16, 0
                                        ; implicit-def: $sgpr19
	s_branch .LBB120_102
.LBB120_99:                             ;   in Loop: Header=BB120_102 Depth=2
	s_wait_alu 0xfffe
	s_or_b32 exec_lo, exec_lo, s20
	s_wait_loadcnt_dscnt 0x0
	s_barrier_signal -1
	s_barrier_wait -1
	global_inv scope:SCOPE_SE
	ds_load_b64 v[14:15], v7 offset:3072
	s_wait_loadcnt_dscnt 0x0
	s_barrier_signal -1
	s_barrier_wait -1
	global_inv scope:SCOPE_SE
	v_cmp_neq_f32_e32 vcc_lo, 0, v14
	s_cbranch_vccnz .LBB120_105
; %bb.100:                              ;   in Loop: Header=BB120_102 Depth=2
	v_add_nc_u32_e32 v1, s29, v1
	v_add_nc_u32_e32 v6, s51, v6
	s_mov_b32 s20, 0
	s_delay_alu instid0(VALU_DEP_2)
	v_cmp_le_u32_e32 vcc_lo, s59, v1
	s_or_not1_b32 s21, vcc_lo, exec_lo
.LBB120_101:                            ;   in Loop: Header=BB120_102 Depth=2
	s_wait_alu 0xfffe
	s_and_b32 s21, exec_lo, s21
	s_wait_alu 0xfffe
	s_or_b32 s16, s21, s16
	s_and_not1_b32 s19, s19, exec_lo
	s_and_b32 s20, s20, exec_lo
	s_wait_alu 0xfffe
	s_or_b32 s19, s19, s20
	s_and_not1_b32 exec_lo, exec_lo, s16
	s_cbranch_execz .LBB120_106
.LBB120_102:                            ;   Parent Loop BB120_20 Depth=1
                                        ; =>  This Inner Loop Header: Depth=2
	s_mov_b32 s20, exec_lo
	s_delay_alu instid0(VALU_DEP_1)
	v_cmpx_gt_u32_e64 s28, v1
	s_cbranch_execz .LBB120_99
; %bb.103:                              ;   in Loop: Header=BB120_102 Depth=2
	v_lshlrev_b64_e32 v[2:3], 2, v[6:7]
	s_delay_alu instid0(VALU_DEP_1) | instskip(SKIP_1) | instid1(VALU_DEP_2)
	v_add_co_u32 v2, vcc_lo, s34, v2
	s_wait_alu 0xfffd
	v_add_co_ci_u32_e64 v3, null, s35, v3, vcc_lo
	global_load_b32 v14, v[2:3], off
	s_wait_loadcnt 0x0
	v_cmp_lt_i32_e32 vcc_lo, -1, v14
	s_wait_alu 0xfffd
	v_cndmask_b32_e64 v2, -1, 0x80000000, vcc_lo
	v_cmp_o_f32_e32 vcc_lo, v14, v14
	s_delay_alu instid0(VALU_DEP_2) | instskip(SKIP_1) | instid1(VALU_DEP_1)
	v_xor_b32_e32 v2, v2, v14
	s_wait_alu 0xfffd
	v_cndmask_b32_e32 v2, -1, v2, vcc_lo
	s_delay_alu instid0(VALU_DEP_1) | instskip(NEXT) | instid1(VALU_DEP_1)
	v_and_b32_e32 v2, v2, v30
	v_cmp_eq_u32_e32 vcc_lo, v2, v22
	s_and_b32 exec_lo, exec_lo, vcc_lo
	s_cbranch_execz .LBB120_99
; %bb.104:                              ;   in Loop: Header=BB120_102 Depth=2
	ds_store_b64 v7, v[13:14] offset:3072
	s_branch .LBB120_99
.LBB120_105:                            ;   in Loop: Header=BB120_102 Depth=2
	s_mov_b32 s21, -1
	s_mov_b32 s20, -1
                                        ; implicit-def: $vgpr1
	s_branch .LBB120_101
.LBB120_106:                            ;   in Loop: Header=BB120_20 Depth=1
	s_or_b32 exec_lo, exec_lo, s16
	s_delay_alu instid0(SALU_CYCLE_1)
	s_and_not1_b32 s16, s18, exec_lo
	s_wait_alu 0xfffe
	s_and_b32 s18, s19, exec_lo
	s_wait_alu 0xfffe
	s_or_b32 s18, s16, s18
.LBB120_107:                            ;   in Loop: Header=BB120_20 Depth=1
	s_wait_alu 0xfffe
	s_or_b32 exec_lo, exec_lo, s13
	s_mov_b32 s13, 0
	s_mov_b32 s16, -1
.LBB120_108:                            ;   in Loop: Header=BB120_20 Depth=1
	s_or_not1_b32 s19, s18, exec_lo
.LBB120_109:                            ;   in Loop: Header=BB120_20 Depth=1
	s_wait_alu 0xfffe
	s_or_b32 exec_lo, exec_lo, s9
	v_readfirstlane_b32 s18, v0
	s_and_not1_b32 s9, s67, exec_lo
	s_and_b32 s16, s16, exec_lo
	s_and_not1_b32 s20, s65, exec_lo
	s_and_b32 s13, s13, exec_lo
	s_and_not1_b32 s64, s64, exec_lo
	s_wait_alu 0xfffe
	s_or_b32 s67, s9, s16
	s_or_b32 s65, s20, s13
                                        ; implicit-def: $vgpr2
	s_and_saveexec_b32 s9, s19
	s_cbranch_execz .LBB120_19
; %bb.110:                              ;   in Loop: Header=BB120_20 Depth=1
	v_dual_mov_b32 v2, 1 :: v_dual_mov_b32 v1, 1
	s_xor_b32 s12, s12, -1
	s_mov_b32 s18, 0
	s_wait_alu 0xfffe
	s_and_saveexec_b32 s11, s12
	s_cbranch_execz .LBB120_119
; %bb.111:                              ;   in Loop: Header=BB120_20 Depth=1
	s_mov_b32 s12, exec_lo
	v_cmpx_ge_u32_e64 s10, v31
	s_wait_alu 0xfffe
	s_xor_b32 s12, exec_lo, s12
	s_cbranch_execz .LBB120_116
; %bb.112:                              ;   in Loop: Header=BB120_20 Depth=1
	ds_load_b32 v1, v7 offset:4104
	v_and_b32_e32 v22, s15, v22
	v_or_b32_e32 v30, s8, v30
	s_wait_dscnt 0x0
	v_cmp_ne_u32_e32 vcc_lo, 0, v1
	s_cbranch_vccnz .LBB120_116
; %bb.113:                              ;   in Loop: Header=BB120_20 Depth=1
	s_and_saveexec_b32 s13, s0
; %bb.114:                              ;   in Loop: Header=BB120_20 Depth=1
	v_mov_b32_e32 v1, s10
	ds_store_b32 v7, v1 offset:4108
; %bb.115:                              ;   in Loop: Header=BB120_20 Depth=1
	s_wait_alu 0xfffe
	s_or_b32 exec_lo, exec_lo, s13
	s_wait_loadcnt_dscnt 0x0
	s_barrier_signal -1
	s_barrier_wait -1
	global_inv scope:SCOPE_SE
.LBB120_116:                            ;   in Loop: Header=BB120_20 Depth=1
	s_wait_alu 0xfffe
	s_or_saveexec_b32 s12, s12
	v_mov_b32_e32 v1, 8
	s_mov_b32 s13, 0
	s_wait_alu 0xfffe
	s_xor_b32 exec_lo, exec_lo, s12
; %bb.117:                              ;   in Loop: Header=BB120_20 Depth=1
	v_subrev_nc_u32_e32 v31, s10, v31
	v_mov_b32_e32 v1, 0
	s_mov_b32 s13, exec_lo
; %bb.118:                              ;   in Loop: Header=BB120_20 Depth=1
	s_or_b32 exec_lo, exec_lo, s12
	s_delay_alu instid0(VALU_DEP_2)
	v_mov_b32_e32 v2, v31
	s_wait_alu 0xfffe
	s_and_b32 s18, s13, exec_lo
.LBB120_119:                            ;   in Loop: Header=BB120_20 Depth=1
	s_wait_alu 0xfffe
	s_or_b32 exec_lo, exec_lo, s11
	s_mov_b32 s10, -1
	s_mov_b32 s16, -1
                                        ; implicit-def: $sgpr12
                                        ; implicit-def: $sgpr13
	s_and_saveexec_b32 s11, s18
	s_wait_alu 0xfffe
	s_xor_b32 s11, exec_lo, s11
	s_cbranch_execz .LBB120_245
; %bb.120:                              ;   in Loop: Header=BB120_20 Depth=1
	v_cmp_eq_u32_e32 vcc_lo, 1, v2
	s_cmp_eq_u32 s17, 1
	s_mov_b32 s19, -1
	s_cselect_b32 s12, -1, 0
                                        ; implicit-def: $sgpr13
	s_wait_alu 0xfffe
	s_and_b32 s18, s12, vcc_lo
                                        ; implicit-def: $sgpr12
	s_wait_alu 0xfffe
	s_and_saveexec_b32 s16, s18
	s_cbranch_execz .LBB120_151
; %bb.121:                              ;   in Loop: Header=BB120_20 Depth=1
	ds_load_b32 v3, v7 offset:4104
	s_wait_loadcnt_dscnt 0x0
	s_barrier_signal -1
	s_barrier_wait -1
	global_inv scope:SCOPE_SE
	v_readfirstlane_b32 s20, v3
	s_and_saveexec_b32 s12, s1
; %bb.122:                              ;   in Loop: Header=BB120_20 Depth=1
	ds_store_b32 v18, v7
; %bb.123:                              ;   in Loop: Header=BB120_20 Depth=1
	s_wait_alu 0xfffe
	s_or_b32 exec_lo, exec_lo, s12
	s_lshl_b32 s12, 1, s69
	v_or_b32_e32 v30, s8, v30
	s_wait_alu 0xfffe
	v_and_or_b32 v22, v22, s15, s12
	s_mov_b32 s12, -1
	s_mov_b32 s13, 0
	s_cmp_eq_u32 s20, 0
	s_mov_b32 s19, 0
	s_mov_b32 s21, -1
	s_wait_loadcnt_dscnt 0x0
	s_barrier_signal -1
	s_barrier_wait -1
	global_inv scope:SCOPE_SE
                                        ; implicit-def: $vgpr15
	s_cbranch_scc1 .LBB120_138
; %bb.124:                              ;   in Loop: Header=BB120_20 Depth=1
	s_add_co_i32 s40, s20, s50
                                        ; implicit-def: $vgpr15
	s_wait_alu 0xfffe
	s_mul_u64 s[22:23], s[40:41], s[44:45]
	s_mov_b32 s22, exec_lo
	s_wait_alu 0xfffe
	s_mul_i32 s19, s23, s29
	s_wait_alu 0xfffe
	s_sub_co_i32 s19, s40, s19
	s_wait_alu 0xfffe
	s_sub_co_i32 s21, s19, s29
	s_cmp_ge_u32 s19, s29
	s_wait_alu 0xfffe
	s_cselect_b32 s19, s21, s19
	s_wait_alu 0xfffe
	s_sub_co_i32 s21, s19, s29
	s_cmp_ge_u32 s19, s29
	s_wait_alu 0xfffe
	s_cselect_b32 s19, s21, s19
	s_mov_b32 s21, 0
	s_wait_alu 0xfffe
	s_sub_co_i32 s23, s40, s19
	s_mov_b32 s19, 0
	s_wait_alu 0xfffe
	v_cmpx_gt_u32_e64 s23, v0
	s_cbranch_execz .LBB120_137
; %bb.125:                              ;   in Loop: Header=BB120_20 Depth=1
	v_dual_mov_b32 v3, v17 :: v_dual_mov_b32 v4, v0
                                        ; implicit-def: $sgpr24
	s_branch .LBB120_129
.LBB120_126:                            ;   in Loop: Header=BB120_129 Depth=2
	s_wait_alu 0xfffe
	s_or_b32 exec_lo, exec_lo, s25
	s_wait_loadcnt_dscnt 0x0
	s_barrier_signal -1
	s_barrier_wait -1
	global_inv scope:SCOPE_SE
	ds_load_b64 v[14:15], v7 offset:3072
	s_wait_loadcnt_dscnt 0x0
	s_barrier_signal -1
	s_barrier_wait -1
	global_inv scope:SCOPE_SE
	v_cmp_neq_f32_e32 vcc_lo, 0, v14
	s_cbranch_vccnz .LBB120_132
; %bb.127:                              ;   in Loop: Header=BB120_129 Depth=2
	v_add_nc_u32_e32 v4, s29, v4
	v_add_nc_u32_e32 v3, s49, v3
	s_mov_b32 s25, 0
	s_delay_alu instid0(VALU_DEP_2)
	v_cmp_le_u32_e32 vcc_lo, s23, v4
	s_or_not1_b32 s26, vcc_lo, exec_lo
.LBB120_128:                            ;   in Loop: Header=BB120_129 Depth=2
	s_wait_alu 0xfffe
	s_and_b32 s26, exec_lo, s26
	s_wait_alu 0xfffe
	s_or_b32 s19, s26, s19
	s_and_not1_b32 s24, s24, exec_lo
	s_and_b32 s25, s25, exec_lo
	s_wait_alu 0xfffe
	s_or_b32 s24, s24, s25
	s_and_not1_b32 exec_lo, exec_lo, s19
	s_cbranch_execz .LBB120_136
.LBB120_129:                            ;   Parent Loop BB120_20 Depth=1
                                        ; =>  This Inner Loop Header: Depth=2
	s_mov_b32 s25, exec_lo
	s_delay_alu instid0(VALU_DEP_1)
	v_cmpx_gt_u32_e64 s20, v4
	s_cbranch_execz .LBB120_126
; %bb.130:                              ;   in Loop: Header=BB120_129 Depth=2
	ds_load_b32 v14, v3
	s_wait_dscnt 0x0
	v_cmp_lt_i32_e32 vcc_lo, -1, v14
	s_wait_alu 0xfffd
	v_cndmask_b32_e64 v6, -1, 0x80000000, vcc_lo
	v_cmp_o_f32_e32 vcc_lo, v14, v14
	s_delay_alu instid0(VALU_DEP_2) | instskip(SKIP_1) | instid1(VALU_DEP_1)
	v_xor_b32_e32 v6, v6, v14
	s_wait_alu 0xfffd
	v_cndmask_b32_e32 v6, -1, v6, vcc_lo
	s_delay_alu instid0(VALU_DEP_1) | instskip(NEXT) | instid1(VALU_DEP_1)
	v_and_b32_e32 v6, v6, v30
	v_cmp_eq_u32_e32 vcc_lo, v6, v22
	s_and_b32 exec_lo, exec_lo, vcc_lo
	s_cbranch_execz .LBB120_126
; %bb.131:                              ;   in Loop: Header=BB120_129 Depth=2
	ds_store_b64 v7, v[13:14] offset:3072
	s_branch .LBB120_126
.LBB120_132:                            ;   in Loop: Header=BB120_129 Depth=2
	s_mov_b32 s26, -1
	s_mov_b32 s25, -1
                                        ; implicit-def: $vgpr4
                                        ; implicit-def: $vgpr3
	s_branch .LBB120_128
.LBB120_133:                            ;   in Loop: Header=BB120_20 Depth=1
	s_wait_alu 0xfffe
	s_or_b32 exec_lo, exec_lo, s10
	s_wait_loadcnt_dscnt 0x0
	s_barrier_signal -1
	s_barrier_wait -1
	global_inv scope:SCOPE_SE
	s_and_saveexec_b32 s7, s0
	s_cbranch_execz .LBB120_135
; %bb.134:                              ;   in Loop: Header=BB120_20 Depth=1
	ds_load_b32 v1, v7 offset:4112
	s_wait_dscnt 0x0
	ds_store_b32 v7, v1 offset:4104
.LBB120_135:                            ;   in Loop: Header=BB120_20 Depth=1
	s_wait_alu 0xfffe
	s_or_b32 exec_lo, exec_lo, s7
	s_wait_loadcnt_dscnt 0x0
	s_barrier_signal -1
	s_mov_b32 s7, -1
	s_barrier_wait -1
	s_and_b32 vcc_lo, exec_lo, s9
	s_wait_alu 0xfffe
	s_cbranch_vccnz .LBB120_36
	s_branch .LBB120_45
.LBB120_136:                            ;   in Loop: Header=BB120_20 Depth=1
	s_or_b32 exec_lo, exec_lo, s19
	s_wait_alu 0xfffe
	s_and_b32 s19, s24, exec_lo
.LBB120_137:                            ;   in Loop: Header=BB120_20 Depth=1
	s_or_b32 exec_lo, exec_lo, s22
.LBB120_138:                            ;   in Loop: Header=BB120_20 Depth=1
	s_wait_alu 0xfffe
	s_and_b32 vcc_lo, exec_lo, s21
	s_wait_alu 0xfffe
	s_cbranch_vccz .LBB120_150
; %bb.139:                              ;   in Loop: Header=BB120_20 Depth=1
                                        ; implicit-def: $vgpr15
	s_and_saveexec_b32 s12, s6
	s_cbranch_execz .LBB120_149
; %bb.140:                              ;   in Loop: Header=BB120_20 Depth=1
	v_dual_mov_b32 v6, v5 :: v_dual_mov_b32 v3, v0
	s_mov_b32 s13, 0
                                        ; implicit-def: $sgpr20
	s_branch .LBB120_144
.LBB120_141:                            ;   in Loop: Header=BB120_144 Depth=2
	s_wait_alu 0xfffe
	s_or_b32 exec_lo, exec_lo, s21
	s_wait_loadcnt_dscnt 0x0
	s_barrier_signal -1
	s_barrier_wait -1
	global_inv scope:SCOPE_SE
	ds_load_b64 v[14:15], v7 offset:3072
	s_wait_loadcnt_dscnt 0x0
	s_barrier_signal -1
	s_barrier_wait -1
	global_inv scope:SCOPE_SE
	v_cmp_eq_f32_e32 vcc_lo, 0, v14
	s_cbranch_vccz .LBB120_147
; %bb.142:                              ;   in Loop: Header=BB120_144 Depth=2
	v_add_nc_u32_e32 v3, s29, v3
	v_add_nc_u32_e32 v6, s51, v6
	s_mov_b32 s21, 0
	s_delay_alu instid0(VALU_DEP_2)
	v_cmp_le_u32_e32 vcc_lo, s59, v3
	s_or_not1_b32 s22, vcc_lo, exec_lo
.LBB120_143:                            ;   in Loop: Header=BB120_144 Depth=2
	s_wait_alu 0xfffe
	s_and_b32 s22, exec_lo, s22
	s_wait_alu 0xfffe
	s_or_b32 s13, s22, s13
	s_and_not1_b32 s20, s20, exec_lo
	s_and_b32 s21, s21, exec_lo
	s_wait_alu 0xfffe
	s_or_b32 s20, s20, s21
	s_and_not1_b32 exec_lo, exec_lo, s13
	s_cbranch_execz .LBB120_148
.LBB120_144:                            ;   Parent Loop BB120_20 Depth=1
                                        ; =>  This Inner Loop Header: Depth=2
	s_mov_b32 s21, exec_lo
	s_delay_alu instid0(VALU_DEP_1)
	v_cmpx_gt_u32_e64 s28, v3
	s_cbranch_execz .LBB120_141
; %bb.145:                              ;   in Loop: Header=BB120_144 Depth=2
	v_lshlrev_b64_e32 v[14:15], 2, v[6:7]
	s_delay_alu instid0(VALU_DEP_1) | instskip(SKIP_1) | instid1(VALU_DEP_2)
	v_add_co_u32 v14, vcc_lo, s34, v14
	s_wait_alu 0xfffd
	v_add_co_ci_u32_e64 v15, null, s35, v15, vcc_lo
	global_load_b32 v14, v[14:15], off
	s_wait_loadcnt 0x0
	v_cmp_lt_i32_e32 vcc_lo, -1, v14
	s_wait_alu 0xfffd
	v_cndmask_b32_e64 v4, -1, 0x80000000, vcc_lo
	v_cmp_o_f32_e32 vcc_lo, v14, v14
	s_delay_alu instid0(VALU_DEP_2) | instskip(SKIP_1) | instid1(VALU_DEP_1)
	v_xor_b32_e32 v4, v4, v14
	s_wait_alu 0xfffd
	v_cndmask_b32_e32 v4, -1, v4, vcc_lo
	s_delay_alu instid0(VALU_DEP_1) | instskip(NEXT) | instid1(VALU_DEP_1)
	v_and_b32_e32 v4, v4, v30
	v_cmp_eq_u32_e32 vcc_lo, v4, v22
	s_and_b32 exec_lo, exec_lo, vcc_lo
	s_cbranch_execz .LBB120_141
; %bb.146:                              ;   in Loop: Header=BB120_144 Depth=2
	ds_store_b64 v7, v[13:14] offset:3072
	s_branch .LBB120_141
.LBB120_147:                            ;   in Loop: Header=BB120_144 Depth=2
	s_mov_b32 s22, -1
	s_mov_b32 s21, -1
                                        ; implicit-def: $vgpr3
	s_branch .LBB120_143
.LBB120_148:                            ;   in Loop: Header=BB120_20 Depth=1
	s_or_b32 exec_lo, exec_lo, s13
	s_delay_alu instid0(SALU_CYCLE_1)
	s_and_not1_b32 s13, s19, exec_lo
	s_wait_alu 0xfffe
	s_and_b32 s19, s20, exec_lo
	s_wait_alu 0xfffe
	s_or_b32 s19, s13, s19
.LBB120_149:                            ;   in Loop: Header=BB120_20 Depth=1
	s_wait_alu 0xfffe
	s_or_b32 exec_lo, exec_lo, s12
	s_mov_b32 s12, 0
	s_mov_b32 s13, -1
.LBB120_150:                            ;   in Loop: Header=BB120_20 Depth=1
	s_or_not1_b32 s19, s19, exec_lo
.LBB120_151:                            ;   in Loop: Header=BB120_20 Depth=1
	s_wait_alu 0xfffe
	s_or_b32 exec_lo, exec_lo, s16
	s_mov_b32 s20, 0
	s_and_saveexec_b32 s16, s19
	s_cbranch_execz .LBB120_244
; %bb.152:                              ;   in Loop: Header=BB120_20 Depth=1
	v_mov_b32_e32 v3, 1
	v_mov_b32_e32 v1, 1
	s_xor_b32 s19, s18, -1
	s_mov_b32 s21, 0
	s_wait_alu 0xfffe
	s_and_saveexec_b32 s18, s19
	s_cbranch_execz .LBB120_161
; %bb.153:                              ;   in Loop: Header=BB120_20 Depth=1
	s_mov_b32 s19, exec_lo
	v_cmpx_ge_u32_e64 s17, v2
	s_wait_alu 0xfffe
	s_xor_b32 s19, exec_lo, s19
	s_cbranch_execz .LBB120_158
; %bb.154:                              ;   in Loop: Header=BB120_20 Depth=1
	ds_load_b32 v1, v7 offset:4104
	s_lshl_b32 s20, 1, s69
	v_or_b32_e32 v30, s8, v30
	s_wait_alu 0xfffe
	v_and_or_b32 v22, v22, s15, s20
	s_wait_dscnt 0x0
	v_cmp_ne_u32_e32 vcc_lo, 0, v1
	s_cbranch_vccnz .LBB120_158
; %bb.155:                              ;   in Loop: Header=BB120_20 Depth=1
	s_and_saveexec_b32 s20, s0
; %bb.156:                              ;   in Loop: Header=BB120_20 Depth=1
	v_mov_b32_e32 v1, s17
	ds_store_b32 v7, v1 offset:4108
; %bb.157:                              ;   in Loop: Header=BB120_20 Depth=1
	s_wait_alu 0xfffe
	s_or_b32 exec_lo, exec_lo, s20
	s_wait_loadcnt_dscnt 0x0
	s_barrier_signal -1
	s_barrier_wait -1
	global_inv scope:SCOPE_SE
.LBB120_158:                            ;   in Loop: Header=BB120_20 Depth=1
	s_wait_alu 0xfffe
	s_or_saveexec_b32 s19, s19
	v_mov_b32_e32 v1, 8
	s_mov_b32 s20, 0
	s_wait_alu 0xfffe
	s_xor_b32 exec_lo, exec_lo, s19
; %bb.159:                              ;   in Loop: Header=BB120_20 Depth=1
	v_subrev_nc_u32_e32 v2, s17, v2
	v_mov_b32_e32 v1, 0
	s_mov_b32 s20, exec_lo
; %bb.160:                              ;   in Loop: Header=BB120_20 Depth=1
	s_or_b32 exec_lo, exec_lo, s19
	s_delay_alu instid0(VALU_DEP_2)
	v_mov_b32_e32 v3, v2
	s_wait_alu 0xfffe
	s_and_b32 s21, s20, exec_lo
.LBB120_161:                            ;   in Loop: Header=BB120_20 Depth=1
	s_wait_alu 0xfffe
	s_or_b32 exec_lo, exec_lo, s18
	s_mov_b32 s20, -1
                                        ; implicit-def: $sgpr18
                                        ; implicit-def: $sgpr19
	s_and_saveexec_b32 s17, s21
	s_cbranch_execz .LBB120_243
; %bb.162:                              ;   in Loop: Header=BB120_20 Depth=1
	v_cmp_eq_u32_e32 vcc_lo, 1, v3
	s_cmp_eq_u32 s14, 1
	s_mov_b32 s22, -1
	s_cselect_b32 s18, -1, 0
                                        ; implicit-def: $sgpr19
	s_wait_alu 0xfffe
	s_and_b32 s21, s18, vcc_lo
                                        ; implicit-def: $sgpr18
	s_wait_alu 0xfffe
	s_and_saveexec_b32 s20, s21
	s_cbranch_execz .LBB120_190
; %bb.163:                              ;   in Loop: Header=BB120_20 Depth=1
	ds_load_b32 v2, v7 offset:4104
	s_wait_loadcnt_dscnt 0x0
	s_barrier_signal -1
	s_barrier_wait -1
	global_inv scope:SCOPE_SE
	v_readfirstlane_b32 s23, v2
	s_and_saveexec_b32 s18, s1
; %bb.164:                              ;   in Loop: Header=BB120_20 Depth=1
	ds_store_b32 v18, v7
; %bb.165:                              ;   in Loop: Header=BB120_20 Depth=1
	s_wait_alu 0xfffe
	s_or_b32 exec_lo, exec_lo, s18
	s_lshl_b32 s18, 2, s69
	v_or_b32_e32 v30, s8, v30
	s_wait_alu 0xfffe
	v_and_or_b32 v22, v22, s15, s18
	s_mov_b32 s18, -1
	s_mov_b32 s19, 0
	s_cmp_eq_u32 s23, 0
	s_mov_b32 s22, 0
	s_mov_b32 s24, -1
	s_wait_loadcnt_dscnt 0x0
	s_barrier_signal -1
	s_barrier_wait -1
	global_inv scope:SCOPE_SE
                                        ; implicit-def: $vgpr15
	s_cbranch_scc1 .LBB120_177
; %bb.166:                              ;   in Loop: Header=BB120_20 Depth=1
	s_add_co_i32 s40, s23, s50
                                        ; implicit-def: $vgpr15
	s_wait_alu 0xfffe
	s_mul_u64 s[24:25], s[40:41], s[44:45]
	s_wait_alu 0xfffe
	s_mul_i32 s22, s25, s29
	s_mov_b32 s25, exec_lo
	s_wait_alu 0xfffe
	s_sub_co_i32 s22, s40, s22
	s_wait_alu 0xfffe
	s_sub_co_i32 s24, s22, s29
	s_cmp_ge_u32 s22, s29
	s_wait_alu 0xfffe
	s_cselect_b32 s22, s24, s22
	s_wait_alu 0xfffe
	s_sub_co_i32 s24, s22, s29
	s_cmp_ge_u32 s22, s29
	s_wait_alu 0xfffe
	s_cselect_b32 s22, s24, s22
	s_mov_b32 s24, 0
	s_wait_alu 0xfffe
	s_sub_co_i32 s26, s40, s22
	s_mov_b32 s22, 0
	s_wait_alu 0xfffe
	v_cmpx_gt_u32_e64 s26, v0
	s_cbranch_execz .LBB120_176
; %bb.167:                              ;   in Loop: Header=BB120_20 Depth=1
	v_mov_b32_e32 v2, v17
	v_mov_b32_e32 v4, v0
                                        ; implicit-def: $sgpr40
	s_branch .LBB120_171
.LBB120_168:                            ;   in Loop: Header=BB120_171 Depth=2
	s_wait_alu 0xfffe
	s_or_b32 exec_lo, exec_lo, s70
	s_wait_loadcnt_dscnt 0x0
	s_barrier_signal -1
	s_barrier_wait -1
	global_inv scope:SCOPE_SE
	ds_load_b64 v[14:15], v7 offset:3072
	s_wait_loadcnt_dscnt 0x0
	s_barrier_signal -1
	s_barrier_wait -1
	global_inv scope:SCOPE_SE
	v_cmp_neq_f32_e32 vcc_lo, 0, v14
	s_cbranch_vccnz .LBB120_174
; %bb.169:                              ;   in Loop: Header=BB120_171 Depth=2
	v_add_nc_u32_e32 v4, s29, v4
	v_add_nc_u32_e32 v2, s49, v2
	s_mov_b32 s70, 0
	s_delay_alu instid0(VALU_DEP_2)
	v_cmp_le_u32_e32 vcc_lo, s26, v4
	s_or_not1_b32 s71, vcc_lo, exec_lo
.LBB120_170:                            ;   in Loop: Header=BB120_171 Depth=2
	s_wait_alu 0xfffe
	s_and_b32 s71, exec_lo, s71
	s_wait_alu 0xfffe
	s_or_b32 s22, s71, s22
	s_and_not1_b32 s40, s40, exec_lo
	s_and_b32 s70, s70, exec_lo
	s_wait_alu 0xfffe
	s_or_b32 s40, s40, s70
	s_and_not1_b32 exec_lo, exec_lo, s22
	s_cbranch_execz .LBB120_175
.LBB120_171:                            ;   Parent Loop BB120_20 Depth=1
                                        ; =>  This Inner Loop Header: Depth=2
	s_mov_b32 s70, exec_lo
	s_delay_alu instid0(VALU_DEP_1)
	v_cmpx_gt_u32_e64 s23, v4
	s_cbranch_execz .LBB120_168
; %bb.172:                              ;   in Loop: Header=BB120_171 Depth=2
	ds_load_b32 v14, v2
	s_wait_dscnt 0x0
	v_cmp_lt_i32_e32 vcc_lo, -1, v14
	s_wait_alu 0xfffd
	v_cndmask_b32_e64 v6, -1, 0x80000000, vcc_lo
	v_cmp_o_f32_e32 vcc_lo, v14, v14
	s_delay_alu instid0(VALU_DEP_2) | instskip(SKIP_1) | instid1(VALU_DEP_1)
	v_xor_b32_e32 v6, v6, v14
	s_wait_alu 0xfffd
	v_cndmask_b32_e32 v6, -1, v6, vcc_lo
	s_delay_alu instid0(VALU_DEP_1) | instskip(NEXT) | instid1(VALU_DEP_1)
	v_and_b32_e32 v6, v6, v30
	v_cmp_eq_u32_e32 vcc_lo, v6, v22
	s_and_b32 exec_lo, exec_lo, vcc_lo
	s_cbranch_execz .LBB120_168
; %bb.173:                              ;   in Loop: Header=BB120_171 Depth=2
	ds_store_b64 v7, v[13:14] offset:3072
	s_branch .LBB120_168
.LBB120_174:                            ;   in Loop: Header=BB120_171 Depth=2
	s_mov_b32 s71, -1
	s_mov_b32 s70, -1
                                        ; implicit-def: $vgpr4
                                        ; implicit-def: $vgpr2
	s_branch .LBB120_170
.LBB120_175:                            ;   in Loop: Header=BB120_20 Depth=1
	s_or_b32 exec_lo, exec_lo, s22
	s_wait_alu 0xfffe
	s_and_b32 s22, s40, exec_lo
.LBB120_176:                            ;   in Loop: Header=BB120_20 Depth=1
	s_or_b32 exec_lo, exec_lo, s25
.LBB120_177:                            ;   in Loop: Header=BB120_20 Depth=1
	s_wait_alu 0xfffe
	s_and_b32 vcc_lo, exec_lo, s24
	s_wait_alu 0xfffe
	s_cbranch_vccz .LBB120_189
; %bb.178:                              ;   in Loop: Header=BB120_20 Depth=1
                                        ; implicit-def: $vgpr15
	s_and_saveexec_b32 s18, s6
	s_cbranch_execz .LBB120_188
; %bb.179:                              ;   in Loop: Header=BB120_20 Depth=1
	v_mov_b32_e32 v6, v5
	v_mov_b32_e32 v2, v0
	s_mov_b32 s19, 0
                                        ; implicit-def: $sgpr23
	s_branch .LBB120_183
.LBB120_180:                            ;   in Loop: Header=BB120_183 Depth=2
	s_wait_alu 0xfffe
	s_or_b32 exec_lo, exec_lo, s24
	s_wait_loadcnt_dscnt 0x0
	s_barrier_signal -1
	s_barrier_wait -1
	global_inv scope:SCOPE_SE
	ds_load_b64 v[14:15], v7 offset:3072
	s_wait_loadcnt_dscnt 0x0
	s_barrier_signal -1
	s_barrier_wait -1
	global_inv scope:SCOPE_SE
	v_cmp_eq_f32_e32 vcc_lo, 0, v14
	s_cbranch_vccz .LBB120_186
; %bb.181:                              ;   in Loop: Header=BB120_183 Depth=2
	v_add_nc_u32_e32 v2, s29, v2
	v_add_nc_u32_e32 v6, s51, v6
	s_mov_b32 s24, 0
	s_delay_alu instid0(VALU_DEP_2)
	v_cmp_le_u32_e32 vcc_lo, s59, v2
	s_or_not1_b32 s25, vcc_lo, exec_lo
.LBB120_182:                            ;   in Loop: Header=BB120_183 Depth=2
	s_wait_alu 0xfffe
	s_and_b32 s25, exec_lo, s25
	s_wait_alu 0xfffe
	s_or_b32 s19, s25, s19
	s_and_not1_b32 s23, s23, exec_lo
	s_and_b32 s24, s24, exec_lo
	s_wait_alu 0xfffe
	s_or_b32 s23, s23, s24
	s_and_not1_b32 exec_lo, exec_lo, s19
	s_cbranch_execz .LBB120_187
.LBB120_183:                            ;   Parent Loop BB120_20 Depth=1
                                        ; =>  This Inner Loop Header: Depth=2
	s_mov_b32 s24, exec_lo
	s_delay_alu instid0(VALU_DEP_1)
	v_cmpx_gt_u32_e64 s28, v2
	s_cbranch_execz .LBB120_180
; %bb.184:                              ;   in Loop: Header=BB120_183 Depth=2
	v_lshlrev_b64_e32 v[14:15], 2, v[6:7]
	s_delay_alu instid0(VALU_DEP_1) | instskip(SKIP_1) | instid1(VALU_DEP_2)
	v_add_co_u32 v14, vcc_lo, s34, v14
	s_wait_alu 0xfffd
	v_add_co_ci_u32_e64 v15, null, s35, v15, vcc_lo
	global_load_b32 v14, v[14:15], off
	s_wait_loadcnt 0x0
	v_cmp_lt_i32_e32 vcc_lo, -1, v14
	s_wait_alu 0xfffd
	v_cndmask_b32_e64 v4, -1, 0x80000000, vcc_lo
	v_cmp_o_f32_e32 vcc_lo, v14, v14
	s_delay_alu instid0(VALU_DEP_2) | instskip(SKIP_1) | instid1(VALU_DEP_1)
	v_xor_b32_e32 v4, v4, v14
	s_wait_alu 0xfffd
	v_cndmask_b32_e32 v4, -1, v4, vcc_lo
	s_delay_alu instid0(VALU_DEP_1) | instskip(NEXT) | instid1(VALU_DEP_1)
	v_and_b32_e32 v4, v4, v30
	v_cmp_eq_u32_e32 vcc_lo, v4, v22
	s_and_b32 exec_lo, exec_lo, vcc_lo
	s_cbranch_execz .LBB120_180
; %bb.185:                              ;   in Loop: Header=BB120_183 Depth=2
	ds_store_b64 v7, v[13:14] offset:3072
	s_branch .LBB120_180
.LBB120_186:                            ;   in Loop: Header=BB120_183 Depth=2
	s_mov_b32 s25, -1
	s_mov_b32 s24, -1
                                        ; implicit-def: $vgpr2
	s_branch .LBB120_182
.LBB120_187:                            ;   in Loop: Header=BB120_20 Depth=1
	s_or_b32 exec_lo, exec_lo, s19
	s_delay_alu instid0(SALU_CYCLE_1)
	s_and_not1_b32 s19, s22, exec_lo
	s_wait_alu 0xfffe
	s_and_b32 s22, s23, exec_lo
	s_wait_alu 0xfffe
	s_or_b32 s22, s19, s22
.LBB120_188:                            ;   in Loop: Header=BB120_20 Depth=1
	s_wait_alu 0xfffe
	s_or_b32 exec_lo, exec_lo, s18
	s_mov_b32 s18, 0
	s_mov_b32 s19, -1
.LBB120_189:                            ;   in Loop: Header=BB120_20 Depth=1
	s_or_not1_b32 s22, s22, exec_lo
.LBB120_190:                            ;   in Loop: Header=BB120_20 Depth=1
	s_wait_alu 0xfffe
	s_or_b32 exec_lo, exec_lo, s20
	s_mov_b32 s23, 0
	s_and_saveexec_b32 s20, s22
	s_cbranch_execz .LBB120_242
; %bb.191:                              ;   in Loop: Header=BB120_20 Depth=1
	v_dual_mov_b32 v2, 1 :: v_dual_mov_b32 v1, 1
	s_xor_b32 s22, s21, -1
	s_wait_alu 0xfffe
	s_and_saveexec_b32 s21, s22
	s_cbranch_execz .LBB120_200
; %bb.192:                              ;   in Loop: Header=BB120_20 Depth=1
	s_mov_b32 s22, exec_lo
	v_cmpx_ge_u32_e64 s14, v3
	s_wait_alu 0xfffe
	s_xor_b32 s22, exec_lo, s22
	s_cbranch_execz .LBB120_197
; %bb.193:                              ;   in Loop: Header=BB120_20 Depth=1
	ds_load_b32 v1, v7 offset:4104
	s_lshl_b32 s23, 2, s69
	v_or_b32_e32 v30, s8, v30
	s_wait_alu 0xfffe
	v_and_or_b32 v22, v22, s15, s23
	s_wait_dscnt 0x0
	v_cmp_ne_u32_e32 vcc_lo, 0, v1
	s_cbranch_vccnz .LBB120_197
; %bb.194:                              ;   in Loop: Header=BB120_20 Depth=1
	s_and_saveexec_b32 s15, s0
; %bb.195:                              ;   in Loop: Header=BB120_20 Depth=1
	v_mov_b32_e32 v1, s14
	ds_store_b32 v7, v1 offset:4108
; %bb.196:                              ;   in Loop: Header=BB120_20 Depth=1
	s_wait_alu 0xfffe
	s_or_b32 exec_lo, exec_lo, s15
	s_wait_loadcnt_dscnt 0x0
	s_barrier_signal -1
	s_barrier_wait -1
	global_inv scope:SCOPE_SE
.LBB120_197:                            ;   in Loop: Header=BB120_20 Depth=1
	s_wait_alu 0xfffe
	s_or_saveexec_b32 s15, s22
	v_mov_b32_e32 v1, 8
	s_mov_b32 s22, 0
	s_wait_alu 0xfffe
	s_xor_b32 exec_lo, exec_lo, s15
; %bb.198:                              ;   in Loop: Header=BB120_20 Depth=1
	v_subrev_nc_u32_e32 v3, s14, v3
	v_mov_b32_e32 v1, 0
	s_mov_b32 s22, exec_lo
; %bb.199:                              ;   in Loop: Header=BB120_20 Depth=1
	s_or_b32 exec_lo, exec_lo, s15
	s_delay_alu instid0(VALU_DEP_2)
	v_mov_b32_e32 v2, v3
	s_wait_alu 0xfffe
	s_and_b32 s23, s22, exec_lo
.LBB120_200:                            ;   in Loop: Header=BB120_20 Depth=1
	s_wait_alu 0xfffe
	s_or_b32 exec_lo, exec_lo, s21
	s_mov_b32 s15, -1
                                        ; implicit-def: $sgpr22
                                        ; implicit-def: $sgpr21
	s_and_saveexec_b32 s14, s23
	s_cbranch_execz .LBB120_241
; %bb.201:                              ;   in Loop: Header=BB120_20 Depth=1
	v_cmp_eq_u32_e32 vcc_lo, 1, v2
	s_cmp_eq_u32 s7, 1
	s_mov_b32 s24, -1
	s_cselect_b32 s15, -1, 0
                                        ; implicit-def: $sgpr22
                                        ; implicit-def: $sgpr21
	s_wait_alu 0xfffe
	s_and_b32 s15, s15, vcc_lo
	s_wait_alu 0xfffe
	s_and_saveexec_b32 s23, s15
	s_cbranch_execz .LBB120_229
; %bb.202:                              ;   in Loop: Header=BB120_20 Depth=1
	ds_load_b32 v3, v7 offset:4104
	s_wait_loadcnt_dscnt 0x0
	s_barrier_signal -1
	s_barrier_wait -1
	global_inv scope:SCOPE_SE
	v_readfirstlane_b32 s25, v3
	s_and_saveexec_b32 s21, s1
; %bb.203:                              ;   in Loop: Header=BB120_20 Depth=1
	ds_store_b32 v18, v7
; %bb.204:                              ;   in Loop: Header=BB120_20 Depth=1
	s_wait_alu 0xfffe
	s_or_b32 exec_lo, exec_lo, s21
	v_or_b32_e32 v22, s8, v22
	v_or_b32_e32 v30, s8, v30
	s_mov_b32 s21, -1
	s_mov_b32 s22, 0
	s_cmp_eq_u32 s25, 0
	s_mov_b32 s24, 0
	s_mov_b32 s26, -1
	s_wait_loadcnt_dscnt 0x0
	s_barrier_signal -1
	s_barrier_wait -1
	global_inv scope:SCOPE_SE
                                        ; implicit-def: $vgpr15
	s_cbranch_scc1 .LBB120_216
; %bb.205:                              ;   in Loop: Header=BB120_20 Depth=1
	s_add_co_i32 s40, s25, s50
                                        ; implicit-def: $vgpr15
	s_wait_alu 0xfffe
	s_mul_u64 s[70:71], s[40:41], s[44:45]
	s_wait_alu 0xfffe
	s_mul_i32 s24, s71, s29
	s_wait_alu 0xfffe
	s_sub_co_i32 s24, s40, s24
	s_wait_alu 0xfffe
	s_sub_co_i32 s26, s24, s29
	s_cmp_ge_u32 s24, s29
	s_wait_alu 0xfffe
	s_cselect_b32 s24, s26, s24
	s_wait_alu 0xfffe
	s_sub_co_i32 s26, s24, s29
	s_cmp_ge_u32 s24, s29
	s_wait_alu 0xfffe
	s_cselect_b32 s24, s26, s24
	s_mov_b32 s26, 0
	s_wait_alu 0xfffe
	s_sub_co_i32 s70, s40, s24
	s_mov_b32 s24, 0
	s_mov_b32 s40, exec_lo
	s_wait_alu 0xfffe
	v_cmpx_gt_u32_e64 s70, v0
	s_cbranch_execz .LBB120_215
; %bb.206:                              ;   in Loop: Header=BB120_20 Depth=1
	v_dual_mov_b32 v3, v17 :: v_dual_mov_b32 v4, v0
                                        ; implicit-def: $sgpr71
	s_branch .LBB120_210
.LBB120_207:                            ;   in Loop: Header=BB120_210 Depth=2
	s_wait_alu 0xfffe
	s_or_b32 exec_lo, exec_lo, s72
	s_wait_loadcnt_dscnt 0x0
	s_barrier_signal -1
	s_barrier_wait -1
	global_inv scope:SCOPE_SE
	ds_load_b64 v[14:15], v7 offset:3072
	s_wait_loadcnt_dscnt 0x0
	s_barrier_signal -1
	s_barrier_wait -1
	global_inv scope:SCOPE_SE
	v_cmp_neq_f32_e32 vcc_lo, 0, v14
	s_cbranch_vccnz .LBB120_213
; %bb.208:                              ;   in Loop: Header=BB120_210 Depth=2
	v_add_nc_u32_e32 v4, s29, v4
	v_add_nc_u32_e32 v3, s49, v3
	s_mov_b32 s72, 0
	s_delay_alu instid0(VALU_DEP_2)
	v_cmp_le_u32_e32 vcc_lo, s70, v4
	s_or_not1_b32 s73, vcc_lo, exec_lo
.LBB120_209:                            ;   in Loop: Header=BB120_210 Depth=2
	s_wait_alu 0xfffe
	s_and_b32 s73, exec_lo, s73
	s_wait_alu 0xfffe
	s_or_b32 s24, s73, s24
	s_and_not1_b32 s71, s71, exec_lo
	s_and_b32 s72, s72, exec_lo
	s_wait_alu 0xfffe
	s_or_b32 s71, s71, s72
	s_and_not1_b32 exec_lo, exec_lo, s24
	s_cbranch_execz .LBB120_214
.LBB120_210:                            ;   Parent Loop BB120_20 Depth=1
                                        ; =>  This Inner Loop Header: Depth=2
	s_mov_b32 s72, exec_lo
	s_delay_alu instid0(VALU_DEP_1)
	v_cmpx_gt_u32_e64 s25, v4
	s_cbranch_execz .LBB120_207
; %bb.211:                              ;   in Loop: Header=BB120_210 Depth=2
	ds_load_b32 v14, v3
	s_wait_dscnt 0x0
	v_cmp_lt_i32_e32 vcc_lo, -1, v14
	s_wait_alu 0xfffd
	v_cndmask_b32_e64 v6, -1, 0x80000000, vcc_lo
	v_cmp_o_f32_e32 vcc_lo, v14, v14
	s_delay_alu instid0(VALU_DEP_2) | instskip(SKIP_1) | instid1(VALU_DEP_1)
	v_xor_b32_e32 v6, v6, v14
	s_wait_alu 0xfffd
	v_cndmask_b32_e32 v6, -1, v6, vcc_lo
	s_delay_alu instid0(VALU_DEP_1) | instskip(NEXT) | instid1(VALU_DEP_1)
	v_and_b32_e32 v6, v6, v30
	v_cmp_eq_u32_e32 vcc_lo, v6, v22
	s_and_b32 exec_lo, exec_lo, vcc_lo
	s_cbranch_execz .LBB120_207
; %bb.212:                              ;   in Loop: Header=BB120_210 Depth=2
	ds_store_b64 v7, v[13:14] offset:3072
	s_branch .LBB120_207
.LBB120_213:                            ;   in Loop: Header=BB120_210 Depth=2
	s_mov_b32 s73, -1
	s_mov_b32 s72, -1
                                        ; implicit-def: $vgpr4
                                        ; implicit-def: $vgpr3
	s_branch .LBB120_209
.LBB120_214:                            ;   in Loop: Header=BB120_20 Depth=1
	s_or_b32 exec_lo, exec_lo, s24
	s_wait_alu 0xfffe
	s_and_b32 s24, s71, exec_lo
.LBB120_215:                            ;   in Loop: Header=BB120_20 Depth=1
	s_or_b32 exec_lo, exec_lo, s40
.LBB120_216:                            ;   in Loop: Header=BB120_20 Depth=1
	s_wait_alu 0xfffe
	s_and_b32 vcc_lo, exec_lo, s26
	s_wait_alu 0xfffe
	s_cbranch_vccz .LBB120_228
; %bb.217:                              ;   in Loop: Header=BB120_20 Depth=1
                                        ; implicit-def: $vgpr15
	s_and_saveexec_b32 s21, s6
	s_cbranch_execz .LBB120_227
; %bb.218:                              ;   in Loop: Header=BB120_20 Depth=1
	v_dual_mov_b32 v6, v5 :: v_dual_mov_b32 v3, v0
	s_mov_b32 s22, 0
                                        ; implicit-def: $sgpr25
	s_branch .LBB120_222
.LBB120_219:                            ;   in Loop: Header=BB120_222 Depth=2
	s_wait_alu 0xfffe
	s_or_b32 exec_lo, exec_lo, s26
	s_wait_loadcnt_dscnt 0x0
	s_barrier_signal -1
	s_barrier_wait -1
	global_inv scope:SCOPE_SE
	ds_load_b64 v[14:15], v7 offset:3072
	s_wait_loadcnt_dscnt 0x0
	s_barrier_signal -1
	s_barrier_wait -1
	global_inv scope:SCOPE_SE
	v_cmp_eq_f32_e32 vcc_lo, 0, v14
	s_cbranch_vccz .LBB120_225
; %bb.220:                              ;   in Loop: Header=BB120_222 Depth=2
	v_add_nc_u32_e32 v3, s29, v3
	v_add_nc_u32_e32 v6, s51, v6
	s_mov_b32 s26, 0
	s_delay_alu instid0(VALU_DEP_2)
	v_cmp_le_u32_e32 vcc_lo, s59, v3
	s_or_not1_b32 s40, vcc_lo, exec_lo
.LBB120_221:                            ;   in Loop: Header=BB120_222 Depth=2
	s_wait_alu 0xfffe
	s_and_b32 s40, exec_lo, s40
	s_wait_alu 0xfffe
	s_or_b32 s22, s40, s22
	s_and_not1_b32 s25, s25, exec_lo
	s_and_b32 s26, s26, exec_lo
	s_wait_alu 0xfffe
	s_or_b32 s25, s25, s26
	s_and_not1_b32 exec_lo, exec_lo, s22
	s_cbranch_execz .LBB120_226
.LBB120_222:                            ;   Parent Loop BB120_20 Depth=1
                                        ; =>  This Inner Loop Header: Depth=2
	s_mov_b32 s26, exec_lo
	s_delay_alu instid0(VALU_DEP_1)
	v_cmpx_gt_u32_e64 s28, v3
	s_cbranch_execz .LBB120_219
; %bb.223:                              ;   in Loop: Header=BB120_222 Depth=2
	v_lshlrev_b64_e32 v[14:15], 2, v[6:7]
	s_delay_alu instid0(VALU_DEP_1) | instskip(SKIP_1) | instid1(VALU_DEP_2)
	v_add_co_u32 v14, vcc_lo, s34, v14
	s_wait_alu 0xfffd
	v_add_co_ci_u32_e64 v15, null, s35, v15, vcc_lo
	global_load_b32 v14, v[14:15], off
	s_wait_loadcnt 0x0
	v_cmp_lt_i32_e32 vcc_lo, -1, v14
	s_wait_alu 0xfffd
	v_cndmask_b32_e64 v4, -1, 0x80000000, vcc_lo
	v_cmp_o_f32_e32 vcc_lo, v14, v14
	s_delay_alu instid0(VALU_DEP_2) | instskip(SKIP_1) | instid1(VALU_DEP_1)
	v_xor_b32_e32 v4, v4, v14
	s_wait_alu 0xfffd
	v_cndmask_b32_e32 v4, -1, v4, vcc_lo
	s_delay_alu instid0(VALU_DEP_1) | instskip(NEXT) | instid1(VALU_DEP_1)
	v_and_b32_e32 v4, v4, v30
	v_cmp_eq_u32_e32 vcc_lo, v4, v22
	s_and_b32 exec_lo, exec_lo, vcc_lo
	s_cbranch_execz .LBB120_219
; %bb.224:                              ;   in Loop: Header=BB120_222 Depth=2
	ds_store_b64 v7, v[13:14] offset:3072
	s_branch .LBB120_219
.LBB120_225:                            ;   in Loop: Header=BB120_222 Depth=2
	s_mov_b32 s40, -1
	s_mov_b32 s26, -1
                                        ; implicit-def: $vgpr3
	s_branch .LBB120_221
.LBB120_226:                            ;   in Loop: Header=BB120_20 Depth=1
	s_or_b32 exec_lo, exec_lo, s22
	s_delay_alu instid0(SALU_CYCLE_1)
	s_and_not1_b32 s22, s24, exec_lo
	s_wait_alu 0xfffe
	s_and_b32 s24, s25, exec_lo
	s_wait_alu 0xfffe
	s_or_b32 s24, s22, s24
.LBB120_227:                            ;   in Loop: Header=BB120_20 Depth=1
	s_wait_alu 0xfffe
	s_or_b32 exec_lo, exec_lo, s21
	s_mov_b32 s21, 0
	s_mov_b32 s22, -1
.LBB120_228:                            ;   in Loop: Header=BB120_20 Depth=1
	s_or_not1_b32 s24, s24, exec_lo
.LBB120_229:                            ;   in Loop: Header=BB120_20 Depth=1
	s_wait_alu 0xfffe
	s_or_b32 exec_lo, exec_lo, s23
	s_mov_b32 s25, 0
	s_and_saveexec_b32 s23, s24
	s_cbranch_execz .LBB120_240
; %bb.230:                              ;   in Loop: Header=BB120_20 Depth=1
	v_mov_b32_e32 v1, 1
	v_mov_b32_e32 v3, 1
	s_xor_b32 s24, s15, -1
	s_wait_alu 0xfffe
	s_and_saveexec_b32 s15, s24
	s_cbranch_execz .LBB120_239
; %bb.231:                              ;   in Loop: Header=BB120_20 Depth=1
	s_mov_b32 s24, exec_lo
	v_cmpx_ge_u32_e64 s7, v2
	s_wait_alu 0xfffe
	s_xor_b32 s24, exec_lo, s24
	s_cbranch_execz .LBB120_236
; %bb.232:                              ;   in Loop: Header=BB120_20 Depth=1
	ds_load_b32 v1, v7 offset:4104
	v_or_b32_e32 v22, s8, v22
	v_or_b32_e32 v30, s8, v30
	s_wait_dscnt 0x0
	v_cmp_ne_u32_e32 vcc_lo, 0, v1
	s_cbranch_vccnz .LBB120_236
; %bb.233:                              ;   in Loop: Header=BB120_20 Depth=1
	s_and_saveexec_b32 s8, s0
; %bb.234:                              ;   in Loop: Header=BB120_20 Depth=1
	v_mov_b32_e32 v1, s7
	ds_store_b32 v7, v1 offset:4108
; %bb.235:                              ;   in Loop: Header=BB120_20 Depth=1
	s_wait_alu 0xfffe
	s_or_b32 exec_lo, exec_lo, s8
	s_wait_loadcnt_dscnt 0x0
	s_barrier_signal -1
	s_barrier_wait -1
	global_inv scope:SCOPE_SE
.LBB120_236:                            ;   in Loop: Header=BB120_20 Depth=1
	s_wait_alu 0xfffe
	s_and_not1_saveexec_b32 s8, s24
; %bb.237:                              ;   in Loop: Header=BB120_20 Depth=1
	v_subrev_nc_u32_e32 v2, s7, v2
; %bb.238:                              ;   in Loop: Header=BB120_20 Depth=1
	s_wait_alu 0xfffe
	s_or_b32 exec_lo, exec_lo, s8
	v_mov_b32_e32 v1, 8
	s_delay_alu instid0(VALU_DEP_2)
	v_mov_b32_e32 v3, v2
.LBB120_239:                            ;   in Loop: Header=BB120_20 Depth=1
	s_wait_alu 0xfffe
	s_or_b32 exec_lo, exec_lo, s15
	s_delay_alu instid0(VALU_DEP_1)
	v_mov_b32_e32 v2, v3
	s_mov_b32 s25, exec_lo
.LBB120_240:                            ;   in Loop: Header=BB120_20 Depth=1
	s_wait_alu 0xfffe
	s_or_b32 exec_lo, exec_lo, s23
	s_delay_alu instid0(SALU_CYCLE_1)
	s_or_not1_b32 s15, s25, exec_lo
.LBB120_241:                            ;   in Loop: Header=BB120_20 Depth=1
	s_wait_alu 0xfffe
	s_or_b32 exec_lo, exec_lo, s14
	v_mov_b32_e32 v3, v2
	s_and_not1_b32 s7, s19, exec_lo
	s_and_b32 s8, s22, exec_lo
	s_and_not1_b32 s14, s18, exec_lo
	s_and_b32 s18, s21, exec_lo
	s_wait_alu 0xfffe
	s_or_b32 s19, s7, s8
	s_or_b32 s18, s14, s18
	s_and_b32 s23, s15, exec_lo
.LBB120_242:                            ;   in Loop: Header=BB120_20 Depth=1
	s_wait_alu 0xfffe
	s_or_b32 exec_lo, exec_lo, s20
	s_delay_alu instid0(SALU_CYCLE_1)
	s_or_not1_b32 s20, s23, exec_lo
.LBB120_243:                            ;   in Loop: Header=BB120_20 Depth=1
	s_wait_alu 0xfffe
	s_or_b32 exec_lo, exec_lo, s17
	v_mov_b32_e32 v2, v3
	s_and_not1_b32 s7, s13, exec_lo
	s_and_b32 s8, s19, exec_lo
	s_and_not1_b32 s12, s12, exec_lo
	s_and_b32 s14, s18, exec_lo
	s_wait_alu 0xfffe
	s_or_b32 s13, s7, s8
	s_or_b32 s12, s12, s14
	s_and_b32 s20, s20, exec_lo
.LBB120_244:                            ;   in Loop: Header=BB120_20 Depth=1
	s_wait_alu 0xfffe
	s_or_b32 exec_lo, exec_lo, s16
	s_delay_alu instid0(SALU_CYCLE_1)
	s_or_not1_b32 s16, s20, exec_lo
.LBB120_245:                            ;   in Loop: Header=BB120_20 Depth=1
	s_wait_alu 0xfffe
	s_or_b32 exec_lo, exec_lo, s11
	s_mov_b32 s8, 0
                                        ; implicit-def: $sgpr18
	s_and_saveexec_b32 s7, s16
	s_wait_alu 0xfffe
	s_xor_b32 s7, exec_lo, s7
	s_cbranch_execz .LBB120_18
; %bb.246:                              ;   in Loop: Header=BB120_20 Depth=1
	v_and_b32_e32 v1, 7, v1
	s_mov_b32 s10, -1
	s_mov_b32 s8, -1
	s_mov_b32 s11, exec_lo
                                        ; implicit-def: $sgpr18
	s_delay_alu instid0(VALU_DEP_1)
	v_cmpx_eq_u32_e32 0, v1
	s_cbranch_execz .LBB120_17
; %bb.247:                              ;   in Loop: Header=BB120_20 Depth=1
	s_add_co_i32 s18, s69, -2
	s_cmp_eq_u32 s69, 0
	v_xor_b32_e32 v29, 1, v29
	s_cselect_b32 s10, -1, 0
	s_xor_b32 s8, exec_lo, -1
	s_wait_alu 0xfffe
	s_or_not1_b32 s10, s10, exec_lo
	s_branch .LBB120_17
.LBB120_248:
	s_or_b32 exec_lo, exec_lo, s62
	s_wait_alu 0xfffe
	s_xor_b32 s4, s68, -1
	s_xor_b32 s3, s66, -1
	;; [unrolled: 1-line block ×3, first 2 shown]
	s_mov_b32 s0, 0
	s_wait_alu 0xfffe
	s_and_saveexec_b32 s5, s3
	s_wait_alu 0xfffe
	s_xor_b32 s3, exec_lo, s5
	s_cbranch_execnz .LBB120_253
; %bb.249:
	s_wait_alu 0xfffe
	s_and_not1_saveexec_b32 s1, s3
	s_cbranch_execnz .LBB120_266
.LBB120_250:
	s_or_b32 exec_lo, exec_lo, s1
	s_and_saveexec_b32 s1, s0
.LBB120_251:
	; divergent unreachable
.LBB120_252:
	s_endpgm
.LBB120_253:
	s_and_saveexec_b32 s0, s4
	s_delay_alu instid0(SALU_CYCLE_1)
	s_xor_b32 s4, exec_lo, s0
	s_cbranch_execz .LBB120_264
; %bb.254:
	s_and_saveexec_b32 s0, s1
	s_delay_alu instid0(SALU_CYCLE_1)
	s_xor_b32 s0, exec_lo, s0
; %bb.255:
	v_cmp_lt_i32_e32 vcc_lo, -1, v22
	s_wait_alu 0xfffd
	v_cndmask_b32_e64 v1, 0x80000000, -1, vcc_lo
	s_delay_alu instid0(VALU_DEP_1)
	v_xor_b32_e32 v15, v1, v22
; %bb.256:
	s_or_b32 exec_lo, exec_lo, s0
	s_mul_i32 s0, s48, s27
	s_mov_b32 s1, 0
	v_mov_b32_e32 v6, 0
	s_lshl_b64 s[6:7], s[0:1], 2
	s_wait_alu 0xfffe
	s_add_nc_u64 s[6:7], s[38:39], s[6:7]
	global_store_b32 v6, v15, s[6:7]
	s_and_saveexec_b32 s5, s2
	s_cbranch_execz .LBB120_263
; %bb.257:
	v_cmp_u_f32_e32 vcc_lo, v15, v15
                                        ; implicit-def: $sgpr2
                                        ; implicit-def: $sgpr8
                                        ; implicit-def: $sgpr7
	s_xor_b32 s6, vcc_lo, -1
	s_branch .LBB120_259
.LBB120_258:                            ;   in Loop: Header=BB120_259 Depth=1
	s_or_b32 exec_lo, exec_lo, s0
	s_wait_alu 0xfffe
	s_and_b32 s0, exec_lo, s8
	s_delay_alu instid0(SALU_CYCLE_1)
	s_or_b32 s1, s0, s1
	s_and_not1_b32 s0, s2, exec_lo
	s_and_b32 s2, s7, exec_lo
	s_wait_alu 0xfffe
	s_or_b32 s2, s0, s2
	s_and_not1_b32 exec_lo, exec_lo, s1
	s_cbranch_execz .LBB120_261
.LBB120_259:                            ; =>This Inner Loop Header: Depth=1
	v_lshlrev_b64_e32 v[1:2], 2, v[5:6]
	s_wait_alu 0xfffe
	s_or_b32 s7, s7, exec_lo
	s_or_b32 s8, s8, exec_lo
	s_delay_alu instid0(VALU_DEP_1)
	v_add_co_u32 v1, vcc_lo, s34, v1
	s_wait_alu 0xfffd
	v_add_co_ci_u32_e64 v2, null, s35, v2, vcc_lo
	global_load_b32 v1, v[1:2], off
	s_wait_loadcnt 0x0
	v_cmp_o_f32_e32 vcc_lo, v1, v1
	v_cmp_neq_f32_e64 s0, v1, v15
	v_mov_b32_e32 v1, v0
                                        ; implicit-def: $vgpr0
	s_or_b32 s9, vcc_lo, s6
	s_wait_alu 0xfffe
	s_and_b32 s9, s0, s9
	s_wait_alu 0xfffe
	s_and_saveexec_b32 s0, s9
	s_cbranch_execz .LBB120_258
; %bb.260:                              ;   in Loop: Header=BB120_259 Depth=1
	v_add_nc_u32_e32 v0, s29, v1
	v_add_nc_u32_e32 v5, s51, v5
	s_and_not1_b32 s8, s8, exec_lo
	s_and_not1_b32 s7, s7, exec_lo
	s_delay_alu instid0(VALU_DEP_2)
	v_cmp_le_u32_e32 vcc_lo, s28, v0
	s_and_b32 s9, vcc_lo, exec_lo
	s_wait_alu 0xfffe
	s_or_b32 s8, s8, s9
	s_branch .LBB120_258
.LBB120_261:
	s_or_b32 exec_lo, exec_lo, s1
	s_wait_alu 0xfffe
	s_and_saveexec_b32 s0, s2
	s_delay_alu instid0(SALU_CYCLE_1)
	s_xor_b32 s0, exec_lo, s0
	s_cbranch_execz .LBB120_263
; %bb.262:
	s_mul_i32 s0, s33, s27
	s_mov_b32 s1, 0
	v_mov_b32_e32 v2, 0
	s_lshl_b64 s[0:1], s[0:1], 3
	s_delay_alu instid0(SALU_CYCLE_1)
	s_add_nc_u64 s[0:1], s[36:37], s[0:1]
	global_store_b64 v2, v[1:2], s[0:1]
.LBB120_263:
	s_wait_alu 0xfffe
	s_or_b32 exec_lo, exec_lo, s5
.LBB120_264:
	s_wait_alu 0xfffe
	s_or_saveexec_b32 s0, s4
	s_mov_b32 s1, 0
	s_xor_b32 exec_lo, exec_lo, s0
	s_cbranch_execnz .LBB120_267
.LBB120_265:
	s_or_b32 exec_lo, exec_lo, s0
	s_delay_alu instid0(SALU_CYCLE_1)
	s_and_b32 s0, s1, exec_lo
	s_and_not1_saveexec_b32 s1, s3
	s_cbranch_execz .LBB120_250
.LBB120_266:
	s_or_b32 s0, s0, exec_lo
	s_trap 2
	s_or_b32 exec_lo, exec_lo, s1
	s_and_saveexec_b32 s1, s0
	s_cbranch_execnz .LBB120_251
	s_branch .LBB120_252
.LBB120_267:
	s_mov_b32 s1, exec_lo
	s_trap 2
	s_branch .LBB120_265
	.section	.rodata,"a",@progbits
	.p2align	6, 0x0
	.amdhsa_kernel _ZN2at6native12_GLOBAL__N_112gatherMedianIfjLi1EEEvNS_4cuda6detail10TensorInfoIT_T0_EENS5_IlS7_EENS5_IKS6_S7_EES7_S7_S7_b
		.amdhsa_group_segment_fixed_size 4120
		.amdhsa_private_segment_fixed_size 0
		.amdhsa_kernarg_size 920
		.amdhsa_user_sgpr_count 2
		.amdhsa_user_sgpr_dispatch_ptr 0
		.amdhsa_user_sgpr_queue_ptr 0
		.amdhsa_user_sgpr_kernarg_segment_ptr 1
		.amdhsa_user_sgpr_dispatch_id 0
		.amdhsa_user_sgpr_private_segment_size 0
		.amdhsa_wavefront_size32 1
		.amdhsa_uses_dynamic_stack 0
		.amdhsa_enable_private_segment 0
		.amdhsa_system_sgpr_workgroup_id_x 1
		.amdhsa_system_sgpr_workgroup_id_y 1
		.amdhsa_system_sgpr_workgroup_id_z 1
		.amdhsa_system_sgpr_workgroup_info 0
		.amdhsa_system_vgpr_workitem_id 0
		.amdhsa_next_free_vgpr 44
		.amdhsa_next_free_sgpr 77
		.amdhsa_reserve_vcc 1
		.amdhsa_float_round_mode_32 0
		.amdhsa_float_round_mode_16_64 0
		.amdhsa_float_denorm_mode_32 3
		.amdhsa_float_denorm_mode_16_64 3
		.amdhsa_fp16_overflow 0
		.amdhsa_workgroup_processor_mode 1
		.amdhsa_memory_ordered 1
		.amdhsa_forward_progress 1
		.amdhsa_inst_pref_size 90
		.amdhsa_round_robin_scheduling 0
		.amdhsa_exception_fp_ieee_invalid_op 0
		.amdhsa_exception_fp_denorm_src 0
		.amdhsa_exception_fp_ieee_div_zero 0
		.amdhsa_exception_fp_ieee_overflow 0
		.amdhsa_exception_fp_ieee_underflow 0
		.amdhsa_exception_fp_ieee_inexact 0
		.amdhsa_exception_int_div_zero 0
	.end_amdhsa_kernel
	.section	.text._ZN2at6native12_GLOBAL__N_112gatherMedianIfjLi1EEEvNS_4cuda6detail10TensorInfoIT_T0_EENS5_IlS7_EENS5_IKS6_S7_EES7_S7_S7_b,"axG",@progbits,_ZN2at6native12_GLOBAL__N_112gatherMedianIfjLi1EEEvNS_4cuda6detail10TensorInfoIT_T0_EENS5_IlS7_EENS5_IKS6_S7_EES7_S7_S7_b,comdat
.Lfunc_end120:
	.size	_ZN2at6native12_GLOBAL__N_112gatherMedianIfjLi1EEEvNS_4cuda6detail10TensorInfoIT_T0_EENS5_IlS7_EENS5_IKS6_S7_EES7_S7_S7_b, .Lfunc_end120-_ZN2at6native12_GLOBAL__N_112gatherMedianIfjLi1EEEvNS_4cuda6detail10TensorInfoIT_T0_EENS5_IlS7_EENS5_IKS6_S7_EES7_S7_S7_b
                                        ; -- End function
	.set _ZN2at6native12_GLOBAL__N_112gatherMedianIfjLi1EEEvNS_4cuda6detail10TensorInfoIT_T0_EENS5_IlS7_EENS5_IKS6_S7_EES7_S7_S7_b.num_vgpr, 44
	.set _ZN2at6native12_GLOBAL__N_112gatherMedianIfjLi1EEEvNS_4cuda6detail10TensorInfoIT_T0_EENS5_IlS7_EENS5_IKS6_S7_EES7_S7_S7_b.num_agpr, 0
	.set _ZN2at6native12_GLOBAL__N_112gatherMedianIfjLi1EEEvNS_4cuda6detail10TensorInfoIT_T0_EENS5_IlS7_EENS5_IKS6_S7_EES7_S7_S7_b.numbered_sgpr, 77
	.set _ZN2at6native12_GLOBAL__N_112gatherMedianIfjLi1EEEvNS_4cuda6detail10TensorInfoIT_T0_EENS5_IlS7_EENS5_IKS6_S7_EES7_S7_S7_b.num_named_barrier, 0
	.set _ZN2at6native12_GLOBAL__N_112gatherMedianIfjLi1EEEvNS_4cuda6detail10TensorInfoIT_T0_EENS5_IlS7_EENS5_IKS6_S7_EES7_S7_S7_b.private_seg_size, 0
	.set _ZN2at6native12_GLOBAL__N_112gatherMedianIfjLi1EEEvNS_4cuda6detail10TensorInfoIT_T0_EENS5_IlS7_EENS5_IKS6_S7_EES7_S7_S7_b.uses_vcc, 1
	.set _ZN2at6native12_GLOBAL__N_112gatherMedianIfjLi1EEEvNS_4cuda6detail10TensorInfoIT_T0_EENS5_IlS7_EENS5_IKS6_S7_EES7_S7_S7_b.uses_flat_scratch, 0
	.set _ZN2at6native12_GLOBAL__N_112gatherMedianIfjLi1EEEvNS_4cuda6detail10TensorInfoIT_T0_EENS5_IlS7_EENS5_IKS6_S7_EES7_S7_S7_b.has_dyn_sized_stack, 0
	.set _ZN2at6native12_GLOBAL__N_112gatherMedianIfjLi1EEEvNS_4cuda6detail10TensorInfoIT_T0_EENS5_IlS7_EENS5_IKS6_S7_EES7_S7_S7_b.has_recursion, 0
	.set _ZN2at6native12_GLOBAL__N_112gatherMedianIfjLi1EEEvNS_4cuda6detail10TensorInfoIT_T0_EENS5_IlS7_EENS5_IKS6_S7_EES7_S7_S7_b.has_indirect_call, 0
	.section	.AMDGPU.csdata,"",@progbits
; Kernel info:
; codeLenInByte = 11448
; TotalNumSgprs: 79
; NumVgprs: 44
; ScratchSize: 0
; MemoryBound: 0
; FloatMode: 240
; IeeeMode: 1
; LDSByteSize: 4120 bytes/workgroup (compile time only)
; SGPRBlocks: 0
; VGPRBlocks: 5
; NumSGPRsForWavesPerEU: 79
; NumVGPRsForWavesPerEU: 44
; Occupancy: 16
; WaveLimiterHint : 1
; COMPUTE_PGM_RSRC2:SCRATCH_EN: 0
; COMPUTE_PGM_RSRC2:USER_SGPR: 2
; COMPUTE_PGM_RSRC2:TRAP_HANDLER: 0
; COMPUTE_PGM_RSRC2:TGID_X_EN: 1
; COMPUTE_PGM_RSRC2:TGID_Y_EN: 1
; COMPUTE_PGM_RSRC2:TGID_Z_EN: 1
; COMPUTE_PGM_RSRC2:TIDIG_COMP_CNT: 0
	.section	.text._ZN2at6native12_GLOBAL__N_112gatherMedianIfjLi2EEEvNS_4cuda6detail10TensorInfoIT_T0_EENS5_IlS7_EENS5_IKS6_S7_EES7_S7_S7_b,"axG",@progbits,_ZN2at6native12_GLOBAL__N_112gatherMedianIfjLi2EEEvNS_4cuda6detail10TensorInfoIT_T0_EENS5_IlS7_EENS5_IKS6_S7_EES7_S7_S7_b,comdat
	.globl	_ZN2at6native12_GLOBAL__N_112gatherMedianIfjLi2EEEvNS_4cuda6detail10TensorInfoIT_T0_EENS5_IlS7_EENS5_IKS6_S7_EES7_S7_S7_b ; -- Begin function _ZN2at6native12_GLOBAL__N_112gatherMedianIfjLi2EEEvNS_4cuda6detail10TensorInfoIT_T0_EENS5_IlS7_EENS5_IKS6_S7_EES7_S7_S7_b
	.p2align	8
	.type	_ZN2at6native12_GLOBAL__N_112gatherMedianIfjLi2EEEvNS_4cuda6detail10TensorInfoIT_T0_EENS5_IlS7_EENS5_IKS6_S7_EES7_S7_S7_b,@function
_ZN2at6native12_GLOBAL__N_112gatherMedianIfjLi2EEEvNS_4cuda6detail10TensorInfoIT_T0_EENS5_IlS7_EENS5_IKS6_S7_EES7_S7_S7_b: ; @_ZN2at6native12_GLOBAL__N_112gatherMedianIfjLi2EEEvNS_4cuda6detail10TensorInfoIT_T0_EENS5_IlS7_EENS5_IKS6_S7_EES7_S7_S7_b
; %bb.0:
	s_clause 0x1
	s_load_b64 s[4:5], s[0:1], 0x298
	s_load_b128 s[28:31], s[0:1], 0x288
	s_lshr_b32 s2, ttmp7, 16
	s_and_b32 s3, ttmp7, 0xffff
	s_wait_kmcnt 0x0
	s_mul_i32 s2, s5, s2
	s_delay_alu instid0(SALU_CYCLE_1) | instskip(NEXT) | instid1(SALU_CYCLE_1)
	s_add_co_i32 s2, s2, s3
	s_mul_i32 s2, s2, s4
	s_delay_alu instid0(SALU_CYCLE_1) | instskip(NEXT) | instid1(SALU_CYCLE_1)
	s_add_co_i32 s34, s2, ttmp9
	s_cmp_ge_u32 s34, s29
	s_cbranch_scc1 .LBB121_252
; %bb.1:
	s_clause 0x4
	s_load_b32 s56, s[0:1], 0xc
	s_load_b32 s5, s[0:1], 0x1bc
	;; [unrolled: 1-line block ×3, first 2 shown]
	s_load_b64 s[40:41], s[0:1], 0x6c
	s_load_b64 s[12:13], s[0:1], 0x1b0
	s_mov_b32 s35, 0
	s_load_b64 s[36:37], s[0:1], 0x144
	s_mov_b32 s15, s35
	s_wait_kmcnt 0x0
	s_cvt_f32_u32 s2, s56
	s_cvt_f32_u32 s3, s5
	;; [unrolled: 1-line block ×3, first 2 shown]
	s_sub_co_i32 s11, 0, s5
	v_rcp_iflag_f32_e32 v1, s2
	v_rcp_iflag_f32_e32 v2, s3
	;; [unrolled: 1-line block ×3, first 2 shown]
	s_sub_co_i32 s9, 0, s56
	s_sub_co_i32 s10, 0, s33
	s_load_b64 s[2:3], s[0:1], 0x21c
	s_delay_alu instid0(TRANS32_DEP_3) | instskip(NEXT) | instid1(TRANS32_DEP_2)
	v_readfirstlane_b32 s6, v1
	v_readfirstlane_b32 s7, v2
	s_delay_alu instid0(TRANS32_DEP_1)
	v_readfirstlane_b32 s8, v3
	v_mov_b32_e32 v3, 0
	s_mul_f32 s6, s6, 0x4f7ffffe
	s_mul_f32 s7, s7, 0x4f7ffffe
	;; [unrolled: 1-line block ×3, first 2 shown]
	s_wait_alu 0xfffe
	s_cvt_u32_f32 s6, s6
	s_cvt_u32_f32 s7, s7
	;; [unrolled: 1-line block ×3, first 2 shown]
	s_wait_alu 0xfffe
	s_mul_i32 s9, s9, s6
	s_mul_i32 s11, s11, s7
	;; [unrolled: 1-line block ×3, first 2 shown]
	s_mul_hi_u32 s11, s7, s11
	s_mul_hi_u32 s9, s6, s9
	s_add_co_i32 s7, s7, s11
	s_mul_hi_u32 s10, s8, s10
	s_wait_alu 0xfffe
	s_mul_hi_u32 s7, s34, s7
	s_add_co_i32 s6, s6, s9
	s_wait_alu 0xfffe
	s_mul_i32 s9, s7, s5
	s_add_co_i32 s10, s8, s10
	s_sub_co_i32 s8, s34, s9
	s_add_co_i32 s9, s7, 1
	s_sub_co_i32 s11, s8, s5
	s_cmp_ge_u32 s8, s5
	s_cselect_b32 s7, s9, s7
	s_cselect_b32 s8, s11, s8
	s_wait_alu 0xfffe
	s_add_co_i32 s11, s7, 1
	s_cmp_ge_u32 s8, s5
	s_add_nc_u64 s[8:9], s[0:1], 0x298
	s_cselect_b32 s11, s11, s7
	s_mov_b32 s7, s35
	s_mul_i32 s5, s11, s5
	s_wait_kmcnt 0x0
	s_mul_i32 s2, s11, s2
	s_sub_co_i32 s5, s34, s5
	s_mov_b32 s11, s35
	s_mul_i32 s5, s5, s3
	s_wait_alu 0xfffe
	s_add_co_i32 s14, s2, s5
	v_cmp_gt_u32_e64 s2, s28, v0
	s_lshl_b64 s[14:15], s[14:15], 2
	s_delay_alu instid0(SALU_CYCLE_1)
	s_add_nc_u64 s[38:39], s[12:13], s[14:15]
	s_and_saveexec_b32 s5, s2
	s_cbranch_execz .LBB121_5
; %bb.2:
	s_load_b32 s3, s[8:9], 0xc
	v_mov_b32_e32 v2, 0
	v_mul_lo_u32 v1, v0, s30
	v_mov_b32_e32 v4, v0
	s_mov_b32 s13, s35
	s_delay_alu instid0(VALU_DEP_3) | instskip(SKIP_2) | instid1(SALU_CYCLE_1)
	v_mov_b32_e32 v3, v2
	s_wait_kmcnt 0x0
	s_and_b32 s12, s3, 0xffff
	s_mul_i32 s14, s30, s12
.LBB121_3:                              ; =>This Inner Loop Header: Depth=1
	s_delay_alu instid0(VALU_DEP_3) | instskip(SKIP_2) | instid1(VALU_DEP_3)
	v_lshlrev_b64_e32 v[5:6], 2, v[1:2]
	v_add_nc_u32_e32 v4, s12, v4
	v_add_nc_u32_e32 v1, s14, v1
	v_add_co_u32 v5, vcc_lo, s38, v5
	s_wait_alu 0xfffd
	s_delay_alu instid0(VALU_DEP_4)
	v_add_co_ci_u32_e64 v6, null, s39, v6, vcc_lo
	v_cmp_le_u32_e32 vcc_lo, s28, v4
	global_load_b32 v5, v[5:6], off
	s_or_b32 s13, vcc_lo, s13
	s_wait_loadcnt 0x0
	v_cmp_u_f32_e64 s3, v5, v5
	s_wait_alu 0xf1ff
	s_delay_alu instid0(VALU_DEP_1)
	v_add_co_ci_u32_e64 v3, null, 0, v3, s3
	s_wait_alu 0xfffe
	s_and_not1_b32 exec_lo, exec_lo, s13
	s_cbranch_execnz .LBB121_3
; %bb.4:
	s_or_b32 exec_lo, exec_lo, s13
.LBB121_5:
	s_delay_alu instid0(SALU_CYCLE_1)
	s_or_b32 exec_lo, exec_lo, s5
	s_clause 0x1
	s_load_b64 s[42:43], s[0:1], 0xd8
	s_load_b64 s[44:45], s[0:1], 0x0
	v_cmp_eq_u32_e64 s0, 0, v0
	s_mul_u64 s[46:47], s[34:35], s[6:7]
	s_mul_u64 s[26:27], s[34:35], s[10:11]
	s_and_saveexec_b32 s1, s0
; %bb.6:
	v_mov_b32_e32 v1, 0
	s_delay_alu instid0(VALU_DEP_1)
	v_mov_b32_e32 v2, v1
	ds_store_b64 v1, v[1:2] offset:4096
; %bb.7:
	s_or_b32 exec_lo, exec_lo, s1
	s_delay_alu instid0(SALU_CYCLE_1)
	s_mov_b32 s1, exec_lo
	s_wait_dscnt 0x0
	s_barrier_signal -1
	s_barrier_wait -1
	global_inv scope:SCOPE_SE
	v_cmpx_ne_u32_e32 0, v3
	s_cbranch_execz .LBB121_12
; %bb.8:
	v_mov_b32_e32 v1, 0
	s_mov_b32 s3, exec_lo
	s_mov_b64 s[6:7], 0
.LBB121_9:                              ; =>This Inner Loop Header: Depth=1
	s_wait_alu 0xfffe
	s_ctz_i32_b32 s5, s3
	s_wait_alu 0xfffe
	v_readlane_b32 s11, v1, s5
	v_readlane_b32 s10, v3, s5
	s_lshl_b32 s5, 1, s5
	s_wait_alu 0xfffe
	s_and_not1_b32 s3, s3, s5
	s_wait_alu 0xfffe
	s_cmp_lg_u32 s3, 0
	s_add_nc_u64 s[6:7], s[6:7], s[10:11]
	s_cbranch_scc1 .LBB121_9
; %bb.10:
	v_mbcnt_lo_u32_b32 v1, exec_lo, 0
	s_mov_b32 s3, exec_lo
	s_delay_alu instid0(VALU_DEP_1)
	v_cmpx_eq_u32_e32 0, v1
	s_wait_alu 0xfffe
	s_xor_b32 s3, exec_lo, s3
; %bb.11:
	v_mov_b32_e32 v1, s6
	v_dual_mov_b32 v3, 0 :: v_dual_mov_b32 v2, s7
	ds_add_u64 v3, v[1:2] offset:4096
.LBB121_12:
	s_or_b32 exec_lo, exec_lo, s1
	v_mov_b32_e32 v1, 0
	s_wait_loadcnt_dscnt 0x0
	s_barrier_signal -1
	s_barrier_wait -1
	global_inv scope:SCOPE_SE
	ds_load_b64 v[1:2], v1 offset:4096
	s_bitcmp1_b32 s31, 0
	s_mov_b32 s10, s28
	s_cselect_b32 s3, -1, 0
	s_wait_dscnt 0x0
	v_readfirstlane_b32 s6, v1
	v_readfirstlane_b32 s7, v2
	s_wait_alu 0xf1ff
	s_delay_alu instid0(VALU_DEP_1) | instskip(SKIP_2) | instid1(SALU_CYCLE_1)
	v_cmp_lt_i64_e64 s1, s[6:7], 1
	s_wait_alu 0xfffe
	s_or_b32 s1, s3, s1
	s_and_not1_b32 vcc_lo, exec_lo, s1
	s_wait_alu 0xfffe
	s_cbranch_vccnz .LBB121_14
; %bb.13:
	s_not_b64 s[6:7], s[6:7]
	s_mov_b32 s29, 0
	s_wait_alu 0xfffe
	s_add_nc_u64 s[6:7], s[6:7], s[28:29]
	s_mov_b32 s11, s29
	s_wait_alu 0xfffe
	s_lshr_b32 s10, s7, 31
	s_delay_alu instid0(SALU_CYCLE_1)
	s_add_nc_u64 s[6:7], s[6:7], s[10:11]
	s_wait_alu 0xfffe
	s_lshr_b64 s[6:7], s[6:7], 1
	s_wait_alu 0xfffe
	s_add_co_i32 s10, s6, 1
.LBB121_14:
	s_and_saveexec_b32 s1, s0
	s_cbranch_execz .LBB121_16
; %bb.15:
	v_dual_mov_b32 v1, 0 :: v_dual_mov_b32 v2, s28
	ds_store_b32 v1, v1 offset:4112
	ds_store_b64 v1, v[1:2] offset:4104
.LBB121_16:
	s_or_b32 exec_lo, exec_lo, s1
	s_wait_loadcnt_dscnt 0x0
	s_barrier_signal -1
	s_barrier_wait -1
	global_inv scope:SCOPE_SE
	s_load_b32 s5, s[8:9], 0xc
	v_mbcnt_lo_u32_b32 v16, -1, 0
	v_cmp_gt_u32_e32 vcc_lo, 32, v0
	v_mov_b32_e32 v7, 0
	v_mul_lo_u32 v5, s30, v0
	v_lshlrev_b32_e32 v17, 2, v0
	v_cmp_gt_i32_e64 s3, 4, v16
	v_lshrrev_b32_e32 v3, 1, v0
	v_mov_b32_e32 v6, v7
	v_cmp_gt_u32_e64 s1, 2, v0
	v_add_nc_u32_e32 v18, 0xc00, v17
	s_and_b32 s31, vcc_lo, s3
	v_dual_mov_b32 v22, 0 :: v_dual_lshlrev_b32 v25, 2, v5
	s_wait_alu 0xfffe
	v_mad_co_u64_u32 v[12:13], null, s30, v17, s[30:31]
	v_dual_mov_b32 v30, 0 :: v_dual_lshlrev_b32 v27, 4, v0
	v_lshl_or_b32 v28, v16, 2, 0xc00
	v_mov_b32_e32 v13, 1.0
	s_wait_kmcnt 0x0
	s_and_b32 s29, s5, 0xffff
	s_bfe_u32 s5, s5, 0xb0005
	s_wait_alu 0xfffe
	s_lshl_b32 s35, s29, 2
	s_add_co_i32 s46, s29, -1
	s_cvt_f32_u32 s3, s35
	s_add_co_i32 s6, s46, s28
	s_cmp_gt_u32 s28, 0x300
	s_cvt_f32_u32 s11, s29
	s_wait_alu 0xfffe
	v_rcp_iflag_f32_e32 v1, s3
	s_cselect_b32 s58, -1, 0
	s_cmp_gt_u32 s29, 31
	v_mov_b32_e32 v15, 0
	s_cselect_b32 s59, -1, 0
	s_cmp_lt_u32 ttmp9, s4
	s_movk_i32 s4, 0x1f0
	s_cselect_b32 s48, 12, 18
	s_add_co_i32 s3, s5, -1
	s_bfe_u32 s60, s29, 0x30005
	v_readfirstlane_b32 s7, v1
	s_wait_alu 0xfffe
	s_and_b32 s3, s3, 0xffff
	v_rcp_iflag_f32_e32 v1, s11
	s_wait_alu 0xfffe
	s_cmp_gt_u32 s3, 6
	v_and_or_b32 v19, v3, s4, 0xc00
	s_mul_f32 s3, s7, 0x4f7ffffe
	s_cselect_b32 s61, -1, 0
	s_and_b32 s62, s5, 0x7f8
	s_cmp_lg_u32 s60, 0
	s_wait_alu 0xfffe
	s_cvt_u32_f32 s3, s3
	s_cselect_b32 s63, -1, 0
	s_sub_co_i32 s5, 0, s35
	v_readfirstlane_b32 s7, v1
	s_wait_alu 0xfffe
	s_mul_i32 s5, s5, s3
	v_lshlrev_b64_e64 v[1:2], v16, -1
	s_wait_alu 0xfffe
	s_mul_hi_u32 s5, s3, s5
	v_lshlrev_b64_e32 v[2:3], 2, v[5:6]
	s_wait_alu 0xfffe
	s_add_co_i32 s50, s3, s5
	s_mul_f32 s7, s7, 0x4f7ffffe
	s_mul_hi_u32 s5, s28, s50
	v_not_b32_e32 v21, v1
	s_wait_alu 0xfffe
	s_mul_i32 s5, s5, s35
	s_cvt_u32_f32 s7, s7
	s_wait_alu 0xfffe
	s_sub_co_i32 s5, s28, s5
	v_add_co_u32 v8, vcc_lo, s38, v2
	s_wait_alu 0xfffe
	s_sub_co_i32 s11, s5, s35
	s_cmp_ge_u32 s5, s35
	s_wait_alu 0xfffd
	v_add_co_ci_u32_e64 v9, null, s39, v3, vcc_lo
	s_wait_alu 0xfffe
	s_cselect_b32 s5, s11, s5
	v_add3_u32 v3, s29, s28, v0
	s_wait_alu 0xfffe
	s_sub_co_i32 s11, s5, s35
	s_cmp_ge_u32 s5, s35
	v_mov_b32_e32 v31, s10
	s_wait_alu 0xfffe
	s_cselect_b32 s11, s11, s5
	s_sub_co_i32 s5, 0, s29
	s_wait_alu 0xfffe
	s_sub_co_i32 s64, s28, s11
	s_mul_i32 s5, s5, s7
	v_add_nc_u32_e32 v20, s64, v0
	s_wait_alu 0xfffe
	s_mul_hi_u32 s4, s7, s5
	v_subrev_nc_u32_e32 v3, s11, v3
	s_wait_alu 0xfffe
	s_add_co_i32 s52, s7, s4
	v_cmp_eq_u32_e64 s3, 0, v16
	v_mul_lo_u32 v6, v20, s30
	s_mul_hi_u32 s4, s6, s52
	v_mul_lo_u32 v26, s30, v3
	s_wait_alu 0xfffe
	s_mul_i32 s4, s4, s29
	v_mov_b32_e32 v29, 0
	s_wait_alu 0xfffe
	s_sub_co_i32 s4, s6, s4
	s_mov_b32 s49, 0
	s_wait_alu 0xfffe
	s_sub_co_i32 s5, s4, s29
	v_lshlrev_b64_e32 v[1:2], 2, v[6:7]
	s_cmp_ge_u32 s4, s29
	s_mul_i32 s57, s30, s29
	s_wait_alu 0xfffe
	s_cselect_b32 s5, s5, s4
	v_cmp_gt_u32_e64 s4, s64, v17
	s_wait_alu 0xfffe
	s_sub_co_i32 s7, s5, s29
	v_add_co_u32 v10, vcc_lo, s38, v1
	s_wait_alu 0xfffd
	v_add_co_ci_u32_e64 v11, null, s39, v2, vcc_lo
	v_or_b32_e32 v1, 2, v17
	v_or_b32_e32 v2, 3, v17
	s_cmp_ge_u32 s5, s29
	s_mov_b32 s51, s49
	s_wait_alu 0xfffe
	s_cselect_b32 s7, s7, s5
	v_mul_lo_u32 v23, s30, v1
	v_mul_lo_u32 v24, s30, v2
	s_wait_alu 0xfffe
	s_sub_co_i32 s65, s6, s7
	v_cmp_gt_u32_e64 s5, s28, v20
	s_wait_alu 0xfffe
	v_cmp_gt_u32_e64 s6, s65, v0
	s_mov_b32 s53, s49
	s_lshl_b32 s66, s57, 2
	s_lshl_b32 s67, s29, 4
	s_mov_b32 s75, 30
	s_add_nc_u64 s[54:55], s[8:9], s[48:49]
	s_mov_b32 s68, 0
                                        ; implicit-def: $sgpr72
                                        ; implicit-def: $sgpr74
                                        ; implicit-def: $sgpr69
                                        ; implicit-def: $sgpr71
                                        ; implicit-def: $sgpr73
                                        ; implicit-def: $sgpr70
	s_branch .LBB121_20
.LBB121_17:                             ;   in Loop: Header=BB121_20 Depth=1
	s_wait_alu 0xfffe
	s_or_b32 exec_lo, exec_lo, s11
	s_delay_alu instid0(SALU_CYCLE_1)
	s_and_b32 s8, s8, exec_lo
	s_and_not1_b32 s13, s13, exec_lo
	s_and_not1_b32 s12, s12, exec_lo
	s_or_not1_b32 s10, s10, exec_lo
.LBB121_18:                             ;   in Loop: Header=BB121_20 Depth=1
	s_wait_alu 0xfffe
	s_or_b32 exec_lo, exec_lo, s7
	s_delay_alu instid0(SALU_CYCLE_1)
	s_and_not1_b32 s7, s70, exec_lo
	s_and_b32 s8, s8, exec_lo
	s_and_not1_b32 s11, s71, exec_lo
	s_wait_alu 0xfffe
	s_or_b32 s70, s7, s8
	s_and_not1_b32 s7, s73, exec_lo
	s_and_b32 s8, s13, exec_lo
	s_and_b32 s12, s12, exec_lo
	s_wait_alu 0xfffe
	s_or_b32 s73, s7, s8
	s_or_b32 s71, s11, s12
	s_or_not1_b32 s11, s10, exec_lo
.LBB121_19:                             ;   in Loop: Header=BB121_20 Depth=1
	s_wait_alu 0xfffe
	s_or_b32 exec_lo, exec_lo, s9
	s_delay_alu instid0(SALU_CYCLE_1)
	s_and_b32 s7, exec_lo, s11
	v_mov_b32_e32 v31, v2
	s_wait_alu 0xfffe
	s_or_b32 s68, s7, s68
	s_and_not1_b32 s7, s69, exec_lo
	s_and_b32 s8, s70, exec_lo
	s_and_not1_b32 s9, s74, exec_lo
	s_wait_alu 0xfffe
	s_or_b32 s69, s7, s8
	s_and_b32 s7, s73, exec_lo
	s_and_not1_b32 s8, s72, exec_lo
	s_and_b32 s10, s71, exec_lo
	s_wait_alu 0xfffe
	s_or_b32 s74, s9, s7
	s_or_b32 s72, s8, s10
	s_mov_b32 s75, s18
	s_and_not1_b32 exec_lo, exec_lo, s68
	s_cbranch_execz .LBB121_248
.LBB121_20:                             ; =>This Loop Header: Depth=1
                                        ;     Child Loop BB121_26 Depth 2
                                        ;     Child Loop BB121_39 Depth 2
                                        ;     Child Loop BB121_70 Depth 2
                                        ;     Child Loop BB121_74 Depth 2
                                        ;     Child Loop BB121_59 Depth 2
                                        ;     Child Loop BB121_64 Depth 2
                                        ;     Child Loop BB121_55 Depth 2
                                        ;     Child Loop BB121_79 Depth 2
                                        ;     Child Loop BB121_90 Depth 2
                                        ;     Child Loop BB121_102 Depth 2
                                        ;     Child Loop BB121_129 Depth 2
                                        ;     Child Loop BB121_144 Depth 2
                                        ;     Child Loop BB121_171 Depth 2
                                        ;     Child Loop BB121_183 Depth 2
                                        ;     Child Loop BB121_210 Depth 2
                                        ;     Child Loop BB121_222 Depth 2
	ds_load_b64 v[1:2], v7 offset:4104
	s_wait_dscnt 0x0
	v_readfirstlane_b32 s48, v1
	s_cmp_lg_u32 s48, 0
	s_cbranch_scc1 .LBB121_47
; %bb.21:                               ;   in Loop: Header=BB121_20 Depth=1
	s_and_b32 vcc_lo, exec_lo, s58
	s_wait_alu 0xfffe
	s_cbranch_vccz .LBB121_34
; %bb.22:                               ;   in Loop: Header=BB121_20 Depth=1
	v_cmp_gt_u32_e32 vcc_lo, 0x301, v2
	s_mov_b32 s9, 0
	s_mov_b32 s7, 0
	s_cbranch_vccz .LBB121_35
; %bb.23:                               ;   in Loop: Header=BB121_20 Depth=1
	s_and_saveexec_b32 s10, s2
	s_cbranch_execz .LBB121_133
; %bb.24:                               ;   in Loop: Header=BB121_20 Depth=1
	global_load_b32 v1, v[8:9], off
	s_load_u16 s11, s[54:55], 0x0
	s_mov_b32 s13, 0
	s_wait_kmcnt 0x0
	v_add_nc_u32_e32 v2, s11, v0
	s_mul_i32 s12, s30, s11
	s_delay_alu instid0(VALU_DEP_1)
	v_mul_lo_u32 v6, s30, v2
	v_mov_b32_e32 v2, v0
	s_branch .LBB121_26
.LBB121_25:                             ;   in Loop: Header=BB121_26 Depth=2
	s_wait_alu 0xfffe
	s_or_b32 exec_lo, exec_lo, s8
	v_dual_mov_b32 v1, v3 :: v_dual_add_nc_u32 v6, s12, v6
	s_and_not1_b32 exec_lo, exec_lo, s13
	s_cbranch_execz .LBB121_133
.LBB121_26:                             ;   Parent Loop BB121_20 Depth=1
                                        ; =>  This Inner Loop Header: Depth=2
	s_delay_alu instid0(VALU_DEP_1) | instskip(SKIP_3) | instid1(VALU_DEP_2)
	v_dual_mov_b32 v3, 0 :: v_dual_add_nc_u32 v2, s11, v2
	s_wait_dscnt 0x0
	v_mov_b32_e32 v4, 0
	s_mov_b32 s8, exec_lo
	v_cmp_le_u32_e32 vcc_lo, s28, v2
	v_cmpx_gt_u32_e64 s28, v2
	s_cbranch_execz .LBB121_28
; %bb.27:                               ;   in Loop: Header=BB121_26 Depth=2
	v_lshlrev_b64_e32 v[32:33], 2, v[6:7]
	s_delay_alu instid0(VALU_DEP_1) | instskip(SKIP_1) | instid1(VALU_DEP_2)
	v_add_co_u32 v32, s7, s38, v32
	s_wait_alu 0xf1ff
	v_add_co_ci_u32_e64 v33, null, s39, v33, s7
	global_load_b32 v3, v[32:33], off
.LBB121_28:                             ;   in Loop: Header=BB121_26 Depth=2
	s_wait_alu 0xfffe
	s_or_b32 exec_lo, exec_lo, s8
	s_wait_loadcnt 0x0
	v_cmp_lt_i32_e64 s7, -1, v1
	s_wait_alu 0xf1ff
	s_delay_alu instid0(VALU_DEP_1) | instskip(SKIP_1) | instid1(VALU_DEP_2)
	v_cndmask_b32_e64 v14, -1, 0x80000000, s7
	v_cmp_o_f32_e64 s7, v1, v1
	v_xor_b32_e32 v14, v14, v1
	s_wait_alu 0xf1ff
	s_delay_alu instid0(VALU_DEP_1) | instskip(NEXT) | instid1(VALU_DEP_1)
	v_cndmask_b32_e64 v14, -1, v14, s7
	v_and_b32_e32 v14, v14, v30
	s_delay_alu instid0(VALU_DEP_1)
	v_cmp_eq_u32_e64 s7, v14, v22
	s_cmp_lg_u32 s7, 0
	s_cselect_b32 s8, -1, 0
	s_wait_alu 0xfffe
	s_and_b32 s8, s3, s8
	s_wait_alu 0xfffe
	s_and_saveexec_b32 s14, s8
	s_cbranch_execz .LBB121_32
; %bb.29:                               ;   in Loop: Header=BB121_26 Depth=2
	s_mov_b32 s17, exec_lo
	s_bcnt1_i32_b32 s15, s7
	s_wait_alu 0xfffe
	v_mbcnt_lo_u32_b32 v4, s17, 0
	s_mov_b32 s16, exec_lo
                                        ; implicit-def: $vgpr14
	s_delay_alu instid0(VALU_DEP_1)
	v_cmpx_eq_u32_e32 0, v4
; %bb.30:                               ;   in Loop: Header=BB121_26 Depth=2
	s_bcnt1_i32_b32 s8, s17
	s_wait_alu 0xfffe
	s_mul_i32 s8, s15, s8
	s_wait_alu 0xfffe
	v_mov_b32_e32 v14, s8
	ds_add_rtn_u32 v14, v7, v14 offset:4112
; %bb.31:                               ;   in Loop: Header=BB121_26 Depth=2
	s_or_b32 exec_lo, exec_lo, s16
	s_wait_dscnt 0x0
	v_readfirstlane_b32 s8, v14
	s_wait_alu 0xf1ff
	s_delay_alu instid0(VALU_DEP_1)
	v_mad_u32_u24 v4, s15, v4, s8
.LBB121_32:                             ;   in Loop: Header=BB121_26 Depth=2
	s_wait_alu 0xfffe
	s_or_b32 exec_lo, exec_lo, s14
	ds_bpermute_b32 v4, v7, v4
	s_and_b32 s8, exec_lo, vcc_lo
	s_wait_alu 0xfffe
	s_or_b32 s13, s8, s13
	s_and_saveexec_b32 s8, s7
	s_cbranch_execz .LBB121_25
; %bb.33:                               ;   in Loop: Header=BB121_26 Depth=2
	v_and_b32_e32 v14, s7, v21
	s_delay_alu instid0(VALU_DEP_1) | instskip(NEXT) | instid1(VALU_DEP_1)
	v_bcnt_u32_b32 v14, v14, 0
	v_lshlrev_b32_e32 v14, 2, v14
	s_wait_dscnt 0x0
	s_delay_alu instid0(VALU_DEP_1)
	v_lshl_add_u32 v4, v4, 2, v14
	ds_store_b32 v4, v1
	s_branch .LBB121_25
.LBB121_34:                             ;   in Loop: Header=BB121_20 Depth=1
	s_mov_b32 s9, -1
	s_mov_b32 s7, 0
.LBB121_35:                             ;   in Loop: Header=BB121_20 Depth=1
	s_wait_alu 0xfffe
	s_and_b32 vcc_lo, exec_lo, s9
	s_wait_alu 0xfffe
	s_cbranch_vccz .LBB121_45
.LBB121_36:                             ;   in Loop: Header=BB121_20 Depth=1
	s_and_saveexec_b32 s7, s2
	s_cbranch_execz .LBB121_42
; %bb.37:                               ;   in Loop: Header=BB121_20 Depth=1
	global_load_b32 v2, v[8:9], off
	s_load_u16 s9, s[54:55], 0x0
	v_mov_b32_e32 v1, v0
	s_mov_b32 s8, exec_lo
	s_wait_kmcnt 0x0
	v_add_nc_u32_e32 v3, s9, v0
	s_delay_alu instid0(VALU_DEP_1)
	v_cmpx_gt_u32_e64 s28, v3
	s_cbranch_execz .LBB121_41
; %bb.38:                               ;   in Loop: Header=BB121_20 Depth=1
	v_mul_lo_u32 v6, s30, v3
	v_mov_b32_e32 v3, v17
	v_mov_b32_e32 v1, v0
	s_lshl_b32 s10, s9, 2
	s_mul_i32 s12, s30, s9
	s_mov_b32 s11, 0
.LBB121_39:                             ;   Parent Loop BB121_20 Depth=1
                                        ; =>  This Inner Loop Header: Depth=2
	s_delay_alu instid0(VALU_DEP_3)
	v_lshlrev_b64_e32 v[32:33], 2, v[6:7]
	s_wait_loadcnt 0x0
	ds_store_b32 v3, v2
	s_wait_alu 0xfffe
	v_add_nc_u32_e32 v3, s10, v3
	v_add_nc_u32_e32 v6, s12, v6
	v_add_co_u32 v32, vcc_lo, s38, v32
	s_wait_alu 0xfffd
	v_add_co_ci_u32_e64 v33, null, s39, v33, vcc_lo
	global_load_b32 v4, v[32:33], off
	s_wait_loadcnt 0x0
	v_dual_mov_b32 v2, v4 :: v_dual_add_nc_u32 v1, s9, v1
	s_delay_alu instid0(VALU_DEP_1) | instskip(NEXT) | instid1(VALU_DEP_1)
	v_add_nc_u32_e32 v14, s9, v1
	v_cmp_le_u32_e32 vcc_lo, s28, v14
	s_or_b32 s11, vcc_lo, s11
	s_wait_alu 0xfffe
	s_and_not1_b32 exec_lo, exec_lo, s11
	s_cbranch_execnz .LBB121_39
; %bb.40:                               ;   in Loop: Header=BB121_20 Depth=1
	s_or_b32 exec_lo, exec_lo, s11
	v_mov_b32_e32 v2, v4
.LBB121_41:                             ;   in Loop: Header=BB121_20 Depth=1
	s_wait_alu 0xfffe
	s_or_b32 exec_lo, exec_lo, s8
	v_lshlrev_b32_e32 v1, 2, v1
	s_wait_loadcnt 0x0
	ds_store_b32 v1, v2
.LBB121_42:                             ;   in Loop: Header=BB121_20 Depth=1
	s_wait_alu 0xfffe
	s_or_b32 exec_lo, exec_lo, s7
	s_wait_loadcnt_dscnt 0x0
	s_barrier_signal -1
	s_barrier_wait -1
	global_inv scope:SCOPE_SE
	s_and_saveexec_b32 s7, s0
; %bb.43:                               ;   in Loop: Header=BB121_20 Depth=1
	v_mov_b32_e32 v1, s28
	ds_store_b32 v7, v1 offset:4104
; %bb.44:                               ;   in Loop: Header=BB121_20 Depth=1
	s_wait_alu 0xfffe
	s_or_b32 exec_lo, exec_lo, s7
	s_mov_b32 s7, -1
	s_wait_loadcnt_dscnt 0x0
	s_barrier_signal -1
	s_barrier_wait -1
.LBB121_45:                             ;   in Loop: Header=BB121_20 Depth=1
	s_wait_alu 0xfffe
	s_and_b32 vcc_lo, exec_lo, s7
	s_mov_b32 s48, 0
	s_wait_alu 0xfffe
	s_cbranch_vccz .LBB121_47
; %bb.46:                               ;   in Loop: Header=BB121_20 Depth=1
	s_wait_loadcnt 0x0
	global_inv scope:SCOPE_SE
	ds_load_b32 v1, v7 offset:4104
	s_wait_dscnt 0x0
	v_readfirstlane_b32 s48, v1
.LBB121_47:                             ;   in Loop: Header=BB121_20 Depth=1
	s_delay_alu instid0(VALU_DEP_1)
	s_cmp_lt_i32 s48, 1
	s_mov_b32 s7, -1
                                        ; implicit-def: $vgpr1
	s_cbranch_scc1 .LBB121_57
; %bb.48:                               ;   in Loop: Header=BB121_20 Depth=1
	s_wait_alu 0xfffe
	s_and_b32 vcc_lo, exec_lo, s7
	s_wait_alu 0xfffe
	s_cbranch_vccnz .LBB121_68
.LBB121_49:                             ;   in Loop: Header=BB121_20 Depth=1
	v_lshlrev_b32_e32 v6, 7, v29
	s_and_saveexec_b32 s7, s3
.LBB121_50:                             ;   in Loop: Header=BB121_20 Depth=1
	s_delay_alu instid0(VALU_DEP_1)
	v_lshl_add_u32 v14, v6, 2, v19
	ds_store_b128 v14, v[1:4]
.LBB121_51:                             ;   in Loop: Header=BB121_20 Depth=1
	s_wait_alu 0xfffe
	s_or_b32 exec_lo, exec_lo, s7
	s_wait_loadcnt_dscnt 0x0
	s_barrier_signal -1
	s_barrier_wait -1
	global_inv scope:SCOPE_SE
	s_and_saveexec_b32 s7, s31
	s_cbranch_execz .LBB121_81
; %bb.52:                               ;   in Loop: Header=BB121_20 Depth=1
	v_mov_b32_e32 v1, 0
	s_and_not1_b32 vcc_lo, exec_lo, s59
	s_wait_alu 0xfffe
	s_cbranch_vccnz .LBB121_80
; %bb.53:                               ;   in Loop: Header=BB121_20 Depth=1
	s_and_not1_b32 vcc_lo, exec_lo, s61
	s_wait_alu 0xfffe
	s_cbranch_vccnz .LBB121_77
; %bb.54:                               ;   in Loop: Header=BB121_20 Depth=1
	v_lshl_add_u32 v2, v29, 9, v28
	v_mov_b32_e32 v1, 0
	s_mov_b32 s8, 0
.LBB121_55:                             ;   Parent Loop BB121_20 Depth=1
                                        ; =>  This Inner Loop Header: Depth=2
	ds_load_2addr_b32 v[3:4], v2 offset1:4
	ds_load_2addr_b32 v[32:33], v2 offset0:8 offset1:12
	ds_load_2addr_b32 v[34:35], v2 offset0:16 offset1:20
	;; [unrolled: 1-line block ×3, first 2 shown]
	v_add_nc_u32_e32 v2, 0x80, v2
	s_wait_alu 0xfffe
	s_add_co_i32 s8, s8, 8
	s_wait_alu 0xfffe
	s_cmp_eq_u32 s62, s8
	s_wait_dscnt 0x3
	v_add3_u32 v1, v3, v1, v4
	s_wait_dscnt 0x2
	s_delay_alu instid0(VALU_DEP_1) | instskip(SKIP_1) | instid1(VALU_DEP_1)
	v_add3_u32 v1, v32, v1, v33
	s_wait_dscnt 0x1
	v_add3_u32 v1, v34, v1, v35
	s_wait_dscnt 0x0
	s_delay_alu instid0(VALU_DEP_1)
	v_add3_u32 v1, v36, v1, v37
	s_cbranch_scc0 .LBB121_55
; %bb.56:                               ;   in Loop: Header=BB121_20 Depth=1
	s_mov_b32 s8, s62
	s_and_not1_b32 vcc_lo, exec_lo, s63
	s_wait_alu 0xfffe
	s_cbranch_vccz .LBB121_78
	s_branch .LBB121_80
.LBB121_57:                             ;   in Loop: Header=BB121_20 Depth=1
	v_dual_mov_b32 v1, 0 :: v_dual_mov_b32 v2, 0
	v_dual_mov_b32 v3, 0 :: v_dual_mov_b32 v4, 0
	s_and_saveexec_b32 s18, s4
	s_cbranch_execz .LBB121_61
; %bb.58:                               ;   in Loop: Header=BB121_20 Depth=1
	v_mov_b32_e32 v14, v17
	s_mov_b32 s19, 0
	s_mov_b32 s20, 0
	s_mov_b32 s21, 0
	s_mov_b32 s22, 0
	s_mov_b32 s23, 0
	s_mov_b32 s24, 0
.LBB121_59:                             ;   Parent Loop BB121_20 Depth=1
                                        ; =>  This Inner Loop Header: Depth=2
	s_wait_alu 0xfffe
	v_add_nc_u32_e32 v6, s20, v25
	v_add_nc_u32_e32 v14, s35, v14
	s_delay_alu instid0(VALU_DEP_2) | instskip(SKIP_1) | instid1(VALU_DEP_1)
	v_lshlrev_b64_e32 v[1:2], 2, v[6:7]
	v_add_nc_u32_e32 v6, s20, v12
	v_lshlrev_b64_e32 v[3:4], 2, v[6:7]
	v_add_nc_u32_e32 v6, s20, v23
	s_delay_alu instid0(VALU_DEP_4) | instskip(SKIP_2) | instid1(VALU_DEP_3)
	v_add_co_u32 v1, vcc_lo, s38, v1
	s_wait_alu 0xfffd
	v_add_co_ci_u32_e64 v2, null, s39, v2, vcc_lo
	v_lshlrev_b64_e32 v[32:33], 2, v[6:7]
	v_add_nc_u32_e32 v6, s20, v24
	s_add_co_i32 s20, s20, s66
	global_load_b32 v34, v[1:2], off
	v_add_co_u32 v1, vcc_lo, s38, v3
	s_wait_alu 0xfffd
	v_add_co_ci_u32_e64 v2, null, s39, v4, vcc_lo
	v_add_co_u32 v32, vcc_lo, s38, v32
	s_wait_alu 0xfffd
	v_add_co_ci_u32_e64 v33, null, s39, v33, vcc_lo
	v_lshlrev_b64_e32 v[3:4], 2, v[6:7]
	s_clause 0x1
	global_load_b32 v6, v[1:2], off
	global_load_b32 v32, v[32:33], off
	v_add_co_u32 v1, vcc_lo, s38, v3
	s_wait_alu 0xfffd
	v_add_co_ci_u32_e64 v2, null, s39, v4, vcc_lo
	v_cmp_le_u32_e32 vcc_lo, s64, v14
	global_load_b32 v1, v[1:2], off
	s_wait_loadcnt 0x3
	v_cmp_lt_i32_e64 s7, -1, v34
	s_wait_alu 0xf1ff
	s_delay_alu instid0(VALU_DEP_1) | instskip(SKIP_2) | instid1(VALU_DEP_2)
	v_cndmask_b32_e64 v2, -1, 0x80000000, s7
	s_wait_loadcnt 0x2
	v_cmp_lt_i32_e64 s7, -1, v6
	v_xor_b32_e32 v2, v2, v34
	s_wait_loadcnt 0x1
	v_cmp_lt_i32_e64 s8, -1, v32
	s_wait_alu 0xf1ff
	v_cndmask_b32_e64 v3, -1, 0x80000000, s7
	v_cmp_o_f32_e64 s7, v34, v34
	s_delay_alu instid0(VALU_DEP_3) | instskip(NEXT) | instid1(VALU_DEP_3)
	v_cndmask_b32_e64 v4, -1, 0x80000000, s8
	v_xor_b32_e32 v3, v3, v6
	s_wait_alu 0xf1ff
	s_delay_alu instid0(VALU_DEP_3)
	v_cndmask_b32_e64 v2, -1, v2, s7
	v_cmp_o_f32_e64 s7, v6, v6
	v_xor_b32_e32 v4, v4, v32
	s_wait_loadcnt 0x0
	v_cmp_o_f32_e64 s12, v1, v1
	v_and_b32_e32 v33, v2, v30
	s_wait_alu 0xf1ff
	v_cndmask_b32_e64 v3, -1, v3, s7
	v_cmp_lt_i32_e64 s7, -1, v1
	v_bfe_u32 v2, v2, s75, 2
	s_wait_alu 0xf1ff
	s_delay_alu instid0(VALU_DEP_2) | instskip(SKIP_1) | instid1(VALU_DEP_3)
	v_cndmask_b32_e64 v6, -1, 0x80000000, s7
	v_cmp_o_f32_e64 s7, v32, v32
	v_cmp_eq_u32_e64 s8, 0, v2
	v_and_b32_e32 v32, v3, v30
	v_bfe_u32 v3, v3, s75, 2
	v_xor_b32_e32 v6, v6, v1
	s_wait_alu 0xf1ff
	v_cndmask_b32_e64 v4, -1, v4, s7
	v_cmp_eq_u32_e64 s7, v33, v22
	v_cmp_eq_u32_e64 s9, 1, v2
	;; [unrolled: 1-line block ×4, first 2 shown]
	v_cndmask_b32_e64 v1, -1, v6, s12
	s_and_b32 s8, s7, s8
	v_cmp_eq_u32_e64 s12, v32, v22
	v_cmp_eq_u32_e64 s13, 0, v3
	s_wait_alu 0xfffe
	v_cndmask_b32_e64 v6, 0, 1, s8
	v_cmp_eq_u32_e64 s8, 1, v3
	s_and_b32 s9, s7, s9
	v_and_b32_e32 v2, v4, v30
	v_bfe_u32 v4, v4, s75, 2
	s_wait_alu 0xfffe
	v_cndmask_b32_e64 v32, 0, 1, s9
	v_cmp_eq_u32_e64 s9, 2, v3
	s_and_b32 s10, s7, s10
	s_and_b32 s7, s7, s11
	s_wait_alu 0xfffe
	v_cndmask_b32_e64 v33, 0, 1, s10
	s_and_b32 s13, s12, s13
	s_and_b32 s8, s12, s8
	v_cmp_eq_u32_e64 s10, 3, v3
	v_cndmask_b32_e64 v3, 0, 1, s7
	v_cmp_eq_u32_e64 s7, v2, v22
	v_cmp_eq_u32_e64 s11, 0, v4
	v_cmp_ne_u32_e64 s14, 0, v6
	s_wait_alu 0xfffe
	v_cndmask_b32_e64 v6, 0, 1, s13
	v_cmp_eq_u32_e64 s13, 1, v4
	v_cmp_ne_u32_e64 s15, 0, v32
	v_cndmask_b32_e64 v32, 0, 1, s8
	v_cmp_eq_u32_e64 s8, 2, v4
	s_and_b32 s9, s12, s9
	v_and_b32_e32 v2, v1, v30
	v_bfe_u32 v1, v1, s75, 2
	v_cmp_ne_u32_e64 s16, 0, v33
	s_wait_alu 0xfffe
	v_cndmask_b32_e64 v33, 0, 1, s9
	v_cmp_eq_u32_e64 s9, 3, v4
	s_and_b32 s10, s12, s10
	s_and_b32 s11, s7, s11
	;; [unrolled: 1-line block ×4, first 2 shown]
	v_cmp_ne_u32_e64 s17, 0, v3
	s_wait_alu 0xfffe
	v_cndmask_b32_e64 v3, 0, 1, s10
	v_cmp_eq_u32_e64 s10, v2, v22
	v_cmp_eq_u32_e64 s12, 0, v1
	s_bcnt1_i32_b32 s25, s14
	v_cmp_ne_u32_e64 s14, 0, v6
	v_cndmask_b32_e64 v2, 0, 1, s11
	v_cmp_eq_u32_e64 s11, 1, v1
	v_cndmask_b32_e64 v4, 0, 1, s13
	v_cmp_eq_u32_e64 s13, 2, v1
	;; [unrolled: 2-line block ×3, first 2 shown]
	s_and_b32 s7, s7, s9
	s_bcnt1_i32_b32 s77, s17
	s_wait_alu 0xfffe
	v_cndmask_b32_e64 v1, 0, 1, s7
	v_cmp_ne_u32_e64 s17, 0, v3
	s_and_b32 s9, s10, s12
	s_and_b32 s11, s10, s11
	;; [unrolled: 1-line block ×4, first 2 shown]
	v_cmp_ne_u32_e64 s7, 0, v2
	s_wait_alu 0xfffe
	v_cndmask_b32_e64 v2, 0, 1, s9
	v_cmp_ne_u32_e64 s9, 0, v4
	v_cndmask_b32_e64 v3, 0, 1, s11
	v_cndmask_b32_e64 v4, 0, 1, s12
	v_cmp_ne_u32_e64 s12, 0, v1
	v_cndmask_b32_e64 v1, 0, 1, s8
	s_bcnt1_i32_b32 s26, s15
	v_cmp_ne_u32_e64 s15, 0, v32
	s_bcnt1_i32_b32 s76, s16
	v_cmp_ne_u32_e64 s16, 0, v33
	s_add_co_i32 s21, s77, s21
	v_cmp_ne_u32_e64 s11, 0, v6
	s_bcnt1_i32_b32 s13, s17
	s_bcnt1_i32_b32 s17, s7
	s_wait_alu 0xfffe
	s_add_co_i32 s13, s21, s13
	v_cmp_ne_u32_e64 s7, 0, v2
	s_bcnt1_i32_b32 s21, s9
	v_cmp_ne_u32_e64 s8, 0, v3
	v_cmp_ne_u32_e64 s9, 0, v4
	;; [unrolled: 1-line block ×3, first 2 shown]
	s_add_co_i32 s24, s25, s24
	s_add_co_i32 s23, s26, s23
	;; [unrolled: 1-line block ×3, first 2 shown]
	s_bcnt1_i32_b32 s14, s14
	s_bcnt1_i32_b32 s15, s15
	;; [unrolled: 1-line block ×3, first 2 shown]
	s_wait_alu 0xfffe
	s_add_co_i32 s14, s24, s14
	s_add_co_i32 s15, s23, s15
	;; [unrolled: 1-line block ×3, first 2 shown]
	s_bcnt1_i32_b32 s11, s11
	s_bcnt1_i32_b32 s12, s12
	s_wait_alu 0xfffe
	s_add_co_i32 s14, s14, s17
	s_add_co_i32 s15, s15, s21
	s_add_co_i32 s11, s16, s11
	s_add_co_i32 s12, s13, s12
	s_bcnt1_i32_b32 s7, s7
	s_bcnt1_i32_b32 s8, s8
	;; [unrolled: 1-line block ×4, first 2 shown]
	s_wait_alu 0xfffe
	s_add_co_i32 s24, s14, s7
	s_add_co_i32 s23, s15, s8
	;; [unrolled: 1-line block ×4, first 2 shown]
	s_wait_alu 0xfffe
	v_dual_mov_b32 v1, s24 :: v_dual_mov_b32 v2, s23
	v_dual_mov_b32 v3, s22 :: v_dual_mov_b32 v4, s21
	s_or_b32 s19, vcc_lo, s19
	s_wait_alu 0xfffe
	s_and_not1_b32 exec_lo, exec_lo, s19
	s_cbranch_execnz .LBB121_59
; %bb.60:                               ;   in Loop: Header=BB121_20 Depth=1
	s_or_b32 exec_lo, exec_lo, s19
.LBB121_61:                             ;   in Loop: Header=BB121_20 Depth=1
	s_wait_alu 0xfffe
	s_or_b32 exec_lo, exec_lo, s18
	s_and_saveexec_b32 s11, s5
	s_cbranch_execz .LBB121_67
; %bb.62:                               ;   in Loop: Header=BB121_20 Depth=1
	global_load_b32 v33, v[10:11], off
	v_mov_b32_e32 v6, v26
	v_mov_b32_e32 v14, v20
	s_mov_b32 s12, 0
	s_branch .LBB121_64
.LBB121_63:                             ;   in Loop: Header=BB121_64 Depth=2
	s_wait_alu 0xfffe
	s_or_b32 exec_lo, exec_lo, s8
	s_wait_loadcnt 0x0
	v_cmp_lt_i32_e64 s7, -1, v33
	s_and_b32 s8, exec_lo, vcc_lo
	v_add_nc_u32_e32 v6, s57, v6
	s_wait_alu 0xfffe
	s_or_b32 s12, s8, s12
	v_cndmask_b32_e64 v34, -1, 0x80000000, s7
	v_cmp_o_f32_e64 s7, v33, v33
	s_delay_alu instid0(VALU_DEP_2) | instskip(SKIP_1) | instid1(VALU_DEP_1)
	v_xor_b32_e32 v34, v34, v33
	s_wait_alu 0xf1ff
	v_cndmask_b32_e64 v33, -1, v34, s7
	s_delay_alu instid0(VALU_DEP_1) | instskip(SKIP_1) | instid1(VALU_DEP_2)
	v_and_b32_e32 v34, v33, v30
	v_bfe_u32 v33, v33, s75, 2
	v_cmp_eq_u32_e32 vcc_lo, v34, v22
	s_delay_alu instid0(VALU_DEP_2)
	v_cmp_eq_u32_e64 s7, 0, v33
	v_cmp_eq_u32_e64 s8, 1, v33
	;; [unrolled: 1-line block ×4, first 2 shown]
	s_and_b32 s7, vcc_lo, s7
	s_wait_alu 0xfffe
	v_cndmask_b32_e64 v33, 0, 1, s7
	s_and_b32 s7, vcc_lo, s8
	s_wait_alu 0xfffe
	v_cndmask_b32_e64 v34, 0, 1, s7
	;; [unrolled: 3-line block ×3, first 2 shown]
	s_and_b32 s7, vcc_lo, s10
	v_cmp_ne_u32_e32 vcc_lo, 0, v33
	s_wait_alu 0xfffe
	v_cndmask_b32_e64 v36, 0, 1, s7
	v_cmp_ne_u32_e64 s7, 0, v34
	v_cmp_ne_u32_e64 s8, 0, v35
	v_mov_b32_e32 v33, v32
	s_bcnt1_i32_b32 s10, vcc_lo
	v_cmp_ne_u32_e64 s9, 0, v36
	s_bcnt1_i32_b32 s7, s7
	s_bcnt1_i32_b32 s8, s8
	s_wait_alu 0xfffe
	v_add_nc_u32_e32 v1, s10, v1
	v_add_nc_u32_e32 v2, s7, v2
	s_bcnt1_i32_b32 s9, s9
	v_add_nc_u32_e32 v3, s8, v3
	s_wait_alu 0xfffe
	v_add_nc_u32_e32 v4, s9, v4
	s_and_not1_b32 exec_lo, exec_lo, s12
	s_cbranch_execz .LBB121_66
.LBB121_64:                             ;   Parent Loop BB121_20 Depth=1
                                        ; =>  This Inner Loop Header: Depth=2
	s_delay_alu instid0(VALU_DEP_1) | instskip(SKIP_2) | instid1(VALU_DEP_2)
	v_add_nc_u32_e32 v14, s29, v14
	v_mov_b32_e32 v32, 0
	s_mov_b32 s8, exec_lo
	v_cmp_le_u32_e32 vcc_lo, s28, v14
	v_cmpx_gt_u32_e64 s28, v14
	s_cbranch_execz .LBB121_63
; %bb.65:                               ;   in Loop: Header=BB121_64 Depth=2
	v_lshlrev_b64_e32 v[34:35], 2, v[6:7]
	s_delay_alu instid0(VALU_DEP_1) | instskip(SKIP_1) | instid1(VALU_DEP_2)
	v_add_co_u32 v34, s7, s38, v34
	s_wait_alu 0xf1fe
	v_add_co_ci_u32_e64 v35, null, s39, v35, s7
	global_load_b32 v32, v[34:35], off
	s_branch .LBB121_63
.LBB121_66:                             ;   in Loop: Header=BB121_20 Depth=1
	s_or_b32 exec_lo, exec_lo, s12
.LBB121_67:                             ;   in Loop: Header=BB121_20 Depth=1
	s_wait_alu 0xfffe
	s_or_b32 exec_lo, exec_lo, s11
	s_branch .LBB121_49
.LBB121_68:                             ;   in Loop: Header=BB121_20 Depth=1
	s_mul_u64 s[8:9], s[48:49], s[50:51]
	v_dual_mov_b32 v1, 0 :: v_dual_mov_b32 v2, 0
	s_wait_alu 0xfffe
	s_mul_i32 s7, s9, s35
	v_dual_mov_b32 v3, 0 :: v_dual_mov_b32 v4, 0
	s_wait_alu 0xfffe
	s_sub_co_i32 s7, s48, s7
	s_mov_b32 s77, exec_lo
	s_wait_alu 0xfffe
	s_sub_co_i32 s8, s7, s35
	s_cmp_ge_u32 s7, s35
	s_wait_alu 0xfffe
	s_cselect_b32 s7, s8, s7
	s_wait_alu 0xfffe
	s_sub_co_i32 s8, s7, s35
	s_cmp_ge_u32 s7, s35
	s_wait_alu 0xfffe
	s_cselect_b32 s7, s8, s7
	s_wait_alu 0xfffe
	s_sub_co_i32 s76, s48, s7
	s_wait_alu 0xfffe
	v_cmpx_gt_u32_e64 s76, v17
	s_cbranch_execz .LBB121_72
; %bb.69:                               ;   in Loop: Header=BB121_20 Depth=1
	v_mov_b32_e32 v6, v27
	v_mov_b32_e32 v14, v17
	s_mov_b32 s78, 0
	s_mov_b32 s79, 0
	;; [unrolled: 1-line block ×5, first 2 shown]
.LBB121_70:                             ;   Parent Loop BB121_20 Depth=1
                                        ; =>  This Inner Loop Header: Depth=2
	ds_load_b128 v[1:4], v6
	s_wait_dscnt 0x0
	v_cmp_lt_i32_e64 s7, -1, v1
	v_cmp_o_f32_e64 s10, v1, v1
	v_cmp_o_f32_e64 s8, v3, v3
	;; [unrolled: 1-line block ×3, first 2 shown]
	s_wait_alu 0xf1ff
	v_cndmask_b32_e64 v32, -1, 0x80000000, s7
	v_cmp_lt_i32_e64 s7, -1, v2
	s_delay_alu instid0(VALU_DEP_2) | instskip(SKIP_1) | instid1(VALU_DEP_2)
	v_xor_b32_e32 v32, v32, v1
	s_wait_alu 0xf1ff
	v_cndmask_b32_e64 v33, -1, 0x80000000, s7
	v_cmp_lt_i32_e64 s7, -1, v3
	s_delay_alu instid0(VALU_DEP_3) | instskip(NEXT) | instid1(VALU_DEP_3)
	v_cndmask_b32_e64 v1, -1, v32, s10
	v_xor_b32_e32 v33, v33, v2
	s_wait_alu 0xf1ff
	s_delay_alu instid0(VALU_DEP_3) | instskip(SKIP_4) | instid1(VALU_DEP_3)
	v_cndmask_b32_e64 v34, -1, 0x80000000, s7
	v_cmp_lt_i32_e64 s7, -1, v4
	v_and_b32_e32 v32, v1, v30
	v_bfe_u32 v1, v1, s75, 2
	s_wait_alu 0xf1ff
	v_cndmask_b32_e64 v35, -1, 0x80000000, s7
	v_cmp_o_f32_e64 s7, v2, v2
	v_xor_b32_e32 v2, v34, v3
	v_cmp_eq_u32_e64 s11, 0, v1
	v_cmp_eq_u32_e64 s15, 1, v1
	v_xor_b32_e32 v3, v35, v4
	s_wait_alu 0xf1ff
	v_cndmask_b32_e64 v4, -1, v33, s7
	v_cndmask_b32_e64 v2, -1, v2, s8
	v_cmp_eq_u32_e64 s7, v32, v22
	v_cmp_eq_u32_e64 s19, 2, v1
	v_cndmask_b32_e64 v3, -1, v3, s9
	v_and_b32_e32 v33, v4, v30
	v_bfe_u32 v4, v4, s75, 2
	v_and_b32_e32 v34, v2, v30
	v_bfe_u32 v2, v2, s75, 2
	;; [unrolled: 2-line block ×3, first 2 shown]
	v_cmp_eq_u32_e64 s8, v33, v22
	v_cmp_eq_u32_e64 s12, 0, v4
	;; [unrolled: 1-line block ×4, first 2 shown]
	s_and_b32 s11, s7, s11
	v_cmp_eq_u32_e64 s10, v35, v22
	v_cmp_eq_u32_e64 s14, 0, v3
	;; [unrolled: 1-line block ×3, first 2 shown]
	s_wait_alu 0xfffe
	v_cndmask_b32_e64 v1, 0, 1, s11
	s_and_b32 s11, s8, s12
	v_cmp_eq_u32_e64 s17, 1, v2
	v_cmp_eq_u32_e64 s21, 2, v2
	;; [unrolled: 1-line block ×3, first 2 shown]
	s_wait_alu 0xfffe
	v_cndmask_b32_e64 v2, 0, 1, s11
	s_and_b32 s11, s9, s13
	v_cmp_eq_u32_e64 s16, 1, v4
	v_cmp_eq_u32_e64 s18, 1, v3
	;; [unrolled: 1-line block ×4, first 2 shown]
	s_wait_alu 0xfffe
	v_cndmask_b32_e64 v3, 0, 1, s11
	s_and_b32 s11, s10, s14
	v_cmp_eq_u32_e64 s20, 2, v4
	v_cmp_eq_u32_e64 s24, 3, v4
	s_wait_alu 0xfffe
	v_cndmask_b32_e64 v4, 0, 1, s11
	s_and_b32 s11, s7, s15
	s_wait_alu 0xfffe
	v_cndmask_b32_e64 v32, 0, 1, s11
	s_and_b32 s11, s8, s16
	;; [unrolled: 3-line block ×4, first 2 shown]
	v_cmp_ne_u32_e64 s12, 0, v33
	s_wait_alu 0xfffe
	v_cndmask_b32_e64 v35, 0, 1, s11
	s_and_b32 s11, s7, s19
	s_and_b32 s7, s7, s23
	s_wait_alu 0xfffe
	v_cndmask_b32_e64 v36, 0, 1, s11
	v_cndmask_b32_e64 v40, 0, 1, s7
	s_and_b32 s7, s8, s24
	s_and_b32 s11, s8, s20
	s_wait_alu 0xfffe
	v_cndmask_b32_e64 v41, 0, 1, s7
	s_and_b32 s7, s9, s25
	v_cndmask_b32_e64 v37, 0, 1, s11
	s_wait_alu 0xfffe
	v_cndmask_b32_e64 v42, 0, 1, s7
	s_and_b32 s7, s10, s26
	s_and_b32 s11, s9, s21
	s_wait_alu 0xfffe
	v_cndmask_b32_e64 v43, 0, 1, s7
	v_cmp_ne_u32_e64 s7, 0, v1
	v_cmp_ne_u32_e64 s8, 0, v2
	v_cndmask_b32_e64 v38, 0, 1, s11
	s_and_b32 s11, s10, s22
	v_cmp_ne_u32_e64 s9, 0, v3
	s_wait_alu 0xfffe
	v_cndmask_b32_e64 v39, 0, 1, s11
	v_cmp_ne_u32_e64 s11, 0, v32
	v_cmp_ne_u32_e64 s15, 0, v36
	;; [unrolled: 1-line block ×3, first 2 shown]
	s_bcnt1_i32_b32 s7, s7
	v_cmp_ne_u32_e64 s10, 0, v4
	v_cmp_ne_u32_e64 s16, 0, v37
	;; [unrolled: 1-line block ×3, first 2 shown]
	s_bcnt1_i32_b32 s8, s8
	s_wait_alu 0xfffe
	s_add_co_i32 s7, s7, s82
	v_cmp_ne_u32_e64 s13, 0, v34
	v_cmp_ne_u32_e64 s17, 0, v38
	;; [unrolled: 1-line block ×3, first 2 shown]
	s_bcnt1_i32_b32 s9, s9
	s_wait_alu 0xfffe
	s_add_co_i32 s7, s7, s8
	s_bcnt1_i32_b32 s11, s11
	s_bcnt1_i32_b32 s15, s15
	s_bcnt1_i32_b32 s19, s19
	v_cmp_ne_u32_e64 s14, 0, v35
	v_cmp_ne_u32_e64 s18, 0, v39
	;; [unrolled: 1-line block ×3, first 2 shown]
	s_bcnt1_i32_b32 s10, s10
	s_wait_alu 0xfffe
	s_add_co_i32 s7, s7, s9
	s_bcnt1_i32_b32 s12, s12
	s_bcnt1_i32_b32 s16, s16
	;; [unrolled: 1-line block ×3, first 2 shown]
	s_add_co_i32 s11, s11, s81
	s_add_co_i32 s15, s15, s80
	s_add_co_i32 s19, s19, s79
	s_wait_alu 0xfffe
	s_add_co_i32 s82, s7, s10
	s_wait_alu 0xfffe
	v_dual_mov_b32 v1, s82 :: v_dual_add_nc_u32 v14, s35, v14
	s_bcnt1_i32_b32 s13, s13
	s_bcnt1_i32_b32 s17, s17
	;; [unrolled: 1-line block ×3, first 2 shown]
	s_add_co_i32 s8, s11, s12
	s_add_co_i32 s11, s15, s16
	;; [unrolled: 1-line block ×3, first 2 shown]
	s_bcnt1_i32_b32 s14, s14
	s_bcnt1_i32_b32 s18, s18
	;; [unrolled: 1-line block ×3, first 2 shown]
	s_wait_alu 0xfffe
	s_add_co_i32 s8, s8, s13
	s_add_co_i32 s9, s11, s17
	;; [unrolled: 1-line block ×3, first 2 shown]
	v_cmp_le_u32_e32 vcc_lo, s76, v14
	s_wait_alu 0xfffe
	s_add_co_i32 s81, s8, s14
	s_add_co_i32 s80, s9, s18
	;; [unrolled: 1-line block ×3, first 2 shown]
	s_wait_alu 0xfffe
	v_dual_mov_b32 v3, s80 :: v_dual_add_nc_u32 v6, s67, v6
	v_mov_b32_e32 v2, s81
	v_mov_b32_e32 v4, s79
	s_or_b32 s78, vcc_lo, s78
	s_wait_alu 0xfffe
	s_and_not1_b32 exec_lo, exec_lo, s78
	s_cbranch_execnz .LBB121_70
; %bb.71:                               ;   in Loop: Header=BB121_20 Depth=1
	s_or_b32 exec_lo, exec_lo, s78
.LBB121_72:                             ;   in Loop: Header=BB121_20 Depth=1
	s_delay_alu instid0(SALU_CYCLE_1) | instskip(SKIP_2) | instid1(VALU_DEP_1)
	s_or_b32 exec_lo, exec_lo, s77
	v_add_nc_u32_e32 v6, s76, v0
	s_mov_b32 s12, exec_lo
	v_cmpx_gt_u32_e64 s48, v6
	s_cbranch_execz .LBB121_76
; %bb.73:                               ;   in Loop: Header=BB121_20 Depth=1
	v_lshlrev_b32_e32 v14, 2, v6
	s_mov_b32 s13, 0
.LBB121_74:                             ;   Parent Loop BB121_20 Depth=1
                                        ; =>  This Inner Loop Header: Depth=2
	ds_load_b32 v32, v14
	v_add_nc_u32_e32 v6, s29, v6
	v_add_nc_u32_e32 v14, s35, v14
	s_delay_alu instid0(VALU_DEP_2) | instskip(SKIP_3) | instid1(VALU_DEP_1)
	v_cmp_le_u32_e32 vcc_lo, s48, v6
	s_wait_dscnt 0x0
	v_cmp_lt_i32_e64 s7, -1, v32
	s_wait_alu 0xf1ff
	v_cndmask_b32_e64 v33, -1, 0x80000000, s7
	v_cmp_o_f32_e64 s7, v32, v32
	s_delay_alu instid0(VALU_DEP_2) | instskip(SKIP_1) | instid1(VALU_DEP_1)
	v_xor_b32_e32 v33, v33, v32
	s_wait_alu 0xf1ff
	v_cndmask_b32_e64 v32, -1, v33, s7
	s_delay_alu instid0(VALU_DEP_1) | instskip(SKIP_1) | instid1(VALU_DEP_2)
	v_and_b32_e32 v33, v32, v30
	v_bfe_u32 v32, v32, s75, 2
	v_cmp_eq_u32_e64 s7, v33, v22
	s_delay_alu instid0(VALU_DEP_2)
	v_cmp_eq_u32_e64 s8, 0, v32
	v_cmp_eq_u32_e64 s9, 1, v32
	;; [unrolled: 1-line block ×4, first 2 shown]
	s_and_b32 s8, s7, s8
	s_wait_alu 0xfffe
	v_cndmask_b32_e64 v32, 0, 1, s8
	s_and_b32 s8, s7, s9
	s_wait_alu 0xfffe
	v_cndmask_b32_e64 v33, 0, 1, s8
	s_and_b32 s8, s7, s10
	s_and_b32 s7, s7, s11
	s_wait_alu 0xfffe
	v_cndmask_b32_e64 v34, 0, 1, s8
	v_cndmask_b32_e64 v35, 0, 1, s7
	v_cmp_ne_u32_e64 s7, 0, v32
	v_cmp_ne_u32_e64 s8, 0, v33
	s_delay_alu instid0(VALU_DEP_4) | instskip(NEXT) | instid1(VALU_DEP_4)
	v_cmp_ne_u32_e64 s9, 0, v34
	v_cmp_ne_u32_e64 s10, 0, v35
	s_bcnt1_i32_b32 s7, s7
	s_bcnt1_i32_b32 s8, s8
	s_wait_alu 0xfffe
	v_add_nc_u32_e32 v1, s7, v1
	s_bcnt1_i32_b32 s9, s9
	s_bcnt1_i32_b32 s10, s10
	v_add_nc_u32_e32 v2, s8, v2
	s_wait_alu 0xfffe
	v_add_nc_u32_e32 v3, s9, v3
	v_add_nc_u32_e32 v4, s10, v4
	s_or_b32 s13, vcc_lo, s13
	s_wait_alu 0xfffe
	s_and_not1_b32 exec_lo, exec_lo, s13
	s_cbranch_execnz .LBB121_74
; %bb.75:                               ;   in Loop: Header=BB121_20 Depth=1
	s_or_b32 exec_lo, exec_lo, s13
.LBB121_76:                             ;   in Loop: Header=BB121_20 Depth=1
	s_wait_alu 0xfffe
	s_or_b32 exec_lo, exec_lo, s12
	v_lshlrev_b32_e32 v6, 7, v29
	s_and_saveexec_b32 s7, s3
	s_cbranch_execnz .LBB121_50
	s_branch .LBB121_51
.LBB121_77:                             ;   in Loop: Header=BB121_20 Depth=1
	v_mov_b32_e32 v1, 0
	s_mov_b32 s8, 0
	s_and_not1_b32 vcc_lo, exec_lo, s63
	s_wait_alu 0xfffe
	s_cbranch_vccnz .LBB121_80
.LBB121_78:                             ;   in Loop: Header=BB121_20 Depth=1
	v_lshlrev_b32_e32 v2, 9, v29
	s_lshl_b32 s8, s8, 4
	s_wait_alu 0xfffe
	s_delay_alu instid0(VALU_DEP_1)
	v_add3_u32 v2, v2, s8, v28
	s_mov_b32 s8, s60
.LBB121_79:                             ;   Parent Loop BB121_20 Depth=1
                                        ; =>  This Inner Loop Header: Depth=2
	ds_load_b32 v3, v2
	v_add_nc_u32_e32 v2, 16, v2
	s_wait_alu 0xfffe
	s_add_co_i32 s8, s8, -1
	s_wait_alu 0xfffe
	s_cmp_lg_u32 s8, 0
	s_wait_dscnt 0x0
	v_add_nc_u32_e32 v1, v3, v1
	s_cbranch_scc1 .LBB121_79
.LBB121_80:                             ;   in Loop: Header=BB121_20 Depth=1
	v_add_lshl_u32 v2, v6, v16, 2
	ds_store_b32 v2, v1 offset:3072
.LBB121_81:                             ;   in Loop: Header=BB121_20 Depth=1
	s_wait_alu 0xfffe
	s_or_b32 exec_lo, exec_lo, s7
	v_lshlrev_b32_e32 v1, 2, v6
	s_wait_loadcnt_dscnt 0x0
	s_barrier_signal -1
	s_barrier_wait -1
	global_inv scope:SCOPE_SE
	ds_load_b128 v[1:4], v1 offset:3072
	s_lshl_b32 s8, 3, s75
	v_cmp_eq_u32_e32 vcc_lo, 1, v31
	s_wait_alu 0xfffe
	s_not_b32 s15, s8
	s_mov_b32 s11, -1
	s_mov_b32 s19, -1
                                        ; implicit-def: $sgpr16
                                        ; implicit-def: $sgpr13
	s_wait_dscnt 0x0
	v_readfirstlane_b32 s10, v1
	v_readfirstlane_b32 s17, v2
	;; [unrolled: 1-line block ×4, first 2 shown]
	s_cmp_eq_u32 s10, 1
	s_cselect_b32 s9, -1, 0
	s_wait_alu 0xfffe
	s_and_b32 s12, s9, vcc_lo
	s_wait_alu 0xfffe
	s_and_saveexec_b32 s9, s12
	s_cbranch_execz .LBB121_109
; %bb.82:                               ;   in Loop: Header=BB121_20 Depth=1
	ds_load_b32 v1, v7 offset:4104
	s_wait_loadcnt_dscnt 0x0
	s_barrier_signal -1
	s_barrier_wait -1
	global_inv scope:SCOPE_SE
	v_readfirstlane_b32 s19, v1
	s_and_saveexec_b32 s13, s1
; %bb.83:                               ;   in Loop: Header=BB121_20 Depth=1
	ds_store_b32 v18, v7
; %bb.84:                               ;   in Loop: Header=BB121_20 Depth=1
	s_wait_alu 0xfffe
	s_or_b32 exec_lo, exec_lo, s13
	v_and_b32_e32 v22, s15, v22
	v_or_b32_e32 v30, s8, v30
	s_mov_b32 s13, -1
	s_mov_b32 s16, 0
	s_cmp_eq_u32 s19, 0
	s_mov_b32 s18, 0
	s_mov_b32 s20, -1
	s_wait_loadcnt_dscnt 0x0
	s_barrier_signal -1
	s_barrier_wait -1
	global_inv scope:SCOPE_SE
                                        ; implicit-def: $vgpr15
	s_cbranch_scc1 .LBB121_96
; %bb.85:                               ;   in Loop: Header=BB121_20 Depth=1
	s_add_co_i32 s48, s19, s46
                                        ; implicit-def: $vgpr15
	s_wait_alu 0xfffe
	s_mul_u64 s[20:21], s[48:49], s[52:53]
	s_wait_alu 0xfffe
	s_mul_i32 s18, s21, s29
	s_mov_b32 s21, exec_lo
	s_wait_alu 0xfffe
	s_sub_co_i32 s18, s48, s18
	s_wait_alu 0xfffe
	s_sub_co_i32 s20, s18, s29
	s_cmp_ge_u32 s18, s29
	s_wait_alu 0xfffe
	s_cselect_b32 s18, s20, s18
	s_wait_alu 0xfffe
	s_sub_co_i32 s20, s18, s29
	s_cmp_ge_u32 s18, s29
	s_wait_alu 0xfffe
	s_cselect_b32 s18, s20, s18
	s_mov_b32 s20, 0
	s_wait_alu 0xfffe
	s_sub_co_i32 s22, s48, s18
	s_mov_b32 s18, 0
	s_wait_alu 0xfffe
	v_cmpx_gt_u32_e64 s22, v0
	s_cbranch_execz .LBB121_95
; %bb.86:                               ;   in Loop: Header=BB121_20 Depth=1
	v_dual_mov_b32 v1, v17 :: v_dual_mov_b32 v2, v0
                                        ; implicit-def: $sgpr23
	s_branch .LBB121_90
.LBB121_87:                             ;   in Loop: Header=BB121_90 Depth=2
	s_wait_alu 0xfffe
	s_or_b32 exec_lo, exec_lo, s24
	s_wait_loadcnt_dscnt 0x0
	s_barrier_signal -1
	s_barrier_wait -1
	global_inv scope:SCOPE_SE
	ds_load_b64 v[14:15], v7 offset:3072
	s_wait_loadcnt_dscnt 0x0
	s_barrier_signal -1
	s_barrier_wait -1
	global_inv scope:SCOPE_SE
	v_cmp_neq_f32_e32 vcc_lo, 0, v14
	s_cbranch_vccnz .LBB121_93
; %bb.88:                               ;   in Loop: Header=BB121_90 Depth=2
	v_add_nc_u32_e32 v2, s29, v2
	v_add_nc_u32_e32 v1, s35, v1
	s_mov_b32 s24, 0
	s_delay_alu instid0(VALU_DEP_2)
	v_cmp_le_u32_e32 vcc_lo, s22, v2
	s_or_not1_b32 s25, vcc_lo, exec_lo
.LBB121_89:                             ;   in Loop: Header=BB121_90 Depth=2
	s_wait_alu 0xfffe
	s_and_b32 s25, exec_lo, s25
	s_wait_alu 0xfffe
	s_or_b32 s18, s25, s18
	s_and_not1_b32 s23, s23, exec_lo
	s_and_b32 s24, s24, exec_lo
	s_wait_alu 0xfffe
	s_or_b32 s23, s23, s24
	s_and_not1_b32 exec_lo, exec_lo, s18
	s_cbranch_execz .LBB121_94
.LBB121_90:                             ;   Parent Loop BB121_20 Depth=1
                                        ; =>  This Inner Loop Header: Depth=2
	s_mov_b32 s24, exec_lo
	s_delay_alu instid0(VALU_DEP_1)
	v_cmpx_gt_u32_e64 s19, v2
	s_cbranch_execz .LBB121_87
; %bb.91:                               ;   in Loop: Header=BB121_90 Depth=2
	ds_load_b32 v14, v1
	s_wait_dscnt 0x0
	v_cmp_lt_i32_e32 vcc_lo, -1, v14
	s_wait_alu 0xfffd
	v_cndmask_b32_e64 v3, -1, 0x80000000, vcc_lo
	v_cmp_o_f32_e32 vcc_lo, v14, v14
	s_delay_alu instid0(VALU_DEP_2) | instskip(SKIP_1) | instid1(VALU_DEP_1)
	v_xor_b32_e32 v3, v3, v14
	s_wait_alu 0xfffd
	v_cndmask_b32_e32 v3, -1, v3, vcc_lo
	s_delay_alu instid0(VALU_DEP_1) | instskip(NEXT) | instid1(VALU_DEP_1)
	v_and_b32_e32 v3, v3, v30
	v_cmp_eq_u32_e32 vcc_lo, v3, v22
	s_and_b32 exec_lo, exec_lo, vcc_lo
	s_cbranch_execz .LBB121_87
; %bb.92:                               ;   in Loop: Header=BB121_90 Depth=2
	ds_store_b64 v7, v[13:14] offset:3072
	s_branch .LBB121_87
.LBB121_93:                             ;   in Loop: Header=BB121_90 Depth=2
	s_mov_b32 s25, -1
	s_mov_b32 s24, -1
                                        ; implicit-def: $vgpr2
                                        ; implicit-def: $vgpr1
	s_branch .LBB121_89
.LBB121_94:                             ;   in Loop: Header=BB121_20 Depth=1
	s_or_b32 exec_lo, exec_lo, s18
	s_wait_alu 0xfffe
	s_and_b32 s18, s23, exec_lo
.LBB121_95:                             ;   in Loop: Header=BB121_20 Depth=1
	s_or_b32 exec_lo, exec_lo, s21
.LBB121_96:                             ;   in Loop: Header=BB121_20 Depth=1
	s_wait_alu 0xfffe
	s_and_b32 vcc_lo, exec_lo, s20
	s_wait_alu 0xfffe
	s_cbranch_vccz .LBB121_108
; %bb.97:                               ;   in Loop: Header=BB121_20 Depth=1
                                        ; implicit-def: $vgpr15
	s_and_saveexec_b32 s13, s6
	s_cbranch_execz .LBB121_107
; %bb.98:                               ;   in Loop: Header=BB121_20 Depth=1
	v_dual_mov_b32 v6, v5 :: v_dual_mov_b32 v1, v0
	s_mov_b32 s16, 0
                                        ; implicit-def: $sgpr19
	s_branch .LBB121_102
.LBB121_99:                             ;   in Loop: Header=BB121_102 Depth=2
	s_wait_alu 0xfffe
	s_or_b32 exec_lo, exec_lo, s20
	s_wait_loadcnt_dscnt 0x0
	s_barrier_signal -1
	s_barrier_wait -1
	global_inv scope:SCOPE_SE
	ds_load_b64 v[14:15], v7 offset:3072
	s_wait_loadcnt_dscnt 0x0
	s_barrier_signal -1
	s_barrier_wait -1
	global_inv scope:SCOPE_SE
	v_cmp_neq_f32_e32 vcc_lo, 0, v14
	s_cbranch_vccnz .LBB121_105
; %bb.100:                              ;   in Loop: Header=BB121_102 Depth=2
	v_add_nc_u32_e32 v1, s29, v1
	v_add_nc_u32_e32 v6, s57, v6
	s_mov_b32 s20, 0
	s_delay_alu instid0(VALU_DEP_2)
	v_cmp_le_u32_e32 vcc_lo, s65, v1
	s_or_not1_b32 s21, vcc_lo, exec_lo
.LBB121_101:                            ;   in Loop: Header=BB121_102 Depth=2
	s_wait_alu 0xfffe
	s_and_b32 s21, exec_lo, s21
	s_wait_alu 0xfffe
	s_or_b32 s16, s21, s16
	s_and_not1_b32 s19, s19, exec_lo
	s_and_b32 s20, s20, exec_lo
	s_wait_alu 0xfffe
	s_or_b32 s19, s19, s20
	s_and_not1_b32 exec_lo, exec_lo, s16
	s_cbranch_execz .LBB121_106
.LBB121_102:                            ;   Parent Loop BB121_20 Depth=1
                                        ; =>  This Inner Loop Header: Depth=2
	s_mov_b32 s20, exec_lo
	s_delay_alu instid0(VALU_DEP_1)
	v_cmpx_gt_u32_e64 s28, v1
	s_cbranch_execz .LBB121_99
; %bb.103:                              ;   in Loop: Header=BB121_102 Depth=2
	v_lshlrev_b64_e32 v[2:3], 2, v[6:7]
	s_delay_alu instid0(VALU_DEP_1) | instskip(SKIP_1) | instid1(VALU_DEP_2)
	v_add_co_u32 v2, vcc_lo, s38, v2
	s_wait_alu 0xfffd
	v_add_co_ci_u32_e64 v3, null, s39, v3, vcc_lo
	global_load_b32 v14, v[2:3], off
	s_wait_loadcnt 0x0
	v_cmp_lt_i32_e32 vcc_lo, -1, v14
	s_wait_alu 0xfffd
	v_cndmask_b32_e64 v2, -1, 0x80000000, vcc_lo
	v_cmp_o_f32_e32 vcc_lo, v14, v14
	s_delay_alu instid0(VALU_DEP_2) | instskip(SKIP_1) | instid1(VALU_DEP_1)
	v_xor_b32_e32 v2, v2, v14
	s_wait_alu 0xfffd
	v_cndmask_b32_e32 v2, -1, v2, vcc_lo
	s_delay_alu instid0(VALU_DEP_1) | instskip(NEXT) | instid1(VALU_DEP_1)
	v_and_b32_e32 v2, v2, v30
	v_cmp_eq_u32_e32 vcc_lo, v2, v22
	s_and_b32 exec_lo, exec_lo, vcc_lo
	s_cbranch_execz .LBB121_99
; %bb.104:                              ;   in Loop: Header=BB121_102 Depth=2
	ds_store_b64 v7, v[13:14] offset:3072
	s_branch .LBB121_99
.LBB121_105:                            ;   in Loop: Header=BB121_102 Depth=2
	s_mov_b32 s21, -1
	s_mov_b32 s20, -1
                                        ; implicit-def: $vgpr1
	s_branch .LBB121_101
.LBB121_106:                            ;   in Loop: Header=BB121_20 Depth=1
	s_or_b32 exec_lo, exec_lo, s16
	s_delay_alu instid0(SALU_CYCLE_1)
	s_and_not1_b32 s16, s18, exec_lo
	s_wait_alu 0xfffe
	s_and_b32 s18, s19, exec_lo
	s_wait_alu 0xfffe
	s_or_b32 s18, s16, s18
.LBB121_107:                            ;   in Loop: Header=BB121_20 Depth=1
	s_wait_alu 0xfffe
	s_or_b32 exec_lo, exec_lo, s13
	s_mov_b32 s13, 0
	s_mov_b32 s16, -1
.LBB121_108:                            ;   in Loop: Header=BB121_20 Depth=1
	s_or_not1_b32 s19, s18, exec_lo
.LBB121_109:                            ;   in Loop: Header=BB121_20 Depth=1
	s_wait_alu 0xfffe
	s_or_b32 exec_lo, exec_lo, s9
	v_readfirstlane_b32 s18, v0
	s_and_not1_b32 s9, s73, exec_lo
	s_and_b32 s16, s16, exec_lo
	s_and_not1_b32 s20, s71, exec_lo
	s_and_b32 s13, s13, exec_lo
	s_and_not1_b32 s70, s70, exec_lo
	s_wait_alu 0xfffe
	s_or_b32 s73, s9, s16
	s_or_b32 s71, s20, s13
                                        ; implicit-def: $vgpr2
	s_and_saveexec_b32 s9, s19
	s_cbranch_execz .LBB121_19
; %bb.110:                              ;   in Loop: Header=BB121_20 Depth=1
	v_dual_mov_b32 v2, 1 :: v_dual_mov_b32 v1, 1
	s_xor_b32 s12, s12, -1
	s_mov_b32 s18, 0
	s_wait_alu 0xfffe
	s_and_saveexec_b32 s11, s12
	s_cbranch_execz .LBB121_119
; %bb.111:                              ;   in Loop: Header=BB121_20 Depth=1
	s_mov_b32 s12, exec_lo
	v_cmpx_ge_u32_e64 s10, v31
	s_wait_alu 0xfffe
	s_xor_b32 s12, exec_lo, s12
	s_cbranch_execz .LBB121_116
; %bb.112:                              ;   in Loop: Header=BB121_20 Depth=1
	ds_load_b32 v1, v7 offset:4104
	v_and_b32_e32 v22, s15, v22
	v_or_b32_e32 v30, s8, v30
	s_wait_dscnt 0x0
	v_cmp_ne_u32_e32 vcc_lo, 0, v1
	s_cbranch_vccnz .LBB121_116
; %bb.113:                              ;   in Loop: Header=BB121_20 Depth=1
	s_and_saveexec_b32 s13, s0
; %bb.114:                              ;   in Loop: Header=BB121_20 Depth=1
	v_mov_b32_e32 v1, s10
	ds_store_b32 v7, v1 offset:4108
; %bb.115:                              ;   in Loop: Header=BB121_20 Depth=1
	s_wait_alu 0xfffe
	s_or_b32 exec_lo, exec_lo, s13
	s_wait_loadcnt_dscnt 0x0
	s_barrier_signal -1
	s_barrier_wait -1
	global_inv scope:SCOPE_SE
.LBB121_116:                            ;   in Loop: Header=BB121_20 Depth=1
	s_wait_alu 0xfffe
	s_or_saveexec_b32 s12, s12
	v_mov_b32_e32 v1, 8
	s_mov_b32 s13, 0
	s_wait_alu 0xfffe
	s_xor_b32 exec_lo, exec_lo, s12
; %bb.117:                              ;   in Loop: Header=BB121_20 Depth=1
	v_subrev_nc_u32_e32 v31, s10, v31
	v_mov_b32_e32 v1, 0
	s_mov_b32 s13, exec_lo
; %bb.118:                              ;   in Loop: Header=BB121_20 Depth=1
	s_or_b32 exec_lo, exec_lo, s12
	s_delay_alu instid0(VALU_DEP_2)
	v_mov_b32_e32 v2, v31
	s_wait_alu 0xfffe
	s_and_b32 s18, s13, exec_lo
.LBB121_119:                            ;   in Loop: Header=BB121_20 Depth=1
	s_wait_alu 0xfffe
	s_or_b32 exec_lo, exec_lo, s11
	s_mov_b32 s10, -1
	s_mov_b32 s16, -1
                                        ; implicit-def: $sgpr12
                                        ; implicit-def: $sgpr13
	s_and_saveexec_b32 s11, s18
	s_wait_alu 0xfffe
	s_xor_b32 s11, exec_lo, s11
	s_cbranch_execz .LBB121_245
; %bb.120:                              ;   in Loop: Header=BB121_20 Depth=1
	v_cmp_eq_u32_e32 vcc_lo, 1, v2
	s_cmp_eq_u32 s17, 1
	s_mov_b32 s19, -1
	s_cselect_b32 s12, -1, 0
                                        ; implicit-def: $sgpr13
	s_wait_alu 0xfffe
	s_and_b32 s18, s12, vcc_lo
                                        ; implicit-def: $sgpr12
	s_wait_alu 0xfffe
	s_and_saveexec_b32 s16, s18
	s_cbranch_execz .LBB121_151
; %bb.121:                              ;   in Loop: Header=BB121_20 Depth=1
	ds_load_b32 v3, v7 offset:4104
	s_wait_loadcnt_dscnt 0x0
	s_barrier_signal -1
	s_barrier_wait -1
	global_inv scope:SCOPE_SE
	v_readfirstlane_b32 s20, v3
	s_and_saveexec_b32 s12, s1
; %bb.122:                              ;   in Loop: Header=BB121_20 Depth=1
	ds_store_b32 v18, v7
; %bb.123:                              ;   in Loop: Header=BB121_20 Depth=1
	s_wait_alu 0xfffe
	s_or_b32 exec_lo, exec_lo, s12
	s_lshl_b32 s12, 1, s75
	v_or_b32_e32 v30, s8, v30
	s_wait_alu 0xfffe
	v_and_or_b32 v22, v22, s15, s12
	s_mov_b32 s12, -1
	s_mov_b32 s13, 0
	s_cmp_eq_u32 s20, 0
	s_mov_b32 s19, 0
	s_mov_b32 s21, -1
	s_wait_loadcnt_dscnt 0x0
	s_barrier_signal -1
	s_barrier_wait -1
	global_inv scope:SCOPE_SE
                                        ; implicit-def: $vgpr15
	s_cbranch_scc1 .LBB121_138
; %bb.124:                              ;   in Loop: Header=BB121_20 Depth=1
	s_add_co_i32 s48, s20, s46
                                        ; implicit-def: $vgpr15
	s_wait_alu 0xfffe
	s_mul_u64 s[22:23], s[48:49], s[52:53]
	s_mov_b32 s22, exec_lo
	s_wait_alu 0xfffe
	s_mul_i32 s19, s23, s29
	s_wait_alu 0xfffe
	s_sub_co_i32 s19, s48, s19
	s_wait_alu 0xfffe
	s_sub_co_i32 s21, s19, s29
	s_cmp_ge_u32 s19, s29
	s_wait_alu 0xfffe
	s_cselect_b32 s19, s21, s19
	s_wait_alu 0xfffe
	s_sub_co_i32 s21, s19, s29
	s_cmp_ge_u32 s19, s29
	s_wait_alu 0xfffe
	s_cselect_b32 s19, s21, s19
	s_mov_b32 s21, 0
	s_wait_alu 0xfffe
	s_sub_co_i32 s23, s48, s19
	s_mov_b32 s19, 0
	s_wait_alu 0xfffe
	v_cmpx_gt_u32_e64 s23, v0
	s_cbranch_execz .LBB121_137
; %bb.125:                              ;   in Loop: Header=BB121_20 Depth=1
	v_dual_mov_b32 v3, v17 :: v_dual_mov_b32 v4, v0
                                        ; implicit-def: $sgpr24
	s_branch .LBB121_129
.LBB121_126:                            ;   in Loop: Header=BB121_129 Depth=2
	s_wait_alu 0xfffe
	s_or_b32 exec_lo, exec_lo, s25
	s_wait_loadcnt_dscnt 0x0
	s_barrier_signal -1
	s_barrier_wait -1
	global_inv scope:SCOPE_SE
	ds_load_b64 v[14:15], v7 offset:3072
	s_wait_loadcnt_dscnt 0x0
	s_barrier_signal -1
	s_barrier_wait -1
	global_inv scope:SCOPE_SE
	v_cmp_neq_f32_e32 vcc_lo, 0, v14
	s_cbranch_vccnz .LBB121_132
; %bb.127:                              ;   in Loop: Header=BB121_129 Depth=2
	v_add_nc_u32_e32 v4, s29, v4
	v_add_nc_u32_e32 v3, s35, v3
	s_mov_b32 s25, 0
	s_delay_alu instid0(VALU_DEP_2)
	v_cmp_le_u32_e32 vcc_lo, s23, v4
	s_or_not1_b32 s26, vcc_lo, exec_lo
.LBB121_128:                            ;   in Loop: Header=BB121_129 Depth=2
	s_wait_alu 0xfffe
	s_and_b32 s26, exec_lo, s26
	s_wait_alu 0xfffe
	s_or_b32 s19, s26, s19
	s_and_not1_b32 s24, s24, exec_lo
	s_and_b32 s25, s25, exec_lo
	s_wait_alu 0xfffe
	s_or_b32 s24, s24, s25
	s_and_not1_b32 exec_lo, exec_lo, s19
	s_cbranch_execz .LBB121_136
.LBB121_129:                            ;   Parent Loop BB121_20 Depth=1
                                        ; =>  This Inner Loop Header: Depth=2
	s_mov_b32 s25, exec_lo
	s_delay_alu instid0(VALU_DEP_1)
	v_cmpx_gt_u32_e64 s20, v4
	s_cbranch_execz .LBB121_126
; %bb.130:                              ;   in Loop: Header=BB121_129 Depth=2
	ds_load_b32 v14, v3
	s_wait_dscnt 0x0
	v_cmp_lt_i32_e32 vcc_lo, -1, v14
	s_wait_alu 0xfffd
	v_cndmask_b32_e64 v6, -1, 0x80000000, vcc_lo
	v_cmp_o_f32_e32 vcc_lo, v14, v14
	s_delay_alu instid0(VALU_DEP_2) | instskip(SKIP_1) | instid1(VALU_DEP_1)
	v_xor_b32_e32 v6, v6, v14
	s_wait_alu 0xfffd
	v_cndmask_b32_e32 v6, -1, v6, vcc_lo
	s_delay_alu instid0(VALU_DEP_1) | instskip(NEXT) | instid1(VALU_DEP_1)
	v_and_b32_e32 v6, v6, v30
	v_cmp_eq_u32_e32 vcc_lo, v6, v22
	s_and_b32 exec_lo, exec_lo, vcc_lo
	s_cbranch_execz .LBB121_126
; %bb.131:                              ;   in Loop: Header=BB121_129 Depth=2
	ds_store_b64 v7, v[13:14] offset:3072
	s_branch .LBB121_126
.LBB121_132:                            ;   in Loop: Header=BB121_129 Depth=2
	s_mov_b32 s26, -1
	s_mov_b32 s25, -1
                                        ; implicit-def: $vgpr4
                                        ; implicit-def: $vgpr3
	s_branch .LBB121_128
.LBB121_133:                            ;   in Loop: Header=BB121_20 Depth=1
	s_wait_alu 0xfffe
	s_or_b32 exec_lo, exec_lo, s10
	s_wait_loadcnt_dscnt 0x0
	s_barrier_signal -1
	s_barrier_wait -1
	global_inv scope:SCOPE_SE
	s_and_saveexec_b32 s7, s0
	s_cbranch_execz .LBB121_135
; %bb.134:                              ;   in Loop: Header=BB121_20 Depth=1
	ds_load_b32 v1, v7 offset:4112
	s_wait_dscnt 0x0
	ds_store_b32 v7, v1 offset:4104
.LBB121_135:                            ;   in Loop: Header=BB121_20 Depth=1
	s_wait_alu 0xfffe
	s_or_b32 exec_lo, exec_lo, s7
	s_wait_loadcnt_dscnt 0x0
	s_barrier_signal -1
	s_mov_b32 s7, -1
	s_barrier_wait -1
	s_and_b32 vcc_lo, exec_lo, s9
	s_wait_alu 0xfffe
	s_cbranch_vccnz .LBB121_36
	s_branch .LBB121_45
.LBB121_136:                            ;   in Loop: Header=BB121_20 Depth=1
	s_or_b32 exec_lo, exec_lo, s19
	s_wait_alu 0xfffe
	s_and_b32 s19, s24, exec_lo
.LBB121_137:                            ;   in Loop: Header=BB121_20 Depth=1
	s_or_b32 exec_lo, exec_lo, s22
.LBB121_138:                            ;   in Loop: Header=BB121_20 Depth=1
	s_wait_alu 0xfffe
	s_and_b32 vcc_lo, exec_lo, s21
	s_wait_alu 0xfffe
	s_cbranch_vccz .LBB121_150
; %bb.139:                              ;   in Loop: Header=BB121_20 Depth=1
                                        ; implicit-def: $vgpr15
	s_and_saveexec_b32 s12, s6
	s_cbranch_execz .LBB121_149
; %bb.140:                              ;   in Loop: Header=BB121_20 Depth=1
	v_dual_mov_b32 v6, v5 :: v_dual_mov_b32 v3, v0
	s_mov_b32 s13, 0
                                        ; implicit-def: $sgpr20
	s_branch .LBB121_144
.LBB121_141:                            ;   in Loop: Header=BB121_144 Depth=2
	s_wait_alu 0xfffe
	s_or_b32 exec_lo, exec_lo, s21
	s_wait_loadcnt_dscnt 0x0
	s_barrier_signal -1
	s_barrier_wait -1
	global_inv scope:SCOPE_SE
	ds_load_b64 v[14:15], v7 offset:3072
	s_wait_loadcnt_dscnt 0x0
	s_barrier_signal -1
	s_barrier_wait -1
	global_inv scope:SCOPE_SE
	v_cmp_eq_f32_e32 vcc_lo, 0, v14
	s_cbranch_vccz .LBB121_147
; %bb.142:                              ;   in Loop: Header=BB121_144 Depth=2
	v_add_nc_u32_e32 v3, s29, v3
	v_add_nc_u32_e32 v6, s57, v6
	s_mov_b32 s21, 0
	s_delay_alu instid0(VALU_DEP_2)
	v_cmp_le_u32_e32 vcc_lo, s65, v3
	s_or_not1_b32 s22, vcc_lo, exec_lo
.LBB121_143:                            ;   in Loop: Header=BB121_144 Depth=2
	s_wait_alu 0xfffe
	s_and_b32 s22, exec_lo, s22
	s_wait_alu 0xfffe
	s_or_b32 s13, s22, s13
	s_and_not1_b32 s20, s20, exec_lo
	s_and_b32 s21, s21, exec_lo
	s_wait_alu 0xfffe
	s_or_b32 s20, s20, s21
	s_and_not1_b32 exec_lo, exec_lo, s13
	s_cbranch_execz .LBB121_148
.LBB121_144:                            ;   Parent Loop BB121_20 Depth=1
                                        ; =>  This Inner Loop Header: Depth=2
	s_mov_b32 s21, exec_lo
	s_delay_alu instid0(VALU_DEP_1)
	v_cmpx_gt_u32_e64 s28, v3
	s_cbranch_execz .LBB121_141
; %bb.145:                              ;   in Loop: Header=BB121_144 Depth=2
	v_lshlrev_b64_e32 v[14:15], 2, v[6:7]
	s_delay_alu instid0(VALU_DEP_1) | instskip(SKIP_1) | instid1(VALU_DEP_2)
	v_add_co_u32 v14, vcc_lo, s38, v14
	s_wait_alu 0xfffd
	v_add_co_ci_u32_e64 v15, null, s39, v15, vcc_lo
	global_load_b32 v14, v[14:15], off
	s_wait_loadcnt 0x0
	v_cmp_lt_i32_e32 vcc_lo, -1, v14
	s_wait_alu 0xfffd
	v_cndmask_b32_e64 v4, -1, 0x80000000, vcc_lo
	v_cmp_o_f32_e32 vcc_lo, v14, v14
	s_delay_alu instid0(VALU_DEP_2) | instskip(SKIP_1) | instid1(VALU_DEP_1)
	v_xor_b32_e32 v4, v4, v14
	s_wait_alu 0xfffd
	v_cndmask_b32_e32 v4, -1, v4, vcc_lo
	s_delay_alu instid0(VALU_DEP_1) | instskip(NEXT) | instid1(VALU_DEP_1)
	v_and_b32_e32 v4, v4, v30
	v_cmp_eq_u32_e32 vcc_lo, v4, v22
	s_and_b32 exec_lo, exec_lo, vcc_lo
	s_cbranch_execz .LBB121_141
; %bb.146:                              ;   in Loop: Header=BB121_144 Depth=2
	ds_store_b64 v7, v[13:14] offset:3072
	s_branch .LBB121_141
.LBB121_147:                            ;   in Loop: Header=BB121_144 Depth=2
	s_mov_b32 s22, -1
	s_mov_b32 s21, -1
                                        ; implicit-def: $vgpr3
	s_branch .LBB121_143
.LBB121_148:                            ;   in Loop: Header=BB121_20 Depth=1
	s_or_b32 exec_lo, exec_lo, s13
	s_delay_alu instid0(SALU_CYCLE_1)
	s_and_not1_b32 s13, s19, exec_lo
	s_wait_alu 0xfffe
	s_and_b32 s19, s20, exec_lo
	s_wait_alu 0xfffe
	s_or_b32 s19, s13, s19
.LBB121_149:                            ;   in Loop: Header=BB121_20 Depth=1
	s_wait_alu 0xfffe
	s_or_b32 exec_lo, exec_lo, s12
	s_mov_b32 s12, 0
	s_mov_b32 s13, -1
.LBB121_150:                            ;   in Loop: Header=BB121_20 Depth=1
	s_or_not1_b32 s19, s19, exec_lo
.LBB121_151:                            ;   in Loop: Header=BB121_20 Depth=1
	s_wait_alu 0xfffe
	s_or_b32 exec_lo, exec_lo, s16
	s_mov_b32 s20, 0
	s_and_saveexec_b32 s16, s19
	s_cbranch_execz .LBB121_244
; %bb.152:                              ;   in Loop: Header=BB121_20 Depth=1
	v_mov_b32_e32 v3, 1
	v_mov_b32_e32 v1, 1
	s_xor_b32 s19, s18, -1
	s_mov_b32 s21, 0
	s_wait_alu 0xfffe
	s_and_saveexec_b32 s18, s19
	s_cbranch_execz .LBB121_161
; %bb.153:                              ;   in Loop: Header=BB121_20 Depth=1
	s_mov_b32 s19, exec_lo
	v_cmpx_ge_u32_e64 s17, v2
	s_wait_alu 0xfffe
	s_xor_b32 s19, exec_lo, s19
	s_cbranch_execz .LBB121_158
; %bb.154:                              ;   in Loop: Header=BB121_20 Depth=1
	ds_load_b32 v1, v7 offset:4104
	s_lshl_b32 s20, 1, s75
	v_or_b32_e32 v30, s8, v30
	s_wait_alu 0xfffe
	v_and_or_b32 v22, v22, s15, s20
	s_wait_dscnt 0x0
	v_cmp_ne_u32_e32 vcc_lo, 0, v1
	s_cbranch_vccnz .LBB121_158
; %bb.155:                              ;   in Loop: Header=BB121_20 Depth=1
	s_and_saveexec_b32 s20, s0
; %bb.156:                              ;   in Loop: Header=BB121_20 Depth=1
	v_mov_b32_e32 v1, s17
	ds_store_b32 v7, v1 offset:4108
; %bb.157:                              ;   in Loop: Header=BB121_20 Depth=1
	s_wait_alu 0xfffe
	s_or_b32 exec_lo, exec_lo, s20
	s_wait_loadcnt_dscnt 0x0
	s_barrier_signal -1
	s_barrier_wait -1
	global_inv scope:SCOPE_SE
.LBB121_158:                            ;   in Loop: Header=BB121_20 Depth=1
	s_wait_alu 0xfffe
	s_or_saveexec_b32 s19, s19
	v_mov_b32_e32 v1, 8
	s_mov_b32 s20, 0
	s_wait_alu 0xfffe
	s_xor_b32 exec_lo, exec_lo, s19
; %bb.159:                              ;   in Loop: Header=BB121_20 Depth=1
	v_subrev_nc_u32_e32 v2, s17, v2
	v_mov_b32_e32 v1, 0
	s_mov_b32 s20, exec_lo
; %bb.160:                              ;   in Loop: Header=BB121_20 Depth=1
	s_or_b32 exec_lo, exec_lo, s19
	s_delay_alu instid0(VALU_DEP_2)
	v_mov_b32_e32 v3, v2
	s_wait_alu 0xfffe
	s_and_b32 s21, s20, exec_lo
.LBB121_161:                            ;   in Loop: Header=BB121_20 Depth=1
	s_wait_alu 0xfffe
	s_or_b32 exec_lo, exec_lo, s18
	s_mov_b32 s20, -1
                                        ; implicit-def: $sgpr18
                                        ; implicit-def: $sgpr19
	s_and_saveexec_b32 s17, s21
	s_cbranch_execz .LBB121_243
; %bb.162:                              ;   in Loop: Header=BB121_20 Depth=1
	v_cmp_eq_u32_e32 vcc_lo, 1, v3
	s_cmp_eq_u32 s14, 1
	s_mov_b32 s22, -1
	s_cselect_b32 s18, -1, 0
                                        ; implicit-def: $sgpr19
	s_wait_alu 0xfffe
	s_and_b32 s21, s18, vcc_lo
                                        ; implicit-def: $sgpr18
	s_wait_alu 0xfffe
	s_and_saveexec_b32 s20, s21
	s_cbranch_execz .LBB121_190
; %bb.163:                              ;   in Loop: Header=BB121_20 Depth=1
	ds_load_b32 v2, v7 offset:4104
	s_wait_loadcnt_dscnt 0x0
	s_barrier_signal -1
	s_barrier_wait -1
	global_inv scope:SCOPE_SE
	v_readfirstlane_b32 s23, v2
	s_and_saveexec_b32 s18, s1
; %bb.164:                              ;   in Loop: Header=BB121_20 Depth=1
	ds_store_b32 v18, v7
; %bb.165:                              ;   in Loop: Header=BB121_20 Depth=1
	s_wait_alu 0xfffe
	s_or_b32 exec_lo, exec_lo, s18
	s_lshl_b32 s18, 2, s75
	v_or_b32_e32 v30, s8, v30
	s_wait_alu 0xfffe
	v_and_or_b32 v22, v22, s15, s18
	s_mov_b32 s18, -1
	s_mov_b32 s19, 0
	s_cmp_eq_u32 s23, 0
	s_mov_b32 s22, 0
	s_mov_b32 s24, -1
	s_wait_loadcnt_dscnt 0x0
	s_barrier_signal -1
	s_barrier_wait -1
	global_inv scope:SCOPE_SE
                                        ; implicit-def: $vgpr15
	s_cbranch_scc1 .LBB121_177
; %bb.166:                              ;   in Loop: Header=BB121_20 Depth=1
	s_add_co_i32 s48, s23, s46
                                        ; implicit-def: $vgpr15
	s_wait_alu 0xfffe
	s_mul_u64 s[24:25], s[48:49], s[52:53]
	s_wait_alu 0xfffe
	s_mul_i32 s22, s25, s29
	s_mov_b32 s25, exec_lo
	s_wait_alu 0xfffe
	s_sub_co_i32 s22, s48, s22
	s_wait_alu 0xfffe
	s_sub_co_i32 s24, s22, s29
	s_cmp_ge_u32 s22, s29
	s_wait_alu 0xfffe
	s_cselect_b32 s22, s24, s22
	s_wait_alu 0xfffe
	s_sub_co_i32 s24, s22, s29
	s_cmp_ge_u32 s22, s29
	s_wait_alu 0xfffe
	s_cselect_b32 s22, s24, s22
	s_mov_b32 s24, 0
	s_wait_alu 0xfffe
	s_sub_co_i32 s26, s48, s22
	s_mov_b32 s22, 0
	s_wait_alu 0xfffe
	v_cmpx_gt_u32_e64 s26, v0
	s_cbranch_execz .LBB121_176
; %bb.167:                              ;   in Loop: Header=BB121_20 Depth=1
	v_mov_b32_e32 v2, v17
	v_mov_b32_e32 v4, v0
                                        ; implicit-def: $sgpr48
	s_branch .LBB121_171
.LBB121_168:                            ;   in Loop: Header=BB121_171 Depth=2
	s_wait_alu 0xfffe
	s_or_b32 exec_lo, exec_lo, s76
	s_wait_loadcnt_dscnt 0x0
	s_barrier_signal -1
	s_barrier_wait -1
	global_inv scope:SCOPE_SE
	ds_load_b64 v[14:15], v7 offset:3072
	s_wait_loadcnt_dscnt 0x0
	s_barrier_signal -1
	s_barrier_wait -1
	global_inv scope:SCOPE_SE
	v_cmp_neq_f32_e32 vcc_lo, 0, v14
	s_cbranch_vccnz .LBB121_174
; %bb.169:                              ;   in Loop: Header=BB121_171 Depth=2
	v_add_nc_u32_e32 v4, s29, v4
	v_add_nc_u32_e32 v2, s35, v2
	s_mov_b32 s76, 0
	s_delay_alu instid0(VALU_DEP_2)
	v_cmp_le_u32_e32 vcc_lo, s26, v4
	s_or_not1_b32 s77, vcc_lo, exec_lo
.LBB121_170:                            ;   in Loop: Header=BB121_171 Depth=2
	s_wait_alu 0xfffe
	s_and_b32 s77, exec_lo, s77
	s_wait_alu 0xfffe
	s_or_b32 s22, s77, s22
	s_and_not1_b32 s48, s48, exec_lo
	s_and_b32 s76, s76, exec_lo
	s_wait_alu 0xfffe
	s_or_b32 s48, s48, s76
	s_and_not1_b32 exec_lo, exec_lo, s22
	s_cbranch_execz .LBB121_175
.LBB121_171:                            ;   Parent Loop BB121_20 Depth=1
                                        ; =>  This Inner Loop Header: Depth=2
	s_mov_b32 s76, exec_lo
	s_delay_alu instid0(VALU_DEP_1)
	v_cmpx_gt_u32_e64 s23, v4
	s_cbranch_execz .LBB121_168
; %bb.172:                              ;   in Loop: Header=BB121_171 Depth=2
	ds_load_b32 v14, v2
	s_wait_dscnt 0x0
	v_cmp_lt_i32_e32 vcc_lo, -1, v14
	s_wait_alu 0xfffd
	v_cndmask_b32_e64 v6, -1, 0x80000000, vcc_lo
	v_cmp_o_f32_e32 vcc_lo, v14, v14
	s_delay_alu instid0(VALU_DEP_2) | instskip(SKIP_1) | instid1(VALU_DEP_1)
	v_xor_b32_e32 v6, v6, v14
	s_wait_alu 0xfffd
	v_cndmask_b32_e32 v6, -1, v6, vcc_lo
	s_delay_alu instid0(VALU_DEP_1) | instskip(NEXT) | instid1(VALU_DEP_1)
	v_and_b32_e32 v6, v6, v30
	v_cmp_eq_u32_e32 vcc_lo, v6, v22
	s_and_b32 exec_lo, exec_lo, vcc_lo
	s_cbranch_execz .LBB121_168
; %bb.173:                              ;   in Loop: Header=BB121_171 Depth=2
	ds_store_b64 v7, v[13:14] offset:3072
	s_branch .LBB121_168
.LBB121_174:                            ;   in Loop: Header=BB121_171 Depth=2
	s_mov_b32 s77, -1
	s_mov_b32 s76, -1
                                        ; implicit-def: $vgpr4
                                        ; implicit-def: $vgpr2
	s_branch .LBB121_170
.LBB121_175:                            ;   in Loop: Header=BB121_20 Depth=1
	s_or_b32 exec_lo, exec_lo, s22
	s_wait_alu 0xfffe
	s_and_b32 s22, s48, exec_lo
.LBB121_176:                            ;   in Loop: Header=BB121_20 Depth=1
	s_or_b32 exec_lo, exec_lo, s25
.LBB121_177:                            ;   in Loop: Header=BB121_20 Depth=1
	s_wait_alu 0xfffe
	s_and_b32 vcc_lo, exec_lo, s24
	s_wait_alu 0xfffe
	s_cbranch_vccz .LBB121_189
; %bb.178:                              ;   in Loop: Header=BB121_20 Depth=1
                                        ; implicit-def: $vgpr15
	s_and_saveexec_b32 s18, s6
	s_cbranch_execz .LBB121_188
; %bb.179:                              ;   in Loop: Header=BB121_20 Depth=1
	v_mov_b32_e32 v6, v5
	v_mov_b32_e32 v2, v0
	s_mov_b32 s19, 0
                                        ; implicit-def: $sgpr23
	s_branch .LBB121_183
.LBB121_180:                            ;   in Loop: Header=BB121_183 Depth=2
	s_wait_alu 0xfffe
	s_or_b32 exec_lo, exec_lo, s24
	s_wait_loadcnt_dscnt 0x0
	s_barrier_signal -1
	s_barrier_wait -1
	global_inv scope:SCOPE_SE
	ds_load_b64 v[14:15], v7 offset:3072
	s_wait_loadcnt_dscnt 0x0
	s_barrier_signal -1
	s_barrier_wait -1
	global_inv scope:SCOPE_SE
	v_cmp_eq_f32_e32 vcc_lo, 0, v14
	s_cbranch_vccz .LBB121_186
; %bb.181:                              ;   in Loop: Header=BB121_183 Depth=2
	v_add_nc_u32_e32 v2, s29, v2
	v_add_nc_u32_e32 v6, s57, v6
	s_mov_b32 s24, 0
	s_delay_alu instid0(VALU_DEP_2)
	v_cmp_le_u32_e32 vcc_lo, s65, v2
	s_or_not1_b32 s25, vcc_lo, exec_lo
.LBB121_182:                            ;   in Loop: Header=BB121_183 Depth=2
	s_wait_alu 0xfffe
	s_and_b32 s25, exec_lo, s25
	s_wait_alu 0xfffe
	s_or_b32 s19, s25, s19
	s_and_not1_b32 s23, s23, exec_lo
	s_and_b32 s24, s24, exec_lo
	s_wait_alu 0xfffe
	s_or_b32 s23, s23, s24
	s_and_not1_b32 exec_lo, exec_lo, s19
	s_cbranch_execz .LBB121_187
.LBB121_183:                            ;   Parent Loop BB121_20 Depth=1
                                        ; =>  This Inner Loop Header: Depth=2
	s_mov_b32 s24, exec_lo
	s_delay_alu instid0(VALU_DEP_1)
	v_cmpx_gt_u32_e64 s28, v2
	s_cbranch_execz .LBB121_180
; %bb.184:                              ;   in Loop: Header=BB121_183 Depth=2
	v_lshlrev_b64_e32 v[14:15], 2, v[6:7]
	s_delay_alu instid0(VALU_DEP_1) | instskip(SKIP_1) | instid1(VALU_DEP_2)
	v_add_co_u32 v14, vcc_lo, s38, v14
	s_wait_alu 0xfffd
	v_add_co_ci_u32_e64 v15, null, s39, v15, vcc_lo
	global_load_b32 v14, v[14:15], off
	s_wait_loadcnt 0x0
	v_cmp_lt_i32_e32 vcc_lo, -1, v14
	s_wait_alu 0xfffd
	v_cndmask_b32_e64 v4, -1, 0x80000000, vcc_lo
	v_cmp_o_f32_e32 vcc_lo, v14, v14
	s_delay_alu instid0(VALU_DEP_2) | instskip(SKIP_1) | instid1(VALU_DEP_1)
	v_xor_b32_e32 v4, v4, v14
	s_wait_alu 0xfffd
	v_cndmask_b32_e32 v4, -1, v4, vcc_lo
	s_delay_alu instid0(VALU_DEP_1) | instskip(NEXT) | instid1(VALU_DEP_1)
	v_and_b32_e32 v4, v4, v30
	v_cmp_eq_u32_e32 vcc_lo, v4, v22
	s_and_b32 exec_lo, exec_lo, vcc_lo
	s_cbranch_execz .LBB121_180
; %bb.185:                              ;   in Loop: Header=BB121_183 Depth=2
	ds_store_b64 v7, v[13:14] offset:3072
	s_branch .LBB121_180
.LBB121_186:                            ;   in Loop: Header=BB121_183 Depth=2
	s_mov_b32 s25, -1
	s_mov_b32 s24, -1
                                        ; implicit-def: $vgpr2
	s_branch .LBB121_182
.LBB121_187:                            ;   in Loop: Header=BB121_20 Depth=1
	s_or_b32 exec_lo, exec_lo, s19
	s_delay_alu instid0(SALU_CYCLE_1)
	s_and_not1_b32 s19, s22, exec_lo
	s_wait_alu 0xfffe
	s_and_b32 s22, s23, exec_lo
	s_wait_alu 0xfffe
	s_or_b32 s22, s19, s22
.LBB121_188:                            ;   in Loop: Header=BB121_20 Depth=1
	s_wait_alu 0xfffe
	s_or_b32 exec_lo, exec_lo, s18
	s_mov_b32 s18, 0
	s_mov_b32 s19, -1
.LBB121_189:                            ;   in Loop: Header=BB121_20 Depth=1
	s_or_not1_b32 s22, s22, exec_lo
.LBB121_190:                            ;   in Loop: Header=BB121_20 Depth=1
	s_wait_alu 0xfffe
	s_or_b32 exec_lo, exec_lo, s20
	s_mov_b32 s23, 0
	s_and_saveexec_b32 s20, s22
	s_cbranch_execz .LBB121_242
; %bb.191:                              ;   in Loop: Header=BB121_20 Depth=1
	v_dual_mov_b32 v2, 1 :: v_dual_mov_b32 v1, 1
	s_xor_b32 s22, s21, -1
	s_wait_alu 0xfffe
	s_and_saveexec_b32 s21, s22
	s_cbranch_execz .LBB121_200
; %bb.192:                              ;   in Loop: Header=BB121_20 Depth=1
	s_mov_b32 s22, exec_lo
	v_cmpx_ge_u32_e64 s14, v3
	s_wait_alu 0xfffe
	s_xor_b32 s22, exec_lo, s22
	s_cbranch_execz .LBB121_197
; %bb.193:                              ;   in Loop: Header=BB121_20 Depth=1
	ds_load_b32 v1, v7 offset:4104
	s_lshl_b32 s23, 2, s75
	v_or_b32_e32 v30, s8, v30
	s_wait_alu 0xfffe
	v_and_or_b32 v22, v22, s15, s23
	s_wait_dscnt 0x0
	v_cmp_ne_u32_e32 vcc_lo, 0, v1
	s_cbranch_vccnz .LBB121_197
; %bb.194:                              ;   in Loop: Header=BB121_20 Depth=1
	s_and_saveexec_b32 s15, s0
; %bb.195:                              ;   in Loop: Header=BB121_20 Depth=1
	v_mov_b32_e32 v1, s14
	ds_store_b32 v7, v1 offset:4108
; %bb.196:                              ;   in Loop: Header=BB121_20 Depth=1
	s_wait_alu 0xfffe
	s_or_b32 exec_lo, exec_lo, s15
	s_wait_loadcnt_dscnt 0x0
	s_barrier_signal -1
	s_barrier_wait -1
	global_inv scope:SCOPE_SE
.LBB121_197:                            ;   in Loop: Header=BB121_20 Depth=1
	s_wait_alu 0xfffe
	s_or_saveexec_b32 s15, s22
	v_mov_b32_e32 v1, 8
	s_mov_b32 s22, 0
	s_wait_alu 0xfffe
	s_xor_b32 exec_lo, exec_lo, s15
; %bb.198:                              ;   in Loop: Header=BB121_20 Depth=1
	v_subrev_nc_u32_e32 v3, s14, v3
	v_mov_b32_e32 v1, 0
	s_mov_b32 s22, exec_lo
; %bb.199:                              ;   in Loop: Header=BB121_20 Depth=1
	s_or_b32 exec_lo, exec_lo, s15
	s_delay_alu instid0(VALU_DEP_2)
	v_mov_b32_e32 v2, v3
	s_wait_alu 0xfffe
	s_and_b32 s23, s22, exec_lo
.LBB121_200:                            ;   in Loop: Header=BB121_20 Depth=1
	s_wait_alu 0xfffe
	s_or_b32 exec_lo, exec_lo, s21
	s_mov_b32 s15, -1
                                        ; implicit-def: $sgpr22
                                        ; implicit-def: $sgpr21
	s_and_saveexec_b32 s14, s23
	s_cbranch_execz .LBB121_241
; %bb.201:                              ;   in Loop: Header=BB121_20 Depth=1
	v_cmp_eq_u32_e32 vcc_lo, 1, v2
	s_cmp_eq_u32 s7, 1
	s_mov_b32 s24, -1
	s_cselect_b32 s15, -1, 0
                                        ; implicit-def: $sgpr22
                                        ; implicit-def: $sgpr21
	s_wait_alu 0xfffe
	s_and_b32 s15, s15, vcc_lo
	s_wait_alu 0xfffe
	s_and_saveexec_b32 s23, s15
	s_cbranch_execz .LBB121_229
; %bb.202:                              ;   in Loop: Header=BB121_20 Depth=1
	ds_load_b32 v3, v7 offset:4104
	s_wait_loadcnt_dscnt 0x0
	s_barrier_signal -1
	s_barrier_wait -1
	global_inv scope:SCOPE_SE
	v_readfirstlane_b32 s25, v3
	s_and_saveexec_b32 s21, s1
; %bb.203:                              ;   in Loop: Header=BB121_20 Depth=1
	ds_store_b32 v18, v7
; %bb.204:                              ;   in Loop: Header=BB121_20 Depth=1
	s_wait_alu 0xfffe
	s_or_b32 exec_lo, exec_lo, s21
	v_or_b32_e32 v22, s8, v22
	v_or_b32_e32 v30, s8, v30
	s_mov_b32 s21, -1
	s_mov_b32 s22, 0
	s_cmp_eq_u32 s25, 0
	s_mov_b32 s24, 0
	s_mov_b32 s26, -1
	s_wait_loadcnt_dscnt 0x0
	s_barrier_signal -1
	s_barrier_wait -1
	global_inv scope:SCOPE_SE
                                        ; implicit-def: $vgpr15
	s_cbranch_scc1 .LBB121_216
; %bb.205:                              ;   in Loop: Header=BB121_20 Depth=1
	s_add_co_i32 s48, s25, s46
                                        ; implicit-def: $vgpr15
	s_wait_alu 0xfffe
	s_mul_u64 s[76:77], s[48:49], s[52:53]
	s_wait_alu 0xfffe
	s_mul_i32 s24, s77, s29
	s_wait_alu 0xfffe
	s_sub_co_i32 s24, s48, s24
	s_wait_alu 0xfffe
	s_sub_co_i32 s26, s24, s29
	s_cmp_ge_u32 s24, s29
	s_wait_alu 0xfffe
	s_cselect_b32 s24, s26, s24
	s_wait_alu 0xfffe
	s_sub_co_i32 s26, s24, s29
	s_cmp_ge_u32 s24, s29
	s_wait_alu 0xfffe
	s_cselect_b32 s24, s26, s24
	s_mov_b32 s26, 0
	s_wait_alu 0xfffe
	s_sub_co_i32 s76, s48, s24
	s_mov_b32 s24, 0
	s_mov_b32 s48, exec_lo
	s_wait_alu 0xfffe
	v_cmpx_gt_u32_e64 s76, v0
	s_cbranch_execz .LBB121_215
; %bb.206:                              ;   in Loop: Header=BB121_20 Depth=1
	v_dual_mov_b32 v3, v17 :: v_dual_mov_b32 v4, v0
                                        ; implicit-def: $sgpr77
	s_branch .LBB121_210
.LBB121_207:                            ;   in Loop: Header=BB121_210 Depth=2
	s_wait_alu 0xfffe
	s_or_b32 exec_lo, exec_lo, s78
	s_wait_loadcnt_dscnt 0x0
	s_barrier_signal -1
	s_barrier_wait -1
	global_inv scope:SCOPE_SE
	ds_load_b64 v[14:15], v7 offset:3072
	s_wait_loadcnt_dscnt 0x0
	s_barrier_signal -1
	s_barrier_wait -1
	global_inv scope:SCOPE_SE
	v_cmp_neq_f32_e32 vcc_lo, 0, v14
	s_cbranch_vccnz .LBB121_213
; %bb.208:                              ;   in Loop: Header=BB121_210 Depth=2
	v_add_nc_u32_e32 v4, s29, v4
	v_add_nc_u32_e32 v3, s35, v3
	s_mov_b32 s78, 0
	s_delay_alu instid0(VALU_DEP_2)
	v_cmp_le_u32_e32 vcc_lo, s76, v4
	s_or_not1_b32 s79, vcc_lo, exec_lo
.LBB121_209:                            ;   in Loop: Header=BB121_210 Depth=2
	s_wait_alu 0xfffe
	s_and_b32 s79, exec_lo, s79
	s_wait_alu 0xfffe
	s_or_b32 s24, s79, s24
	s_and_not1_b32 s77, s77, exec_lo
	s_and_b32 s78, s78, exec_lo
	s_wait_alu 0xfffe
	s_or_b32 s77, s77, s78
	s_and_not1_b32 exec_lo, exec_lo, s24
	s_cbranch_execz .LBB121_214
.LBB121_210:                            ;   Parent Loop BB121_20 Depth=1
                                        ; =>  This Inner Loop Header: Depth=2
	s_mov_b32 s78, exec_lo
	s_delay_alu instid0(VALU_DEP_1)
	v_cmpx_gt_u32_e64 s25, v4
	s_cbranch_execz .LBB121_207
; %bb.211:                              ;   in Loop: Header=BB121_210 Depth=2
	ds_load_b32 v14, v3
	s_wait_dscnt 0x0
	v_cmp_lt_i32_e32 vcc_lo, -1, v14
	s_wait_alu 0xfffd
	v_cndmask_b32_e64 v6, -1, 0x80000000, vcc_lo
	v_cmp_o_f32_e32 vcc_lo, v14, v14
	s_delay_alu instid0(VALU_DEP_2) | instskip(SKIP_1) | instid1(VALU_DEP_1)
	v_xor_b32_e32 v6, v6, v14
	s_wait_alu 0xfffd
	v_cndmask_b32_e32 v6, -1, v6, vcc_lo
	s_delay_alu instid0(VALU_DEP_1) | instskip(NEXT) | instid1(VALU_DEP_1)
	v_and_b32_e32 v6, v6, v30
	v_cmp_eq_u32_e32 vcc_lo, v6, v22
	s_and_b32 exec_lo, exec_lo, vcc_lo
	s_cbranch_execz .LBB121_207
; %bb.212:                              ;   in Loop: Header=BB121_210 Depth=2
	ds_store_b64 v7, v[13:14] offset:3072
	s_branch .LBB121_207
.LBB121_213:                            ;   in Loop: Header=BB121_210 Depth=2
	s_mov_b32 s79, -1
	s_mov_b32 s78, -1
                                        ; implicit-def: $vgpr4
                                        ; implicit-def: $vgpr3
	s_branch .LBB121_209
.LBB121_214:                            ;   in Loop: Header=BB121_20 Depth=1
	s_or_b32 exec_lo, exec_lo, s24
	s_wait_alu 0xfffe
	s_and_b32 s24, s77, exec_lo
.LBB121_215:                            ;   in Loop: Header=BB121_20 Depth=1
	s_or_b32 exec_lo, exec_lo, s48
.LBB121_216:                            ;   in Loop: Header=BB121_20 Depth=1
	s_wait_alu 0xfffe
	s_and_b32 vcc_lo, exec_lo, s26
	s_wait_alu 0xfffe
	s_cbranch_vccz .LBB121_228
; %bb.217:                              ;   in Loop: Header=BB121_20 Depth=1
                                        ; implicit-def: $vgpr15
	s_and_saveexec_b32 s21, s6
	s_cbranch_execz .LBB121_227
; %bb.218:                              ;   in Loop: Header=BB121_20 Depth=1
	v_dual_mov_b32 v6, v5 :: v_dual_mov_b32 v3, v0
	s_mov_b32 s22, 0
                                        ; implicit-def: $sgpr25
	s_branch .LBB121_222
.LBB121_219:                            ;   in Loop: Header=BB121_222 Depth=2
	s_wait_alu 0xfffe
	s_or_b32 exec_lo, exec_lo, s26
	s_wait_loadcnt_dscnt 0x0
	s_barrier_signal -1
	s_barrier_wait -1
	global_inv scope:SCOPE_SE
	ds_load_b64 v[14:15], v7 offset:3072
	s_wait_loadcnt_dscnt 0x0
	s_barrier_signal -1
	s_barrier_wait -1
	global_inv scope:SCOPE_SE
	v_cmp_eq_f32_e32 vcc_lo, 0, v14
	s_cbranch_vccz .LBB121_225
; %bb.220:                              ;   in Loop: Header=BB121_222 Depth=2
	v_add_nc_u32_e32 v3, s29, v3
	v_add_nc_u32_e32 v6, s57, v6
	s_mov_b32 s26, 0
	s_delay_alu instid0(VALU_DEP_2)
	v_cmp_le_u32_e32 vcc_lo, s65, v3
	s_or_not1_b32 s48, vcc_lo, exec_lo
.LBB121_221:                            ;   in Loop: Header=BB121_222 Depth=2
	s_wait_alu 0xfffe
	s_and_b32 s48, exec_lo, s48
	s_wait_alu 0xfffe
	s_or_b32 s22, s48, s22
	s_and_not1_b32 s25, s25, exec_lo
	s_and_b32 s26, s26, exec_lo
	s_wait_alu 0xfffe
	s_or_b32 s25, s25, s26
	s_and_not1_b32 exec_lo, exec_lo, s22
	s_cbranch_execz .LBB121_226
.LBB121_222:                            ;   Parent Loop BB121_20 Depth=1
                                        ; =>  This Inner Loop Header: Depth=2
	s_mov_b32 s26, exec_lo
	s_delay_alu instid0(VALU_DEP_1)
	v_cmpx_gt_u32_e64 s28, v3
	s_cbranch_execz .LBB121_219
; %bb.223:                              ;   in Loop: Header=BB121_222 Depth=2
	v_lshlrev_b64_e32 v[14:15], 2, v[6:7]
	s_delay_alu instid0(VALU_DEP_1) | instskip(SKIP_1) | instid1(VALU_DEP_2)
	v_add_co_u32 v14, vcc_lo, s38, v14
	s_wait_alu 0xfffd
	v_add_co_ci_u32_e64 v15, null, s39, v15, vcc_lo
	global_load_b32 v14, v[14:15], off
	s_wait_loadcnt 0x0
	v_cmp_lt_i32_e32 vcc_lo, -1, v14
	s_wait_alu 0xfffd
	v_cndmask_b32_e64 v4, -1, 0x80000000, vcc_lo
	v_cmp_o_f32_e32 vcc_lo, v14, v14
	s_delay_alu instid0(VALU_DEP_2) | instskip(SKIP_1) | instid1(VALU_DEP_1)
	v_xor_b32_e32 v4, v4, v14
	s_wait_alu 0xfffd
	v_cndmask_b32_e32 v4, -1, v4, vcc_lo
	s_delay_alu instid0(VALU_DEP_1) | instskip(NEXT) | instid1(VALU_DEP_1)
	v_and_b32_e32 v4, v4, v30
	v_cmp_eq_u32_e32 vcc_lo, v4, v22
	s_and_b32 exec_lo, exec_lo, vcc_lo
	s_cbranch_execz .LBB121_219
; %bb.224:                              ;   in Loop: Header=BB121_222 Depth=2
	ds_store_b64 v7, v[13:14] offset:3072
	s_branch .LBB121_219
.LBB121_225:                            ;   in Loop: Header=BB121_222 Depth=2
	s_mov_b32 s48, -1
	s_mov_b32 s26, -1
                                        ; implicit-def: $vgpr3
	s_branch .LBB121_221
.LBB121_226:                            ;   in Loop: Header=BB121_20 Depth=1
	s_or_b32 exec_lo, exec_lo, s22
	s_delay_alu instid0(SALU_CYCLE_1)
	s_and_not1_b32 s22, s24, exec_lo
	s_wait_alu 0xfffe
	s_and_b32 s24, s25, exec_lo
	s_wait_alu 0xfffe
	s_or_b32 s24, s22, s24
.LBB121_227:                            ;   in Loop: Header=BB121_20 Depth=1
	s_wait_alu 0xfffe
	s_or_b32 exec_lo, exec_lo, s21
	s_mov_b32 s21, 0
	s_mov_b32 s22, -1
.LBB121_228:                            ;   in Loop: Header=BB121_20 Depth=1
	s_or_not1_b32 s24, s24, exec_lo
.LBB121_229:                            ;   in Loop: Header=BB121_20 Depth=1
	s_wait_alu 0xfffe
	s_or_b32 exec_lo, exec_lo, s23
	s_mov_b32 s25, 0
	s_and_saveexec_b32 s23, s24
	s_cbranch_execz .LBB121_240
; %bb.230:                              ;   in Loop: Header=BB121_20 Depth=1
	v_mov_b32_e32 v1, 1
	v_mov_b32_e32 v3, 1
	s_xor_b32 s24, s15, -1
	s_wait_alu 0xfffe
	s_and_saveexec_b32 s15, s24
	s_cbranch_execz .LBB121_239
; %bb.231:                              ;   in Loop: Header=BB121_20 Depth=1
	s_mov_b32 s24, exec_lo
	v_cmpx_ge_u32_e64 s7, v2
	s_wait_alu 0xfffe
	s_xor_b32 s24, exec_lo, s24
	s_cbranch_execz .LBB121_236
; %bb.232:                              ;   in Loop: Header=BB121_20 Depth=1
	ds_load_b32 v1, v7 offset:4104
	v_or_b32_e32 v22, s8, v22
	v_or_b32_e32 v30, s8, v30
	s_wait_dscnt 0x0
	v_cmp_ne_u32_e32 vcc_lo, 0, v1
	s_cbranch_vccnz .LBB121_236
; %bb.233:                              ;   in Loop: Header=BB121_20 Depth=1
	s_and_saveexec_b32 s8, s0
; %bb.234:                              ;   in Loop: Header=BB121_20 Depth=1
	v_mov_b32_e32 v1, s7
	ds_store_b32 v7, v1 offset:4108
; %bb.235:                              ;   in Loop: Header=BB121_20 Depth=1
	s_wait_alu 0xfffe
	s_or_b32 exec_lo, exec_lo, s8
	s_wait_loadcnt_dscnt 0x0
	s_barrier_signal -1
	s_barrier_wait -1
	global_inv scope:SCOPE_SE
.LBB121_236:                            ;   in Loop: Header=BB121_20 Depth=1
	s_wait_alu 0xfffe
	s_and_not1_saveexec_b32 s8, s24
; %bb.237:                              ;   in Loop: Header=BB121_20 Depth=1
	v_subrev_nc_u32_e32 v2, s7, v2
; %bb.238:                              ;   in Loop: Header=BB121_20 Depth=1
	s_wait_alu 0xfffe
	s_or_b32 exec_lo, exec_lo, s8
	v_mov_b32_e32 v1, 8
	s_delay_alu instid0(VALU_DEP_2)
	v_mov_b32_e32 v3, v2
.LBB121_239:                            ;   in Loop: Header=BB121_20 Depth=1
	s_wait_alu 0xfffe
	s_or_b32 exec_lo, exec_lo, s15
	s_delay_alu instid0(VALU_DEP_1)
	v_mov_b32_e32 v2, v3
	s_mov_b32 s25, exec_lo
.LBB121_240:                            ;   in Loop: Header=BB121_20 Depth=1
	s_wait_alu 0xfffe
	s_or_b32 exec_lo, exec_lo, s23
	s_delay_alu instid0(SALU_CYCLE_1)
	s_or_not1_b32 s15, s25, exec_lo
.LBB121_241:                            ;   in Loop: Header=BB121_20 Depth=1
	s_wait_alu 0xfffe
	s_or_b32 exec_lo, exec_lo, s14
	v_mov_b32_e32 v3, v2
	s_and_not1_b32 s7, s19, exec_lo
	s_and_b32 s8, s22, exec_lo
	s_and_not1_b32 s14, s18, exec_lo
	s_and_b32 s18, s21, exec_lo
	s_wait_alu 0xfffe
	s_or_b32 s19, s7, s8
	s_or_b32 s18, s14, s18
	s_and_b32 s23, s15, exec_lo
.LBB121_242:                            ;   in Loop: Header=BB121_20 Depth=1
	s_wait_alu 0xfffe
	s_or_b32 exec_lo, exec_lo, s20
	s_delay_alu instid0(SALU_CYCLE_1)
	s_or_not1_b32 s20, s23, exec_lo
.LBB121_243:                            ;   in Loop: Header=BB121_20 Depth=1
	s_wait_alu 0xfffe
	s_or_b32 exec_lo, exec_lo, s17
	v_mov_b32_e32 v2, v3
	s_and_not1_b32 s7, s13, exec_lo
	s_and_b32 s8, s19, exec_lo
	s_and_not1_b32 s12, s12, exec_lo
	s_and_b32 s14, s18, exec_lo
	s_wait_alu 0xfffe
	s_or_b32 s13, s7, s8
	s_or_b32 s12, s12, s14
	s_and_b32 s20, s20, exec_lo
.LBB121_244:                            ;   in Loop: Header=BB121_20 Depth=1
	s_wait_alu 0xfffe
	s_or_b32 exec_lo, exec_lo, s16
	s_delay_alu instid0(SALU_CYCLE_1)
	s_or_not1_b32 s16, s20, exec_lo
.LBB121_245:                            ;   in Loop: Header=BB121_20 Depth=1
	s_wait_alu 0xfffe
	s_or_b32 exec_lo, exec_lo, s11
	s_mov_b32 s8, 0
                                        ; implicit-def: $sgpr18
	s_and_saveexec_b32 s7, s16
	s_wait_alu 0xfffe
	s_xor_b32 s7, exec_lo, s7
	s_cbranch_execz .LBB121_18
; %bb.246:                              ;   in Loop: Header=BB121_20 Depth=1
	v_and_b32_e32 v1, 7, v1
	s_mov_b32 s10, -1
	s_mov_b32 s8, -1
	s_mov_b32 s11, exec_lo
                                        ; implicit-def: $sgpr18
	s_delay_alu instid0(VALU_DEP_1)
	v_cmpx_eq_u32_e32 0, v1
	s_cbranch_execz .LBB121_17
; %bb.247:                              ;   in Loop: Header=BB121_20 Depth=1
	s_add_co_i32 s18, s75, -2
	s_cmp_eq_u32 s75, 0
	v_xor_b32_e32 v29, 1, v29
	s_cselect_b32 s10, -1, 0
	s_xor_b32 s8, exec_lo, -1
	s_wait_alu 0xfffe
	s_or_not1_b32 s10, s10, exec_lo
	s_branch .LBB121_17
.LBB121_248:
	s_or_b32 exec_lo, exec_lo, s68
	s_wait_alu 0xfffe
	s_xor_b32 s4, s74, -1
	s_xor_b32 s3, s72, -1
	;; [unrolled: 1-line block ×3, first 2 shown]
	s_mov_b32 s0, 0
	s_wait_alu 0xfffe
	s_and_saveexec_b32 s5, s3
	s_wait_alu 0xfffe
	s_xor_b32 s3, exec_lo, s5
	s_cbranch_execnz .LBB121_253
; %bb.249:
	s_wait_alu 0xfffe
	s_and_not1_saveexec_b32 s1, s3
	s_cbranch_execnz .LBB121_266
.LBB121_250:
	s_or_b32 exec_lo, exec_lo, s1
	s_and_saveexec_b32 s1, s0
.LBB121_251:
	; divergent unreachable
.LBB121_252:
	s_endpgm
.LBB121_253:
	s_and_saveexec_b32 s0, s4
	s_delay_alu instid0(SALU_CYCLE_1)
	s_xor_b32 s4, exec_lo, s0
	s_cbranch_execz .LBB121_264
; %bb.254:
	s_and_saveexec_b32 s0, s1
	s_delay_alu instid0(SALU_CYCLE_1)
	s_xor_b32 s0, exec_lo, s0
; %bb.255:
	v_cmp_lt_i32_e32 vcc_lo, -1, v22
	s_wait_alu 0xfffd
	v_cndmask_b32_e64 v1, 0x80000000, -1, vcc_lo
	s_delay_alu instid0(VALU_DEP_1)
	v_xor_b32_e32 v15, v1, v22
; %bb.256:
	s_or_b32 exec_lo, exec_lo, s0
	s_mul_i32 s0, s47, s56
	s_add_co_i32 s1, s47, 1
	s_sub_co_i32 s0, s34, s0
	v_mov_b32_e32 v6, 0
	s_sub_co_i32 s5, s0, s56
	s_cmp_ge_u32 s0, s56
	s_cselect_b32 s1, s1, s47
	s_wait_alu 0xfffe
	s_cselect_b32 s0, s5, s0
	s_add_co_i32 s5, s1, 1
	s_cmp_ge_u32 s0, s56
	s_wait_alu 0xfffe
	s_cselect_b32 s0, s5, s1
	s_delay_alu instid0(SALU_CYCLE_1) | instskip(SKIP_2) | instid1(SALU_CYCLE_1)
	s_mul_i32 s1, s0, s56
	s_mul_i32 s0, s0, s40
	s_sub_co_i32 s1, s34, s1
	s_mul_i32 s1, s1, s41
	s_delay_alu instid0(SALU_CYCLE_1) | instskip(SKIP_1) | instid1(SALU_CYCLE_1)
	s_add_co_i32 s0, s0, s1
	s_mov_b32 s1, 0
	s_lshl_b64 s[6:7], s[0:1], 2
	s_wait_alu 0xfffe
	s_add_nc_u64 s[6:7], s[44:45], s[6:7]
	global_store_b32 v6, v15, s[6:7]
	s_and_saveexec_b32 s5, s2
	s_cbranch_execz .LBB121_263
; %bb.257:
	v_cmp_u_f32_e32 vcc_lo, v15, v15
                                        ; implicit-def: $sgpr2
                                        ; implicit-def: $sgpr8
                                        ; implicit-def: $sgpr7
	s_xor_b32 s6, vcc_lo, -1
	s_branch .LBB121_259
.LBB121_258:                            ;   in Loop: Header=BB121_259 Depth=1
	s_or_b32 exec_lo, exec_lo, s0
	s_wait_alu 0xfffe
	s_and_b32 s0, exec_lo, s8
	s_delay_alu instid0(SALU_CYCLE_1)
	s_or_b32 s1, s0, s1
	s_and_not1_b32 s0, s2, exec_lo
	s_and_b32 s2, s7, exec_lo
	s_wait_alu 0xfffe
	s_or_b32 s2, s0, s2
	s_and_not1_b32 exec_lo, exec_lo, s1
	s_cbranch_execz .LBB121_261
.LBB121_259:                            ; =>This Inner Loop Header: Depth=1
	v_lshlrev_b64_e32 v[1:2], 2, v[5:6]
	s_wait_alu 0xfffe
	s_or_b32 s7, s7, exec_lo
	s_or_b32 s8, s8, exec_lo
	s_delay_alu instid0(VALU_DEP_1)
	v_add_co_u32 v1, vcc_lo, s38, v1
	s_wait_alu 0xfffd
	v_add_co_ci_u32_e64 v2, null, s39, v2, vcc_lo
	global_load_b32 v1, v[1:2], off
	s_wait_loadcnt 0x0
	v_cmp_o_f32_e32 vcc_lo, v1, v1
	v_cmp_neq_f32_e64 s0, v1, v15
	v_mov_b32_e32 v1, v0
                                        ; implicit-def: $vgpr0
	s_or_b32 s9, vcc_lo, s6
	s_wait_alu 0xfffe
	s_and_b32 s9, s0, s9
	s_wait_alu 0xfffe
	s_and_saveexec_b32 s0, s9
	s_cbranch_execz .LBB121_258
; %bb.260:                              ;   in Loop: Header=BB121_259 Depth=1
	v_add_nc_u32_e32 v0, s29, v1
	v_add_nc_u32_e32 v5, s57, v5
	s_and_not1_b32 s8, s8, exec_lo
	s_and_not1_b32 s7, s7, exec_lo
	s_delay_alu instid0(VALU_DEP_2)
	v_cmp_le_u32_e32 vcc_lo, s28, v0
	s_and_b32 s9, vcc_lo, exec_lo
	s_wait_alu 0xfffe
	s_or_b32 s8, s8, s9
	s_branch .LBB121_258
.LBB121_261:
	s_or_b32 exec_lo, exec_lo, s1
	s_wait_alu 0xfffe
	s_and_saveexec_b32 s0, s2
	s_delay_alu instid0(SALU_CYCLE_1)
	s_xor_b32 s0, exec_lo, s0
	s_cbranch_execz .LBB121_263
; %bb.262:
	s_mul_i32 s0, s27, s33
	s_add_co_i32 s1, s27, 1
	s_sub_co_i32 s0, s34, s0
	v_mov_b32_e32 v2, 0
	s_sub_co_i32 s2, s0, s33
	s_cmp_ge_u32 s0, s33
	s_cselect_b32 s1, s1, s27
	s_wait_alu 0xfffe
	s_cselect_b32 s0, s2, s0
	s_add_co_i32 s2, s1, 1
	s_cmp_ge_u32 s0, s33
	s_wait_alu 0xfffe
	s_cselect_b32 s0, s2, s1
	s_delay_alu instid0(SALU_CYCLE_1) | instskip(SKIP_2) | instid1(SALU_CYCLE_1)
	s_mul_i32 s1, s0, s33
	s_mul_i32 s0, s0, s36
	s_sub_co_i32 s1, s34, s1
	s_mul_i32 s1, s1, s37
	s_delay_alu instid0(SALU_CYCLE_1) | instskip(SKIP_1) | instid1(SALU_CYCLE_1)
	s_add_co_i32 s0, s0, s1
	s_mov_b32 s1, 0
	s_lshl_b64 s[0:1], s[0:1], 3
	s_delay_alu instid0(SALU_CYCLE_1)
	s_add_nc_u64 s[0:1], s[42:43], s[0:1]
	global_store_b64 v2, v[1:2], s[0:1]
.LBB121_263:
	s_wait_alu 0xfffe
	s_or_b32 exec_lo, exec_lo, s5
.LBB121_264:
	s_wait_alu 0xfffe
	s_or_saveexec_b32 s0, s4
	s_mov_b32 s1, 0
	s_xor_b32 exec_lo, exec_lo, s0
	s_cbranch_execnz .LBB121_267
.LBB121_265:
	s_or_b32 exec_lo, exec_lo, s0
	s_delay_alu instid0(SALU_CYCLE_1)
	s_and_b32 s0, s1, exec_lo
	s_and_not1_saveexec_b32 s1, s3
	s_cbranch_execz .LBB121_250
.LBB121_266:
	s_or_b32 s0, s0, exec_lo
	s_trap 2
	s_or_b32 exec_lo, exec_lo, s1
	s_and_saveexec_b32 s1, s0
	s_cbranch_execnz .LBB121_251
	s_branch .LBB121_252
.LBB121_267:
	s_mov_b32 s1, exec_lo
	s_trap 2
	s_branch .LBB121_265
	.section	.rodata,"a",@progbits
	.p2align	6, 0x0
	.amdhsa_kernel _ZN2at6native12_GLOBAL__N_112gatherMedianIfjLi2EEEvNS_4cuda6detail10TensorInfoIT_T0_EENS5_IlS7_EENS5_IKS6_S7_EES7_S7_S7_b
		.amdhsa_group_segment_fixed_size 4120
		.amdhsa_private_segment_fixed_size 0
		.amdhsa_kernarg_size 920
		.amdhsa_user_sgpr_count 2
		.amdhsa_user_sgpr_dispatch_ptr 0
		.amdhsa_user_sgpr_queue_ptr 0
		.amdhsa_user_sgpr_kernarg_segment_ptr 1
		.amdhsa_user_sgpr_dispatch_id 0
		.amdhsa_user_sgpr_private_segment_size 0
		.amdhsa_wavefront_size32 1
		.amdhsa_uses_dynamic_stack 0
		.amdhsa_enable_private_segment 0
		.amdhsa_system_sgpr_workgroup_id_x 1
		.amdhsa_system_sgpr_workgroup_id_y 1
		.amdhsa_system_sgpr_workgroup_id_z 1
		.amdhsa_system_sgpr_workgroup_info 0
		.amdhsa_system_vgpr_workitem_id 0
		.amdhsa_next_free_vgpr 44
		.amdhsa_next_free_sgpr 83
		.amdhsa_reserve_vcc 1
		.amdhsa_float_round_mode_32 0
		.amdhsa_float_round_mode_16_64 0
		.amdhsa_float_denorm_mode_32 3
		.amdhsa_float_denorm_mode_16_64 3
		.amdhsa_fp16_overflow 0
		.amdhsa_workgroup_processor_mode 1
		.amdhsa_memory_ordered 1
		.amdhsa_forward_progress 1
		.amdhsa_inst_pref_size 93
		.amdhsa_round_robin_scheduling 0
		.amdhsa_exception_fp_ieee_invalid_op 0
		.amdhsa_exception_fp_denorm_src 0
		.amdhsa_exception_fp_ieee_div_zero 0
		.amdhsa_exception_fp_ieee_overflow 0
		.amdhsa_exception_fp_ieee_underflow 0
		.amdhsa_exception_fp_ieee_inexact 0
		.amdhsa_exception_int_div_zero 0
	.end_amdhsa_kernel
	.section	.text._ZN2at6native12_GLOBAL__N_112gatherMedianIfjLi2EEEvNS_4cuda6detail10TensorInfoIT_T0_EENS5_IlS7_EENS5_IKS6_S7_EES7_S7_S7_b,"axG",@progbits,_ZN2at6native12_GLOBAL__N_112gatherMedianIfjLi2EEEvNS_4cuda6detail10TensorInfoIT_T0_EENS5_IlS7_EENS5_IKS6_S7_EES7_S7_S7_b,comdat
.Lfunc_end121:
	.size	_ZN2at6native12_GLOBAL__N_112gatherMedianIfjLi2EEEvNS_4cuda6detail10TensorInfoIT_T0_EENS5_IlS7_EENS5_IKS6_S7_EES7_S7_S7_b, .Lfunc_end121-_ZN2at6native12_GLOBAL__N_112gatherMedianIfjLi2EEEvNS_4cuda6detail10TensorInfoIT_T0_EENS5_IlS7_EENS5_IKS6_S7_EES7_S7_S7_b
                                        ; -- End function
	.set _ZN2at6native12_GLOBAL__N_112gatherMedianIfjLi2EEEvNS_4cuda6detail10TensorInfoIT_T0_EENS5_IlS7_EENS5_IKS6_S7_EES7_S7_S7_b.num_vgpr, 44
	.set _ZN2at6native12_GLOBAL__N_112gatherMedianIfjLi2EEEvNS_4cuda6detail10TensorInfoIT_T0_EENS5_IlS7_EENS5_IKS6_S7_EES7_S7_S7_b.num_agpr, 0
	.set _ZN2at6native12_GLOBAL__N_112gatherMedianIfjLi2EEEvNS_4cuda6detail10TensorInfoIT_T0_EENS5_IlS7_EENS5_IKS6_S7_EES7_S7_S7_b.numbered_sgpr, 83
	.set _ZN2at6native12_GLOBAL__N_112gatherMedianIfjLi2EEEvNS_4cuda6detail10TensorInfoIT_T0_EENS5_IlS7_EENS5_IKS6_S7_EES7_S7_S7_b.num_named_barrier, 0
	.set _ZN2at6native12_GLOBAL__N_112gatherMedianIfjLi2EEEvNS_4cuda6detail10TensorInfoIT_T0_EENS5_IlS7_EENS5_IKS6_S7_EES7_S7_S7_b.private_seg_size, 0
	.set _ZN2at6native12_GLOBAL__N_112gatherMedianIfjLi2EEEvNS_4cuda6detail10TensorInfoIT_T0_EENS5_IlS7_EENS5_IKS6_S7_EES7_S7_S7_b.uses_vcc, 1
	.set _ZN2at6native12_GLOBAL__N_112gatherMedianIfjLi2EEEvNS_4cuda6detail10TensorInfoIT_T0_EENS5_IlS7_EENS5_IKS6_S7_EES7_S7_S7_b.uses_flat_scratch, 0
	.set _ZN2at6native12_GLOBAL__N_112gatherMedianIfjLi2EEEvNS_4cuda6detail10TensorInfoIT_T0_EENS5_IlS7_EENS5_IKS6_S7_EES7_S7_S7_b.has_dyn_sized_stack, 0
	.set _ZN2at6native12_GLOBAL__N_112gatherMedianIfjLi2EEEvNS_4cuda6detail10TensorInfoIT_T0_EENS5_IlS7_EENS5_IKS6_S7_EES7_S7_S7_b.has_recursion, 0
	.set _ZN2at6native12_GLOBAL__N_112gatherMedianIfjLi2EEEvNS_4cuda6detail10TensorInfoIT_T0_EENS5_IlS7_EENS5_IKS6_S7_EES7_S7_S7_b.has_indirect_call, 0
	.section	.AMDGPU.csdata,"",@progbits
; Kernel info:
; codeLenInByte = 11856
; TotalNumSgprs: 85
; NumVgprs: 44
; ScratchSize: 0
; MemoryBound: 0
; FloatMode: 240
; IeeeMode: 1
; LDSByteSize: 4120 bytes/workgroup (compile time only)
; SGPRBlocks: 0
; VGPRBlocks: 5
; NumSGPRsForWavesPerEU: 85
; NumVGPRsForWavesPerEU: 44
; Occupancy: 16
; WaveLimiterHint : 1
; COMPUTE_PGM_RSRC2:SCRATCH_EN: 0
; COMPUTE_PGM_RSRC2:USER_SGPR: 2
; COMPUTE_PGM_RSRC2:TRAP_HANDLER: 0
; COMPUTE_PGM_RSRC2:TGID_X_EN: 1
; COMPUTE_PGM_RSRC2:TGID_Y_EN: 1
; COMPUTE_PGM_RSRC2:TGID_Z_EN: 1
; COMPUTE_PGM_RSRC2:TIDIG_COMP_CNT: 0
	.section	.text._ZN2at6native12_GLOBAL__N_112gatherMedianIfjLi3EEEvNS_4cuda6detail10TensorInfoIT_T0_EENS5_IlS7_EENS5_IKS6_S7_EES7_S7_S7_b,"axG",@progbits,_ZN2at6native12_GLOBAL__N_112gatherMedianIfjLi3EEEvNS_4cuda6detail10TensorInfoIT_T0_EENS5_IlS7_EENS5_IKS6_S7_EES7_S7_S7_b,comdat
	.globl	_ZN2at6native12_GLOBAL__N_112gatherMedianIfjLi3EEEvNS_4cuda6detail10TensorInfoIT_T0_EENS5_IlS7_EENS5_IKS6_S7_EES7_S7_S7_b ; -- Begin function _ZN2at6native12_GLOBAL__N_112gatherMedianIfjLi3EEEvNS_4cuda6detail10TensorInfoIT_T0_EENS5_IlS7_EENS5_IKS6_S7_EES7_S7_S7_b
	.p2align	8
	.type	_ZN2at6native12_GLOBAL__N_112gatherMedianIfjLi3EEEvNS_4cuda6detail10TensorInfoIT_T0_EENS5_IlS7_EENS5_IKS6_S7_EES7_S7_S7_b,@function
_ZN2at6native12_GLOBAL__N_112gatherMedianIfjLi3EEEvNS_4cuda6detail10TensorInfoIT_T0_EENS5_IlS7_EENS5_IKS6_S7_EES7_S7_S7_b: ; @_ZN2at6native12_GLOBAL__N_112gatherMedianIfjLi3EEEvNS_4cuda6detail10TensorInfoIT_T0_EENS5_IlS7_EENS5_IKS6_S7_EES7_S7_S7_b
; %bb.0:
	s_clause 0x1
	s_load_b64 s[4:5], s[0:1], 0x298
	s_load_b128 s[28:31], s[0:1], 0x288
	s_lshr_b32 s2, ttmp7, 16
	s_and_b32 s3, ttmp7, 0xffff
	s_wait_kmcnt 0x0
	s_mul_i32 s2, s5, s2
	s_delay_alu instid0(SALU_CYCLE_1) | instskip(NEXT) | instid1(SALU_CYCLE_1)
	s_add_co_i32 s2, s2, s3
	s_mul_i32 s33, s2, s4
	s_delay_alu instid0(SALU_CYCLE_1) | instskip(NEXT) | instid1(SALU_CYCLE_1)
	s_add_co_i32 s33, s33, ttmp9
	s_cmp_ge_u32 s33, s29
	s_cbranch_scc1 .LBB122_252
; %bb.1:
	s_clause 0x4
	s_load_b64 s[44:45], s[0:1], 0xc
	s_load_b64 s[34:35], s[0:1], 0xe4
	;; [unrolled: 1-line block ×4, first 2 shown]
	s_load_b96 s[16:18], s[0:1], 0x21c
	s_mov_b32 s51, 0
	s_delay_alu instid0(SALU_CYCLE_1)
	s_mov_b32 s47, s51
	s_wait_kmcnt 0x0
	s_cvt_f32_u32 s5, s45
	s_cvt_f32_u32 s9, s35
	;; [unrolled: 1-line block ×4, first 2 shown]
	v_rcp_iflag_f32_e32 v1, s5
	s_cvt_f32_u32 s5, s44
	v_rcp_iflag_f32_e32 v2, s9
	s_sub_co_i32 s9, 0, s45
	v_rcp_iflag_f32_e32 v3, s10
	v_rcp_iflag_f32_e32 v4, s11
	v_readfirstlane_b32 s8, v1
	s_wait_alu 0xfffe
	v_rcp_iflag_f32_e32 v1, s5
	v_readfirstlane_b32 s10, v2
	s_delay_alu instid0(TRANS32_DEP_2)
	v_readfirstlane_b32 s11, v4
	s_mul_f32 s5, s8, 0x4f7ffffe
	s_cvt_f32_u32 s8, s2
	s_mul_f32 s10, s10, 0x4f7ffffe
	s_wait_alu 0xfffe
	s_cvt_u32_f32 s5, s5
	v_rcp_iflag_f32_e32 v5, s8
	s_delay_alu instid0(TRANS32_DEP_2)
	v_readfirstlane_b32 s8, v1
	s_cvt_u32_f32 s10, s10
	s_wait_alu 0xfffe
	s_mul_i32 s9, s9, s5
	s_mul_f32 s11, s11, 0x4f7ffffe
	s_wait_alu 0xfffe
	s_mul_hi_u32 s9, s5, s9
	s_mul_f32 s8, s8, 0x4f7ffffe
	s_wait_alu 0xfffe
	s_add_co_i32 s5, s5, s9
	v_readfirstlane_b32 s9, v3
	s_wait_alu 0xfffe
	s_mul_hi_u32 s5, s33, s5
	s_cvt_u32_f32 s8, s8
	s_wait_alu 0xfffe
	s_mul_i32 s12, s5, s45
	s_add_co_i32 s13, s5, 1
	s_sub_co_i32 s12, s33, s12
	s_mul_f32 s9, s9, 0x4f7ffffe
	s_sub_co_i32 s14, s12, s45
	s_cmp_ge_u32 s12, s45
	v_mov_b32_e32 v3, 0
	s_cselect_b32 s5, s13, s5
	s_cselect_b32 s12, s14, s12
	s_wait_alu 0xfffe
	s_add_co_i32 s13, s5, 1
	s_cmp_ge_u32 s12, s45
	s_cvt_u32_f32 s9, s9
	s_cselect_b32 s50, s13, s5
	s_sub_co_i32 s5, 0, s35
	s_sub_co_i32 s12, 0, s44
	s_wait_alu 0xfffe
	s_mul_i32 s5, s5, s10
	s_mul_i32 s12, s12, s8
	s_wait_alu 0xfffe
	s_mul_hi_u32 s5, s10, s5
	s_wait_alu 0xfffe
	s_add_co_i32 s10, s10, s5
	s_wait_alu 0xfffe
	s_mul_hi_u32 s5, s33, s10
	s_mul_hi_u32 s10, s8, s12
	s_wait_alu 0xfffe
	s_mul_i32 s12, s5, s35
	s_add_co_i32 s10, s8, s10
	s_sub_co_i32 s8, s33, s12
	s_add_co_i32 s12, s5, 1
	s_wait_alu 0xfffe
	s_sub_co_i32 s13, s8, s35
	s_cmp_ge_u32 s8, s35
	s_cselect_b32 s5, s12, s5
	s_cselect_b32 s8, s13, s8
	s_wait_alu 0xfffe
	s_add_co_i32 s12, s5, 1
	s_cmp_ge_u32 s8, s35
	s_cvt_u32_f32 s8, s11
	s_cselect_b32 s46, s12, s5
	s_sub_co_i32 s5, 0, s3
	s_sub_co_i32 s12, 0, s34
	s_wait_alu 0xfffe
	s_mul_i32 s5, s5, s8
	s_mul_i32 s12, s12, s9
	s_wait_alu 0xfffe
	s_mul_hi_u32 s5, s8, s5
	v_readfirstlane_b32 s11, v5
	s_wait_alu 0xfffe
	s_add_co_i32 s8, s8, s5
	s_wait_alu 0xfffe
	s_mul_hi_u32 s5, s33, s8
	s_mul_hi_u32 s8, s9, s12
	s_wait_alu 0xfffe
	s_mul_i32 s13, s5, s3
	s_add_co_i32 s12, s9, s8
	s_sub_co_i32 s8, s33, s13
	s_add_co_i32 s9, s5, 1
	s_wait_alu 0xfffe
	s_sub_co_i32 s13, s8, s3
	s_cmp_ge_u32 s8, s3
	s_mul_f32 s11, s11, 0x4f7ffffe
	s_cselect_b32 s5, s9, s5
	s_cselect_b32 s8, s13, s8
	s_wait_alu 0xfffe
	s_add_co_i32 s9, s5, 1
	s_cmp_ge_u32 s8, s3
	s_cvt_u32_f32 s8, s11
	s_wait_alu 0xfffe
	s_cselect_b32 s5, s9, s5
	s_sub_co_i32 s9, 0, s2
	s_wait_alu 0xfffe
	s_mul_i32 s3, s5, s3
	s_mul_i32 s9, s9, s8
	s_sub_co_i32 s3, s33, s3
	s_wait_alu 0xfffe
	s_mul_hi_u32 s9, s8, s9
	s_mul_i32 s3, s3, s18
	s_wait_alu 0xfffe
	s_add_co_i32 s8, s8, s9
	s_wait_alu 0xfffe
	s_mul_hi_u32 s11, s5, s8
	s_wait_alu 0xfffe
	s_mul_i32 s8, s11, s2
	s_add_co_i32 s14, s11, 1
	s_wait_alu 0xfffe
	s_sub_co_i32 s13, s5, s8
	s_add_nc_u64 s[8:9], s[0:1], 0x298
	s_sub_co_i32 s15, s13, s2
	s_cmp_ge_u32 s13, s2
	s_cselect_b32 s11, s14, s11
	s_cselect_b32 s13, s15, s13
	s_wait_alu 0xfffe
	s_add_co_i32 s14, s11, 1
	s_cmp_ge_u32 s13, s2
	s_mov_b32 s15, s51
	s_cselect_b32 s13, s14, s11
	s_mov_b32 s11, s51
	s_mul_i32 s2, s13, s2
	s_mul_i32 s13, s13, s16
	s_sub_co_i32 s2, s5, s2
	s_delay_alu instid0(SALU_CYCLE_1) | instskip(NEXT) | instid1(SALU_CYCLE_1)
	s_mul_i32 s2, s2, s17
	s_add_co_i32 s2, s2, s3
	s_delay_alu instid0(SALU_CYCLE_1)
	s_add_co_i32 s14, s2, s13
	v_cmp_gt_u32_e64 s2, s28, v0
	s_lshl_b64 s[14:15], s[14:15], 2
	s_mov_b32 s13, s51
	s_add_nc_u64 s[48:49], s[6:7], s[14:15]
	s_and_saveexec_b32 s5, s2
	s_cbranch_execz .LBB122_5
; %bb.2:
	s_load_b32 s3, s[8:9], 0xc
	v_mov_b32_e32 v2, 0
	v_mul_lo_u32 v1, v0, s30
	v_mov_b32_e32 v4, v0
	s_mov_b32 s7, s51
	s_delay_alu instid0(VALU_DEP_3) | instskip(SKIP_2) | instid1(SALU_CYCLE_1)
	v_mov_b32_e32 v3, v2
	s_wait_kmcnt 0x0
	s_and_b32 s6, s3, 0xffff
	s_mul_i32 s14, s30, s6
.LBB122_3:                              ; =>This Inner Loop Header: Depth=1
	s_delay_alu instid0(VALU_DEP_3) | instskip(SKIP_2) | instid1(VALU_DEP_3)
	v_lshlrev_b64_e32 v[5:6], 2, v[1:2]
	v_add_nc_u32_e32 v4, s6, v4
	v_add_nc_u32_e32 v1, s14, v1
	v_add_co_u32 v5, vcc_lo, s48, v5
	s_wait_alu 0xfffd
	s_delay_alu instid0(VALU_DEP_4)
	v_add_co_ci_u32_e64 v6, null, s49, v6, vcc_lo
	v_cmp_le_u32_e32 vcc_lo, s28, v4
	global_load_b32 v5, v[5:6], off
	s_or_b32 s7, vcc_lo, s7
	s_wait_loadcnt 0x0
	v_cmp_u_f32_e64 s3, v5, v5
	s_wait_alu 0xf1ff
	s_delay_alu instid0(VALU_DEP_1)
	v_add_co_ci_u32_e64 v3, null, 0, v3, s3
	s_wait_alu 0xfffe
	s_and_not1_b32 exec_lo, exec_lo, s7
	s_cbranch_execnz .LBB122_3
; %bb.4:
	s_or_b32 exec_lo, exec_lo, s7
.LBB122_5:
	s_wait_alu 0xfffe
	s_or_b32 exec_lo, exec_lo, s5
	s_clause 0x3
	s_load_b96 s[36:38], s[0:1], 0x144
	s_load_b64 s[52:53], s[0:1], 0xd8
	s_load_b96 s[40:42], s[0:1], 0x6c
	s_load_b64 s[54:55], s[0:1], 0x0
	v_cmp_eq_u32_e64 s0, 0, v0
	s_mul_u64 s[56:57], s[50:51], s[10:11]
	s_mul_u64 s[26:27], s[46:47], s[12:13]
	s_and_saveexec_b32 s1, s0
; %bb.6:
	v_mov_b32_e32 v1, 0
	s_delay_alu instid0(VALU_DEP_1)
	v_mov_b32_e32 v2, v1
	ds_store_b64 v1, v[1:2] offset:4096
; %bb.7:
	s_or_b32 exec_lo, exec_lo, s1
	s_delay_alu instid0(SALU_CYCLE_1)
	s_mov_b32 s1, exec_lo
	s_wait_dscnt 0x0
	s_barrier_signal -1
	s_barrier_wait -1
	global_inv scope:SCOPE_SE
	v_cmpx_ne_u32_e32 0, v3
	s_cbranch_execz .LBB122_12
; %bb.8:
	v_mov_b32_e32 v1, 0
	s_mov_b32 s3, exec_lo
	s_mov_b64 s[6:7], 0
.LBB122_9:                              ; =>This Inner Loop Header: Depth=1
	s_wait_alu 0xfffe
	s_ctz_i32_b32 s5, s3
	s_wait_alu 0xfffe
	v_readlane_b32 s11, v1, s5
	v_readlane_b32 s10, v3, s5
	s_lshl_b32 s5, 1, s5
	s_wait_alu 0xfffe
	s_and_not1_b32 s3, s3, s5
	s_wait_alu 0xfffe
	s_cmp_lg_u32 s3, 0
	s_add_nc_u64 s[6:7], s[6:7], s[10:11]
	s_cbranch_scc1 .LBB122_9
; %bb.10:
	v_mbcnt_lo_u32_b32 v1, exec_lo, 0
	s_mov_b32 s3, exec_lo
	s_delay_alu instid0(VALU_DEP_1)
	v_cmpx_eq_u32_e32 0, v1
	s_wait_alu 0xfffe
	s_xor_b32 s3, exec_lo, s3
; %bb.11:
	v_mov_b32_e32 v1, s6
	v_dual_mov_b32 v3, 0 :: v_dual_mov_b32 v2, s7
	ds_add_u64 v3, v[1:2] offset:4096
.LBB122_12:
	s_or_b32 exec_lo, exec_lo, s1
	v_mov_b32_e32 v1, 0
	s_wait_loadcnt_dscnt 0x0
	s_barrier_signal -1
	s_barrier_wait -1
	global_inv scope:SCOPE_SE
	ds_load_b64 v[1:2], v1 offset:4096
	s_bitcmp1_b32 s31, 0
	s_mov_b32 s10, s28
	s_cselect_b32 s3, -1, 0
	s_wait_dscnt 0x0
	v_readfirstlane_b32 s6, v1
	v_readfirstlane_b32 s7, v2
	s_wait_alu 0xf1ff
	s_delay_alu instid0(VALU_DEP_1) | instskip(SKIP_2) | instid1(SALU_CYCLE_1)
	v_cmp_lt_i64_e64 s1, s[6:7], 1
	s_wait_alu 0xfffe
	s_or_b32 s1, s3, s1
	s_and_not1_b32 vcc_lo, exec_lo, s1
	s_wait_alu 0xfffe
	s_cbranch_vccnz .LBB122_14
; %bb.13:
	s_not_b64 s[6:7], s[6:7]
	s_mov_b32 s29, 0
	s_wait_alu 0xfffe
	s_add_nc_u64 s[6:7], s[6:7], s[28:29]
	s_mov_b32 s11, s29
	s_wait_alu 0xfffe
	s_lshr_b32 s10, s7, 31
	s_wait_alu 0xfffe
	s_add_nc_u64 s[6:7], s[6:7], s[10:11]
	s_wait_alu 0xfffe
	s_lshr_b64 s[6:7], s[6:7], 1
	s_wait_alu 0xfffe
	s_add_co_i32 s10, s6, 1
.LBB122_14:
	s_and_saveexec_b32 s1, s0
	s_cbranch_execz .LBB122_16
; %bb.15:
	v_dual_mov_b32 v1, 0 :: v_dual_mov_b32 v2, s28
	ds_store_b32 v1, v1 offset:4112
	ds_store_b64 v1, v[1:2] offset:4104
.LBB122_16:
	s_or_b32 exec_lo, exec_lo, s1
	s_wait_loadcnt_dscnt 0x0
	s_barrier_signal -1
	s_barrier_wait -1
	global_inv scope:SCOPE_SE
	s_load_b32 s5, s[8:9], 0xc
	v_mbcnt_lo_u32_b32 v16, -1, 0
	v_cmp_gt_u32_e32 vcc_lo, 32, v0
	v_mov_b32_e32 v7, 0
	v_mul_lo_u32 v5, s30, v0
	v_lshlrev_b32_e32 v17, 2, v0
	v_cmp_gt_i32_e64 s3, 4, v16
	v_lshrrev_b32_e32 v3, 1, v0
	v_mov_b32_e32 v6, v7
	v_cmp_gt_u32_e64 s1, 2, v0
	v_add_nc_u32_e32 v18, 0xc00, v17
	s_and_b32 s31, vcc_lo, s3
	v_dual_mov_b32 v22, 0 :: v_dual_lshlrev_b32 v25, 2, v5
	s_wait_alu 0xfffe
	v_mad_co_u64_u32 v[12:13], null, s30, v17, s[30:31]
	v_dual_mov_b32 v30, 0 :: v_dual_lshlrev_b32 v27, 4, v0
	v_lshl_or_b32 v28, v16, 2, 0xc00
	v_mov_b32_e32 v13, 1.0
	s_wait_kmcnt 0x0
	s_and_b32 s29, s5, 0xffff
	s_bfe_u32 s5, s5, 0xb0005
	s_wait_alu 0xfffe
	s_lshl_b32 s39, s29, 2
	s_add_co_i32 s43, s29, -1
	s_cvt_f32_u32 s3, s39
	s_add_co_i32 s6, s43, s28
	s_cmp_gt_u32 s28, 0x300
	s_cvt_f32_u32 s11, s29
	s_wait_alu 0xfffe
	v_rcp_iflag_f32_e32 v1, s3
	s_cselect_b32 s51, -1, 0
	s_cmp_gt_u32 s29, 31
	v_mov_b32_e32 v15, 0
	s_cselect_b32 s56, -1, 0
	s_cmp_lt_u32 ttmp9, s4
	s_movk_i32 s4, 0x1f0
	s_cselect_b32 s58, 12, 18
	s_add_co_i32 s3, s5, -1
	s_bfe_u32 s66, s29, 0x30005
	v_readfirstlane_b32 s7, v1
	s_wait_alu 0xfffe
	s_and_b32 s3, s3, 0xffff
	v_rcp_iflag_f32_e32 v1, s11
	s_wait_alu 0xfffe
	s_cmp_gt_u32 s3, 6
	v_and_or_b32 v19, v3, s4, 0xc00
	s_mul_f32 s3, s7, 0x4f7ffffe
	s_cselect_b32 s67, -1, 0
	s_and_b32 s68, s5, 0x7f8
	s_cmp_lg_u32 s66, 0
	s_wait_alu 0xfffe
	s_cvt_u32_f32 s3, s3
	s_cselect_b32 s69, -1, 0
	s_sub_co_i32 s5, 0, s39
	v_readfirstlane_b32 s7, v1
	s_wait_alu 0xfffe
	s_mul_i32 s5, s5, s3
	v_lshlrev_b64_e64 v[1:2], v16, -1
	s_wait_alu 0xfffe
	s_mul_hi_u32 s5, s3, s5
	v_lshlrev_b64_e32 v[2:3], 2, v[5:6]
	s_wait_alu 0xfffe
	s_add_co_i32 s60, s3, s5
	s_mul_f32 s7, s7, 0x4f7ffffe
	s_mul_hi_u32 s5, s28, s60
	v_not_b32_e32 v21, v1
	s_wait_alu 0xfffe
	s_mul_i32 s5, s5, s39
	s_cvt_u32_f32 s7, s7
	s_wait_alu 0xfffe
	s_sub_co_i32 s5, s28, s5
	v_add_co_u32 v8, vcc_lo, s48, v2
	s_wait_alu 0xfffe
	s_sub_co_i32 s11, s5, s39
	s_cmp_ge_u32 s5, s39
	s_wait_alu 0xfffd
	v_add_co_ci_u32_e64 v9, null, s49, v3, vcc_lo
	s_wait_alu 0xfffe
	s_cselect_b32 s5, s11, s5
	v_add3_u32 v3, s29, s28, v0
	s_wait_alu 0xfffe
	s_sub_co_i32 s11, s5, s39
	s_cmp_ge_u32 s5, s39
	v_mov_b32_e32 v31, s10
	s_wait_alu 0xfffe
	s_cselect_b32 s11, s11, s5
	s_sub_co_i32 s5, 0, s29
	s_wait_alu 0xfffe
	s_sub_co_i32 s70, s28, s11
	s_mul_i32 s5, s5, s7
	v_add_nc_u32_e32 v20, s70, v0
	s_wait_alu 0xfffe
	s_mul_hi_u32 s4, s7, s5
	v_subrev_nc_u32_e32 v3, s11, v3
	s_wait_alu 0xfffe
	s_add_co_i32 s62, s7, s4
	v_cmp_eq_u32_e64 s3, 0, v16
	v_mul_lo_u32 v6, v20, s30
	s_mul_hi_u32 s4, s6, s62
	v_mul_lo_u32 v26, s30, v3
	s_wait_alu 0xfffe
	s_mul_i32 s4, s4, s29
	v_mov_b32_e32 v29, 0
	s_wait_alu 0xfffe
	s_sub_co_i32 s4, s6, s4
	s_mov_b32 s59, 0
	s_wait_alu 0xfffe
	s_sub_co_i32 s5, s4, s29
	v_lshlrev_b64_e32 v[1:2], 2, v[6:7]
	s_cmp_ge_u32 s4, s29
	s_mul_i32 s47, s30, s29
	s_wait_alu 0xfffe
	s_cselect_b32 s5, s5, s4
	v_cmp_gt_u32_e64 s4, s70, v17
	s_wait_alu 0xfffe
	s_sub_co_i32 s7, s5, s29
	v_add_co_u32 v10, vcc_lo, s48, v1
	s_wait_alu 0xfffd
	v_add_co_ci_u32_e64 v11, null, s49, v2, vcc_lo
	v_or_b32_e32 v1, 2, v17
	v_or_b32_e32 v2, 3, v17
	s_cmp_ge_u32 s5, s29
	s_mov_b32 s61, s59
	s_wait_alu 0xfffe
	s_cselect_b32 s7, s7, s5
	v_mul_lo_u32 v23, s30, v1
	v_mul_lo_u32 v24, s30, v2
	s_wait_alu 0xfffe
	s_sub_co_i32 s71, s6, s7
	v_cmp_gt_u32_e64 s5, s28, v20
	s_wait_alu 0xfffe
	v_cmp_gt_u32_e64 s6, s71, v0
	s_mov_b32 s63, s59
	s_lshl_b32 s72, s47, 2
	s_lshl_b32 s73, s29, 4
	s_mov_b32 s81, 30
	s_add_nc_u64 s[64:65], s[8:9], s[58:59]
	s_mov_b32 s74, 0
                                        ; implicit-def: $sgpr78
                                        ; implicit-def: $sgpr80
                                        ; implicit-def: $sgpr75
                                        ; implicit-def: $sgpr77
                                        ; implicit-def: $sgpr79
                                        ; implicit-def: $sgpr76
	s_branch .LBB122_20
.LBB122_17:                             ;   in Loop: Header=BB122_20 Depth=1
	s_wait_alu 0xfffe
	s_or_b32 exec_lo, exec_lo, s11
	s_delay_alu instid0(SALU_CYCLE_1)
	s_and_b32 s8, s8, exec_lo
	s_and_not1_b32 s13, s13, exec_lo
	s_and_not1_b32 s12, s12, exec_lo
	s_or_not1_b32 s10, s10, exec_lo
.LBB122_18:                             ;   in Loop: Header=BB122_20 Depth=1
	s_wait_alu 0xfffe
	s_or_b32 exec_lo, exec_lo, s7
	s_delay_alu instid0(SALU_CYCLE_1)
	s_and_not1_b32 s7, s76, exec_lo
	s_and_b32 s8, s8, exec_lo
	s_and_not1_b32 s11, s77, exec_lo
	s_wait_alu 0xfffe
	s_or_b32 s76, s7, s8
	s_and_not1_b32 s7, s79, exec_lo
	s_and_b32 s8, s13, exec_lo
	s_and_b32 s12, s12, exec_lo
	s_wait_alu 0xfffe
	s_or_b32 s79, s7, s8
	s_or_b32 s77, s11, s12
	s_or_not1_b32 s11, s10, exec_lo
.LBB122_19:                             ;   in Loop: Header=BB122_20 Depth=1
	s_wait_alu 0xfffe
	s_or_b32 exec_lo, exec_lo, s9
	s_delay_alu instid0(SALU_CYCLE_1)
	s_and_b32 s7, exec_lo, s11
	v_mov_b32_e32 v31, v2
	s_wait_alu 0xfffe
	s_or_b32 s74, s7, s74
	s_and_not1_b32 s7, s75, exec_lo
	s_and_b32 s8, s76, exec_lo
	s_and_not1_b32 s9, s80, exec_lo
	s_wait_alu 0xfffe
	s_or_b32 s75, s7, s8
	s_and_b32 s7, s79, exec_lo
	s_and_not1_b32 s8, s78, exec_lo
	s_and_b32 s10, s77, exec_lo
	s_wait_alu 0xfffe
	s_or_b32 s80, s9, s7
	s_or_b32 s78, s8, s10
	s_mov_b32 s81, s18
	s_and_not1_b32 exec_lo, exec_lo, s74
	s_cbranch_execz .LBB122_248
.LBB122_20:                             ; =>This Loop Header: Depth=1
                                        ;     Child Loop BB122_26 Depth 2
                                        ;     Child Loop BB122_39 Depth 2
	;; [unrolled: 1-line block ×16, first 2 shown]
	ds_load_b64 v[1:2], v7 offset:4104
	s_wait_dscnt 0x0
	v_readfirstlane_b32 s58, v1
	s_cmp_lg_u32 s58, 0
	s_cbranch_scc1 .LBB122_47
; %bb.21:                               ;   in Loop: Header=BB122_20 Depth=1
	s_and_b32 vcc_lo, exec_lo, s51
	s_wait_alu 0xfffe
	s_cbranch_vccz .LBB122_34
; %bb.22:                               ;   in Loop: Header=BB122_20 Depth=1
	v_cmp_gt_u32_e32 vcc_lo, 0x301, v2
	s_mov_b32 s9, 0
	s_mov_b32 s7, 0
	s_cbranch_vccz .LBB122_35
; %bb.23:                               ;   in Loop: Header=BB122_20 Depth=1
	s_and_saveexec_b32 s10, s2
	s_cbranch_execz .LBB122_133
; %bb.24:                               ;   in Loop: Header=BB122_20 Depth=1
	global_load_b32 v1, v[8:9], off
	s_load_u16 s11, s[64:65], 0x0
	s_mov_b32 s13, 0
	s_wait_kmcnt 0x0
	v_add_nc_u32_e32 v2, s11, v0
	s_mul_i32 s12, s30, s11
	s_delay_alu instid0(VALU_DEP_1)
	v_mul_lo_u32 v6, s30, v2
	v_mov_b32_e32 v2, v0
	s_branch .LBB122_26
.LBB122_25:                             ;   in Loop: Header=BB122_26 Depth=2
	s_wait_alu 0xfffe
	s_or_b32 exec_lo, exec_lo, s8
	v_dual_mov_b32 v1, v3 :: v_dual_add_nc_u32 v6, s12, v6
	s_and_not1_b32 exec_lo, exec_lo, s13
	s_cbranch_execz .LBB122_133
.LBB122_26:                             ;   Parent Loop BB122_20 Depth=1
                                        ; =>  This Inner Loop Header: Depth=2
	s_delay_alu instid0(VALU_DEP_1) | instskip(SKIP_3) | instid1(VALU_DEP_2)
	v_dual_mov_b32 v3, 0 :: v_dual_add_nc_u32 v2, s11, v2
	s_wait_dscnt 0x0
	v_mov_b32_e32 v4, 0
	s_mov_b32 s8, exec_lo
	v_cmp_le_u32_e32 vcc_lo, s28, v2
	v_cmpx_gt_u32_e64 s28, v2
	s_cbranch_execz .LBB122_28
; %bb.27:                               ;   in Loop: Header=BB122_26 Depth=2
	v_lshlrev_b64_e32 v[32:33], 2, v[6:7]
	s_delay_alu instid0(VALU_DEP_1) | instskip(SKIP_1) | instid1(VALU_DEP_2)
	v_add_co_u32 v32, s7, s48, v32
	s_wait_alu 0xf1ff
	v_add_co_ci_u32_e64 v33, null, s49, v33, s7
	global_load_b32 v3, v[32:33], off
.LBB122_28:                             ;   in Loop: Header=BB122_26 Depth=2
	s_wait_alu 0xfffe
	s_or_b32 exec_lo, exec_lo, s8
	s_wait_loadcnt 0x0
	v_cmp_lt_i32_e64 s7, -1, v1
	s_wait_alu 0xf1ff
	s_delay_alu instid0(VALU_DEP_1) | instskip(SKIP_1) | instid1(VALU_DEP_2)
	v_cndmask_b32_e64 v14, -1, 0x80000000, s7
	v_cmp_o_f32_e64 s7, v1, v1
	v_xor_b32_e32 v14, v14, v1
	s_wait_alu 0xf1ff
	s_delay_alu instid0(VALU_DEP_1) | instskip(NEXT) | instid1(VALU_DEP_1)
	v_cndmask_b32_e64 v14, -1, v14, s7
	v_and_b32_e32 v14, v14, v30
	s_delay_alu instid0(VALU_DEP_1)
	v_cmp_eq_u32_e64 s7, v14, v22
	s_cmp_lg_u32 s7, 0
	s_cselect_b32 s8, -1, 0
	s_wait_alu 0xfffe
	s_and_b32 s8, s3, s8
	s_wait_alu 0xfffe
	s_and_saveexec_b32 s14, s8
	s_cbranch_execz .LBB122_32
; %bb.29:                               ;   in Loop: Header=BB122_26 Depth=2
	s_mov_b32 s17, exec_lo
	s_bcnt1_i32_b32 s15, s7
	s_wait_alu 0xfffe
	v_mbcnt_lo_u32_b32 v4, s17, 0
	s_mov_b32 s16, exec_lo
                                        ; implicit-def: $vgpr14
	s_delay_alu instid0(VALU_DEP_1)
	v_cmpx_eq_u32_e32 0, v4
; %bb.30:                               ;   in Loop: Header=BB122_26 Depth=2
	s_bcnt1_i32_b32 s8, s17
	s_wait_alu 0xfffe
	s_mul_i32 s8, s15, s8
	s_wait_alu 0xfffe
	v_mov_b32_e32 v14, s8
	ds_add_rtn_u32 v14, v7, v14 offset:4112
; %bb.31:                               ;   in Loop: Header=BB122_26 Depth=2
	s_or_b32 exec_lo, exec_lo, s16
	s_wait_dscnt 0x0
	v_readfirstlane_b32 s8, v14
	s_wait_alu 0xf1ff
	s_delay_alu instid0(VALU_DEP_1)
	v_mad_u32_u24 v4, s15, v4, s8
.LBB122_32:                             ;   in Loop: Header=BB122_26 Depth=2
	s_wait_alu 0xfffe
	s_or_b32 exec_lo, exec_lo, s14
	ds_bpermute_b32 v4, v7, v4
	s_and_b32 s8, exec_lo, vcc_lo
	s_wait_alu 0xfffe
	s_or_b32 s13, s8, s13
	s_and_saveexec_b32 s8, s7
	s_cbranch_execz .LBB122_25
; %bb.33:                               ;   in Loop: Header=BB122_26 Depth=2
	v_and_b32_e32 v14, s7, v21
	s_delay_alu instid0(VALU_DEP_1) | instskip(NEXT) | instid1(VALU_DEP_1)
	v_bcnt_u32_b32 v14, v14, 0
	v_lshlrev_b32_e32 v14, 2, v14
	s_wait_dscnt 0x0
	s_delay_alu instid0(VALU_DEP_1)
	v_lshl_add_u32 v4, v4, 2, v14
	ds_store_b32 v4, v1
	s_branch .LBB122_25
.LBB122_34:                             ;   in Loop: Header=BB122_20 Depth=1
	s_mov_b32 s9, -1
	s_mov_b32 s7, 0
.LBB122_35:                             ;   in Loop: Header=BB122_20 Depth=1
	s_wait_alu 0xfffe
	s_and_b32 vcc_lo, exec_lo, s9
	s_wait_alu 0xfffe
	s_cbranch_vccz .LBB122_45
.LBB122_36:                             ;   in Loop: Header=BB122_20 Depth=1
	s_and_saveexec_b32 s7, s2
	s_cbranch_execz .LBB122_42
; %bb.37:                               ;   in Loop: Header=BB122_20 Depth=1
	global_load_b32 v2, v[8:9], off
	s_load_u16 s9, s[64:65], 0x0
	v_mov_b32_e32 v1, v0
	s_mov_b32 s8, exec_lo
	s_wait_kmcnt 0x0
	v_add_nc_u32_e32 v3, s9, v0
	s_delay_alu instid0(VALU_DEP_1)
	v_cmpx_gt_u32_e64 s28, v3
	s_cbranch_execz .LBB122_41
; %bb.38:                               ;   in Loop: Header=BB122_20 Depth=1
	v_mul_lo_u32 v6, s30, v3
	v_mov_b32_e32 v3, v17
	v_mov_b32_e32 v1, v0
	s_lshl_b32 s10, s9, 2
	s_mul_i32 s12, s30, s9
	s_mov_b32 s11, 0
.LBB122_39:                             ;   Parent Loop BB122_20 Depth=1
                                        ; =>  This Inner Loop Header: Depth=2
	s_delay_alu instid0(VALU_DEP_3)
	v_lshlrev_b64_e32 v[32:33], 2, v[6:7]
	s_wait_loadcnt 0x0
	ds_store_b32 v3, v2
	s_wait_alu 0xfffe
	v_add_nc_u32_e32 v3, s10, v3
	v_add_nc_u32_e32 v6, s12, v6
	v_add_co_u32 v32, vcc_lo, s48, v32
	s_wait_alu 0xfffd
	v_add_co_ci_u32_e64 v33, null, s49, v33, vcc_lo
	global_load_b32 v4, v[32:33], off
	s_wait_loadcnt 0x0
	v_dual_mov_b32 v2, v4 :: v_dual_add_nc_u32 v1, s9, v1
	s_delay_alu instid0(VALU_DEP_1) | instskip(NEXT) | instid1(VALU_DEP_1)
	v_add_nc_u32_e32 v14, s9, v1
	v_cmp_le_u32_e32 vcc_lo, s28, v14
	s_or_b32 s11, vcc_lo, s11
	s_wait_alu 0xfffe
	s_and_not1_b32 exec_lo, exec_lo, s11
	s_cbranch_execnz .LBB122_39
; %bb.40:                               ;   in Loop: Header=BB122_20 Depth=1
	s_or_b32 exec_lo, exec_lo, s11
	v_mov_b32_e32 v2, v4
.LBB122_41:                             ;   in Loop: Header=BB122_20 Depth=1
	s_wait_alu 0xfffe
	s_or_b32 exec_lo, exec_lo, s8
	v_lshlrev_b32_e32 v1, 2, v1
	s_wait_loadcnt 0x0
	ds_store_b32 v1, v2
.LBB122_42:                             ;   in Loop: Header=BB122_20 Depth=1
	s_wait_alu 0xfffe
	s_or_b32 exec_lo, exec_lo, s7
	s_wait_loadcnt_dscnt 0x0
	s_barrier_signal -1
	s_barrier_wait -1
	global_inv scope:SCOPE_SE
	s_and_saveexec_b32 s7, s0
; %bb.43:                               ;   in Loop: Header=BB122_20 Depth=1
	v_mov_b32_e32 v1, s28
	ds_store_b32 v7, v1 offset:4104
; %bb.44:                               ;   in Loop: Header=BB122_20 Depth=1
	s_wait_alu 0xfffe
	s_or_b32 exec_lo, exec_lo, s7
	s_mov_b32 s7, -1
	s_wait_loadcnt_dscnt 0x0
	s_barrier_signal -1
	s_barrier_wait -1
.LBB122_45:                             ;   in Loop: Header=BB122_20 Depth=1
	s_wait_alu 0xfffe
	s_and_b32 vcc_lo, exec_lo, s7
	s_mov_b32 s58, 0
	s_wait_alu 0xfffe
	s_cbranch_vccz .LBB122_47
; %bb.46:                               ;   in Loop: Header=BB122_20 Depth=1
	s_wait_loadcnt 0x0
	global_inv scope:SCOPE_SE
	ds_load_b32 v1, v7 offset:4104
	s_wait_dscnt 0x0
	v_readfirstlane_b32 s58, v1
.LBB122_47:                             ;   in Loop: Header=BB122_20 Depth=1
	s_delay_alu instid0(VALU_DEP_1)
	s_cmp_lt_i32 s58, 1
	s_mov_b32 s7, -1
                                        ; implicit-def: $vgpr1
	s_cbranch_scc1 .LBB122_57
; %bb.48:                               ;   in Loop: Header=BB122_20 Depth=1
	s_wait_alu 0xfffe
	s_and_b32 vcc_lo, exec_lo, s7
	s_wait_alu 0xfffe
	s_cbranch_vccnz .LBB122_68
.LBB122_49:                             ;   in Loop: Header=BB122_20 Depth=1
	v_lshlrev_b32_e32 v6, 7, v29
	s_and_saveexec_b32 s7, s3
.LBB122_50:                             ;   in Loop: Header=BB122_20 Depth=1
	s_delay_alu instid0(VALU_DEP_1)
	v_lshl_add_u32 v14, v6, 2, v19
	ds_store_b128 v14, v[1:4]
.LBB122_51:                             ;   in Loop: Header=BB122_20 Depth=1
	s_wait_alu 0xfffe
	s_or_b32 exec_lo, exec_lo, s7
	s_wait_loadcnt_dscnt 0x0
	s_barrier_signal -1
	s_barrier_wait -1
	global_inv scope:SCOPE_SE
	s_and_saveexec_b32 s7, s31
	s_cbranch_execz .LBB122_81
; %bb.52:                               ;   in Loop: Header=BB122_20 Depth=1
	v_mov_b32_e32 v1, 0
	s_and_not1_b32 vcc_lo, exec_lo, s56
	s_wait_alu 0xfffe
	s_cbranch_vccnz .LBB122_80
; %bb.53:                               ;   in Loop: Header=BB122_20 Depth=1
	s_and_not1_b32 vcc_lo, exec_lo, s67
	s_wait_alu 0xfffe
	s_cbranch_vccnz .LBB122_77
; %bb.54:                               ;   in Loop: Header=BB122_20 Depth=1
	v_lshl_add_u32 v2, v29, 9, v28
	v_mov_b32_e32 v1, 0
	s_mov_b32 s8, 0
.LBB122_55:                             ;   Parent Loop BB122_20 Depth=1
                                        ; =>  This Inner Loop Header: Depth=2
	ds_load_2addr_b32 v[3:4], v2 offset1:4
	ds_load_2addr_b32 v[32:33], v2 offset0:8 offset1:12
	ds_load_2addr_b32 v[34:35], v2 offset0:16 offset1:20
	;; [unrolled: 1-line block ×3, first 2 shown]
	v_add_nc_u32_e32 v2, 0x80, v2
	s_wait_alu 0xfffe
	s_add_co_i32 s8, s8, 8
	s_wait_alu 0xfffe
	s_cmp_eq_u32 s68, s8
	s_wait_dscnt 0x3
	v_add3_u32 v1, v3, v1, v4
	s_wait_dscnt 0x2
	s_delay_alu instid0(VALU_DEP_1) | instskip(SKIP_1) | instid1(VALU_DEP_1)
	v_add3_u32 v1, v32, v1, v33
	s_wait_dscnt 0x1
	v_add3_u32 v1, v34, v1, v35
	s_wait_dscnt 0x0
	s_delay_alu instid0(VALU_DEP_1)
	v_add3_u32 v1, v36, v1, v37
	s_cbranch_scc0 .LBB122_55
; %bb.56:                               ;   in Loop: Header=BB122_20 Depth=1
	s_mov_b32 s8, s68
	s_and_not1_b32 vcc_lo, exec_lo, s69
	s_wait_alu 0xfffe
	s_cbranch_vccz .LBB122_78
	s_branch .LBB122_80
.LBB122_57:                             ;   in Loop: Header=BB122_20 Depth=1
	v_dual_mov_b32 v1, 0 :: v_dual_mov_b32 v2, 0
	v_dual_mov_b32 v3, 0 :: v_dual_mov_b32 v4, 0
	s_and_saveexec_b32 s18, s4
	s_cbranch_execz .LBB122_61
; %bb.58:                               ;   in Loop: Header=BB122_20 Depth=1
	v_mov_b32_e32 v14, v17
	s_mov_b32 s19, 0
	s_mov_b32 s20, 0
	;; [unrolled: 1-line block ×6, first 2 shown]
.LBB122_59:                             ;   Parent Loop BB122_20 Depth=1
                                        ; =>  This Inner Loop Header: Depth=2
	s_wait_alu 0xfffe
	v_add_nc_u32_e32 v6, s20, v25
	v_add_nc_u32_e32 v14, s39, v14
	s_delay_alu instid0(VALU_DEP_2) | instskip(SKIP_1) | instid1(VALU_DEP_1)
	v_lshlrev_b64_e32 v[1:2], 2, v[6:7]
	v_add_nc_u32_e32 v6, s20, v12
	v_lshlrev_b64_e32 v[3:4], 2, v[6:7]
	v_add_nc_u32_e32 v6, s20, v23
	s_delay_alu instid0(VALU_DEP_4) | instskip(SKIP_2) | instid1(VALU_DEP_3)
	v_add_co_u32 v1, vcc_lo, s48, v1
	s_wait_alu 0xfffd
	v_add_co_ci_u32_e64 v2, null, s49, v2, vcc_lo
	v_lshlrev_b64_e32 v[32:33], 2, v[6:7]
	v_add_nc_u32_e32 v6, s20, v24
	s_add_co_i32 s20, s20, s72
	global_load_b32 v34, v[1:2], off
	v_add_co_u32 v1, vcc_lo, s48, v3
	s_wait_alu 0xfffd
	v_add_co_ci_u32_e64 v2, null, s49, v4, vcc_lo
	v_add_co_u32 v32, vcc_lo, s48, v32
	s_wait_alu 0xfffd
	v_add_co_ci_u32_e64 v33, null, s49, v33, vcc_lo
	v_lshlrev_b64_e32 v[3:4], 2, v[6:7]
	s_clause 0x1
	global_load_b32 v6, v[1:2], off
	global_load_b32 v32, v[32:33], off
	v_add_co_u32 v1, vcc_lo, s48, v3
	s_wait_alu 0xfffd
	v_add_co_ci_u32_e64 v2, null, s49, v4, vcc_lo
	v_cmp_le_u32_e32 vcc_lo, s70, v14
	global_load_b32 v1, v[1:2], off
	s_wait_loadcnt 0x3
	v_cmp_lt_i32_e64 s7, -1, v34
	s_wait_alu 0xf1ff
	s_delay_alu instid0(VALU_DEP_1) | instskip(SKIP_2) | instid1(VALU_DEP_2)
	v_cndmask_b32_e64 v2, -1, 0x80000000, s7
	s_wait_loadcnt 0x2
	v_cmp_lt_i32_e64 s7, -1, v6
	v_xor_b32_e32 v2, v2, v34
	s_wait_loadcnt 0x1
	v_cmp_lt_i32_e64 s8, -1, v32
	s_wait_alu 0xf1ff
	v_cndmask_b32_e64 v3, -1, 0x80000000, s7
	v_cmp_o_f32_e64 s7, v34, v34
	s_delay_alu instid0(VALU_DEP_3) | instskip(NEXT) | instid1(VALU_DEP_3)
	v_cndmask_b32_e64 v4, -1, 0x80000000, s8
	v_xor_b32_e32 v3, v3, v6
	s_wait_alu 0xf1ff
	s_delay_alu instid0(VALU_DEP_3)
	v_cndmask_b32_e64 v2, -1, v2, s7
	v_cmp_o_f32_e64 s7, v6, v6
	v_xor_b32_e32 v4, v4, v32
	s_wait_loadcnt 0x0
	v_cmp_o_f32_e64 s12, v1, v1
	v_and_b32_e32 v33, v2, v30
	s_wait_alu 0xf1ff
	v_cndmask_b32_e64 v3, -1, v3, s7
	v_cmp_lt_i32_e64 s7, -1, v1
	v_bfe_u32 v2, v2, s81, 2
	s_wait_alu 0xf1ff
	s_delay_alu instid0(VALU_DEP_2) | instskip(SKIP_1) | instid1(VALU_DEP_3)
	v_cndmask_b32_e64 v6, -1, 0x80000000, s7
	v_cmp_o_f32_e64 s7, v32, v32
	v_cmp_eq_u32_e64 s8, 0, v2
	v_and_b32_e32 v32, v3, v30
	v_bfe_u32 v3, v3, s81, 2
	v_xor_b32_e32 v6, v6, v1
	s_wait_alu 0xf1ff
	v_cndmask_b32_e64 v4, -1, v4, s7
	v_cmp_eq_u32_e64 s7, v33, v22
	v_cmp_eq_u32_e64 s9, 1, v2
	;; [unrolled: 1-line block ×4, first 2 shown]
	v_cndmask_b32_e64 v1, -1, v6, s12
	s_and_b32 s8, s7, s8
	v_cmp_eq_u32_e64 s12, v32, v22
	v_cmp_eq_u32_e64 s13, 0, v3
	s_wait_alu 0xfffe
	v_cndmask_b32_e64 v6, 0, 1, s8
	v_cmp_eq_u32_e64 s8, 1, v3
	s_and_b32 s9, s7, s9
	v_and_b32_e32 v2, v4, v30
	v_bfe_u32 v4, v4, s81, 2
	s_wait_alu 0xfffe
	v_cndmask_b32_e64 v32, 0, 1, s9
	v_cmp_eq_u32_e64 s9, 2, v3
	s_and_b32 s10, s7, s10
	s_and_b32 s7, s7, s11
	s_wait_alu 0xfffe
	v_cndmask_b32_e64 v33, 0, 1, s10
	s_and_b32 s13, s12, s13
	s_and_b32 s8, s12, s8
	v_cmp_eq_u32_e64 s10, 3, v3
	v_cndmask_b32_e64 v3, 0, 1, s7
	v_cmp_eq_u32_e64 s7, v2, v22
	v_cmp_eq_u32_e64 s11, 0, v4
	v_cmp_ne_u32_e64 s14, 0, v6
	s_wait_alu 0xfffe
	v_cndmask_b32_e64 v6, 0, 1, s13
	v_cmp_eq_u32_e64 s13, 1, v4
	v_cmp_ne_u32_e64 s15, 0, v32
	v_cndmask_b32_e64 v32, 0, 1, s8
	v_cmp_eq_u32_e64 s8, 2, v4
	s_and_b32 s9, s12, s9
	v_and_b32_e32 v2, v1, v30
	v_bfe_u32 v1, v1, s81, 2
	v_cmp_ne_u32_e64 s16, 0, v33
	s_wait_alu 0xfffe
	v_cndmask_b32_e64 v33, 0, 1, s9
	v_cmp_eq_u32_e64 s9, 3, v4
	s_and_b32 s10, s12, s10
	s_and_b32 s11, s7, s11
	;; [unrolled: 1-line block ×4, first 2 shown]
	v_cmp_ne_u32_e64 s17, 0, v3
	s_wait_alu 0xfffe
	v_cndmask_b32_e64 v3, 0, 1, s10
	v_cmp_eq_u32_e64 s10, v2, v22
	v_cmp_eq_u32_e64 s12, 0, v1
	s_bcnt1_i32_b32 s25, s14
	v_cmp_ne_u32_e64 s14, 0, v6
	v_cndmask_b32_e64 v2, 0, 1, s11
	v_cmp_eq_u32_e64 s11, 1, v1
	v_cndmask_b32_e64 v4, 0, 1, s13
	v_cmp_eq_u32_e64 s13, 2, v1
	;; [unrolled: 2-line block ×3, first 2 shown]
	s_and_b32 s7, s7, s9
	s_bcnt1_i32_b32 s83, s17
	s_wait_alu 0xfffe
	v_cndmask_b32_e64 v1, 0, 1, s7
	v_cmp_ne_u32_e64 s17, 0, v3
	s_and_b32 s9, s10, s12
	s_and_b32 s11, s10, s11
	;; [unrolled: 1-line block ×4, first 2 shown]
	v_cmp_ne_u32_e64 s7, 0, v2
	s_wait_alu 0xfffe
	v_cndmask_b32_e64 v2, 0, 1, s9
	v_cmp_ne_u32_e64 s9, 0, v4
	v_cndmask_b32_e64 v3, 0, 1, s11
	v_cndmask_b32_e64 v4, 0, 1, s12
	v_cmp_ne_u32_e64 s12, 0, v1
	v_cndmask_b32_e64 v1, 0, 1, s8
	s_bcnt1_i32_b32 s26, s15
	v_cmp_ne_u32_e64 s15, 0, v32
	s_bcnt1_i32_b32 s82, s16
	v_cmp_ne_u32_e64 s16, 0, v33
	s_add_co_i32 s21, s83, s21
	v_cmp_ne_u32_e64 s11, 0, v6
	s_bcnt1_i32_b32 s13, s17
	s_bcnt1_i32_b32 s17, s7
	s_wait_alu 0xfffe
	s_add_co_i32 s13, s21, s13
	v_cmp_ne_u32_e64 s7, 0, v2
	s_bcnt1_i32_b32 s21, s9
	v_cmp_ne_u32_e64 s8, 0, v3
	v_cmp_ne_u32_e64 s9, 0, v4
	;; [unrolled: 1-line block ×3, first 2 shown]
	s_add_co_i32 s24, s25, s24
	s_add_co_i32 s23, s26, s23
	;; [unrolled: 1-line block ×3, first 2 shown]
	s_bcnt1_i32_b32 s14, s14
	s_bcnt1_i32_b32 s15, s15
	;; [unrolled: 1-line block ×3, first 2 shown]
	s_wait_alu 0xfffe
	s_add_co_i32 s14, s24, s14
	s_add_co_i32 s15, s23, s15
	;; [unrolled: 1-line block ×3, first 2 shown]
	s_bcnt1_i32_b32 s11, s11
	s_bcnt1_i32_b32 s12, s12
	s_wait_alu 0xfffe
	s_add_co_i32 s14, s14, s17
	s_add_co_i32 s15, s15, s21
	;; [unrolled: 1-line block ×4, first 2 shown]
	s_bcnt1_i32_b32 s7, s7
	s_bcnt1_i32_b32 s8, s8
	;; [unrolled: 1-line block ×4, first 2 shown]
	s_wait_alu 0xfffe
	s_add_co_i32 s24, s14, s7
	s_add_co_i32 s23, s15, s8
	;; [unrolled: 1-line block ×4, first 2 shown]
	s_wait_alu 0xfffe
	v_dual_mov_b32 v1, s24 :: v_dual_mov_b32 v2, s23
	v_dual_mov_b32 v3, s22 :: v_dual_mov_b32 v4, s21
	s_or_b32 s19, vcc_lo, s19
	s_wait_alu 0xfffe
	s_and_not1_b32 exec_lo, exec_lo, s19
	s_cbranch_execnz .LBB122_59
; %bb.60:                               ;   in Loop: Header=BB122_20 Depth=1
	s_or_b32 exec_lo, exec_lo, s19
.LBB122_61:                             ;   in Loop: Header=BB122_20 Depth=1
	s_wait_alu 0xfffe
	s_or_b32 exec_lo, exec_lo, s18
	s_and_saveexec_b32 s11, s5
	s_cbranch_execz .LBB122_67
; %bb.62:                               ;   in Loop: Header=BB122_20 Depth=1
	global_load_b32 v33, v[10:11], off
	v_mov_b32_e32 v6, v26
	v_mov_b32_e32 v14, v20
	s_mov_b32 s12, 0
	s_branch .LBB122_64
.LBB122_63:                             ;   in Loop: Header=BB122_64 Depth=2
	s_wait_alu 0xfffe
	s_or_b32 exec_lo, exec_lo, s8
	s_wait_loadcnt 0x0
	v_cmp_lt_i32_e64 s7, -1, v33
	s_and_b32 s8, exec_lo, vcc_lo
	v_add_nc_u32_e32 v6, s47, v6
	s_wait_alu 0xfffe
	s_or_b32 s12, s8, s12
	v_cndmask_b32_e64 v34, -1, 0x80000000, s7
	v_cmp_o_f32_e64 s7, v33, v33
	s_delay_alu instid0(VALU_DEP_2) | instskip(SKIP_1) | instid1(VALU_DEP_1)
	v_xor_b32_e32 v34, v34, v33
	s_wait_alu 0xf1ff
	v_cndmask_b32_e64 v33, -1, v34, s7
	s_delay_alu instid0(VALU_DEP_1) | instskip(SKIP_1) | instid1(VALU_DEP_2)
	v_and_b32_e32 v34, v33, v30
	v_bfe_u32 v33, v33, s81, 2
	v_cmp_eq_u32_e32 vcc_lo, v34, v22
	s_delay_alu instid0(VALU_DEP_2)
	v_cmp_eq_u32_e64 s7, 0, v33
	v_cmp_eq_u32_e64 s8, 1, v33
	;; [unrolled: 1-line block ×4, first 2 shown]
	s_and_b32 s7, vcc_lo, s7
	s_wait_alu 0xfffe
	v_cndmask_b32_e64 v33, 0, 1, s7
	s_and_b32 s7, vcc_lo, s8
	s_wait_alu 0xfffe
	v_cndmask_b32_e64 v34, 0, 1, s7
	;; [unrolled: 3-line block ×3, first 2 shown]
	s_and_b32 s7, vcc_lo, s10
	v_cmp_ne_u32_e32 vcc_lo, 0, v33
	s_wait_alu 0xfffe
	v_cndmask_b32_e64 v36, 0, 1, s7
	v_cmp_ne_u32_e64 s7, 0, v34
	v_cmp_ne_u32_e64 s8, 0, v35
	v_mov_b32_e32 v33, v32
	s_bcnt1_i32_b32 s10, vcc_lo
	v_cmp_ne_u32_e64 s9, 0, v36
	s_bcnt1_i32_b32 s7, s7
	s_bcnt1_i32_b32 s8, s8
	s_wait_alu 0xfffe
	v_add_nc_u32_e32 v1, s10, v1
	v_add_nc_u32_e32 v2, s7, v2
	s_bcnt1_i32_b32 s9, s9
	v_add_nc_u32_e32 v3, s8, v3
	s_wait_alu 0xfffe
	v_add_nc_u32_e32 v4, s9, v4
	s_and_not1_b32 exec_lo, exec_lo, s12
	s_cbranch_execz .LBB122_66
.LBB122_64:                             ;   Parent Loop BB122_20 Depth=1
                                        ; =>  This Inner Loop Header: Depth=2
	s_delay_alu instid0(VALU_DEP_1) | instskip(SKIP_2) | instid1(VALU_DEP_2)
	v_add_nc_u32_e32 v14, s29, v14
	v_mov_b32_e32 v32, 0
	s_mov_b32 s8, exec_lo
	v_cmp_le_u32_e32 vcc_lo, s28, v14
	v_cmpx_gt_u32_e64 s28, v14
	s_cbranch_execz .LBB122_63
; %bb.65:                               ;   in Loop: Header=BB122_64 Depth=2
	v_lshlrev_b64_e32 v[34:35], 2, v[6:7]
	s_delay_alu instid0(VALU_DEP_1) | instskip(SKIP_1) | instid1(VALU_DEP_2)
	v_add_co_u32 v34, s7, s48, v34
	s_wait_alu 0xf1fe
	v_add_co_ci_u32_e64 v35, null, s49, v35, s7
	global_load_b32 v32, v[34:35], off
	s_branch .LBB122_63
.LBB122_66:                             ;   in Loop: Header=BB122_20 Depth=1
	s_or_b32 exec_lo, exec_lo, s12
.LBB122_67:                             ;   in Loop: Header=BB122_20 Depth=1
	s_wait_alu 0xfffe
	s_or_b32 exec_lo, exec_lo, s11
	s_branch .LBB122_49
.LBB122_68:                             ;   in Loop: Header=BB122_20 Depth=1
	s_mul_u64 s[8:9], s[58:59], s[60:61]
	v_dual_mov_b32 v1, 0 :: v_dual_mov_b32 v2, 0
	s_wait_alu 0xfffe
	s_mul_i32 s7, s9, s39
	v_dual_mov_b32 v3, 0 :: v_dual_mov_b32 v4, 0
	s_wait_alu 0xfffe
	s_sub_co_i32 s7, s58, s7
	s_mov_b32 s83, exec_lo
	s_wait_alu 0xfffe
	s_sub_co_i32 s8, s7, s39
	s_cmp_ge_u32 s7, s39
	s_wait_alu 0xfffe
	s_cselect_b32 s7, s8, s7
	s_wait_alu 0xfffe
	s_sub_co_i32 s8, s7, s39
	s_cmp_ge_u32 s7, s39
	s_wait_alu 0xfffe
	s_cselect_b32 s7, s8, s7
	s_wait_alu 0xfffe
	s_sub_co_i32 s82, s58, s7
	s_wait_alu 0xfffe
	v_cmpx_gt_u32_e64 s82, v17
	s_cbranch_execz .LBB122_72
; %bb.69:                               ;   in Loop: Header=BB122_20 Depth=1
	v_mov_b32_e32 v6, v27
	v_mov_b32_e32 v14, v17
	s_mov_b32 s84, 0
	s_mov_b32 s85, 0
	;; [unrolled: 1-line block ×5, first 2 shown]
.LBB122_70:                             ;   Parent Loop BB122_20 Depth=1
                                        ; =>  This Inner Loop Header: Depth=2
	ds_load_b128 v[1:4], v6
	s_wait_dscnt 0x0
	v_cmp_lt_i32_e64 s7, -1, v1
	v_cmp_o_f32_e64 s10, v1, v1
	v_cmp_o_f32_e64 s8, v3, v3
	;; [unrolled: 1-line block ×3, first 2 shown]
	s_wait_alu 0xf1ff
	v_cndmask_b32_e64 v32, -1, 0x80000000, s7
	v_cmp_lt_i32_e64 s7, -1, v2
	s_delay_alu instid0(VALU_DEP_2) | instskip(SKIP_1) | instid1(VALU_DEP_2)
	v_xor_b32_e32 v32, v32, v1
	s_wait_alu 0xf1ff
	v_cndmask_b32_e64 v33, -1, 0x80000000, s7
	v_cmp_lt_i32_e64 s7, -1, v3
	s_delay_alu instid0(VALU_DEP_3) | instskip(NEXT) | instid1(VALU_DEP_3)
	v_cndmask_b32_e64 v1, -1, v32, s10
	v_xor_b32_e32 v33, v33, v2
	s_wait_alu 0xf1ff
	s_delay_alu instid0(VALU_DEP_3) | instskip(SKIP_4) | instid1(VALU_DEP_3)
	v_cndmask_b32_e64 v34, -1, 0x80000000, s7
	v_cmp_lt_i32_e64 s7, -1, v4
	v_and_b32_e32 v32, v1, v30
	v_bfe_u32 v1, v1, s81, 2
	s_wait_alu 0xf1ff
	v_cndmask_b32_e64 v35, -1, 0x80000000, s7
	v_cmp_o_f32_e64 s7, v2, v2
	v_xor_b32_e32 v2, v34, v3
	v_cmp_eq_u32_e64 s11, 0, v1
	v_cmp_eq_u32_e64 s15, 1, v1
	v_xor_b32_e32 v3, v35, v4
	s_wait_alu 0xf1ff
	v_cndmask_b32_e64 v4, -1, v33, s7
	v_cndmask_b32_e64 v2, -1, v2, s8
	v_cmp_eq_u32_e64 s7, v32, v22
	v_cmp_eq_u32_e64 s19, 2, v1
	v_cndmask_b32_e64 v3, -1, v3, s9
	v_and_b32_e32 v33, v4, v30
	v_bfe_u32 v4, v4, s81, 2
	v_and_b32_e32 v34, v2, v30
	v_bfe_u32 v2, v2, s81, 2
	v_and_b32_e32 v35, v3, v30
	v_bfe_u32 v3, v3, s81, 2
	v_cmp_eq_u32_e64 s8, v33, v22
	v_cmp_eq_u32_e64 s12, 0, v4
	;; [unrolled: 1-line block ×4, first 2 shown]
	s_and_b32 s11, s7, s11
	v_cmp_eq_u32_e64 s10, v35, v22
	v_cmp_eq_u32_e64 s14, 0, v3
	;; [unrolled: 1-line block ×3, first 2 shown]
	s_wait_alu 0xfffe
	v_cndmask_b32_e64 v1, 0, 1, s11
	s_and_b32 s11, s8, s12
	v_cmp_eq_u32_e64 s17, 1, v2
	v_cmp_eq_u32_e64 s21, 2, v2
	v_cmp_eq_u32_e64 s25, 3, v2
	s_wait_alu 0xfffe
	v_cndmask_b32_e64 v2, 0, 1, s11
	s_and_b32 s11, s9, s13
	v_cmp_eq_u32_e64 s16, 1, v4
	v_cmp_eq_u32_e64 s18, 1, v3
	;; [unrolled: 1-line block ×4, first 2 shown]
	s_wait_alu 0xfffe
	v_cndmask_b32_e64 v3, 0, 1, s11
	s_and_b32 s11, s10, s14
	v_cmp_eq_u32_e64 s20, 2, v4
	v_cmp_eq_u32_e64 s24, 3, v4
	s_wait_alu 0xfffe
	v_cndmask_b32_e64 v4, 0, 1, s11
	s_and_b32 s11, s7, s15
	s_wait_alu 0xfffe
	v_cndmask_b32_e64 v32, 0, 1, s11
	s_and_b32 s11, s8, s16
	;; [unrolled: 3-line block ×4, first 2 shown]
	v_cmp_ne_u32_e64 s12, 0, v33
	s_wait_alu 0xfffe
	v_cndmask_b32_e64 v35, 0, 1, s11
	s_and_b32 s11, s7, s19
	s_and_b32 s7, s7, s23
	s_wait_alu 0xfffe
	v_cndmask_b32_e64 v36, 0, 1, s11
	v_cndmask_b32_e64 v40, 0, 1, s7
	s_and_b32 s7, s8, s24
	s_and_b32 s11, s8, s20
	s_wait_alu 0xfffe
	v_cndmask_b32_e64 v41, 0, 1, s7
	s_and_b32 s7, s9, s25
	v_cndmask_b32_e64 v37, 0, 1, s11
	s_wait_alu 0xfffe
	v_cndmask_b32_e64 v42, 0, 1, s7
	s_and_b32 s7, s10, s26
	s_and_b32 s11, s9, s21
	s_wait_alu 0xfffe
	v_cndmask_b32_e64 v43, 0, 1, s7
	v_cmp_ne_u32_e64 s7, 0, v1
	v_cmp_ne_u32_e64 s8, 0, v2
	v_cndmask_b32_e64 v38, 0, 1, s11
	s_and_b32 s11, s10, s22
	v_cmp_ne_u32_e64 s9, 0, v3
	s_wait_alu 0xfffe
	v_cndmask_b32_e64 v39, 0, 1, s11
	v_cmp_ne_u32_e64 s11, 0, v32
	v_cmp_ne_u32_e64 s15, 0, v36
	v_cmp_ne_u32_e64 s19, 0, v40
	s_bcnt1_i32_b32 s7, s7
	v_cmp_ne_u32_e64 s10, 0, v4
	v_cmp_ne_u32_e64 s16, 0, v37
	;; [unrolled: 1-line block ×3, first 2 shown]
	s_bcnt1_i32_b32 s8, s8
	s_wait_alu 0xfffe
	s_add_co_i32 s7, s7, s88
	v_cmp_ne_u32_e64 s13, 0, v34
	v_cmp_ne_u32_e64 s17, 0, v38
	;; [unrolled: 1-line block ×3, first 2 shown]
	s_bcnt1_i32_b32 s9, s9
	s_wait_alu 0xfffe
	s_add_co_i32 s7, s7, s8
	s_bcnt1_i32_b32 s11, s11
	s_bcnt1_i32_b32 s15, s15
	;; [unrolled: 1-line block ×3, first 2 shown]
	v_cmp_ne_u32_e64 s14, 0, v35
	v_cmp_ne_u32_e64 s18, 0, v39
	;; [unrolled: 1-line block ×3, first 2 shown]
	s_bcnt1_i32_b32 s10, s10
	s_wait_alu 0xfffe
	s_add_co_i32 s7, s7, s9
	s_bcnt1_i32_b32 s12, s12
	s_bcnt1_i32_b32 s16, s16
	;; [unrolled: 1-line block ×3, first 2 shown]
	s_add_co_i32 s11, s11, s87
	s_add_co_i32 s15, s15, s86
	;; [unrolled: 1-line block ×3, first 2 shown]
	s_wait_alu 0xfffe
	s_add_co_i32 s88, s7, s10
	s_wait_alu 0xfffe
	v_dual_mov_b32 v1, s88 :: v_dual_add_nc_u32 v14, s39, v14
	s_bcnt1_i32_b32 s13, s13
	s_bcnt1_i32_b32 s17, s17
	;; [unrolled: 1-line block ×3, first 2 shown]
	s_add_co_i32 s8, s11, s12
	s_add_co_i32 s11, s15, s16
	s_add_co_i32 s12, s19, s20
	s_bcnt1_i32_b32 s14, s14
	s_bcnt1_i32_b32 s18, s18
	;; [unrolled: 1-line block ×3, first 2 shown]
	s_wait_alu 0xfffe
	s_add_co_i32 s8, s8, s13
	s_add_co_i32 s9, s11, s17
	;; [unrolled: 1-line block ×3, first 2 shown]
	v_cmp_le_u32_e32 vcc_lo, s82, v14
	s_wait_alu 0xfffe
	s_add_co_i32 s87, s8, s14
	s_add_co_i32 s86, s9, s18
	;; [unrolled: 1-line block ×3, first 2 shown]
	s_wait_alu 0xfffe
	v_dual_mov_b32 v3, s86 :: v_dual_add_nc_u32 v6, s73, v6
	v_mov_b32_e32 v2, s87
	v_mov_b32_e32 v4, s85
	s_or_b32 s84, vcc_lo, s84
	s_wait_alu 0xfffe
	s_and_not1_b32 exec_lo, exec_lo, s84
	s_cbranch_execnz .LBB122_70
; %bb.71:                               ;   in Loop: Header=BB122_20 Depth=1
	s_or_b32 exec_lo, exec_lo, s84
.LBB122_72:                             ;   in Loop: Header=BB122_20 Depth=1
	s_delay_alu instid0(SALU_CYCLE_1) | instskip(SKIP_2) | instid1(VALU_DEP_1)
	s_or_b32 exec_lo, exec_lo, s83
	v_add_nc_u32_e32 v6, s82, v0
	s_mov_b32 s12, exec_lo
	v_cmpx_gt_u32_e64 s58, v6
	s_cbranch_execz .LBB122_76
; %bb.73:                               ;   in Loop: Header=BB122_20 Depth=1
	v_lshlrev_b32_e32 v14, 2, v6
	s_mov_b32 s13, 0
.LBB122_74:                             ;   Parent Loop BB122_20 Depth=1
                                        ; =>  This Inner Loop Header: Depth=2
	ds_load_b32 v32, v14
	v_add_nc_u32_e32 v6, s29, v6
	v_add_nc_u32_e32 v14, s39, v14
	s_delay_alu instid0(VALU_DEP_2) | instskip(SKIP_3) | instid1(VALU_DEP_1)
	v_cmp_le_u32_e32 vcc_lo, s58, v6
	s_wait_dscnt 0x0
	v_cmp_lt_i32_e64 s7, -1, v32
	s_wait_alu 0xf1ff
	v_cndmask_b32_e64 v33, -1, 0x80000000, s7
	v_cmp_o_f32_e64 s7, v32, v32
	s_delay_alu instid0(VALU_DEP_2) | instskip(SKIP_1) | instid1(VALU_DEP_1)
	v_xor_b32_e32 v33, v33, v32
	s_wait_alu 0xf1ff
	v_cndmask_b32_e64 v32, -1, v33, s7
	s_delay_alu instid0(VALU_DEP_1) | instskip(SKIP_1) | instid1(VALU_DEP_2)
	v_and_b32_e32 v33, v32, v30
	v_bfe_u32 v32, v32, s81, 2
	v_cmp_eq_u32_e64 s7, v33, v22
	s_delay_alu instid0(VALU_DEP_2)
	v_cmp_eq_u32_e64 s8, 0, v32
	v_cmp_eq_u32_e64 s9, 1, v32
	;; [unrolled: 1-line block ×4, first 2 shown]
	s_and_b32 s8, s7, s8
	s_wait_alu 0xfffe
	v_cndmask_b32_e64 v32, 0, 1, s8
	s_and_b32 s8, s7, s9
	s_wait_alu 0xfffe
	v_cndmask_b32_e64 v33, 0, 1, s8
	s_and_b32 s8, s7, s10
	s_and_b32 s7, s7, s11
	s_wait_alu 0xfffe
	v_cndmask_b32_e64 v34, 0, 1, s8
	v_cndmask_b32_e64 v35, 0, 1, s7
	v_cmp_ne_u32_e64 s7, 0, v32
	v_cmp_ne_u32_e64 s8, 0, v33
	s_delay_alu instid0(VALU_DEP_4) | instskip(NEXT) | instid1(VALU_DEP_4)
	v_cmp_ne_u32_e64 s9, 0, v34
	v_cmp_ne_u32_e64 s10, 0, v35
	s_bcnt1_i32_b32 s7, s7
	s_bcnt1_i32_b32 s8, s8
	s_wait_alu 0xfffe
	v_add_nc_u32_e32 v1, s7, v1
	s_bcnt1_i32_b32 s9, s9
	s_bcnt1_i32_b32 s10, s10
	v_add_nc_u32_e32 v2, s8, v2
	s_wait_alu 0xfffe
	v_add_nc_u32_e32 v3, s9, v3
	v_add_nc_u32_e32 v4, s10, v4
	s_or_b32 s13, vcc_lo, s13
	s_wait_alu 0xfffe
	s_and_not1_b32 exec_lo, exec_lo, s13
	s_cbranch_execnz .LBB122_74
; %bb.75:                               ;   in Loop: Header=BB122_20 Depth=1
	s_or_b32 exec_lo, exec_lo, s13
.LBB122_76:                             ;   in Loop: Header=BB122_20 Depth=1
	s_wait_alu 0xfffe
	s_or_b32 exec_lo, exec_lo, s12
	v_lshlrev_b32_e32 v6, 7, v29
	s_and_saveexec_b32 s7, s3
	s_cbranch_execnz .LBB122_50
	s_branch .LBB122_51
.LBB122_77:                             ;   in Loop: Header=BB122_20 Depth=1
	v_mov_b32_e32 v1, 0
	s_mov_b32 s8, 0
	s_and_not1_b32 vcc_lo, exec_lo, s69
	s_wait_alu 0xfffe
	s_cbranch_vccnz .LBB122_80
.LBB122_78:                             ;   in Loop: Header=BB122_20 Depth=1
	v_lshlrev_b32_e32 v2, 9, v29
	s_lshl_b32 s8, s8, 4
	s_wait_alu 0xfffe
	s_delay_alu instid0(VALU_DEP_1)
	v_add3_u32 v2, v2, s8, v28
	s_mov_b32 s8, s66
.LBB122_79:                             ;   Parent Loop BB122_20 Depth=1
                                        ; =>  This Inner Loop Header: Depth=2
	ds_load_b32 v3, v2
	v_add_nc_u32_e32 v2, 16, v2
	s_wait_alu 0xfffe
	s_add_co_i32 s8, s8, -1
	s_wait_alu 0xfffe
	s_cmp_lg_u32 s8, 0
	s_wait_dscnt 0x0
	v_add_nc_u32_e32 v1, v3, v1
	s_cbranch_scc1 .LBB122_79
.LBB122_80:                             ;   in Loop: Header=BB122_20 Depth=1
	v_add_lshl_u32 v2, v6, v16, 2
	ds_store_b32 v2, v1 offset:3072
.LBB122_81:                             ;   in Loop: Header=BB122_20 Depth=1
	s_wait_alu 0xfffe
	s_or_b32 exec_lo, exec_lo, s7
	v_lshlrev_b32_e32 v1, 2, v6
	s_wait_loadcnt_dscnt 0x0
	s_barrier_signal -1
	s_barrier_wait -1
	global_inv scope:SCOPE_SE
	ds_load_b128 v[1:4], v1 offset:3072
	s_lshl_b32 s8, 3, s81
	v_cmp_eq_u32_e32 vcc_lo, 1, v31
	s_wait_alu 0xfffe
	s_not_b32 s15, s8
	s_mov_b32 s11, -1
	s_mov_b32 s19, -1
                                        ; implicit-def: $sgpr16
                                        ; implicit-def: $sgpr13
	s_wait_dscnt 0x0
	v_readfirstlane_b32 s10, v1
	v_readfirstlane_b32 s17, v2
	;; [unrolled: 1-line block ×4, first 2 shown]
	s_cmp_eq_u32 s10, 1
	s_cselect_b32 s9, -1, 0
	s_wait_alu 0xfffe
	s_and_b32 s12, s9, vcc_lo
	s_wait_alu 0xfffe
	s_and_saveexec_b32 s9, s12
	s_cbranch_execz .LBB122_109
; %bb.82:                               ;   in Loop: Header=BB122_20 Depth=1
	ds_load_b32 v1, v7 offset:4104
	s_wait_loadcnt_dscnt 0x0
	s_barrier_signal -1
	s_barrier_wait -1
	global_inv scope:SCOPE_SE
	v_readfirstlane_b32 s19, v1
	s_and_saveexec_b32 s13, s1
; %bb.83:                               ;   in Loop: Header=BB122_20 Depth=1
	ds_store_b32 v18, v7
; %bb.84:                               ;   in Loop: Header=BB122_20 Depth=1
	s_wait_alu 0xfffe
	s_or_b32 exec_lo, exec_lo, s13
	v_and_b32_e32 v22, s15, v22
	v_or_b32_e32 v30, s8, v30
	s_mov_b32 s13, -1
	s_mov_b32 s16, 0
	s_cmp_eq_u32 s19, 0
	s_mov_b32 s18, 0
	s_mov_b32 s20, -1
	s_wait_loadcnt_dscnt 0x0
	s_barrier_signal -1
	s_barrier_wait -1
	global_inv scope:SCOPE_SE
                                        ; implicit-def: $vgpr15
	s_cbranch_scc1 .LBB122_96
; %bb.85:                               ;   in Loop: Header=BB122_20 Depth=1
	s_add_co_i32 s58, s19, s43
                                        ; implicit-def: $vgpr15
	s_wait_alu 0xfffe
	s_mul_u64 s[20:21], s[58:59], s[62:63]
	s_wait_alu 0xfffe
	s_mul_i32 s18, s21, s29
	s_mov_b32 s21, exec_lo
	s_wait_alu 0xfffe
	s_sub_co_i32 s18, s58, s18
	s_wait_alu 0xfffe
	s_sub_co_i32 s20, s18, s29
	s_cmp_ge_u32 s18, s29
	s_wait_alu 0xfffe
	s_cselect_b32 s18, s20, s18
	s_wait_alu 0xfffe
	s_sub_co_i32 s20, s18, s29
	s_cmp_ge_u32 s18, s29
	s_wait_alu 0xfffe
	s_cselect_b32 s18, s20, s18
	s_mov_b32 s20, 0
	s_wait_alu 0xfffe
	s_sub_co_i32 s22, s58, s18
	s_mov_b32 s18, 0
	s_wait_alu 0xfffe
	v_cmpx_gt_u32_e64 s22, v0
	s_cbranch_execz .LBB122_95
; %bb.86:                               ;   in Loop: Header=BB122_20 Depth=1
	v_dual_mov_b32 v1, v17 :: v_dual_mov_b32 v2, v0
                                        ; implicit-def: $sgpr23
	s_branch .LBB122_90
.LBB122_87:                             ;   in Loop: Header=BB122_90 Depth=2
	s_wait_alu 0xfffe
	s_or_b32 exec_lo, exec_lo, s24
	s_wait_loadcnt_dscnt 0x0
	s_barrier_signal -1
	s_barrier_wait -1
	global_inv scope:SCOPE_SE
	ds_load_b64 v[14:15], v7 offset:3072
	s_wait_loadcnt_dscnt 0x0
	s_barrier_signal -1
	s_barrier_wait -1
	global_inv scope:SCOPE_SE
	v_cmp_neq_f32_e32 vcc_lo, 0, v14
	s_cbranch_vccnz .LBB122_93
; %bb.88:                               ;   in Loop: Header=BB122_90 Depth=2
	v_add_nc_u32_e32 v2, s29, v2
	v_add_nc_u32_e32 v1, s39, v1
	s_mov_b32 s24, 0
	s_delay_alu instid0(VALU_DEP_2)
	v_cmp_le_u32_e32 vcc_lo, s22, v2
	s_or_not1_b32 s25, vcc_lo, exec_lo
.LBB122_89:                             ;   in Loop: Header=BB122_90 Depth=2
	s_wait_alu 0xfffe
	s_and_b32 s25, exec_lo, s25
	s_wait_alu 0xfffe
	s_or_b32 s18, s25, s18
	s_and_not1_b32 s23, s23, exec_lo
	s_and_b32 s24, s24, exec_lo
	s_wait_alu 0xfffe
	s_or_b32 s23, s23, s24
	s_and_not1_b32 exec_lo, exec_lo, s18
	s_cbranch_execz .LBB122_94
.LBB122_90:                             ;   Parent Loop BB122_20 Depth=1
                                        ; =>  This Inner Loop Header: Depth=2
	s_mov_b32 s24, exec_lo
	s_delay_alu instid0(VALU_DEP_1)
	v_cmpx_gt_u32_e64 s19, v2
	s_cbranch_execz .LBB122_87
; %bb.91:                               ;   in Loop: Header=BB122_90 Depth=2
	ds_load_b32 v14, v1
	s_wait_dscnt 0x0
	v_cmp_lt_i32_e32 vcc_lo, -1, v14
	s_wait_alu 0xfffd
	v_cndmask_b32_e64 v3, -1, 0x80000000, vcc_lo
	v_cmp_o_f32_e32 vcc_lo, v14, v14
	s_delay_alu instid0(VALU_DEP_2) | instskip(SKIP_1) | instid1(VALU_DEP_1)
	v_xor_b32_e32 v3, v3, v14
	s_wait_alu 0xfffd
	v_cndmask_b32_e32 v3, -1, v3, vcc_lo
	s_delay_alu instid0(VALU_DEP_1) | instskip(NEXT) | instid1(VALU_DEP_1)
	v_and_b32_e32 v3, v3, v30
	v_cmp_eq_u32_e32 vcc_lo, v3, v22
	s_and_b32 exec_lo, exec_lo, vcc_lo
	s_cbranch_execz .LBB122_87
; %bb.92:                               ;   in Loop: Header=BB122_90 Depth=2
	ds_store_b64 v7, v[13:14] offset:3072
	s_branch .LBB122_87
.LBB122_93:                             ;   in Loop: Header=BB122_90 Depth=2
	s_mov_b32 s25, -1
	s_mov_b32 s24, -1
                                        ; implicit-def: $vgpr2
                                        ; implicit-def: $vgpr1
	s_branch .LBB122_89
.LBB122_94:                             ;   in Loop: Header=BB122_20 Depth=1
	s_or_b32 exec_lo, exec_lo, s18
	s_wait_alu 0xfffe
	s_and_b32 s18, s23, exec_lo
.LBB122_95:                             ;   in Loop: Header=BB122_20 Depth=1
	s_or_b32 exec_lo, exec_lo, s21
.LBB122_96:                             ;   in Loop: Header=BB122_20 Depth=1
	s_wait_alu 0xfffe
	s_and_b32 vcc_lo, exec_lo, s20
	s_wait_alu 0xfffe
	s_cbranch_vccz .LBB122_108
; %bb.97:                               ;   in Loop: Header=BB122_20 Depth=1
                                        ; implicit-def: $vgpr15
	s_and_saveexec_b32 s13, s6
	s_cbranch_execz .LBB122_107
; %bb.98:                               ;   in Loop: Header=BB122_20 Depth=1
	v_dual_mov_b32 v6, v5 :: v_dual_mov_b32 v1, v0
	s_mov_b32 s16, 0
                                        ; implicit-def: $sgpr19
	s_branch .LBB122_102
.LBB122_99:                             ;   in Loop: Header=BB122_102 Depth=2
	s_wait_alu 0xfffe
	s_or_b32 exec_lo, exec_lo, s20
	s_wait_loadcnt_dscnt 0x0
	s_barrier_signal -1
	s_barrier_wait -1
	global_inv scope:SCOPE_SE
	ds_load_b64 v[14:15], v7 offset:3072
	s_wait_loadcnt_dscnt 0x0
	s_barrier_signal -1
	s_barrier_wait -1
	global_inv scope:SCOPE_SE
	v_cmp_neq_f32_e32 vcc_lo, 0, v14
	s_cbranch_vccnz .LBB122_105
; %bb.100:                              ;   in Loop: Header=BB122_102 Depth=2
	v_add_nc_u32_e32 v1, s29, v1
	v_add_nc_u32_e32 v6, s47, v6
	s_mov_b32 s20, 0
	s_delay_alu instid0(VALU_DEP_2)
	v_cmp_le_u32_e32 vcc_lo, s71, v1
	s_or_not1_b32 s21, vcc_lo, exec_lo
.LBB122_101:                            ;   in Loop: Header=BB122_102 Depth=2
	s_wait_alu 0xfffe
	s_and_b32 s21, exec_lo, s21
	s_wait_alu 0xfffe
	s_or_b32 s16, s21, s16
	s_and_not1_b32 s19, s19, exec_lo
	s_and_b32 s20, s20, exec_lo
	s_wait_alu 0xfffe
	s_or_b32 s19, s19, s20
	s_and_not1_b32 exec_lo, exec_lo, s16
	s_cbranch_execz .LBB122_106
.LBB122_102:                            ;   Parent Loop BB122_20 Depth=1
                                        ; =>  This Inner Loop Header: Depth=2
	s_mov_b32 s20, exec_lo
	s_delay_alu instid0(VALU_DEP_1)
	v_cmpx_gt_u32_e64 s28, v1
	s_cbranch_execz .LBB122_99
; %bb.103:                              ;   in Loop: Header=BB122_102 Depth=2
	v_lshlrev_b64_e32 v[2:3], 2, v[6:7]
	s_delay_alu instid0(VALU_DEP_1) | instskip(SKIP_1) | instid1(VALU_DEP_2)
	v_add_co_u32 v2, vcc_lo, s48, v2
	s_wait_alu 0xfffd
	v_add_co_ci_u32_e64 v3, null, s49, v3, vcc_lo
	global_load_b32 v14, v[2:3], off
	s_wait_loadcnt 0x0
	v_cmp_lt_i32_e32 vcc_lo, -1, v14
	s_wait_alu 0xfffd
	v_cndmask_b32_e64 v2, -1, 0x80000000, vcc_lo
	v_cmp_o_f32_e32 vcc_lo, v14, v14
	s_delay_alu instid0(VALU_DEP_2) | instskip(SKIP_1) | instid1(VALU_DEP_1)
	v_xor_b32_e32 v2, v2, v14
	s_wait_alu 0xfffd
	v_cndmask_b32_e32 v2, -1, v2, vcc_lo
	s_delay_alu instid0(VALU_DEP_1) | instskip(NEXT) | instid1(VALU_DEP_1)
	v_and_b32_e32 v2, v2, v30
	v_cmp_eq_u32_e32 vcc_lo, v2, v22
	s_and_b32 exec_lo, exec_lo, vcc_lo
	s_cbranch_execz .LBB122_99
; %bb.104:                              ;   in Loop: Header=BB122_102 Depth=2
	ds_store_b64 v7, v[13:14] offset:3072
	s_branch .LBB122_99
.LBB122_105:                            ;   in Loop: Header=BB122_102 Depth=2
	s_mov_b32 s21, -1
	s_mov_b32 s20, -1
                                        ; implicit-def: $vgpr1
	s_branch .LBB122_101
.LBB122_106:                            ;   in Loop: Header=BB122_20 Depth=1
	s_or_b32 exec_lo, exec_lo, s16
	s_delay_alu instid0(SALU_CYCLE_1)
	s_and_not1_b32 s16, s18, exec_lo
	s_wait_alu 0xfffe
	s_and_b32 s18, s19, exec_lo
	s_wait_alu 0xfffe
	s_or_b32 s18, s16, s18
.LBB122_107:                            ;   in Loop: Header=BB122_20 Depth=1
	s_wait_alu 0xfffe
	s_or_b32 exec_lo, exec_lo, s13
	s_mov_b32 s13, 0
	s_mov_b32 s16, -1
.LBB122_108:                            ;   in Loop: Header=BB122_20 Depth=1
	s_or_not1_b32 s19, s18, exec_lo
.LBB122_109:                            ;   in Loop: Header=BB122_20 Depth=1
	s_wait_alu 0xfffe
	s_or_b32 exec_lo, exec_lo, s9
	v_readfirstlane_b32 s18, v0
	s_and_not1_b32 s9, s79, exec_lo
	s_and_b32 s16, s16, exec_lo
	s_and_not1_b32 s20, s77, exec_lo
	s_and_b32 s13, s13, exec_lo
	s_and_not1_b32 s76, s76, exec_lo
	s_wait_alu 0xfffe
	s_or_b32 s79, s9, s16
	s_or_b32 s77, s20, s13
                                        ; implicit-def: $vgpr2
	s_and_saveexec_b32 s9, s19
	s_cbranch_execz .LBB122_19
; %bb.110:                              ;   in Loop: Header=BB122_20 Depth=1
	v_dual_mov_b32 v2, 1 :: v_dual_mov_b32 v1, 1
	s_xor_b32 s12, s12, -1
	s_mov_b32 s18, 0
	s_wait_alu 0xfffe
	s_and_saveexec_b32 s11, s12
	s_cbranch_execz .LBB122_119
; %bb.111:                              ;   in Loop: Header=BB122_20 Depth=1
	s_mov_b32 s12, exec_lo
	v_cmpx_ge_u32_e64 s10, v31
	s_wait_alu 0xfffe
	s_xor_b32 s12, exec_lo, s12
	s_cbranch_execz .LBB122_116
; %bb.112:                              ;   in Loop: Header=BB122_20 Depth=1
	ds_load_b32 v1, v7 offset:4104
	v_and_b32_e32 v22, s15, v22
	v_or_b32_e32 v30, s8, v30
	s_wait_dscnt 0x0
	v_cmp_ne_u32_e32 vcc_lo, 0, v1
	s_cbranch_vccnz .LBB122_116
; %bb.113:                              ;   in Loop: Header=BB122_20 Depth=1
	s_and_saveexec_b32 s13, s0
; %bb.114:                              ;   in Loop: Header=BB122_20 Depth=1
	v_mov_b32_e32 v1, s10
	ds_store_b32 v7, v1 offset:4108
; %bb.115:                              ;   in Loop: Header=BB122_20 Depth=1
	s_wait_alu 0xfffe
	s_or_b32 exec_lo, exec_lo, s13
	s_wait_loadcnt_dscnt 0x0
	s_barrier_signal -1
	s_barrier_wait -1
	global_inv scope:SCOPE_SE
.LBB122_116:                            ;   in Loop: Header=BB122_20 Depth=1
	s_wait_alu 0xfffe
	s_or_saveexec_b32 s12, s12
	v_mov_b32_e32 v1, 8
	s_mov_b32 s13, 0
	s_wait_alu 0xfffe
	s_xor_b32 exec_lo, exec_lo, s12
; %bb.117:                              ;   in Loop: Header=BB122_20 Depth=1
	v_subrev_nc_u32_e32 v31, s10, v31
	v_mov_b32_e32 v1, 0
	s_mov_b32 s13, exec_lo
; %bb.118:                              ;   in Loop: Header=BB122_20 Depth=1
	s_or_b32 exec_lo, exec_lo, s12
	s_delay_alu instid0(VALU_DEP_2)
	v_mov_b32_e32 v2, v31
	s_wait_alu 0xfffe
	s_and_b32 s18, s13, exec_lo
.LBB122_119:                            ;   in Loop: Header=BB122_20 Depth=1
	s_wait_alu 0xfffe
	s_or_b32 exec_lo, exec_lo, s11
	s_mov_b32 s10, -1
	s_mov_b32 s16, -1
                                        ; implicit-def: $sgpr12
                                        ; implicit-def: $sgpr13
	s_and_saveexec_b32 s11, s18
	s_wait_alu 0xfffe
	s_xor_b32 s11, exec_lo, s11
	s_cbranch_execz .LBB122_245
; %bb.120:                              ;   in Loop: Header=BB122_20 Depth=1
	v_cmp_eq_u32_e32 vcc_lo, 1, v2
	s_cmp_eq_u32 s17, 1
	s_mov_b32 s19, -1
	s_cselect_b32 s12, -1, 0
                                        ; implicit-def: $sgpr13
	s_wait_alu 0xfffe
	s_and_b32 s18, s12, vcc_lo
                                        ; implicit-def: $sgpr12
	s_wait_alu 0xfffe
	s_and_saveexec_b32 s16, s18
	s_cbranch_execz .LBB122_151
; %bb.121:                              ;   in Loop: Header=BB122_20 Depth=1
	ds_load_b32 v3, v7 offset:4104
	s_wait_loadcnt_dscnt 0x0
	s_barrier_signal -1
	s_barrier_wait -1
	global_inv scope:SCOPE_SE
	v_readfirstlane_b32 s20, v3
	s_and_saveexec_b32 s12, s1
; %bb.122:                              ;   in Loop: Header=BB122_20 Depth=1
	ds_store_b32 v18, v7
; %bb.123:                              ;   in Loop: Header=BB122_20 Depth=1
	s_wait_alu 0xfffe
	s_or_b32 exec_lo, exec_lo, s12
	s_lshl_b32 s12, 1, s81
	v_or_b32_e32 v30, s8, v30
	s_wait_alu 0xfffe
	v_and_or_b32 v22, v22, s15, s12
	s_mov_b32 s12, -1
	s_mov_b32 s13, 0
	s_cmp_eq_u32 s20, 0
	s_mov_b32 s19, 0
	s_mov_b32 s21, -1
	s_wait_loadcnt_dscnt 0x0
	s_barrier_signal -1
	s_barrier_wait -1
	global_inv scope:SCOPE_SE
                                        ; implicit-def: $vgpr15
	s_cbranch_scc1 .LBB122_138
; %bb.124:                              ;   in Loop: Header=BB122_20 Depth=1
	s_add_co_i32 s58, s20, s43
                                        ; implicit-def: $vgpr15
	s_wait_alu 0xfffe
	s_mul_u64 s[22:23], s[58:59], s[62:63]
	s_mov_b32 s22, exec_lo
	s_wait_alu 0xfffe
	s_mul_i32 s19, s23, s29
	s_wait_alu 0xfffe
	s_sub_co_i32 s19, s58, s19
	s_wait_alu 0xfffe
	s_sub_co_i32 s21, s19, s29
	s_cmp_ge_u32 s19, s29
	s_wait_alu 0xfffe
	s_cselect_b32 s19, s21, s19
	s_wait_alu 0xfffe
	s_sub_co_i32 s21, s19, s29
	s_cmp_ge_u32 s19, s29
	s_wait_alu 0xfffe
	s_cselect_b32 s19, s21, s19
	s_mov_b32 s21, 0
	s_wait_alu 0xfffe
	s_sub_co_i32 s23, s58, s19
	s_mov_b32 s19, 0
	s_wait_alu 0xfffe
	v_cmpx_gt_u32_e64 s23, v0
	s_cbranch_execz .LBB122_137
; %bb.125:                              ;   in Loop: Header=BB122_20 Depth=1
	v_dual_mov_b32 v3, v17 :: v_dual_mov_b32 v4, v0
                                        ; implicit-def: $sgpr24
	s_branch .LBB122_129
.LBB122_126:                            ;   in Loop: Header=BB122_129 Depth=2
	s_wait_alu 0xfffe
	s_or_b32 exec_lo, exec_lo, s25
	s_wait_loadcnt_dscnt 0x0
	s_barrier_signal -1
	s_barrier_wait -1
	global_inv scope:SCOPE_SE
	ds_load_b64 v[14:15], v7 offset:3072
	s_wait_loadcnt_dscnt 0x0
	s_barrier_signal -1
	s_barrier_wait -1
	global_inv scope:SCOPE_SE
	v_cmp_neq_f32_e32 vcc_lo, 0, v14
	s_cbranch_vccnz .LBB122_132
; %bb.127:                              ;   in Loop: Header=BB122_129 Depth=2
	v_add_nc_u32_e32 v4, s29, v4
	v_add_nc_u32_e32 v3, s39, v3
	s_mov_b32 s25, 0
	s_delay_alu instid0(VALU_DEP_2)
	v_cmp_le_u32_e32 vcc_lo, s23, v4
	s_or_not1_b32 s26, vcc_lo, exec_lo
.LBB122_128:                            ;   in Loop: Header=BB122_129 Depth=2
	s_wait_alu 0xfffe
	s_and_b32 s26, exec_lo, s26
	s_wait_alu 0xfffe
	s_or_b32 s19, s26, s19
	s_and_not1_b32 s24, s24, exec_lo
	s_and_b32 s25, s25, exec_lo
	s_wait_alu 0xfffe
	s_or_b32 s24, s24, s25
	s_and_not1_b32 exec_lo, exec_lo, s19
	s_cbranch_execz .LBB122_136
.LBB122_129:                            ;   Parent Loop BB122_20 Depth=1
                                        ; =>  This Inner Loop Header: Depth=2
	s_mov_b32 s25, exec_lo
	s_delay_alu instid0(VALU_DEP_1)
	v_cmpx_gt_u32_e64 s20, v4
	s_cbranch_execz .LBB122_126
; %bb.130:                              ;   in Loop: Header=BB122_129 Depth=2
	ds_load_b32 v14, v3
	s_wait_dscnt 0x0
	v_cmp_lt_i32_e32 vcc_lo, -1, v14
	s_wait_alu 0xfffd
	v_cndmask_b32_e64 v6, -1, 0x80000000, vcc_lo
	v_cmp_o_f32_e32 vcc_lo, v14, v14
	s_delay_alu instid0(VALU_DEP_2) | instskip(SKIP_1) | instid1(VALU_DEP_1)
	v_xor_b32_e32 v6, v6, v14
	s_wait_alu 0xfffd
	v_cndmask_b32_e32 v6, -1, v6, vcc_lo
	s_delay_alu instid0(VALU_DEP_1) | instskip(NEXT) | instid1(VALU_DEP_1)
	v_and_b32_e32 v6, v6, v30
	v_cmp_eq_u32_e32 vcc_lo, v6, v22
	s_and_b32 exec_lo, exec_lo, vcc_lo
	s_cbranch_execz .LBB122_126
; %bb.131:                              ;   in Loop: Header=BB122_129 Depth=2
	ds_store_b64 v7, v[13:14] offset:3072
	s_branch .LBB122_126
.LBB122_132:                            ;   in Loop: Header=BB122_129 Depth=2
	s_mov_b32 s26, -1
	s_mov_b32 s25, -1
                                        ; implicit-def: $vgpr4
                                        ; implicit-def: $vgpr3
	s_branch .LBB122_128
.LBB122_133:                            ;   in Loop: Header=BB122_20 Depth=1
	s_wait_alu 0xfffe
	s_or_b32 exec_lo, exec_lo, s10
	s_wait_loadcnt_dscnt 0x0
	s_barrier_signal -1
	s_barrier_wait -1
	global_inv scope:SCOPE_SE
	s_and_saveexec_b32 s7, s0
	s_cbranch_execz .LBB122_135
; %bb.134:                              ;   in Loop: Header=BB122_20 Depth=1
	ds_load_b32 v1, v7 offset:4112
	s_wait_dscnt 0x0
	ds_store_b32 v7, v1 offset:4104
.LBB122_135:                            ;   in Loop: Header=BB122_20 Depth=1
	s_wait_alu 0xfffe
	s_or_b32 exec_lo, exec_lo, s7
	s_wait_loadcnt_dscnt 0x0
	s_barrier_signal -1
	s_mov_b32 s7, -1
	s_barrier_wait -1
	s_and_b32 vcc_lo, exec_lo, s9
	s_wait_alu 0xfffe
	s_cbranch_vccnz .LBB122_36
	s_branch .LBB122_45
.LBB122_136:                            ;   in Loop: Header=BB122_20 Depth=1
	s_or_b32 exec_lo, exec_lo, s19
	s_wait_alu 0xfffe
	s_and_b32 s19, s24, exec_lo
.LBB122_137:                            ;   in Loop: Header=BB122_20 Depth=1
	s_or_b32 exec_lo, exec_lo, s22
.LBB122_138:                            ;   in Loop: Header=BB122_20 Depth=1
	s_wait_alu 0xfffe
	s_and_b32 vcc_lo, exec_lo, s21
	s_wait_alu 0xfffe
	s_cbranch_vccz .LBB122_150
; %bb.139:                              ;   in Loop: Header=BB122_20 Depth=1
                                        ; implicit-def: $vgpr15
	s_and_saveexec_b32 s12, s6
	s_cbranch_execz .LBB122_149
; %bb.140:                              ;   in Loop: Header=BB122_20 Depth=1
	v_dual_mov_b32 v6, v5 :: v_dual_mov_b32 v3, v0
	s_mov_b32 s13, 0
                                        ; implicit-def: $sgpr20
	s_branch .LBB122_144
.LBB122_141:                            ;   in Loop: Header=BB122_144 Depth=2
	s_wait_alu 0xfffe
	s_or_b32 exec_lo, exec_lo, s21
	s_wait_loadcnt_dscnt 0x0
	s_barrier_signal -1
	s_barrier_wait -1
	global_inv scope:SCOPE_SE
	ds_load_b64 v[14:15], v7 offset:3072
	s_wait_loadcnt_dscnt 0x0
	s_barrier_signal -1
	s_barrier_wait -1
	global_inv scope:SCOPE_SE
	v_cmp_eq_f32_e32 vcc_lo, 0, v14
	s_cbranch_vccz .LBB122_147
; %bb.142:                              ;   in Loop: Header=BB122_144 Depth=2
	v_add_nc_u32_e32 v3, s29, v3
	v_add_nc_u32_e32 v6, s47, v6
	s_mov_b32 s21, 0
	s_delay_alu instid0(VALU_DEP_2)
	v_cmp_le_u32_e32 vcc_lo, s71, v3
	s_or_not1_b32 s22, vcc_lo, exec_lo
.LBB122_143:                            ;   in Loop: Header=BB122_144 Depth=2
	s_wait_alu 0xfffe
	s_and_b32 s22, exec_lo, s22
	s_wait_alu 0xfffe
	s_or_b32 s13, s22, s13
	s_and_not1_b32 s20, s20, exec_lo
	s_and_b32 s21, s21, exec_lo
	s_wait_alu 0xfffe
	s_or_b32 s20, s20, s21
	s_and_not1_b32 exec_lo, exec_lo, s13
	s_cbranch_execz .LBB122_148
.LBB122_144:                            ;   Parent Loop BB122_20 Depth=1
                                        ; =>  This Inner Loop Header: Depth=2
	s_mov_b32 s21, exec_lo
	s_delay_alu instid0(VALU_DEP_1)
	v_cmpx_gt_u32_e64 s28, v3
	s_cbranch_execz .LBB122_141
; %bb.145:                              ;   in Loop: Header=BB122_144 Depth=2
	v_lshlrev_b64_e32 v[14:15], 2, v[6:7]
	s_delay_alu instid0(VALU_DEP_1) | instskip(SKIP_1) | instid1(VALU_DEP_2)
	v_add_co_u32 v14, vcc_lo, s48, v14
	s_wait_alu 0xfffd
	v_add_co_ci_u32_e64 v15, null, s49, v15, vcc_lo
	global_load_b32 v14, v[14:15], off
	s_wait_loadcnt 0x0
	v_cmp_lt_i32_e32 vcc_lo, -1, v14
	s_wait_alu 0xfffd
	v_cndmask_b32_e64 v4, -1, 0x80000000, vcc_lo
	v_cmp_o_f32_e32 vcc_lo, v14, v14
	s_delay_alu instid0(VALU_DEP_2) | instskip(SKIP_1) | instid1(VALU_DEP_1)
	v_xor_b32_e32 v4, v4, v14
	s_wait_alu 0xfffd
	v_cndmask_b32_e32 v4, -1, v4, vcc_lo
	s_delay_alu instid0(VALU_DEP_1) | instskip(NEXT) | instid1(VALU_DEP_1)
	v_and_b32_e32 v4, v4, v30
	v_cmp_eq_u32_e32 vcc_lo, v4, v22
	s_and_b32 exec_lo, exec_lo, vcc_lo
	s_cbranch_execz .LBB122_141
; %bb.146:                              ;   in Loop: Header=BB122_144 Depth=2
	ds_store_b64 v7, v[13:14] offset:3072
	s_branch .LBB122_141
.LBB122_147:                            ;   in Loop: Header=BB122_144 Depth=2
	s_mov_b32 s22, -1
	s_mov_b32 s21, -1
                                        ; implicit-def: $vgpr3
	s_branch .LBB122_143
.LBB122_148:                            ;   in Loop: Header=BB122_20 Depth=1
	s_or_b32 exec_lo, exec_lo, s13
	s_delay_alu instid0(SALU_CYCLE_1)
	s_and_not1_b32 s13, s19, exec_lo
	s_wait_alu 0xfffe
	s_and_b32 s19, s20, exec_lo
	s_wait_alu 0xfffe
	s_or_b32 s19, s13, s19
.LBB122_149:                            ;   in Loop: Header=BB122_20 Depth=1
	s_wait_alu 0xfffe
	s_or_b32 exec_lo, exec_lo, s12
	s_mov_b32 s12, 0
	s_mov_b32 s13, -1
.LBB122_150:                            ;   in Loop: Header=BB122_20 Depth=1
	s_or_not1_b32 s19, s19, exec_lo
.LBB122_151:                            ;   in Loop: Header=BB122_20 Depth=1
	s_wait_alu 0xfffe
	s_or_b32 exec_lo, exec_lo, s16
	s_mov_b32 s20, 0
	s_and_saveexec_b32 s16, s19
	s_cbranch_execz .LBB122_244
; %bb.152:                              ;   in Loop: Header=BB122_20 Depth=1
	v_mov_b32_e32 v3, 1
	v_mov_b32_e32 v1, 1
	s_xor_b32 s19, s18, -1
	s_mov_b32 s21, 0
	s_wait_alu 0xfffe
	s_and_saveexec_b32 s18, s19
	s_cbranch_execz .LBB122_161
; %bb.153:                              ;   in Loop: Header=BB122_20 Depth=1
	s_mov_b32 s19, exec_lo
	v_cmpx_ge_u32_e64 s17, v2
	s_wait_alu 0xfffe
	s_xor_b32 s19, exec_lo, s19
	s_cbranch_execz .LBB122_158
; %bb.154:                              ;   in Loop: Header=BB122_20 Depth=1
	ds_load_b32 v1, v7 offset:4104
	s_lshl_b32 s20, 1, s81
	v_or_b32_e32 v30, s8, v30
	s_wait_alu 0xfffe
	v_and_or_b32 v22, v22, s15, s20
	s_wait_dscnt 0x0
	v_cmp_ne_u32_e32 vcc_lo, 0, v1
	s_cbranch_vccnz .LBB122_158
; %bb.155:                              ;   in Loop: Header=BB122_20 Depth=1
	s_and_saveexec_b32 s20, s0
; %bb.156:                              ;   in Loop: Header=BB122_20 Depth=1
	v_mov_b32_e32 v1, s17
	ds_store_b32 v7, v1 offset:4108
; %bb.157:                              ;   in Loop: Header=BB122_20 Depth=1
	s_wait_alu 0xfffe
	s_or_b32 exec_lo, exec_lo, s20
	s_wait_loadcnt_dscnt 0x0
	s_barrier_signal -1
	s_barrier_wait -1
	global_inv scope:SCOPE_SE
.LBB122_158:                            ;   in Loop: Header=BB122_20 Depth=1
	s_wait_alu 0xfffe
	s_or_saveexec_b32 s19, s19
	v_mov_b32_e32 v1, 8
	s_mov_b32 s20, 0
	s_wait_alu 0xfffe
	s_xor_b32 exec_lo, exec_lo, s19
; %bb.159:                              ;   in Loop: Header=BB122_20 Depth=1
	v_subrev_nc_u32_e32 v2, s17, v2
	v_mov_b32_e32 v1, 0
	s_mov_b32 s20, exec_lo
; %bb.160:                              ;   in Loop: Header=BB122_20 Depth=1
	s_or_b32 exec_lo, exec_lo, s19
	s_delay_alu instid0(VALU_DEP_2)
	v_mov_b32_e32 v3, v2
	s_wait_alu 0xfffe
	s_and_b32 s21, s20, exec_lo
.LBB122_161:                            ;   in Loop: Header=BB122_20 Depth=1
	s_wait_alu 0xfffe
	s_or_b32 exec_lo, exec_lo, s18
	s_mov_b32 s20, -1
                                        ; implicit-def: $sgpr18
                                        ; implicit-def: $sgpr19
	s_and_saveexec_b32 s17, s21
	s_cbranch_execz .LBB122_243
; %bb.162:                              ;   in Loop: Header=BB122_20 Depth=1
	v_cmp_eq_u32_e32 vcc_lo, 1, v3
	s_cmp_eq_u32 s14, 1
	s_mov_b32 s22, -1
	s_cselect_b32 s18, -1, 0
                                        ; implicit-def: $sgpr19
	s_wait_alu 0xfffe
	s_and_b32 s21, s18, vcc_lo
                                        ; implicit-def: $sgpr18
	s_wait_alu 0xfffe
	s_and_saveexec_b32 s20, s21
	s_cbranch_execz .LBB122_190
; %bb.163:                              ;   in Loop: Header=BB122_20 Depth=1
	ds_load_b32 v2, v7 offset:4104
	s_wait_loadcnt_dscnt 0x0
	s_barrier_signal -1
	s_barrier_wait -1
	global_inv scope:SCOPE_SE
	v_readfirstlane_b32 s23, v2
	s_and_saveexec_b32 s18, s1
; %bb.164:                              ;   in Loop: Header=BB122_20 Depth=1
	ds_store_b32 v18, v7
; %bb.165:                              ;   in Loop: Header=BB122_20 Depth=1
	s_wait_alu 0xfffe
	s_or_b32 exec_lo, exec_lo, s18
	s_lshl_b32 s18, 2, s81
	v_or_b32_e32 v30, s8, v30
	s_wait_alu 0xfffe
	v_and_or_b32 v22, v22, s15, s18
	s_mov_b32 s18, -1
	s_mov_b32 s19, 0
	s_cmp_eq_u32 s23, 0
	s_mov_b32 s22, 0
	s_mov_b32 s24, -1
	s_wait_loadcnt_dscnt 0x0
	s_barrier_signal -1
	s_barrier_wait -1
	global_inv scope:SCOPE_SE
                                        ; implicit-def: $vgpr15
	s_cbranch_scc1 .LBB122_177
; %bb.166:                              ;   in Loop: Header=BB122_20 Depth=1
	s_add_co_i32 s58, s23, s43
                                        ; implicit-def: $vgpr15
	s_wait_alu 0xfffe
	s_mul_u64 s[24:25], s[58:59], s[62:63]
	s_wait_alu 0xfffe
	s_mul_i32 s22, s25, s29
	s_mov_b32 s25, exec_lo
	s_wait_alu 0xfffe
	s_sub_co_i32 s22, s58, s22
	s_wait_alu 0xfffe
	s_sub_co_i32 s24, s22, s29
	s_cmp_ge_u32 s22, s29
	s_wait_alu 0xfffe
	s_cselect_b32 s22, s24, s22
	s_wait_alu 0xfffe
	s_sub_co_i32 s24, s22, s29
	s_cmp_ge_u32 s22, s29
	s_wait_alu 0xfffe
	s_cselect_b32 s22, s24, s22
	s_mov_b32 s24, 0
	s_wait_alu 0xfffe
	s_sub_co_i32 s26, s58, s22
	s_mov_b32 s22, 0
	s_wait_alu 0xfffe
	v_cmpx_gt_u32_e64 s26, v0
	s_cbranch_execz .LBB122_176
; %bb.167:                              ;   in Loop: Header=BB122_20 Depth=1
	v_mov_b32_e32 v2, v17
	v_mov_b32_e32 v4, v0
                                        ; implicit-def: $sgpr58
	s_branch .LBB122_171
.LBB122_168:                            ;   in Loop: Header=BB122_171 Depth=2
	s_wait_alu 0xfffe
	s_or_b32 exec_lo, exec_lo, s82
	s_wait_loadcnt_dscnt 0x0
	s_barrier_signal -1
	s_barrier_wait -1
	global_inv scope:SCOPE_SE
	ds_load_b64 v[14:15], v7 offset:3072
	s_wait_loadcnt_dscnt 0x0
	s_barrier_signal -1
	s_barrier_wait -1
	global_inv scope:SCOPE_SE
	v_cmp_neq_f32_e32 vcc_lo, 0, v14
	s_cbranch_vccnz .LBB122_174
; %bb.169:                              ;   in Loop: Header=BB122_171 Depth=2
	v_add_nc_u32_e32 v4, s29, v4
	v_add_nc_u32_e32 v2, s39, v2
	s_mov_b32 s82, 0
	s_delay_alu instid0(VALU_DEP_2)
	v_cmp_le_u32_e32 vcc_lo, s26, v4
	s_or_not1_b32 s83, vcc_lo, exec_lo
.LBB122_170:                            ;   in Loop: Header=BB122_171 Depth=2
	s_wait_alu 0xfffe
	s_and_b32 s83, exec_lo, s83
	s_wait_alu 0xfffe
	s_or_b32 s22, s83, s22
	s_and_not1_b32 s58, s58, exec_lo
	s_and_b32 s82, s82, exec_lo
	s_wait_alu 0xfffe
	s_or_b32 s58, s58, s82
	s_and_not1_b32 exec_lo, exec_lo, s22
	s_cbranch_execz .LBB122_175
.LBB122_171:                            ;   Parent Loop BB122_20 Depth=1
                                        ; =>  This Inner Loop Header: Depth=2
	s_mov_b32 s82, exec_lo
	s_delay_alu instid0(VALU_DEP_1)
	v_cmpx_gt_u32_e64 s23, v4
	s_cbranch_execz .LBB122_168
; %bb.172:                              ;   in Loop: Header=BB122_171 Depth=2
	ds_load_b32 v14, v2
	s_wait_dscnt 0x0
	v_cmp_lt_i32_e32 vcc_lo, -1, v14
	s_wait_alu 0xfffd
	v_cndmask_b32_e64 v6, -1, 0x80000000, vcc_lo
	v_cmp_o_f32_e32 vcc_lo, v14, v14
	s_delay_alu instid0(VALU_DEP_2) | instskip(SKIP_1) | instid1(VALU_DEP_1)
	v_xor_b32_e32 v6, v6, v14
	s_wait_alu 0xfffd
	v_cndmask_b32_e32 v6, -1, v6, vcc_lo
	s_delay_alu instid0(VALU_DEP_1) | instskip(NEXT) | instid1(VALU_DEP_1)
	v_and_b32_e32 v6, v6, v30
	v_cmp_eq_u32_e32 vcc_lo, v6, v22
	s_and_b32 exec_lo, exec_lo, vcc_lo
	s_cbranch_execz .LBB122_168
; %bb.173:                              ;   in Loop: Header=BB122_171 Depth=2
	ds_store_b64 v7, v[13:14] offset:3072
	s_branch .LBB122_168
.LBB122_174:                            ;   in Loop: Header=BB122_171 Depth=2
	s_mov_b32 s83, -1
	s_mov_b32 s82, -1
                                        ; implicit-def: $vgpr4
                                        ; implicit-def: $vgpr2
	s_branch .LBB122_170
.LBB122_175:                            ;   in Loop: Header=BB122_20 Depth=1
	s_or_b32 exec_lo, exec_lo, s22
	s_wait_alu 0xfffe
	s_and_b32 s22, s58, exec_lo
.LBB122_176:                            ;   in Loop: Header=BB122_20 Depth=1
	s_or_b32 exec_lo, exec_lo, s25
.LBB122_177:                            ;   in Loop: Header=BB122_20 Depth=1
	s_wait_alu 0xfffe
	s_and_b32 vcc_lo, exec_lo, s24
	s_wait_alu 0xfffe
	s_cbranch_vccz .LBB122_189
; %bb.178:                              ;   in Loop: Header=BB122_20 Depth=1
                                        ; implicit-def: $vgpr15
	s_and_saveexec_b32 s18, s6
	s_cbranch_execz .LBB122_188
; %bb.179:                              ;   in Loop: Header=BB122_20 Depth=1
	v_mov_b32_e32 v6, v5
	v_mov_b32_e32 v2, v0
	s_mov_b32 s19, 0
                                        ; implicit-def: $sgpr23
	s_branch .LBB122_183
.LBB122_180:                            ;   in Loop: Header=BB122_183 Depth=2
	s_wait_alu 0xfffe
	s_or_b32 exec_lo, exec_lo, s24
	s_wait_loadcnt_dscnt 0x0
	s_barrier_signal -1
	s_barrier_wait -1
	global_inv scope:SCOPE_SE
	ds_load_b64 v[14:15], v7 offset:3072
	s_wait_loadcnt_dscnt 0x0
	s_barrier_signal -1
	s_barrier_wait -1
	global_inv scope:SCOPE_SE
	v_cmp_eq_f32_e32 vcc_lo, 0, v14
	s_cbranch_vccz .LBB122_186
; %bb.181:                              ;   in Loop: Header=BB122_183 Depth=2
	v_add_nc_u32_e32 v2, s29, v2
	v_add_nc_u32_e32 v6, s47, v6
	s_mov_b32 s24, 0
	s_delay_alu instid0(VALU_DEP_2)
	v_cmp_le_u32_e32 vcc_lo, s71, v2
	s_or_not1_b32 s25, vcc_lo, exec_lo
.LBB122_182:                            ;   in Loop: Header=BB122_183 Depth=2
	s_wait_alu 0xfffe
	s_and_b32 s25, exec_lo, s25
	s_wait_alu 0xfffe
	s_or_b32 s19, s25, s19
	s_and_not1_b32 s23, s23, exec_lo
	s_and_b32 s24, s24, exec_lo
	s_wait_alu 0xfffe
	s_or_b32 s23, s23, s24
	s_and_not1_b32 exec_lo, exec_lo, s19
	s_cbranch_execz .LBB122_187
.LBB122_183:                            ;   Parent Loop BB122_20 Depth=1
                                        ; =>  This Inner Loop Header: Depth=2
	s_mov_b32 s24, exec_lo
	s_delay_alu instid0(VALU_DEP_1)
	v_cmpx_gt_u32_e64 s28, v2
	s_cbranch_execz .LBB122_180
; %bb.184:                              ;   in Loop: Header=BB122_183 Depth=2
	v_lshlrev_b64_e32 v[14:15], 2, v[6:7]
	s_delay_alu instid0(VALU_DEP_1) | instskip(SKIP_1) | instid1(VALU_DEP_2)
	v_add_co_u32 v14, vcc_lo, s48, v14
	s_wait_alu 0xfffd
	v_add_co_ci_u32_e64 v15, null, s49, v15, vcc_lo
	global_load_b32 v14, v[14:15], off
	s_wait_loadcnt 0x0
	v_cmp_lt_i32_e32 vcc_lo, -1, v14
	s_wait_alu 0xfffd
	v_cndmask_b32_e64 v4, -1, 0x80000000, vcc_lo
	v_cmp_o_f32_e32 vcc_lo, v14, v14
	s_delay_alu instid0(VALU_DEP_2) | instskip(SKIP_1) | instid1(VALU_DEP_1)
	v_xor_b32_e32 v4, v4, v14
	s_wait_alu 0xfffd
	v_cndmask_b32_e32 v4, -1, v4, vcc_lo
	s_delay_alu instid0(VALU_DEP_1) | instskip(NEXT) | instid1(VALU_DEP_1)
	v_and_b32_e32 v4, v4, v30
	v_cmp_eq_u32_e32 vcc_lo, v4, v22
	s_and_b32 exec_lo, exec_lo, vcc_lo
	s_cbranch_execz .LBB122_180
; %bb.185:                              ;   in Loop: Header=BB122_183 Depth=2
	ds_store_b64 v7, v[13:14] offset:3072
	s_branch .LBB122_180
.LBB122_186:                            ;   in Loop: Header=BB122_183 Depth=2
	s_mov_b32 s25, -1
	s_mov_b32 s24, -1
                                        ; implicit-def: $vgpr2
	s_branch .LBB122_182
.LBB122_187:                            ;   in Loop: Header=BB122_20 Depth=1
	s_or_b32 exec_lo, exec_lo, s19
	s_delay_alu instid0(SALU_CYCLE_1)
	s_and_not1_b32 s19, s22, exec_lo
	s_wait_alu 0xfffe
	s_and_b32 s22, s23, exec_lo
	s_wait_alu 0xfffe
	s_or_b32 s22, s19, s22
.LBB122_188:                            ;   in Loop: Header=BB122_20 Depth=1
	s_wait_alu 0xfffe
	s_or_b32 exec_lo, exec_lo, s18
	s_mov_b32 s18, 0
	s_mov_b32 s19, -1
.LBB122_189:                            ;   in Loop: Header=BB122_20 Depth=1
	s_or_not1_b32 s22, s22, exec_lo
.LBB122_190:                            ;   in Loop: Header=BB122_20 Depth=1
	s_wait_alu 0xfffe
	s_or_b32 exec_lo, exec_lo, s20
	s_mov_b32 s23, 0
	s_and_saveexec_b32 s20, s22
	s_cbranch_execz .LBB122_242
; %bb.191:                              ;   in Loop: Header=BB122_20 Depth=1
	v_dual_mov_b32 v2, 1 :: v_dual_mov_b32 v1, 1
	s_xor_b32 s22, s21, -1
	s_wait_alu 0xfffe
	s_and_saveexec_b32 s21, s22
	s_cbranch_execz .LBB122_200
; %bb.192:                              ;   in Loop: Header=BB122_20 Depth=1
	s_mov_b32 s22, exec_lo
	v_cmpx_ge_u32_e64 s14, v3
	s_wait_alu 0xfffe
	s_xor_b32 s22, exec_lo, s22
	s_cbranch_execz .LBB122_197
; %bb.193:                              ;   in Loop: Header=BB122_20 Depth=1
	ds_load_b32 v1, v7 offset:4104
	s_lshl_b32 s23, 2, s81
	v_or_b32_e32 v30, s8, v30
	s_wait_alu 0xfffe
	v_and_or_b32 v22, v22, s15, s23
	s_wait_dscnt 0x0
	v_cmp_ne_u32_e32 vcc_lo, 0, v1
	s_cbranch_vccnz .LBB122_197
; %bb.194:                              ;   in Loop: Header=BB122_20 Depth=1
	s_and_saveexec_b32 s15, s0
; %bb.195:                              ;   in Loop: Header=BB122_20 Depth=1
	v_mov_b32_e32 v1, s14
	ds_store_b32 v7, v1 offset:4108
; %bb.196:                              ;   in Loop: Header=BB122_20 Depth=1
	s_wait_alu 0xfffe
	s_or_b32 exec_lo, exec_lo, s15
	s_wait_loadcnt_dscnt 0x0
	s_barrier_signal -1
	s_barrier_wait -1
	global_inv scope:SCOPE_SE
.LBB122_197:                            ;   in Loop: Header=BB122_20 Depth=1
	s_wait_alu 0xfffe
	s_or_saveexec_b32 s15, s22
	v_mov_b32_e32 v1, 8
	s_mov_b32 s22, 0
	s_wait_alu 0xfffe
	s_xor_b32 exec_lo, exec_lo, s15
; %bb.198:                              ;   in Loop: Header=BB122_20 Depth=1
	v_subrev_nc_u32_e32 v3, s14, v3
	v_mov_b32_e32 v1, 0
	s_mov_b32 s22, exec_lo
; %bb.199:                              ;   in Loop: Header=BB122_20 Depth=1
	s_or_b32 exec_lo, exec_lo, s15
	s_delay_alu instid0(VALU_DEP_2)
	v_mov_b32_e32 v2, v3
	s_wait_alu 0xfffe
	s_and_b32 s23, s22, exec_lo
.LBB122_200:                            ;   in Loop: Header=BB122_20 Depth=1
	s_wait_alu 0xfffe
	s_or_b32 exec_lo, exec_lo, s21
	s_mov_b32 s15, -1
                                        ; implicit-def: $sgpr22
                                        ; implicit-def: $sgpr21
	s_and_saveexec_b32 s14, s23
	s_cbranch_execz .LBB122_241
; %bb.201:                              ;   in Loop: Header=BB122_20 Depth=1
	v_cmp_eq_u32_e32 vcc_lo, 1, v2
	s_cmp_eq_u32 s7, 1
	s_mov_b32 s24, -1
	s_cselect_b32 s15, -1, 0
                                        ; implicit-def: $sgpr22
                                        ; implicit-def: $sgpr21
	s_wait_alu 0xfffe
	s_and_b32 s15, s15, vcc_lo
	s_wait_alu 0xfffe
	s_and_saveexec_b32 s23, s15
	s_cbranch_execz .LBB122_229
; %bb.202:                              ;   in Loop: Header=BB122_20 Depth=1
	ds_load_b32 v3, v7 offset:4104
	s_wait_loadcnt_dscnt 0x0
	s_barrier_signal -1
	s_barrier_wait -1
	global_inv scope:SCOPE_SE
	v_readfirstlane_b32 s25, v3
	s_and_saveexec_b32 s21, s1
; %bb.203:                              ;   in Loop: Header=BB122_20 Depth=1
	ds_store_b32 v18, v7
; %bb.204:                              ;   in Loop: Header=BB122_20 Depth=1
	s_wait_alu 0xfffe
	s_or_b32 exec_lo, exec_lo, s21
	v_or_b32_e32 v22, s8, v22
	v_or_b32_e32 v30, s8, v30
	s_mov_b32 s21, -1
	s_mov_b32 s22, 0
	s_cmp_eq_u32 s25, 0
	s_mov_b32 s24, 0
	s_mov_b32 s26, -1
	s_wait_loadcnt_dscnt 0x0
	s_barrier_signal -1
	s_barrier_wait -1
	global_inv scope:SCOPE_SE
                                        ; implicit-def: $vgpr15
	s_cbranch_scc1 .LBB122_216
; %bb.205:                              ;   in Loop: Header=BB122_20 Depth=1
	s_add_co_i32 s58, s25, s43
                                        ; implicit-def: $vgpr15
	s_wait_alu 0xfffe
	s_mul_u64 s[82:83], s[58:59], s[62:63]
	s_wait_alu 0xfffe
	s_mul_i32 s24, s83, s29
	s_wait_alu 0xfffe
	s_sub_co_i32 s24, s58, s24
	s_wait_alu 0xfffe
	s_sub_co_i32 s26, s24, s29
	s_cmp_ge_u32 s24, s29
	s_wait_alu 0xfffe
	s_cselect_b32 s24, s26, s24
	s_wait_alu 0xfffe
	s_sub_co_i32 s26, s24, s29
	s_cmp_ge_u32 s24, s29
	s_wait_alu 0xfffe
	s_cselect_b32 s24, s26, s24
	s_mov_b32 s26, 0
	s_wait_alu 0xfffe
	s_sub_co_i32 s82, s58, s24
	s_mov_b32 s24, 0
	s_mov_b32 s58, exec_lo
	s_wait_alu 0xfffe
	v_cmpx_gt_u32_e64 s82, v0
	s_cbranch_execz .LBB122_215
; %bb.206:                              ;   in Loop: Header=BB122_20 Depth=1
	v_dual_mov_b32 v3, v17 :: v_dual_mov_b32 v4, v0
                                        ; implicit-def: $sgpr83
	s_branch .LBB122_210
.LBB122_207:                            ;   in Loop: Header=BB122_210 Depth=2
	s_wait_alu 0xfffe
	s_or_b32 exec_lo, exec_lo, s84
	s_wait_loadcnt_dscnt 0x0
	s_barrier_signal -1
	s_barrier_wait -1
	global_inv scope:SCOPE_SE
	ds_load_b64 v[14:15], v7 offset:3072
	s_wait_loadcnt_dscnt 0x0
	s_barrier_signal -1
	s_barrier_wait -1
	global_inv scope:SCOPE_SE
	v_cmp_neq_f32_e32 vcc_lo, 0, v14
	s_cbranch_vccnz .LBB122_213
; %bb.208:                              ;   in Loop: Header=BB122_210 Depth=2
	v_add_nc_u32_e32 v4, s29, v4
	v_add_nc_u32_e32 v3, s39, v3
	s_mov_b32 s84, 0
	s_delay_alu instid0(VALU_DEP_2)
	v_cmp_le_u32_e32 vcc_lo, s82, v4
	s_or_not1_b32 s85, vcc_lo, exec_lo
.LBB122_209:                            ;   in Loop: Header=BB122_210 Depth=2
	s_wait_alu 0xfffe
	s_and_b32 s85, exec_lo, s85
	s_wait_alu 0xfffe
	s_or_b32 s24, s85, s24
	s_and_not1_b32 s83, s83, exec_lo
	s_and_b32 s84, s84, exec_lo
	s_wait_alu 0xfffe
	s_or_b32 s83, s83, s84
	s_and_not1_b32 exec_lo, exec_lo, s24
	s_cbranch_execz .LBB122_214
.LBB122_210:                            ;   Parent Loop BB122_20 Depth=1
                                        ; =>  This Inner Loop Header: Depth=2
	s_mov_b32 s84, exec_lo
	s_delay_alu instid0(VALU_DEP_1)
	v_cmpx_gt_u32_e64 s25, v4
	s_cbranch_execz .LBB122_207
; %bb.211:                              ;   in Loop: Header=BB122_210 Depth=2
	ds_load_b32 v14, v3
	s_wait_dscnt 0x0
	v_cmp_lt_i32_e32 vcc_lo, -1, v14
	s_wait_alu 0xfffd
	v_cndmask_b32_e64 v6, -1, 0x80000000, vcc_lo
	v_cmp_o_f32_e32 vcc_lo, v14, v14
	s_delay_alu instid0(VALU_DEP_2) | instskip(SKIP_1) | instid1(VALU_DEP_1)
	v_xor_b32_e32 v6, v6, v14
	s_wait_alu 0xfffd
	v_cndmask_b32_e32 v6, -1, v6, vcc_lo
	s_delay_alu instid0(VALU_DEP_1) | instskip(NEXT) | instid1(VALU_DEP_1)
	v_and_b32_e32 v6, v6, v30
	v_cmp_eq_u32_e32 vcc_lo, v6, v22
	s_and_b32 exec_lo, exec_lo, vcc_lo
	s_cbranch_execz .LBB122_207
; %bb.212:                              ;   in Loop: Header=BB122_210 Depth=2
	ds_store_b64 v7, v[13:14] offset:3072
	s_branch .LBB122_207
.LBB122_213:                            ;   in Loop: Header=BB122_210 Depth=2
	s_mov_b32 s85, -1
	s_mov_b32 s84, -1
                                        ; implicit-def: $vgpr4
                                        ; implicit-def: $vgpr3
	s_branch .LBB122_209
.LBB122_214:                            ;   in Loop: Header=BB122_20 Depth=1
	s_or_b32 exec_lo, exec_lo, s24
	s_wait_alu 0xfffe
	s_and_b32 s24, s83, exec_lo
.LBB122_215:                            ;   in Loop: Header=BB122_20 Depth=1
	s_or_b32 exec_lo, exec_lo, s58
.LBB122_216:                            ;   in Loop: Header=BB122_20 Depth=1
	s_wait_alu 0xfffe
	s_and_b32 vcc_lo, exec_lo, s26
	s_wait_alu 0xfffe
	s_cbranch_vccz .LBB122_228
; %bb.217:                              ;   in Loop: Header=BB122_20 Depth=1
                                        ; implicit-def: $vgpr15
	s_and_saveexec_b32 s21, s6
	s_cbranch_execz .LBB122_227
; %bb.218:                              ;   in Loop: Header=BB122_20 Depth=1
	v_dual_mov_b32 v6, v5 :: v_dual_mov_b32 v3, v0
	s_mov_b32 s22, 0
                                        ; implicit-def: $sgpr25
	s_branch .LBB122_222
.LBB122_219:                            ;   in Loop: Header=BB122_222 Depth=2
	s_wait_alu 0xfffe
	s_or_b32 exec_lo, exec_lo, s26
	s_wait_loadcnt_dscnt 0x0
	s_barrier_signal -1
	s_barrier_wait -1
	global_inv scope:SCOPE_SE
	ds_load_b64 v[14:15], v7 offset:3072
	s_wait_loadcnt_dscnt 0x0
	s_barrier_signal -1
	s_barrier_wait -1
	global_inv scope:SCOPE_SE
	v_cmp_eq_f32_e32 vcc_lo, 0, v14
	s_cbranch_vccz .LBB122_225
; %bb.220:                              ;   in Loop: Header=BB122_222 Depth=2
	v_add_nc_u32_e32 v3, s29, v3
	v_add_nc_u32_e32 v6, s47, v6
	s_mov_b32 s26, 0
	s_delay_alu instid0(VALU_DEP_2)
	v_cmp_le_u32_e32 vcc_lo, s71, v3
	s_or_not1_b32 s58, vcc_lo, exec_lo
.LBB122_221:                            ;   in Loop: Header=BB122_222 Depth=2
	s_wait_alu 0xfffe
	s_and_b32 s58, exec_lo, s58
	s_wait_alu 0xfffe
	s_or_b32 s22, s58, s22
	s_and_not1_b32 s25, s25, exec_lo
	s_and_b32 s26, s26, exec_lo
	s_wait_alu 0xfffe
	s_or_b32 s25, s25, s26
	s_and_not1_b32 exec_lo, exec_lo, s22
	s_cbranch_execz .LBB122_226
.LBB122_222:                            ;   Parent Loop BB122_20 Depth=1
                                        ; =>  This Inner Loop Header: Depth=2
	s_mov_b32 s26, exec_lo
	s_delay_alu instid0(VALU_DEP_1)
	v_cmpx_gt_u32_e64 s28, v3
	s_cbranch_execz .LBB122_219
; %bb.223:                              ;   in Loop: Header=BB122_222 Depth=2
	v_lshlrev_b64_e32 v[14:15], 2, v[6:7]
	s_delay_alu instid0(VALU_DEP_1) | instskip(SKIP_1) | instid1(VALU_DEP_2)
	v_add_co_u32 v14, vcc_lo, s48, v14
	s_wait_alu 0xfffd
	v_add_co_ci_u32_e64 v15, null, s49, v15, vcc_lo
	global_load_b32 v14, v[14:15], off
	s_wait_loadcnt 0x0
	v_cmp_lt_i32_e32 vcc_lo, -1, v14
	s_wait_alu 0xfffd
	v_cndmask_b32_e64 v4, -1, 0x80000000, vcc_lo
	v_cmp_o_f32_e32 vcc_lo, v14, v14
	s_delay_alu instid0(VALU_DEP_2) | instskip(SKIP_1) | instid1(VALU_DEP_1)
	v_xor_b32_e32 v4, v4, v14
	s_wait_alu 0xfffd
	v_cndmask_b32_e32 v4, -1, v4, vcc_lo
	s_delay_alu instid0(VALU_DEP_1) | instskip(NEXT) | instid1(VALU_DEP_1)
	v_and_b32_e32 v4, v4, v30
	v_cmp_eq_u32_e32 vcc_lo, v4, v22
	s_and_b32 exec_lo, exec_lo, vcc_lo
	s_cbranch_execz .LBB122_219
; %bb.224:                              ;   in Loop: Header=BB122_222 Depth=2
	ds_store_b64 v7, v[13:14] offset:3072
	s_branch .LBB122_219
.LBB122_225:                            ;   in Loop: Header=BB122_222 Depth=2
	s_mov_b32 s58, -1
	s_mov_b32 s26, -1
                                        ; implicit-def: $vgpr3
	s_branch .LBB122_221
.LBB122_226:                            ;   in Loop: Header=BB122_20 Depth=1
	s_or_b32 exec_lo, exec_lo, s22
	s_delay_alu instid0(SALU_CYCLE_1)
	s_and_not1_b32 s22, s24, exec_lo
	s_wait_alu 0xfffe
	s_and_b32 s24, s25, exec_lo
	s_wait_alu 0xfffe
	s_or_b32 s24, s22, s24
.LBB122_227:                            ;   in Loop: Header=BB122_20 Depth=1
	s_wait_alu 0xfffe
	s_or_b32 exec_lo, exec_lo, s21
	s_mov_b32 s21, 0
	s_mov_b32 s22, -1
.LBB122_228:                            ;   in Loop: Header=BB122_20 Depth=1
	s_or_not1_b32 s24, s24, exec_lo
.LBB122_229:                            ;   in Loop: Header=BB122_20 Depth=1
	s_wait_alu 0xfffe
	s_or_b32 exec_lo, exec_lo, s23
	s_mov_b32 s25, 0
	s_and_saveexec_b32 s23, s24
	s_cbranch_execz .LBB122_240
; %bb.230:                              ;   in Loop: Header=BB122_20 Depth=1
	v_mov_b32_e32 v1, 1
	v_mov_b32_e32 v3, 1
	s_xor_b32 s24, s15, -1
	s_wait_alu 0xfffe
	s_and_saveexec_b32 s15, s24
	s_cbranch_execz .LBB122_239
; %bb.231:                              ;   in Loop: Header=BB122_20 Depth=1
	s_mov_b32 s24, exec_lo
	v_cmpx_ge_u32_e64 s7, v2
	s_wait_alu 0xfffe
	s_xor_b32 s24, exec_lo, s24
	s_cbranch_execz .LBB122_236
; %bb.232:                              ;   in Loop: Header=BB122_20 Depth=1
	ds_load_b32 v1, v7 offset:4104
	v_or_b32_e32 v22, s8, v22
	v_or_b32_e32 v30, s8, v30
	s_wait_dscnt 0x0
	v_cmp_ne_u32_e32 vcc_lo, 0, v1
	s_cbranch_vccnz .LBB122_236
; %bb.233:                              ;   in Loop: Header=BB122_20 Depth=1
	s_and_saveexec_b32 s8, s0
; %bb.234:                              ;   in Loop: Header=BB122_20 Depth=1
	v_mov_b32_e32 v1, s7
	ds_store_b32 v7, v1 offset:4108
; %bb.235:                              ;   in Loop: Header=BB122_20 Depth=1
	s_wait_alu 0xfffe
	s_or_b32 exec_lo, exec_lo, s8
	s_wait_loadcnt_dscnt 0x0
	s_barrier_signal -1
	s_barrier_wait -1
	global_inv scope:SCOPE_SE
.LBB122_236:                            ;   in Loop: Header=BB122_20 Depth=1
	s_wait_alu 0xfffe
	s_and_not1_saveexec_b32 s8, s24
; %bb.237:                              ;   in Loop: Header=BB122_20 Depth=1
	v_subrev_nc_u32_e32 v2, s7, v2
; %bb.238:                              ;   in Loop: Header=BB122_20 Depth=1
	s_wait_alu 0xfffe
	s_or_b32 exec_lo, exec_lo, s8
	v_mov_b32_e32 v1, 8
	s_delay_alu instid0(VALU_DEP_2)
	v_mov_b32_e32 v3, v2
.LBB122_239:                            ;   in Loop: Header=BB122_20 Depth=1
	s_wait_alu 0xfffe
	s_or_b32 exec_lo, exec_lo, s15
	s_delay_alu instid0(VALU_DEP_1)
	v_mov_b32_e32 v2, v3
	s_mov_b32 s25, exec_lo
.LBB122_240:                            ;   in Loop: Header=BB122_20 Depth=1
	s_wait_alu 0xfffe
	s_or_b32 exec_lo, exec_lo, s23
	s_delay_alu instid0(SALU_CYCLE_1)
	s_or_not1_b32 s15, s25, exec_lo
.LBB122_241:                            ;   in Loop: Header=BB122_20 Depth=1
	s_wait_alu 0xfffe
	s_or_b32 exec_lo, exec_lo, s14
	v_mov_b32_e32 v3, v2
	s_and_not1_b32 s7, s19, exec_lo
	s_and_b32 s8, s22, exec_lo
	s_and_not1_b32 s14, s18, exec_lo
	s_and_b32 s18, s21, exec_lo
	s_wait_alu 0xfffe
	s_or_b32 s19, s7, s8
	s_or_b32 s18, s14, s18
	s_and_b32 s23, s15, exec_lo
.LBB122_242:                            ;   in Loop: Header=BB122_20 Depth=1
	s_wait_alu 0xfffe
	s_or_b32 exec_lo, exec_lo, s20
	s_delay_alu instid0(SALU_CYCLE_1)
	s_or_not1_b32 s20, s23, exec_lo
.LBB122_243:                            ;   in Loop: Header=BB122_20 Depth=1
	s_wait_alu 0xfffe
	s_or_b32 exec_lo, exec_lo, s17
	v_mov_b32_e32 v2, v3
	s_and_not1_b32 s7, s13, exec_lo
	s_and_b32 s8, s19, exec_lo
	s_and_not1_b32 s12, s12, exec_lo
	s_and_b32 s14, s18, exec_lo
	s_wait_alu 0xfffe
	s_or_b32 s13, s7, s8
	s_or_b32 s12, s12, s14
	s_and_b32 s20, s20, exec_lo
.LBB122_244:                            ;   in Loop: Header=BB122_20 Depth=1
	s_wait_alu 0xfffe
	s_or_b32 exec_lo, exec_lo, s16
	s_delay_alu instid0(SALU_CYCLE_1)
	s_or_not1_b32 s16, s20, exec_lo
.LBB122_245:                            ;   in Loop: Header=BB122_20 Depth=1
	s_wait_alu 0xfffe
	s_or_b32 exec_lo, exec_lo, s11
	s_mov_b32 s8, 0
                                        ; implicit-def: $sgpr18
	s_and_saveexec_b32 s7, s16
	s_wait_alu 0xfffe
	s_xor_b32 s7, exec_lo, s7
	s_cbranch_execz .LBB122_18
; %bb.246:                              ;   in Loop: Header=BB122_20 Depth=1
	v_and_b32_e32 v1, 7, v1
	s_mov_b32 s10, -1
	s_mov_b32 s8, -1
	s_mov_b32 s11, exec_lo
                                        ; implicit-def: $sgpr18
	s_delay_alu instid0(VALU_DEP_1)
	v_cmpx_eq_u32_e32 0, v1
	s_cbranch_execz .LBB122_17
; %bb.247:                              ;   in Loop: Header=BB122_20 Depth=1
	s_add_co_i32 s18, s81, -2
	s_cmp_eq_u32 s81, 0
	v_xor_b32_e32 v29, 1, v29
	s_cselect_b32 s10, -1, 0
	s_xor_b32 s8, exec_lo, -1
	s_wait_alu 0xfffe
	s_or_not1_b32 s10, s10, exec_lo
	s_branch .LBB122_17
.LBB122_248:
	s_or_b32 exec_lo, exec_lo, s74
	s_wait_alu 0xfffe
	s_xor_b32 s4, s80, -1
	s_xor_b32 s3, s78, -1
	s_xor_b32 s1, s75, -1
	s_mov_b32 s0, 0
	s_wait_alu 0xfffe
	s_and_saveexec_b32 s5, s3
	s_wait_alu 0xfffe
	s_xor_b32 s3, exec_lo, s5
	s_cbranch_execnz .LBB122_253
; %bb.249:
	s_wait_alu 0xfffe
	s_and_not1_saveexec_b32 s1, s3
	s_cbranch_execnz .LBB122_266
.LBB122_250:
	s_or_b32 exec_lo, exec_lo, s1
	s_and_saveexec_b32 s1, s0
.LBB122_251:
	; divergent unreachable
.LBB122_252:
	s_endpgm
.LBB122_253:
	s_and_saveexec_b32 s0, s4
	s_delay_alu instid0(SALU_CYCLE_1)
	s_xor_b32 s4, exec_lo, s0
	s_cbranch_execz .LBB122_264
; %bb.254:
	s_and_saveexec_b32 s0, s1
	s_delay_alu instid0(SALU_CYCLE_1)
	s_xor_b32 s0, exec_lo, s0
; %bb.255:
	v_cmp_lt_i32_e32 vcc_lo, -1, v22
	s_wait_alu 0xfffd
	v_cndmask_b32_e64 v1, 0x80000000, -1, vcc_lo
	s_delay_alu instid0(VALU_DEP_1)
	v_xor_b32_e32 v15, v1, v22
; %bb.256:
	s_or_b32 exec_lo, exec_lo, s0
	s_mul_i32 s1, s57, s44
	s_mul_i32 s0, s50, s45
	s_sub_co_i32 s1, s50, s1
	s_sub_co_i32 s0, s33, s0
	s_add_co_i32 s5, s57, 1
	s_sub_co_i32 s6, s1, s44
	s_cmp_ge_u32 s1, s44
	s_mul_i32 s0, s0, s42
	s_wait_alu 0xfffe
	s_cselect_b32 s5, s5, s57
	s_cselect_b32 s1, s6, s1
	s_wait_alu 0xfffe
	s_add_co_i32 s6, s5, 1
	s_cmp_ge_u32 s1, s44
	v_mov_b32_e32 v6, 0
	s_wait_alu 0xfffe
	s_cselect_b32 s1, s6, s5
	s_delay_alu instid0(SALU_CYCLE_1)
	s_mul_i32 s5, s1, s44
	s_mul_i32 s1, s1, s40
	s_wait_alu 0xfffe
	s_sub_co_i32 s5, s50, s5
	s_wait_alu 0xfffe
	s_mul_i32 s5, s5, s41
	s_wait_alu 0xfffe
	s_add_co_i32 s0, s5, s0
	s_delay_alu instid0(SALU_CYCLE_1) | instskip(SKIP_1) | instid1(SALU_CYCLE_1)
	s_add_co_i32 s0, s0, s1
	s_mov_b32 s1, 0
	s_lshl_b64 s[6:7], s[0:1], 2
	s_wait_alu 0xfffe
	s_add_nc_u64 s[6:7], s[54:55], s[6:7]
	global_store_b32 v6, v15, s[6:7]
	s_and_saveexec_b32 s5, s2
	s_cbranch_execz .LBB122_263
; %bb.257:
	v_cmp_u_f32_e32 vcc_lo, v15, v15
                                        ; implicit-def: $sgpr2
                                        ; implicit-def: $sgpr8
                                        ; implicit-def: $sgpr7
	s_xor_b32 s6, vcc_lo, -1
	s_branch .LBB122_259
.LBB122_258:                            ;   in Loop: Header=BB122_259 Depth=1
	s_or_b32 exec_lo, exec_lo, s0
	s_wait_alu 0xfffe
	s_and_b32 s0, exec_lo, s8
	s_delay_alu instid0(SALU_CYCLE_1)
	s_or_b32 s1, s0, s1
	s_and_not1_b32 s0, s2, exec_lo
	s_and_b32 s2, s7, exec_lo
	s_wait_alu 0xfffe
	s_or_b32 s2, s0, s2
	s_and_not1_b32 exec_lo, exec_lo, s1
	s_cbranch_execz .LBB122_261
.LBB122_259:                            ; =>This Inner Loop Header: Depth=1
	v_lshlrev_b64_e32 v[1:2], 2, v[5:6]
	s_wait_alu 0xfffe
	s_or_b32 s7, s7, exec_lo
	s_or_b32 s8, s8, exec_lo
	s_delay_alu instid0(VALU_DEP_1)
	v_add_co_u32 v1, vcc_lo, s48, v1
	s_wait_alu 0xfffd
	v_add_co_ci_u32_e64 v2, null, s49, v2, vcc_lo
	global_load_b32 v1, v[1:2], off
	s_wait_loadcnt 0x0
	v_cmp_o_f32_e32 vcc_lo, v1, v1
	v_cmp_neq_f32_e64 s0, v1, v15
	v_mov_b32_e32 v1, v0
                                        ; implicit-def: $vgpr0
	s_or_b32 s9, vcc_lo, s6
	s_wait_alu 0xfffe
	s_and_b32 s9, s0, s9
	s_wait_alu 0xfffe
	s_and_saveexec_b32 s0, s9
	s_cbranch_execz .LBB122_258
; %bb.260:                              ;   in Loop: Header=BB122_259 Depth=1
	v_add_nc_u32_e32 v0, s29, v1
	v_add_nc_u32_e32 v5, s47, v5
	s_and_not1_b32 s8, s8, exec_lo
	s_and_not1_b32 s7, s7, exec_lo
	s_delay_alu instid0(VALU_DEP_2)
	v_cmp_le_u32_e32 vcc_lo, s28, v0
	s_and_b32 s9, vcc_lo, exec_lo
	s_wait_alu 0xfffe
	s_or_b32 s8, s8, s9
	s_branch .LBB122_258
.LBB122_261:
	s_or_b32 exec_lo, exec_lo, s1
	s_wait_alu 0xfffe
	s_and_saveexec_b32 s0, s2
	s_delay_alu instid0(SALU_CYCLE_1)
	s_xor_b32 s0, exec_lo, s0
	s_cbranch_execz .LBB122_263
; %bb.262:
	s_mul_i32 s1, s27, s34
	s_mul_i32 s0, s46, s35
	s_sub_co_i32 s1, s46, s1
	s_sub_co_i32 s0, s33, s0
	s_add_co_i32 s2, s27, 1
	s_sub_co_i32 s6, s1, s34
	s_cmp_ge_u32 s1, s34
	s_mul_i32 s0, s0, s38
	s_wait_alu 0xfffe
	s_cselect_b32 s2, s2, s27
	s_cselect_b32 s1, s6, s1
	s_wait_alu 0xfffe
	s_add_co_i32 s6, s2, 1
	s_cmp_ge_u32 s1, s34
	v_mov_b32_e32 v2, 0
	s_wait_alu 0xfffe
	s_cselect_b32 s1, s6, s2
	s_delay_alu instid0(SALU_CYCLE_1)
	s_mul_i32 s2, s1, s34
	s_mul_i32 s1, s1, s36
	s_wait_alu 0xfffe
	s_sub_co_i32 s2, s46, s2
	s_wait_alu 0xfffe
	s_mul_i32 s2, s2, s37
	s_wait_alu 0xfffe
	s_add_co_i32 s0, s2, s0
	s_delay_alu instid0(SALU_CYCLE_1) | instskip(SKIP_1) | instid1(SALU_CYCLE_1)
	s_add_co_i32 s0, s0, s1
	s_mov_b32 s1, 0
	s_lshl_b64 s[0:1], s[0:1], 3
	s_delay_alu instid0(SALU_CYCLE_1)
	s_add_nc_u64 s[0:1], s[52:53], s[0:1]
	global_store_b64 v2, v[1:2], s[0:1]
.LBB122_263:
	s_wait_alu 0xfffe
	s_or_b32 exec_lo, exec_lo, s5
.LBB122_264:
	s_wait_alu 0xfffe
	s_or_saveexec_b32 s0, s4
	s_mov_b32 s1, 0
	s_xor_b32 exec_lo, exec_lo, s0
	s_cbranch_execnz .LBB122_267
.LBB122_265:
	s_or_b32 exec_lo, exec_lo, s0
	s_delay_alu instid0(SALU_CYCLE_1)
	s_and_b32 s0, s1, exec_lo
	s_and_not1_saveexec_b32 s1, s3
	s_cbranch_execz .LBB122_250
.LBB122_266:
	s_or_b32 s0, s0, exec_lo
	s_trap 2
	s_or_b32 exec_lo, exec_lo, s1
	s_and_saveexec_b32 s1, s0
	s_cbranch_execnz .LBB122_251
	s_branch .LBB122_252
.LBB122_267:
	s_mov_b32 s1, exec_lo
	s_trap 2
	s_branch .LBB122_265
	.section	.rodata,"a",@progbits
	.p2align	6, 0x0
	.amdhsa_kernel _ZN2at6native12_GLOBAL__N_112gatherMedianIfjLi3EEEvNS_4cuda6detail10TensorInfoIT_T0_EENS5_IlS7_EENS5_IKS6_S7_EES7_S7_S7_b
		.amdhsa_group_segment_fixed_size 4120
		.amdhsa_private_segment_fixed_size 0
		.amdhsa_kernarg_size 920
		.amdhsa_user_sgpr_count 2
		.amdhsa_user_sgpr_dispatch_ptr 0
		.amdhsa_user_sgpr_queue_ptr 0
		.amdhsa_user_sgpr_kernarg_segment_ptr 1
		.amdhsa_user_sgpr_dispatch_id 0
		.amdhsa_user_sgpr_private_segment_size 0
		.amdhsa_wavefront_size32 1
		.amdhsa_uses_dynamic_stack 0
		.amdhsa_enable_private_segment 0
		.amdhsa_system_sgpr_workgroup_id_x 1
		.amdhsa_system_sgpr_workgroup_id_y 1
		.amdhsa_system_sgpr_workgroup_id_z 1
		.amdhsa_system_sgpr_workgroup_info 0
		.amdhsa_system_vgpr_workitem_id 0
		.amdhsa_next_free_vgpr 44
		.amdhsa_next_free_sgpr 89
		.amdhsa_reserve_vcc 1
		.amdhsa_float_round_mode_32 0
		.amdhsa_float_round_mode_16_64 0
		.amdhsa_float_denorm_mode_32 3
		.amdhsa_float_denorm_mode_16_64 3
		.amdhsa_fp16_overflow 0
		.amdhsa_workgroup_processor_mode 1
		.amdhsa_memory_ordered 1
		.amdhsa_forward_progress 1
		.amdhsa_inst_pref_size 97
		.amdhsa_round_robin_scheduling 0
		.amdhsa_exception_fp_ieee_invalid_op 0
		.amdhsa_exception_fp_denorm_src 0
		.amdhsa_exception_fp_ieee_div_zero 0
		.amdhsa_exception_fp_ieee_overflow 0
		.amdhsa_exception_fp_ieee_underflow 0
		.amdhsa_exception_fp_ieee_inexact 0
		.amdhsa_exception_int_div_zero 0
	.end_amdhsa_kernel
	.section	.text._ZN2at6native12_GLOBAL__N_112gatherMedianIfjLi3EEEvNS_4cuda6detail10TensorInfoIT_T0_EENS5_IlS7_EENS5_IKS6_S7_EES7_S7_S7_b,"axG",@progbits,_ZN2at6native12_GLOBAL__N_112gatherMedianIfjLi3EEEvNS_4cuda6detail10TensorInfoIT_T0_EENS5_IlS7_EENS5_IKS6_S7_EES7_S7_S7_b,comdat
.Lfunc_end122:
	.size	_ZN2at6native12_GLOBAL__N_112gatherMedianIfjLi3EEEvNS_4cuda6detail10TensorInfoIT_T0_EENS5_IlS7_EENS5_IKS6_S7_EES7_S7_S7_b, .Lfunc_end122-_ZN2at6native12_GLOBAL__N_112gatherMedianIfjLi3EEEvNS_4cuda6detail10TensorInfoIT_T0_EENS5_IlS7_EENS5_IKS6_S7_EES7_S7_S7_b
                                        ; -- End function
	.set _ZN2at6native12_GLOBAL__N_112gatherMedianIfjLi3EEEvNS_4cuda6detail10TensorInfoIT_T0_EENS5_IlS7_EENS5_IKS6_S7_EES7_S7_S7_b.num_vgpr, 44
	.set _ZN2at6native12_GLOBAL__N_112gatherMedianIfjLi3EEEvNS_4cuda6detail10TensorInfoIT_T0_EENS5_IlS7_EENS5_IKS6_S7_EES7_S7_S7_b.num_agpr, 0
	.set _ZN2at6native12_GLOBAL__N_112gatherMedianIfjLi3EEEvNS_4cuda6detail10TensorInfoIT_T0_EENS5_IlS7_EENS5_IKS6_S7_EES7_S7_S7_b.numbered_sgpr, 89
	.set _ZN2at6native12_GLOBAL__N_112gatherMedianIfjLi3EEEvNS_4cuda6detail10TensorInfoIT_T0_EENS5_IlS7_EENS5_IKS6_S7_EES7_S7_S7_b.num_named_barrier, 0
	.set _ZN2at6native12_GLOBAL__N_112gatherMedianIfjLi3EEEvNS_4cuda6detail10TensorInfoIT_T0_EENS5_IlS7_EENS5_IKS6_S7_EES7_S7_S7_b.private_seg_size, 0
	.set _ZN2at6native12_GLOBAL__N_112gatherMedianIfjLi3EEEvNS_4cuda6detail10TensorInfoIT_T0_EENS5_IlS7_EENS5_IKS6_S7_EES7_S7_S7_b.uses_vcc, 1
	.set _ZN2at6native12_GLOBAL__N_112gatherMedianIfjLi3EEEvNS_4cuda6detail10TensorInfoIT_T0_EENS5_IlS7_EENS5_IKS6_S7_EES7_S7_S7_b.uses_flat_scratch, 0
	.set _ZN2at6native12_GLOBAL__N_112gatherMedianIfjLi3EEEvNS_4cuda6detail10TensorInfoIT_T0_EENS5_IlS7_EENS5_IKS6_S7_EES7_S7_S7_b.has_dyn_sized_stack, 0
	.set _ZN2at6native12_GLOBAL__N_112gatherMedianIfjLi3EEEvNS_4cuda6detail10TensorInfoIT_T0_EENS5_IlS7_EENS5_IKS6_S7_EES7_S7_S7_b.has_recursion, 0
	.set _ZN2at6native12_GLOBAL__N_112gatherMedianIfjLi3EEEvNS_4cuda6detail10TensorInfoIT_T0_EENS5_IlS7_EENS5_IKS6_S7_EES7_S7_S7_b.has_indirect_call, 0
	.section	.AMDGPU.csdata,"",@progbits
; Kernel info:
; codeLenInByte = 12292
; TotalNumSgprs: 91
; NumVgprs: 44
; ScratchSize: 0
; MemoryBound: 0
; FloatMode: 240
; IeeeMode: 1
; LDSByteSize: 4120 bytes/workgroup (compile time only)
; SGPRBlocks: 0
; VGPRBlocks: 5
; NumSGPRsForWavesPerEU: 91
; NumVGPRsForWavesPerEU: 44
; Occupancy: 16
; WaveLimiterHint : 1
; COMPUTE_PGM_RSRC2:SCRATCH_EN: 0
; COMPUTE_PGM_RSRC2:USER_SGPR: 2
; COMPUTE_PGM_RSRC2:TRAP_HANDLER: 0
; COMPUTE_PGM_RSRC2:TGID_X_EN: 1
; COMPUTE_PGM_RSRC2:TGID_Y_EN: 1
; COMPUTE_PGM_RSRC2:TGID_Z_EN: 1
; COMPUTE_PGM_RSRC2:TIDIG_COMP_CNT: 0
	.section	.text._ZN2at6native12_GLOBAL__N_112gatherMedianIfjLin1EEEvNS_4cuda6detail10TensorInfoIT_T0_EENS5_IlS7_EENS5_IKS6_S7_EES7_S7_S7_b,"axG",@progbits,_ZN2at6native12_GLOBAL__N_112gatherMedianIfjLin1EEEvNS_4cuda6detail10TensorInfoIT_T0_EENS5_IlS7_EENS5_IKS6_S7_EES7_S7_S7_b,comdat
	.globl	_ZN2at6native12_GLOBAL__N_112gatherMedianIfjLin1EEEvNS_4cuda6detail10TensorInfoIT_T0_EENS5_IlS7_EENS5_IKS6_S7_EES7_S7_S7_b ; -- Begin function _ZN2at6native12_GLOBAL__N_112gatherMedianIfjLin1EEEvNS_4cuda6detail10TensorInfoIT_T0_EENS5_IlS7_EENS5_IKS6_S7_EES7_S7_S7_b
	.p2align	8
	.type	_ZN2at6native12_GLOBAL__N_112gatherMedianIfjLin1EEEvNS_4cuda6detail10TensorInfoIT_T0_EENS5_IlS7_EENS5_IKS6_S7_EES7_S7_S7_b,@function
_ZN2at6native12_GLOBAL__N_112gatherMedianIfjLin1EEEvNS_4cuda6detail10TensorInfoIT_T0_EENS5_IlS7_EENS5_IKS6_S7_EES7_S7_S7_b: ; @_ZN2at6native12_GLOBAL__N_112gatherMedianIfjLin1EEEvNS_4cuda6detail10TensorInfoIT_T0_EENS5_IlS7_EENS5_IKS6_S7_EES7_S7_S7_b
; %bb.0:
	s_clause 0x1
	s_load_b64 s[4:5], s[0:1], 0x298
	s_load_b128 s[28:31], s[0:1], 0x288
	s_lshr_b32 s2, ttmp7, 16
	s_and_b32 s3, ttmp7, 0xffff
	s_wait_kmcnt 0x0
	s_mul_i32 s2, s5, s2
	s_delay_alu instid0(SALU_CYCLE_1) | instskip(NEXT) | instid1(SALU_CYCLE_1)
	s_add_co_i32 s2, s2, s3
	s_mul_i32 s2, s2, s4
	s_delay_alu instid0(SALU_CYCLE_1) | instskip(NEXT) | instid1(SALU_CYCLE_1)
	s_add_co_i32 s5, s2, ttmp9
	s_cmp_ge_u32 s5, s29
	s_cbranch_scc1 .LBB123_261
; %bb.1:
	s_load_b32 s2, s[0:1], 0xd0
	s_mov_b32 s35, 0
	s_mov_b32 s34, s5
	s_wait_kmcnt 0x0
	s_cmp_lt_i32 s2, 2
	s_cbranch_scc1 .LBB123_4
; %bb.2:
	s_add_co_i32 s34, s2, -1
	s_delay_alu instid0(SALU_CYCLE_1)
	s_lshl_b64 s[6:7], s[34:35], 2
	s_mov_b32 s34, s5
	s_add_nc_u64 s[8:9], s[0:1], s[6:7]
	s_add_co_i32 s6, s2, 1
	s_add_nc_u64 s[2:3], s[8:9], 8
.LBB123_3:                              ; =>This Inner Loop Header: Depth=1
	s_clause 0x1
	s_load_b32 s7, s[2:3], 0x0
	s_load_b32 s8, s[2:3], 0x64
	s_mov_b32 s11, s34
	s_add_nc_u64 s[2:3], s[2:3], -4
	s_wait_kmcnt 0x0
	s_cvt_f32_u32 s9, s7
	s_sub_co_i32 s10, 0, s7
	s_wait_alu 0xfffe
	s_delay_alu instid0(SALU_CYCLE_1) | instskip(NEXT) | instid1(TRANS32_DEP_1)
	v_rcp_iflag_f32_e32 v1, s9
	v_readfirstlane_b32 s9, v1
	s_mul_f32 s9, s9, 0x4f7ffffe
	s_wait_alu 0xfffe
	s_delay_alu instid0(SALU_CYCLE_2) | instskip(SKIP_1) | instid1(SALU_CYCLE_2)
	s_cvt_u32_f32 s9, s9
	s_wait_alu 0xfffe
	s_mul_i32 s10, s10, s9
	s_delay_alu instid0(SALU_CYCLE_1) | instskip(NEXT) | instid1(SALU_CYCLE_1)
	s_mul_hi_u32 s10, s9, s10
	s_add_co_i32 s9, s9, s10
	s_wait_alu 0xfffe
	s_mul_hi_u32 s9, s34, s9
	s_wait_alu 0xfffe
	s_mul_i32 s10, s9, s7
	s_add_co_i32 s12, s9, 1
	s_sub_co_i32 s10, s34, s10
	s_delay_alu instid0(SALU_CYCLE_1)
	s_sub_co_i32 s13, s10, s7
	s_cmp_ge_u32 s10, s7
	s_cselect_b32 s9, s12, s9
	s_cselect_b32 s10, s13, s10
	s_wait_alu 0xfffe
	s_add_co_i32 s12, s9, 1
	s_cmp_ge_u32 s10, s7
	s_cselect_b32 s34, s12, s9
	s_add_co_i32 s6, s6, -1
	s_mul_i32 s7, s34, s7
	s_delay_alu instid0(SALU_CYCLE_1) | instskip(NEXT) | instid1(SALU_CYCLE_1)
	s_sub_co_i32 s7, s11, s7
	s_mul_i32 s7, s8, s7
	s_delay_alu instid0(SALU_CYCLE_1)
	s_add_co_i32 s35, s7, s35
	s_cmp_gt_u32 s6, 2
	s_cbranch_scc1 .LBB123_3
.LBB123_4:
	s_load_b32 s6, s[0:1], 0x1a8
	s_add_nc_u64 s[8:9], s[0:1], 0x298
	s_add_nc_u64 s[2:3], s[0:1], 0xd8
	s_mov_b32 s27, 0
	s_mov_b32 s33, s5
	s_wait_kmcnt 0x0
	s_cmp_lt_i32 s6, 2
	s_cbranch_scc1 .LBB123_7
; %bb.5:
	s_add_co_i32 s26, s6, -1
	s_mov_b32 s33, s5
	s_lshl_b64 s[10:11], s[26:27], 2
	s_delay_alu instid0(SALU_CYCLE_1)
	s_add_nc_u64 s[12:13], s[2:3], s[10:11]
	s_add_co_i32 s10, s6, 1
	s_add_nc_u64 s[6:7], s[12:13], 8
.LBB123_6:                              ; =>This Inner Loop Header: Depth=1
	s_clause 0x1
	s_load_b32 s11, s[6:7], 0x0
	s_load_b32 s12, s[6:7], 0x64
	s_mov_b32 s15, s33
	s_add_nc_u64 s[6:7], s[6:7], -4
	s_wait_kmcnt 0x0
	s_cvt_f32_u32 s13, s11
	s_sub_co_i32 s14, 0, s11
	s_wait_alu 0xfffe
	s_delay_alu instid0(SALU_CYCLE_1) | instskip(NEXT) | instid1(TRANS32_DEP_1)
	v_rcp_iflag_f32_e32 v1, s13
	v_readfirstlane_b32 s13, v1
	s_mul_f32 s13, s13, 0x4f7ffffe
	s_wait_alu 0xfffe
	s_delay_alu instid0(SALU_CYCLE_2) | instskip(SKIP_1) | instid1(SALU_CYCLE_2)
	s_cvt_u32_f32 s13, s13
	s_wait_alu 0xfffe
	s_mul_i32 s14, s14, s13
	s_delay_alu instid0(SALU_CYCLE_1) | instskip(NEXT) | instid1(SALU_CYCLE_1)
	s_mul_hi_u32 s14, s13, s14
	s_add_co_i32 s13, s13, s14
	s_wait_alu 0xfffe
	s_mul_hi_u32 s13, s33, s13
	s_wait_alu 0xfffe
	s_mul_i32 s14, s13, s11
	s_add_co_i32 s16, s13, 1
	s_sub_co_i32 s14, s33, s14
	s_delay_alu instid0(SALU_CYCLE_1)
	s_sub_co_i32 s17, s14, s11
	s_cmp_ge_u32 s14, s11
	s_cselect_b32 s13, s16, s13
	s_cselect_b32 s14, s17, s14
	s_wait_alu 0xfffe
	s_add_co_i32 s16, s13, 1
	s_cmp_ge_u32 s14, s11
	s_cselect_b32 s33, s16, s13
	s_add_co_i32 s10, s10, -1
	s_mul_i32 s11, s33, s11
	s_delay_alu instid0(SALU_CYCLE_1) | instskip(NEXT) | instid1(SALU_CYCLE_1)
	s_sub_co_i32 s11, s15, s11
	s_mul_i32 s11, s12, s11
	s_delay_alu instid0(SALU_CYCLE_1)
	s_add_co_i32 s27, s11, s27
	s_cmp_gt_u32 s10, 2
	s_cbranch_scc1 .LBB123_6
.LBB123_7:
	s_clause 0x1
	s_load_b32 s51, s[0:1], 0x6c
	s_load_b32 s10, s[0:1], 0x280
	s_mov_b32 s7, 0
	s_wait_kmcnt 0x0
	s_cmp_lt_i32 s10, 2
	s_cbranch_scc1 .LBB123_10
; %bb.8:
	s_add_co_i32 s6, s10, -1
	s_add_nc_u64 s[12:13], s[0:1], 0x1b0
	s_lshl_b64 s[14:15], s[6:7], 2
	s_add_co_i32 s6, s10, 1
	s_wait_alu 0xfffe
	s_add_nc_u64 s[12:13], s[12:13], s[14:15]
	s_wait_alu 0xfffe
	s_add_nc_u64 s[10:11], s[12:13], 8
.LBB123_9:                              ; =>This Inner Loop Header: Depth=1
	s_clause 0x1
	s_load_b32 s12, s[10:11], 0x0
	s_load_b32 s13, s[10:11], 0x64
	s_mov_b32 s16, s5
	s_add_nc_u64 s[10:11], s[10:11], -4
	s_wait_kmcnt 0x0
	s_cvt_f32_u32 s14, s12
	s_sub_co_i32 s15, 0, s12
	s_wait_alu 0xfffe
	s_delay_alu instid0(SALU_CYCLE_1) | instskip(NEXT) | instid1(TRANS32_DEP_1)
	v_rcp_iflag_f32_e32 v1, s14
	v_readfirstlane_b32 s14, v1
	s_mul_f32 s14, s14, 0x4f7ffffe
	s_wait_alu 0xfffe
	s_delay_alu instid0(SALU_CYCLE_2) | instskip(SKIP_1) | instid1(SALU_CYCLE_2)
	s_cvt_u32_f32 s14, s14
	s_wait_alu 0xfffe
	s_mul_i32 s15, s15, s14
	s_wait_alu 0xfffe
	s_mul_hi_u32 s15, s14, s15
	s_wait_alu 0xfffe
	s_add_co_i32 s14, s14, s15
	s_wait_alu 0xfffe
	s_mul_hi_u32 s5, s5, s14
	s_delay_alu instid0(SALU_CYCLE_1)
	s_mul_i32 s14, s5, s12
	s_add_co_i32 s15, s5, 1
	s_wait_alu 0xfffe
	s_sub_co_i32 s14, s16, s14
	s_wait_alu 0xfffe
	s_sub_co_i32 s17, s14, s12
	s_cmp_ge_u32 s14, s12
	s_cselect_b32 s5, s15, s5
	s_cselect_b32 s14, s17, s14
	s_add_co_i32 s15, s5, 1
	s_wait_alu 0xfffe
	s_cmp_ge_u32 s14, s12
	s_cselect_b32 s5, s15, s5
	s_add_co_i32 s6, s6, -1
	s_mul_i32 s12, s5, s12
	s_wait_alu 0xfffe
	s_sub_co_i32 s12, s16, s12
	s_wait_alu 0xfffe
	s_mul_i32 s12, s13, s12
	s_wait_alu 0xfffe
	s_add_co_i32 s7, s12, s7
	s_cmp_gt_u32 s6, 2
	s_cbranch_scc1 .LBB123_9
.LBB123_10:
	s_clause 0x2
	s_load_b32 s50, s[2:3], 0x6c
	s_load_b32 s2, s[0:1], 0x21c
	s_load_b64 s[12:13], s[0:1], 0x1b0
	s_mov_b32 s11, 0
	v_mov_b32_e32 v3, 0
	s_wait_kmcnt 0x0
	s_mul_i32 s2, s2, s5
	s_delay_alu instid0(SALU_CYCLE_1) | instskip(SKIP_2) | instid1(SALU_CYCLE_1)
	s_add_co_i32 s10, s2, s7
	v_cmp_gt_u32_e64 s2, s28, v0
	s_lshl_b64 s[6:7], s[10:11], 2
	s_add_nc_u64 s[36:37], s[12:13], s[6:7]
	s_and_saveexec_b32 s5, s2
	s_cbranch_execz .LBB123_14
; %bb.11:
	s_load_b32 s3, s[8:9], 0xc
	v_mov_b32_e32 v2, 0
	v_mul_lo_u32 v1, v0, s30
	s_delay_alu instid0(VALU_DEP_2) | instskip(SKIP_2) | instid1(SALU_CYCLE_1)
	v_dual_mov_b32 v4, v0 :: v_dual_mov_b32 v3, v2
	s_wait_kmcnt 0x0
	s_and_b32 s6, s3, 0xffff
	s_mul_i32 s7, s30, s6
.LBB123_12:                             ; =>This Inner Loop Header: Depth=1
	s_delay_alu instid0(VALU_DEP_2) | instskip(SKIP_2) | instid1(VALU_DEP_3)
	v_lshlrev_b64_e32 v[5:6], 2, v[1:2]
	v_add_nc_u32_e32 v4, s6, v4
	v_add_nc_u32_e32 v1, s7, v1
	v_add_co_u32 v5, vcc_lo, s36, v5
	s_wait_alu 0xfffd
	s_delay_alu instid0(VALU_DEP_4)
	v_add_co_ci_u32_e64 v6, null, s37, v6, vcc_lo
	v_cmp_le_u32_e32 vcc_lo, s28, v4
	global_load_b32 v5, v[5:6], off
	s_or_b32 s11, vcc_lo, s11
	s_wait_loadcnt 0x0
	v_cmp_u_f32_e64 s3, v5, v5
	s_wait_alu 0xf1ff
	s_delay_alu instid0(VALU_DEP_1)
	v_add_co_ci_u32_e64 v3, null, 0, v3, s3
	s_and_not1_b32 exec_lo, exec_lo, s11
	s_cbranch_execnz .LBB123_12
; %bb.13:
	s_or_b32 exec_lo, exec_lo, s11
.LBB123_14:
	s_delay_alu instid0(SALU_CYCLE_1)
	s_or_b32 exec_lo, exec_lo, s5
	s_clause 0x1
	s_load_b64 s[40:41], s[0:1], 0x0
	s_load_b64 s[38:39], s[0:1], 0xd8
	v_cmp_eq_u32_e64 s0, 0, v0
	s_and_saveexec_b32 s1, s0
; %bb.15:
	v_mov_b32_e32 v1, 0
	s_delay_alu instid0(VALU_DEP_1)
	v_mov_b32_e32 v2, v1
	ds_store_b64 v1, v[1:2] offset:4096
; %bb.16:
	s_or_b32 exec_lo, exec_lo, s1
	s_delay_alu instid0(SALU_CYCLE_1)
	s_mov_b32 s1, exec_lo
	s_wait_dscnt 0x0
	s_barrier_signal -1
	s_barrier_wait -1
	global_inv scope:SCOPE_SE
	v_cmpx_ne_u32_e32 0, v3
	s_cbranch_execz .LBB123_21
; %bb.17:
	v_mov_b32_e32 v1, 0
	s_mov_b32 s3, exec_lo
	s_mov_b64 s[6:7], 0
.LBB123_18:                             ; =>This Inner Loop Header: Depth=1
	s_wait_alu 0xfffe
	s_ctz_i32_b32 s5, s3
	s_wait_alu 0xfffe
	v_readlane_b32 s11, v1, s5
	v_readlane_b32 s10, v3, s5
	s_lshl_b32 s5, 1, s5
	s_wait_alu 0xfffe
	s_and_not1_b32 s3, s3, s5
	s_wait_alu 0xfffe
	s_cmp_lg_u32 s3, 0
	s_add_nc_u64 s[6:7], s[6:7], s[10:11]
	s_cbranch_scc1 .LBB123_18
; %bb.19:
	v_mbcnt_lo_u32_b32 v1, exec_lo, 0
	s_mov_b32 s3, exec_lo
	s_delay_alu instid0(VALU_DEP_1)
	v_cmpx_eq_u32_e32 0, v1
	s_wait_alu 0xfffe
	s_xor_b32 s3, exec_lo, s3
; %bb.20:
	v_mov_b32_e32 v1, s6
	v_dual_mov_b32 v3, 0 :: v_dual_mov_b32 v2, s7
	ds_add_u64 v3, v[1:2] offset:4096
.LBB123_21:
	s_or_b32 exec_lo, exec_lo, s1
	v_mov_b32_e32 v1, 0
	s_wait_loadcnt_dscnt 0x0
	s_barrier_signal -1
	s_barrier_wait -1
	global_inv scope:SCOPE_SE
	ds_load_b64 v[1:2], v1 offset:4096
	s_bitcmp1_b32 s31, 0
	s_mov_b32 s10, s28
	s_cselect_b32 s3, -1, 0
	s_wait_dscnt 0x0
	v_readfirstlane_b32 s6, v1
	v_readfirstlane_b32 s7, v2
	s_wait_alu 0xf1ff
	s_delay_alu instid0(VALU_DEP_1) | instskip(SKIP_2) | instid1(SALU_CYCLE_1)
	v_cmp_lt_i64_e64 s1, s[6:7], 1
	s_wait_alu 0xfffe
	s_or_b32 s1, s3, s1
	s_and_not1_b32 vcc_lo, exec_lo, s1
	s_wait_alu 0xfffe
	s_cbranch_vccnz .LBB123_23
; %bb.22:
	s_not_b64 s[6:7], s[6:7]
	s_mov_b32 s29, 0
	s_wait_alu 0xfffe
	s_add_nc_u64 s[6:7], s[6:7], s[28:29]
	s_mov_b32 s11, s29
	s_wait_alu 0xfffe
	s_lshr_b32 s10, s7, 31
	s_delay_alu instid0(SALU_CYCLE_1)
	s_add_nc_u64 s[6:7], s[6:7], s[10:11]
	s_wait_alu 0xfffe
	s_lshr_b64 s[6:7], s[6:7], 1
	s_wait_alu 0xfffe
	s_add_co_i32 s10, s6, 1
.LBB123_23:
	s_and_saveexec_b32 s1, s0
	s_cbranch_execz .LBB123_25
; %bb.24:
	v_dual_mov_b32 v1, 0 :: v_dual_mov_b32 v2, s28
	ds_store_b32 v1, v1 offset:4112
	ds_store_b64 v1, v[1:2] offset:4104
.LBB123_25:
	s_or_b32 exec_lo, exec_lo, s1
	s_wait_loadcnt_dscnt 0x0
	s_barrier_signal -1
	s_barrier_wait -1
	global_inv scope:SCOPE_SE
	s_load_b32 s5, s[8:9], 0xc
	v_mbcnt_lo_u32_b32 v16, -1, 0
	v_cmp_gt_u32_e32 vcc_lo, 32, v0
	v_mov_b32_e32 v7, 0
	v_mul_lo_u32 v5, s30, v0
	v_lshlrev_b32_e32 v17, 2, v0
	v_cmp_gt_i32_e64 s3, 4, v16
	v_lshrrev_b32_e32 v3, 1, v0
	v_mov_b32_e32 v6, v7
	v_cmp_gt_u32_e64 s1, 2, v0
	v_add_nc_u32_e32 v18, 0xc00, v17
	s_and_b32 s31, vcc_lo, s3
	v_dual_mov_b32 v22, 0 :: v_dual_lshlrev_b32 v25, 2, v5
	s_wait_alu 0xfffe
	v_mad_co_u64_u32 v[12:13], null, s30, v17, s[30:31]
	v_dual_mov_b32 v30, 0 :: v_dual_lshlrev_b32 v27, 4, v0
	v_lshl_or_b32 v28, v16, 2, 0xc00
	v_mov_b32_e32 v13, 1.0
	s_wait_kmcnt 0x0
	s_and_b32 s29, s5, 0xffff
	s_bfe_u32 s5, s5, 0xb0005
	s_wait_alu 0xfffe
	s_lshl_b32 s52, s29, 2
	s_add_co_i32 s53, s29, -1
	s_cvt_f32_u32 s3, s52
	s_add_co_i32 s6, s53, s28
	s_cmp_gt_u32 s28, 0x300
	s_cvt_f32_u32 s11, s29
	s_wait_alu 0xfffe
	v_rcp_iflag_f32_e32 v1, s3
	s_cselect_b32 s55, -1, 0
	s_cmp_gt_u32 s29, 31
	v_mov_b32_e32 v15, 0
	s_cselect_b32 s56, -1, 0
	s_cmp_lt_u32 ttmp9, s4
	s_movk_i32 s4, 0x1f0
	s_cselect_b32 s42, 12, 18
	s_add_co_i32 s3, s5, -1
	s_bfe_u32 s57, s29, 0x30005
	v_readfirstlane_b32 s7, v1
	s_wait_alu 0xfffe
	s_and_b32 s3, s3, 0xffff
	v_rcp_iflag_f32_e32 v1, s11
	s_wait_alu 0xfffe
	s_cmp_gt_u32 s3, 6
	v_and_or_b32 v19, v3, s4, 0xc00
	s_mul_f32 s3, s7, 0x4f7ffffe
	s_cselect_b32 s58, -1, 0
	s_and_b32 s59, s5, 0x7f8
	s_cmp_lg_u32 s57, 0
	s_wait_alu 0xfffe
	s_cvt_u32_f32 s3, s3
	s_cselect_b32 s60, -1, 0
	s_sub_co_i32 s5, 0, s52
	v_readfirstlane_b32 s7, v1
	s_wait_alu 0xfffe
	s_mul_i32 s5, s5, s3
	v_lshlrev_b64_e64 v[1:2], v16, -1
	s_wait_alu 0xfffe
	s_mul_hi_u32 s5, s3, s5
	v_lshlrev_b64_e32 v[2:3], 2, v[5:6]
	s_wait_alu 0xfffe
	s_add_co_i32 s44, s3, s5
	s_mul_f32 s7, s7, 0x4f7ffffe
	s_mul_hi_u32 s5, s28, s44
	v_not_b32_e32 v21, v1
	s_wait_alu 0xfffe
	s_mul_i32 s5, s5, s52
	s_cvt_u32_f32 s7, s7
	s_wait_alu 0xfffe
	s_sub_co_i32 s5, s28, s5
	v_add_co_u32 v8, vcc_lo, s36, v2
	s_wait_alu 0xfffe
	s_sub_co_i32 s11, s5, s52
	s_cmp_ge_u32 s5, s52
	s_wait_alu 0xfffd
	v_add_co_ci_u32_e64 v9, null, s37, v3, vcc_lo
	s_wait_alu 0xfffe
	s_cselect_b32 s5, s11, s5
	v_add3_u32 v3, s29, s28, v0
	s_wait_alu 0xfffe
	s_sub_co_i32 s11, s5, s52
	s_cmp_ge_u32 s5, s52
	v_mov_b32_e32 v31, s10
	s_wait_alu 0xfffe
	s_cselect_b32 s11, s11, s5
	s_sub_co_i32 s5, 0, s29
	s_wait_alu 0xfffe
	s_sub_co_i32 s61, s28, s11
	s_mul_i32 s5, s5, s7
	v_add_nc_u32_e32 v20, s61, v0
	s_wait_alu 0xfffe
	s_mul_hi_u32 s4, s7, s5
	v_subrev_nc_u32_e32 v3, s11, v3
	s_wait_alu 0xfffe
	s_add_co_i32 s46, s7, s4
	v_cmp_eq_u32_e64 s3, 0, v16
	v_mul_lo_u32 v6, v20, s30
	s_mul_hi_u32 s4, s6, s46
	v_mul_lo_u32 v26, s30, v3
	s_wait_alu 0xfffe
	s_mul_i32 s4, s4, s29
	v_mov_b32_e32 v29, 0
	s_wait_alu 0xfffe
	s_sub_co_i32 s4, s6, s4
	s_mov_b32 s43, 0
	s_wait_alu 0xfffe
	s_sub_co_i32 s5, s4, s29
	v_lshlrev_b64_e32 v[1:2], 2, v[6:7]
	s_cmp_ge_u32 s4, s29
	s_mul_i32 s54, s30, s29
	s_wait_alu 0xfffe
	s_cselect_b32 s5, s5, s4
	v_cmp_gt_u32_e64 s4, s61, v17
	s_wait_alu 0xfffe
	s_sub_co_i32 s7, s5, s29
	v_add_co_u32 v10, vcc_lo, s36, v1
	s_wait_alu 0xfffd
	v_add_co_ci_u32_e64 v11, null, s37, v2, vcc_lo
	v_or_b32_e32 v1, 2, v17
	v_or_b32_e32 v2, 3, v17
	s_cmp_ge_u32 s5, s29
	s_mov_b32 s45, s43
	s_wait_alu 0xfffe
	s_cselect_b32 s7, s7, s5
	v_mul_lo_u32 v23, s30, v1
	v_mul_lo_u32 v24, s30, v2
	s_wait_alu 0xfffe
	s_sub_co_i32 s62, s6, s7
	v_cmp_gt_u32_e64 s5, s28, v20
	v_cmp_gt_u32_e64 s6, s62, v0
	s_mov_b32 s47, s43
	s_lshl_b32 s63, s54, 2
	s_lshl_b32 s64, s29, 4
	s_mov_b32 s72, 30
	s_add_nc_u64 s[48:49], s[8:9], s[42:43]
	s_mov_b32 s65, 0
                                        ; implicit-def: $sgpr69
                                        ; implicit-def: $sgpr71
                                        ; implicit-def: $sgpr66
                                        ; implicit-def: $sgpr68
                                        ; implicit-def: $sgpr70
                                        ; implicit-def: $sgpr67
	s_branch .LBB123_29
.LBB123_26:                             ;   in Loop: Header=BB123_29 Depth=1
	s_wait_alu 0xfffe
	s_or_b32 exec_lo, exec_lo, s11
	s_delay_alu instid0(SALU_CYCLE_1)
	s_and_b32 s8, s8, exec_lo
	s_and_not1_b32 s13, s13, exec_lo
	s_and_not1_b32 s12, s12, exec_lo
	s_or_not1_b32 s10, s10, exec_lo
.LBB123_27:                             ;   in Loop: Header=BB123_29 Depth=1
	s_wait_alu 0xfffe
	s_or_b32 exec_lo, exec_lo, s7
	s_delay_alu instid0(SALU_CYCLE_1)
	s_and_not1_b32 s7, s67, exec_lo
	s_and_b32 s8, s8, exec_lo
	s_and_not1_b32 s11, s68, exec_lo
	s_wait_alu 0xfffe
	s_or_b32 s67, s7, s8
	s_and_not1_b32 s7, s70, exec_lo
	s_and_b32 s8, s13, exec_lo
	s_and_b32 s12, s12, exec_lo
	s_wait_alu 0xfffe
	s_or_b32 s70, s7, s8
	s_or_b32 s68, s11, s12
	s_or_not1_b32 s11, s10, exec_lo
.LBB123_28:                             ;   in Loop: Header=BB123_29 Depth=1
	s_wait_alu 0xfffe
	s_or_b32 exec_lo, exec_lo, s9
	s_delay_alu instid0(SALU_CYCLE_1)
	s_and_b32 s7, exec_lo, s11
	v_mov_b32_e32 v31, v2
	s_wait_alu 0xfffe
	s_or_b32 s65, s7, s65
	s_and_not1_b32 s7, s66, exec_lo
	s_and_b32 s8, s67, exec_lo
	s_and_not1_b32 s9, s71, exec_lo
	s_wait_alu 0xfffe
	s_or_b32 s66, s7, s8
	s_and_b32 s7, s70, exec_lo
	s_and_not1_b32 s8, s69, exec_lo
	s_and_b32 s10, s68, exec_lo
	s_wait_alu 0xfffe
	s_or_b32 s71, s9, s7
	s_or_b32 s69, s8, s10
	s_mov_b32 s72, s18
	s_and_not1_b32 exec_lo, exec_lo, s65
	s_cbranch_execz .LBB123_257
.LBB123_29:                             ; =>This Loop Header: Depth=1
                                        ;     Child Loop BB123_35 Depth 2
                                        ;     Child Loop BB123_48 Depth 2
	;; [unrolled: 1-line block ×16, first 2 shown]
	ds_load_b64 v[1:2], v7 offset:4104
	s_wait_dscnt 0x0
	v_readfirstlane_b32 s42, v1
	s_cmp_lg_u32 s42, 0
	s_cbranch_scc1 .LBB123_56
; %bb.30:                               ;   in Loop: Header=BB123_29 Depth=1
	s_and_b32 vcc_lo, exec_lo, s55
	s_wait_alu 0xfffe
	s_cbranch_vccz .LBB123_43
; %bb.31:                               ;   in Loop: Header=BB123_29 Depth=1
	v_cmp_gt_u32_e32 vcc_lo, 0x301, v2
	s_mov_b32 s9, 0
	s_mov_b32 s7, 0
	s_cbranch_vccz .LBB123_44
; %bb.32:                               ;   in Loop: Header=BB123_29 Depth=1
	s_and_saveexec_b32 s10, s2
	s_cbranch_execz .LBB123_142
; %bb.33:                               ;   in Loop: Header=BB123_29 Depth=1
	global_load_b32 v1, v[8:9], off
	s_load_u16 s11, s[48:49], 0x0
	s_mov_b32 s13, 0
	s_wait_kmcnt 0x0
	v_add_nc_u32_e32 v2, s11, v0
	s_mul_i32 s12, s30, s11
	s_delay_alu instid0(VALU_DEP_1)
	v_mul_lo_u32 v6, s30, v2
	v_mov_b32_e32 v2, v0
	s_branch .LBB123_35
.LBB123_34:                             ;   in Loop: Header=BB123_35 Depth=2
	s_wait_alu 0xfffe
	s_or_b32 exec_lo, exec_lo, s8
	v_dual_mov_b32 v1, v3 :: v_dual_add_nc_u32 v6, s12, v6
	s_and_not1_b32 exec_lo, exec_lo, s13
	s_cbranch_execz .LBB123_142
.LBB123_35:                             ;   Parent Loop BB123_29 Depth=1
                                        ; =>  This Inner Loop Header: Depth=2
	s_delay_alu instid0(VALU_DEP_1) | instskip(SKIP_3) | instid1(VALU_DEP_2)
	v_dual_mov_b32 v3, 0 :: v_dual_add_nc_u32 v2, s11, v2
	s_wait_dscnt 0x0
	v_mov_b32_e32 v4, 0
	s_mov_b32 s8, exec_lo
	v_cmp_le_u32_e32 vcc_lo, s28, v2
	v_cmpx_gt_u32_e64 s28, v2
	s_cbranch_execz .LBB123_37
; %bb.36:                               ;   in Loop: Header=BB123_35 Depth=2
	v_lshlrev_b64_e32 v[32:33], 2, v[6:7]
	s_delay_alu instid0(VALU_DEP_1) | instskip(SKIP_1) | instid1(VALU_DEP_2)
	v_add_co_u32 v32, s7, s36, v32
	s_wait_alu 0xf1ff
	v_add_co_ci_u32_e64 v33, null, s37, v33, s7
	global_load_b32 v3, v[32:33], off
.LBB123_37:                             ;   in Loop: Header=BB123_35 Depth=2
	s_wait_alu 0xfffe
	s_or_b32 exec_lo, exec_lo, s8
	s_wait_loadcnt 0x0
	v_cmp_lt_i32_e64 s7, -1, v1
	s_wait_alu 0xf1ff
	s_delay_alu instid0(VALU_DEP_1) | instskip(SKIP_1) | instid1(VALU_DEP_2)
	v_cndmask_b32_e64 v14, -1, 0x80000000, s7
	v_cmp_o_f32_e64 s7, v1, v1
	v_xor_b32_e32 v14, v14, v1
	s_wait_alu 0xf1ff
	s_delay_alu instid0(VALU_DEP_1) | instskip(NEXT) | instid1(VALU_DEP_1)
	v_cndmask_b32_e64 v14, -1, v14, s7
	v_and_b32_e32 v14, v14, v30
	s_delay_alu instid0(VALU_DEP_1)
	v_cmp_eq_u32_e64 s7, v14, v22
	s_cmp_lg_u32 s7, 0
	s_cselect_b32 s8, -1, 0
	s_wait_alu 0xfffe
	s_and_b32 s8, s3, s8
	s_wait_alu 0xfffe
	s_and_saveexec_b32 s14, s8
	s_cbranch_execz .LBB123_41
; %bb.38:                               ;   in Loop: Header=BB123_35 Depth=2
	s_mov_b32 s17, exec_lo
	s_bcnt1_i32_b32 s15, s7
	s_wait_alu 0xfffe
	v_mbcnt_lo_u32_b32 v4, s17, 0
	s_mov_b32 s16, exec_lo
                                        ; implicit-def: $vgpr14
	s_delay_alu instid0(VALU_DEP_1)
	v_cmpx_eq_u32_e32 0, v4
; %bb.39:                               ;   in Loop: Header=BB123_35 Depth=2
	s_bcnt1_i32_b32 s8, s17
	s_wait_alu 0xfffe
	s_mul_i32 s8, s15, s8
	s_wait_alu 0xfffe
	v_mov_b32_e32 v14, s8
	ds_add_rtn_u32 v14, v7, v14 offset:4112
; %bb.40:                               ;   in Loop: Header=BB123_35 Depth=2
	s_or_b32 exec_lo, exec_lo, s16
	s_wait_dscnt 0x0
	v_readfirstlane_b32 s8, v14
	s_wait_alu 0xf1ff
	s_delay_alu instid0(VALU_DEP_1)
	v_mad_u32_u24 v4, s15, v4, s8
.LBB123_41:                             ;   in Loop: Header=BB123_35 Depth=2
	s_wait_alu 0xfffe
	s_or_b32 exec_lo, exec_lo, s14
	ds_bpermute_b32 v4, v7, v4
	s_and_b32 s8, exec_lo, vcc_lo
	s_wait_alu 0xfffe
	s_or_b32 s13, s8, s13
	s_and_saveexec_b32 s8, s7
	s_cbranch_execz .LBB123_34
; %bb.42:                               ;   in Loop: Header=BB123_35 Depth=2
	v_and_b32_e32 v14, s7, v21
	s_delay_alu instid0(VALU_DEP_1) | instskip(NEXT) | instid1(VALU_DEP_1)
	v_bcnt_u32_b32 v14, v14, 0
	v_lshlrev_b32_e32 v14, 2, v14
	s_wait_dscnt 0x0
	s_delay_alu instid0(VALU_DEP_1)
	v_lshl_add_u32 v4, v4, 2, v14
	ds_store_b32 v4, v1
	s_branch .LBB123_34
.LBB123_43:                             ;   in Loop: Header=BB123_29 Depth=1
	s_mov_b32 s9, -1
	s_mov_b32 s7, 0
.LBB123_44:                             ;   in Loop: Header=BB123_29 Depth=1
	s_wait_alu 0xfffe
	s_and_b32 vcc_lo, exec_lo, s9
	s_wait_alu 0xfffe
	s_cbranch_vccz .LBB123_54
.LBB123_45:                             ;   in Loop: Header=BB123_29 Depth=1
	s_and_saveexec_b32 s7, s2
	s_cbranch_execz .LBB123_51
; %bb.46:                               ;   in Loop: Header=BB123_29 Depth=1
	global_load_b32 v2, v[8:9], off
	s_load_u16 s9, s[48:49], 0x0
	v_mov_b32_e32 v1, v0
	s_mov_b32 s8, exec_lo
	s_wait_kmcnt 0x0
	v_add_nc_u32_e32 v3, s9, v0
	s_delay_alu instid0(VALU_DEP_1)
	v_cmpx_gt_u32_e64 s28, v3
	s_cbranch_execz .LBB123_50
; %bb.47:                               ;   in Loop: Header=BB123_29 Depth=1
	v_mul_lo_u32 v6, s30, v3
	v_mov_b32_e32 v3, v17
	v_mov_b32_e32 v1, v0
	s_lshl_b32 s10, s9, 2
	s_mul_i32 s12, s30, s9
	s_mov_b32 s11, 0
.LBB123_48:                             ;   Parent Loop BB123_29 Depth=1
                                        ; =>  This Inner Loop Header: Depth=2
	s_delay_alu instid0(VALU_DEP_3)
	v_lshlrev_b64_e32 v[32:33], 2, v[6:7]
	s_wait_loadcnt 0x0
	ds_store_b32 v3, v2
	s_wait_alu 0xfffe
	v_add_nc_u32_e32 v3, s10, v3
	v_add_nc_u32_e32 v6, s12, v6
	v_add_co_u32 v32, vcc_lo, s36, v32
	s_wait_alu 0xfffd
	v_add_co_ci_u32_e64 v33, null, s37, v33, vcc_lo
	global_load_b32 v4, v[32:33], off
	s_wait_loadcnt 0x0
	v_dual_mov_b32 v2, v4 :: v_dual_add_nc_u32 v1, s9, v1
	s_delay_alu instid0(VALU_DEP_1) | instskip(NEXT) | instid1(VALU_DEP_1)
	v_add_nc_u32_e32 v14, s9, v1
	v_cmp_le_u32_e32 vcc_lo, s28, v14
	s_or_b32 s11, vcc_lo, s11
	s_wait_alu 0xfffe
	s_and_not1_b32 exec_lo, exec_lo, s11
	s_cbranch_execnz .LBB123_48
; %bb.49:                               ;   in Loop: Header=BB123_29 Depth=1
	s_or_b32 exec_lo, exec_lo, s11
	v_mov_b32_e32 v2, v4
.LBB123_50:                             ;   in Loop: Header=BB123_29 Depth=1
	s_wait_alu 0xfffe
	s_or_b32 exec_lo, exec_lo, s8
	v_lshlrev_b32_e32 v1, 2, v1
	s_wait_loadcnt 0x0
	ds_store_b32 v1, v2
.LBB123_51:                             ;   in Loop: Header=BB123_29 Depth=1
	s_wait_alu 0xfffe
	s_or_b32 exec_lo, exec_lo, s7
	s_wait_loadcnt_dscnt 0x0
	s_barrier_signal -1
	s_barrier_wait -1
	global_inv scope:SCOPE_SE
	s_and_saveexec_b32 s7, s0
; %bb.52:                               ;   in Loop: Header=BB123_29 Depth=1
	v_mov_b32_e32 v1, s28
	ds_store_b32 v7, v1 offset:4104
; %bb.53:                               ;   in Loop: Header=BB123_29 Depth=1
	s_wait_alu 0xfffe
	s_or_b32 exec_lo, exec_lo, s7
	s_mov_b32 s7, -1
	s_wait_loadcnt_dscnt 0x0
	s_barrier_signal -1
	s_barrier_wait -1
.LBB123_54:                             ;   in Loop: Header=BB123_29 Depth=1
	s_wait_alu 0xfffe
	s_and_b32 vcc_lo, exec_lo, s7
	s_mov_b32 s42, 0
	s_wait_alu 0xfffe
	s_cbranch_vccz .LBB123_56
; %bb.55:                               ;   in Loop: Header=BB123_29 Depth=1
	s_wait_loadcnt 0x0
	global_inv scope:SCOPE_SE
	ds_load_b32 v1, v7 offset:4104
	s_wait_dscnt 0x0
	v_readfirstlane_b32 s42, v1
.LBB123_56:                             ;   in Loop: Header=BB123_29 Depth=1
	s_delay_alu instid0(VALU_DEP_1)
	s_cmp_lt_i32 s42, 1
	s_mov_b32 s7, -1
                                        ; implicit-def: $vgpr1
	s_cbranch_scc1 .LBB123_66
; %bb.57:                               ;   in Loop: Header=BB123_29 Depth=1
	s_wait_alu 0xfffe
	s_and_b32 vcc_lo, exec_lo, s7
	s_wait_alu 0xfffe
	s_cbranch_vccnz .LBB123_77
.LBB123_58:                             ;   in Loop: Header=BB123_29 Depth=1
	v_lshlrev_b32_e32 v6, 7, v29
	s_and_saveexec_b32 s7, s3
.LBB123_59:                             ;   in Loop: Header=BB123_29 Depth=1
	s_delay_alu instid0(VALU_DEP_1)
	v_lshl_add_u32 v14, v6, 2, v19
	ds_store_b128 v14, v[1:4]
.LBB123_60:                             ;   in Loop: Header=BB123_29 Depth=1
	s_wait_alu 0xfffe
	s_or_b32 exec_lo, exec_lo, s7
	s_wait_loadcnt_dscnt 0x0
	s_barrier_signal -1
	s_barrier_wait -1
	global_inv scope:SCOPE_SE
	s_and_saveexec_b32 s7, s31
	s_cbranch_execz .LBB123_90
; %bb.61:                               ;   in Loop: Header=BB123_29 Depth=1
	v_mov_b32_e32 v1, 0
	s_and_not1_b32 vcc_lo, exec_lo, s56
	s_wait_alu 0xfffe
	s_cbranch_vccnz .LBB123_89
; %bb.62:                               ;   in Loop: Header=BB123_29 Depth=1
	s_and_not1_b32 vcc_lo, exec_lo, s58
	s_wait_alu 0xfffe
	s_cbranch_vccnz .LBB123_86
; %bb.63:                               ;   in Loop: Header=BB123_29 Depth=1
	v_lshl_add_u32 v2, v29, 9, v28
	v_mov_b32_e32 v1, 0
	s_mov_b32 s8, 0
.LBB123_64:                             ;   Parent Loop BB123_29 Depth=1
                                        ; =>  This Inner Loop Header: Depth=2
	ds_load_2addr_b32 v[3:4], v2 offset1:4
	ds_load_2addr_b32 v[32:33], v2 offset0:8 offset1:12
	ds_load_2addr_b32 v[34:35], v2 offset0:16 offset1:20
	;; [unrolled: 1-line block ×3, first 2 shown]
	v_add_nc_u32_e32 v2, 0x80, v2
	s_wait_alu 0xfffe
	s_add_co_i32 s8, s8, 8
	s_wait_alu 0xfffe
	s_cmp_eq_u32 s59, s8
	s_wait_dscnt 0x3
	v_add3_u32 v1, v3, v1, v4
	s_wait_dscnt 0x2
	s_delay_alu instid0(VALU_DEP_1) | instskip(SKIP_1) | instid1(VALU_DEP_1)
	v_add3_u32 v1, v32, v1, v33
	s_wait_dscnt 0x1
	v_add3_u32 v1, v34, v1, v35
	s_wait_dscnt 0x0
	s_delay_alu instid0(VALU_DEP_1)
	v_add3_u32 v1, v36, v1, v37
	s_cbranch_scc0 .LBB123_64
; %bb.65:                               ;   in Loop: Header=BB123_29 Depth=1
	s_mov_b32 s8, s59
	s_and_not1_b32 vcc_lo, exec_lo, s60
	s_wait_alu 0xfffe
	s_cbranch_vccz .LBB123_87
	s_branch .LBB123_89
.LBB123_66:                             ;   in Loop: Header=BB123_29 Depth=1
	v_dual_mov_b32 v1, 0 :: v_dual_mov_b32 v2, 0
	v_dual_mov_b32 v3, 0 :: v_dual_mov_b32 v4, 0
	s_and_saveexec_b32 s18, s4
	s_cbranch_execz .LBB123_70
; %bb.67:                               ;   in Loop: Header=BB123_29 Depth=1
	v_mov_b32_e32 v14, v17
	s_mov_b32 s19, 0
	s_mov_b32 s20, 0
	;; [unrolled: 1-line block ×6, first 2 shown]
.LBB123_68:                             ;   Parent Loop BB123_29 Depth=1
                                        ; =>  This Inner Loop Header: Depth=2
	s_wait_alu 0xfffe
	v_add_nc_u32_e32 v6, s20, v25
	v_add_nc_u32_e32 v14, s52, v14
	s_delay_alu instid0(VALU_DEP_2) | instskip(SKIP_1) | instid1(VALU_DEP_1)
	v_lshlrev_b64_e32 v[1:2], 2, v[6:7]
	v_add_nc_u32_e32 v6, s20, v12
	v_lshlrev_b64_e32 v[3:4], 2, v[6:7]
	v_add_nc_u32_e32 v6, s20, v23
	s_delay_alu instid0(VALU_DEP_4) | instskip(SKIP_2) | instid1(VALU_DEP_3)
	v_add_co_u32 v1, vcc_lo, s36, v1
	s_wait_alu 0xfffd
	v_add_co_ci_u32_e64 v2, null, s37, v2, vcc_lo
	v_lshlrev_b64_e32 v[32:33], 2, v[6:7]
	v_add_nc_u32_e32 v6, s20, v24
	s_add_co_i32 s20, s20, s63
	global_load_b32 v34, v[1:2], off
	v_add_co_u32 v1, vcc_lo, s36, v3
	s_wait_alu 0xfffd
	v_add_co_ci_u32_e64 v2, null, s37, v4, vcc_lo
	v_add_co_u32 v32, vcc_lo, s36, v32
	s_wait_alu 0xfffd
	v_add_co_ci_u32_e64 v33, null, s37, v33, vcc_lo
	v_lshlrev_b64_e32 v[3:4], 2, v[6:7]
	s_clause 0x1
	global_load_b32 v6, v[1:2], off
	global_load_b32 v32, v[32:33], off
	v_add_co_u32 v1, vcc_lo, s36, v3
	s_wait_alu 0xfffd
	v_add_co_ci_u32_e64 v2, null, s37, v4, vcc_lo
	v_cmp_le_u32_e32 vcc_lo, s61, v14
	global_load_b32 v1, v[1:2], off
	s_wait_loadcnt 0x3
	v_cmp_lt_i32_e64 s7, -1, v34
	s_wait_alu 0xf1ff
	s_delay_alu instid0(VALU_DEP_1) | instskip(SKIP_2) | instid1(VALU_DEP_2)
	v_cndmask_b32_e64 v2, -1, 0x80000000, s7
	s_wait_loadcnt 0x2
	v_cmp_lt_i32_e64 s7, -1, v6
	v_xor_b32_e32 v2, v2, v34
	s_wait_loadcnt 0x1
	v_cmp_lt_i32_e64 s8, -1, v32
	s_wait_alu 0xf1ff
	v_cndmask_b32_e64 v3, -1, 0x80000000, s7
	v_cmp_o_f32_e64 s7, v34, v34
	s_delay_alu instid0(VALU_DEP_3) | instskip(NEXT) | instid1(VALU_DEP_3)
	v_cndmask_b32_e64 v4, -1, 0x80000000, s8
	v_xor_b32_e32 v3, v3, v6
	s_wait_alu 0xf1ff
	s_delay_alu instid0(VALU_DEP_3)
	v_cndmask_b32_e64 v2, -1, v2, s7
	v_cmp_o_f32_e64 s7, v6, v6
	v_xor_b32_e32 v4, v4, v32
	s_wait_loadcnt 0x0
	v_cmp_o_f32_e64 s12, v1, v1
	v_and_b32_e32 v33, v2, v30
	s_wait_alu 0xf1ff
	v_cndmask_b32_e64 v3, -1, v3, s7
	v_cmp_lt_i32_e64 s7, -1, v1
	v_bfe_u32 v2, v2, s72, 2
	s_wait_alu 0xf1ff
	s_delay_alu instid0(VALU_DEP_2) | instskip(SKIP_1) | instid1(VALU_DEP_3)
	v_cndmask_b32_e64 v6, -1, 0x80000000, s7
	v_cmp_o_f32_e64 s7, v32, v32
	v_cmp_eq_u32_e64 s8, 0, v2
	v_and_b32_e32 v32, v3, v30
	v_bfe_u32 v3, v3, s72, 2
	v_xor_b32_e32 v6, v6, v1
	s_wait_alu 0xf1ff
	v_cndmask_b32_e64 v4, -1, v4, s7
	v_cmp_eq_u32_e64 s7, v33, v22
	v_cmp_eq_u32_e64 s9, 1, v2
	;; [unrolled: 1-line block ×4, first 2 shown]
	v_cndmask_b32_e64 v1, -1, v6, s12
	s_and_b32 s8, s7, s8
	v_cmp_eq_u32_e64 s12, v32, v22
	v_cmp_eq_u32_e64 s13, 0, v3
	s_wait_alu 0xfffe
	v_cndmask_b32_e64 v6, 0, 1, s8
	v_cmp_eq_u32_e64 s8, 1, v3
	s_and_b32 s9, s7, s9
	v_and_b32_e32 v2, v4, v30
	v_bfe_u32 v4, v4, s72, 2
	s_wait_alu 0xfffe
	v_cndmask_b32_e64 v32, 0, 1, s9
	v_cmp_eq_u32_e64 s9, 2, v3
	s_and_b32 s10, s7, s10
	s_and_b32 s7, s7, s11
	s_wait_alu 0xfffe
	v_cndmask_b32_e64 v33, 0, 1, s10
	s_and_b32 s13, s12, s13
	s_and_b32 s8, s12, s8
	v_cmp_eq_u32_e64 s10, 3, v3
	v_cndmask_b32_e64 v3, 0, 1, s7
	v_cmp_eq_u32_e64 s7, v2, v22
	v_cmp_eq_u32_e64 s11, 0, v4
	v_cmp_ne_u32_e64 s14, 0, v6
	s_wait_alu 0xfffe
	v_cndmask_b32_e64 v6, 0, 1, s13
	v_cmp_eq_u32_e64 s13, 1, v4
	v_cmp_ne_u32_e64 s15, 0, v32
	v_cndmask_b32_e64 v32, 0, 1, s8
	v_cmp_eq_u32_e64 s8, 2, v4
	s_and_b32 s9, s12, s9
	v_and_b32_e32 v2, v1, v30
	v_bfe_u32 v1, v1, s72, 2
	v_cmp_ne_u32_e64 s16, 0, v33
	s_wait_alu 0xfffe
	v_cndmask_b32_e64 v33, 0, 1, s9
	v_cmp_eq_u32_e64 s9, 3, v4
	s_and_b32 s10, s12, s10
	s_and_b32 s11, s7, s11
	s_and_b32 s13, s7, s13
	s_and_b32 s8, s7, s8
	v_cmp_ne_u32_e64 s17, 0, v3
	s_wait_alu 0xfffe
	v_cndmask_b32_e64 v3, 0, 1, s10
	v_cmp_eq_u32_e64 s10, v2, v22
	v_cmp_eq_u32_e64 s12, 0, v1
	s_bcnt1_i32_b32 s25, s14
	v_cmp_ne_u32_e64 s14, 0, v6
	v_cndmask_b32_e64 v2, 0, 1, s11
	v_cmp_eq_u32_e64 s11, 1, v1
	v_cndmask_b32_e64 v4, 0, 1, s13
	v_cmp_eq_u32_e64 s13, 2, v1
	;; [unrolled: 2-line block ×3, first 2 shown]
	s_and_b32 s7, s7, s9
	s_bcnt1_i32_b32 s74, s17
	s_wait_alu 0xfffe
	v_cndmask_b32_e64 v1, 0, 1, s7
	v_cmp_ne_u32_e64 s17, 0, v3
	s_and_b32 s9, s10, s12
	s_and_b32 s11, s10, s11
	;; [unrolled: 1-line block ×4, first 2 shown]
	v_cmp_ne_u32_e64 s7, 0, v2
	s_wait_alu 0xfffe
	v_cndmask_b32_e64 v2, 0, 1, s9
	v_cmp_ne_u32_e64 s9, 0, v4
	v_cndmask_b32_e64 v3, 0, 1, s11
	v_cndmask_b32_e64 v4, 0, 1, s12
	v_cmp_ne_u32_e64 s12, 0, v1
	v_cndmask_b32_e64 v1, 0, 1, s8
	s_bcnt1_i32_b32 s26, s15
	v_cmp_ne_u32_e64 s15, 0, v32
	s_bcnt1_i32_b32 s73, s16
	v_cmp_ne_u32_e64 s16, 0, v33
	s_add_co_i32 s21, s74, s21
	v_cmp_ne_u32_e64 s11, 0, v6
	s_bcnt1_i32_b32 s13, s17
	s_bcnt1_i32_b32 s17, s7
	s_wait_alu 0xfffe
	s_add_co_i32 s13, s21, s13
	v_cmp_ne_u32_e64 s7, 0, v2
	s_bcnt1_i32_b32 s21, s9
	v_cmp_ne_u32_e64 s8, 0, v3
	v_cmp_ne_u32_e64 s9, 0, v4
	;; [unrolled: 1-line block ×3, first 2 shown]
	s_add_co_i32 s24, s25, s24
	s_add_co_i32 s23, s26, s23
	;; [unrolled: 1-line block ×3, first 2 shown]
	s_bcnt1_i32_b32 s14, s14
	s_bcnt1_i32_b32 s15, s15
	;; [unrolled: 1-line block ×3, first 2 shown]
	s_wait_alu 0xfffe
	s_add_co_i32 s14, s24, s14
	s_add_co_i32 s15, s23, s15
	;; [unrolled: 1-line block ×3, first 2 shown]
	s_bcnt1_i32_b32 s11, s11
	s_bcnt1_i32_b32 s12, s12
	s_wait_alu 0xfffe
	s_add_co_i32 s14, s14, s17
	s_add_co_i32 s15, s15, s21
	;; [unrolled: 1-line block ×4, first 2 shown]
	s_bcnt1_i32_b32 s7, s7
	s_bcnt1_i32_b32 s8, s8
	;; [unrolled: 1-line block ×4, first 2 shown]
	s_wait_alu 0xfffe
	s_add_co_i32 s24, s14, s7
	s_add_co_i32 s23, s15, s8
	;; [unrolled: 1-line block ×4, first 2 shown]
	s_wait_alu 0xfffe
	v_dual_mov_b32 v1, s24 :: v_dual_mov_b32 v2, s23
	v_dual_mov_b32 v3, s22 :: v_dual_mov_b32 v4, s21
	s_or_b32 s19, vcc_lo, s19
	s_wait_alu 0xfffe
	s_and_not1_b32 exec_lo, exec_lo, s19
	s_cbranch_execnz .LBB123_68
; %bb.69:                               ;   in Loop: Header=BB123_29 Depth=1
	s_or_b32 exec_lo, exec_lo, s19
.LBB123_70:                             ;   in Loop: Header=BB123_29 Depth=1
	s_wait_alu 0xfffe
	s_or_b32 exec_lo, exec_lo, s18
	s_and_saveexec_b32 s11, s5
	s_cbranch_execz .LBB123_76
; %bb.71:                               ;   in Loop: Header=BB123_29 Depth=1
	global_load_b32 v33, v[10:11], off
	v_mov_b32_e32 v6, v26
	v_mov_b32_e32 v14, v20
	s_mov_b32 s12, 0
	s_branch .LBB123_73
.LBB123_72:                             ;   in Loop: Header=BB123_73 Depth=2
	s_wait_alu 0xfffe
	s_or_b32 exec_lo, exec_lo, s8
	s_wait_loadcnt 0x0
	v_cmp_lt_i32_e64 s7, -1, v33
	s_and_b32 s8, exec_lo, vcc_lo
	v_add_nc_u32_e32 v6, s54, v6
	s_wait_alu 0xfffe
	s_or_b32 s12, s8, s12
	v_cndmask_b32_e64 v34, -1, 0x80000000, s7
	v_cmp_o_f32_e64 s7, v33, v33
	s_delay_alu instid0(VALU_DEP_2) | instskip(SKIP_1) | instid1(VALU_DEP_1)
	v_xor_b32_e32 v34, v34, v33
	s_wait_alu 0xf1ff
	v_cndmask_b32_e64 v33, -1, v34, s7
	s_delay_alu instid0(VALU_DEP_1) | instskip(SKIP_1) | instid1(VALU_DEP_2)
	v_and_b32_e32 v34, v33, v30
	v_bfe_u32 v33, v33, s72, 2
	v_cmp_eq_u32_e32 vcc_lo, v34, v22
	s_delay_alu instid0(VALU_DEP_2)
	v_cmp_eq_u32_e64 s7, 0, v33
	v_cmp_eq_u32_e64 s8, 1, v33
	;; [unrolled: 1-line block ×4, first 2 shown]
	s_and_b32 s7, vcc_lo, s7
	s_wait_alu 0xfffe
	v_cndmask_b32_e64 v33, 0, 1, s7
	s_and_b32 s7, vcc_lo, s8
	s_wait_alu 0xfffe
	v_cndmask_b32_e64 v34, 0, 1, s7
	;; [unrolled: 3-line block ×3, first 2 shown]
	s_and_b32 s7, vcc_lo, s10
	v_cmp_ne_u32_e32 vcc_lo, 0, v33
	s_wait_alu 0xfffe
	v_cndmask_b32_e64 v36, 0, 1, s7
	v_cmp_ne_u32_e64 s7, 0, v34
	v_cmp_ne_u32_e64 s8, 0, v35
	v_mov_b32_e32 v33, v32
	s_bcnt1_i32_b32 s10, vcc_lo
	v_cmp_ne_u32_e64 s9, 0, v36
	s_bcnt1_i32_b32 s7, s7
	s_bcnt1_i32_b32 s8, s8
	s_wait_alu 0xfffe
	v_add_nc_u32_e32 v1, s10, v1
	v_add_nc_u32_e32 v2, s7, v2
	s_bcnt1_i32_b32 s9, s9
	v_add_nc_u32_e32 v3, s8, v3
	s_wait_alu 0xfffe
	v_add_nc_u32_e32 v4, s9, v4
	s_and_not1_b32 exec_lo, exec_lo, s12
	s_cbranch_execz .LBB123_75
.LBB123_73:                             ;   Parent Loop BB123_29 Depth=1
                                        ; =>  This Inner Loop Header: Depth=2
	s_delay_alu instid0(VALU_DEP_1) | instskip(SKIP_2) | instid1(VALU_DEP_2)
	v_add_nc_u32_e32 v14, s29, v14
	v_mov_b32_e32 v32, 0
	s_mov_b32 s8, exec_lo
	v_cmp_le_u32_e32 vcc_lo, s28, v14
	v_cmpx_gt_u32_e64 s28, v14
	s_cbranch_execz .LBB123_72
; %bb.74:                               ;   in Loop: Header=BB123_73 Depth=2
	v_lshlrev_b64_e32 v[34:35], 2, v[6:7]
	s_delay_alu instid0(VALU_DEP_1) | instskip(SKIP_1) | instid1(VALU_DEP_2)
	v_add_co_u32 v34, s7, s36, v34
	s_wait_alu 0xf1fe
	v_add_co_ci_u32_e64 v35, null, s37, v35, s7
	global_load_b32 v32, v[34:35], off
	s_branch .LBB123_72
.LBB123_75:                             ;   in Loop: Header=BB123_29 Depth=1
	s_or_b32 exec_lo, exec_lo, s12
.LBB123_76:                             ;   in Loop: Header=BB123_29 Depth=1
	s_wait_alu 0xfffe
	s_or_b32 exec_lo, exec_lo, s11
	s_branch .LBB123_58
.LBB123_77:                             ;   in Loop: Header=BB123_29 Depth=1
	s_mul_u64 s[8:9], s[42:43], s[44:45]
	v_dual_mov_b32 v1, 0 :: v_dual_mov_b32 v2, 0
	s_wait_alu 0xfffe
	s_mul_i32 s7, s9, s52
	v_dual_mov_b32 v3, 0 :: v_dual_mov_b32 v4, 0
	s_wait_alu 0xfffe
	s_sub_co_i32 s7, s42, s7
	s_mov_b32 s74, exec_lo
	s_wait_alu 0xfffe
	s_sub_co_i32 s8, s7, s52
	s_cmp_ge_u32 s7, s52
	s_wait_alu 0xfffe
	s_cselect_b32 s7, s8, s7
	s_wait_alu 0xfffe
	s_sub_co_i32 s8, s7, s52
	s_cmp_ge_u32 s7, s52
	s_wait_alu 0xfffe
	s_cselect_b32 s7, s8, s7
	s_wait_alu 0xfffe
	s_sub_co_i32 s73, s42, s7
	s_wait_alu 0xfffe
	v_cmpx_gt_u32_e64 s73, v17
	s_cbranch_execz .LBB123_81
; %bb.78:                               ;   in Loop: Header=BB123_29 Depth=1
	v_mov_b32_e32 v6, v27
	v_mov_b32_e32 v14, v17
	s_mov_b32 s75, 0
	s_mov_b32 s76, 0
	;; [unrolled: 1-line block ×5, first 2 shown]
.LBB123_79:                             ;   Parent Loop BB123_29 Depth=1
                                        ; =>  This Inner Loop Header: Depth=2
	ds_load_b128 v[1:4], v6
	s_wait_dscnt 0x0
	v_cmp_lt_i32_e64 s7, -1, v1
	v_cmp_o_f32_e64 s10, v1, v1
	v_cmp_o_f32_e64 s8, v3, v3
	;; [unrolled: 1-line block ×3, first 2 shown]
	s_wait_alu 0xf1ff
	v_cndmask_b32_e64 v32, -1, 0x80000000, s7
	v_cmp_lt_i32_e64 s7, -1, v2
	s_delay_alu instid0(VALU_DEP_2) | instskip(SKIP_1) | instid1(VALU_DEP_2)
	v_xor_b32_e32 v32, v32, v1
	s_wait_alu 0xf1ff
	v_cndmask_b32_e64 v33, -1, 0x80000000, s7
	v_cmp_lt_i32_e64 s7, -1, v3
	s_delay_alu instid0(VALU_DEP_3) | instskip(NEXT) | instid1(VALU_DEP_3)
	v_cndmask_b32_e64 v1, -1, v32, s10
	v_xor_b32_e32 v33, v33, v2
	s_wait_alu 0xf1ff
	s_delay_alu instid0(VALU_DEP_3) | instskip(SKIP_4) | instid1(VALU_DEP_3)
	v_cndmask_b32_e64 v34, -1, 0x80000000, s7
	v_cmp_lt_i32_e64 s7, -1, v4
	v_and_b32_e32 v32, v1, v30
	v_bfe_u32 v1, v1, s72, 2
	s_wait_alu 0xf1ff
	v_cndmask_b32_e64 v35, -1, 0x80000000, s7
	v_cmp_o_f32_e64 s7, v2, v2
	v_xor_b32_e32 v2, v34, v3
	v_cmp_eq_u32_e64 s11, 0, v1
	v_cmp_eq_u32_e64 s15, 1, v1
	v_xor_b32_e32 v3, v35, v4
	s_wait_alu 0xf1ff
	v_cndmask_b32_e64 v4, -1, v33, s7
	v_cndmask_b32_e64 v2, -1, v2, s8
	v_cmp_eq_u32_e64 s7, v32, v22
	v_cmp_eq_u32_e64 s19, 2, v1
	v_cndmask_b32_e64 v3, -1, v3, s9
	v_and_b32_e32 v33, v4, v30
	v_bfe_u32 v4, v4, s72, 2
	v_and_b32_e32 v34, v2, v30
	v_bfe_u32 v2, v2, s72, 2
	;; [unrolled: 2-line block ×3, first 2 shown]
	v_cmp_eq_u32_e64 s8, v33, v22
	v_cmp_eq_u32_e64 s12, 0, v4
	;; [unrolled: 1-line block ×4, first 2 shown]
	s_and_b32 s11, s7, s11
	v_cmp_eq_u32_e64 s10, v35, v22
	v_cmp_eq_u32_e64 s14, 0, v3
	;; [unrolled: 1-line block ×3, first 2 shown]
	s_wait_alu 0xfffe
	v_cndmask_b32_e64 v1, 0, 1, s11
	s_and_b32 s11, s8, s12
	v_cmp_eq_u32_e64 s17, 1, v2
	v_cmp_eq_u32_e64 s21, 2, v2
	;; [unrolled: 1-line block ×3, first 2 shown]
	s_wait_alu 0xfffe
	v_cndmask_b32_e64 v2, 0, 1, s11
	s_and_b32 s11, s9, s13
	v_cmp_eq_u32_e64 s16, 1, v4
	v_cmp_eq_u32_e64 s18, 1, v3
	;; [unrolled: 1-line block ×4, first 2 shown]
	s_wait_alu 0xfffe
	v_cndmask_b32_e64 v3, 0, 1, s11
	s_and_b32 s11, s10, s14
	v_cmp_eq_u32_e64 s20, 2, v4
	v_cmp_eq_u32_e64 s24, 3, v4
	s_wait_alu 0xfffe
	v_cndmask_b32_e64 v4, 0, 1, s11
	s_and_b32 s11, s7, s15
	s_wait_alu 0xfffe
	v_cndmask_b32_e64 v32, 0, 1, s11
	s_and_b32 s11, s8, s16
	;; [unrolled: 3-line block ×4, first 2 shown]
	v_cmp_ne_u32_e64 s12, 0, v33
	s_wait_alu 0xfffe
	v_cndmask_b32_e64 v35, 0, 1, s11
	s_and_b32 s11, s7, s19
	s_and_b32 s7, s7, s23
	s_wait_alu 0xfffe
	v_cndmask_b32_e64 v36, 0, 1, s11
	v_cndmask_b32_e64 v40, 0, 1, s7
	s_and_b32 s7, s8, s24
	s_and_b32 s11, s8, s20
	s_wait_alu 0xfffe
	v_cndmask_b32_e64 v41, 0, 1, s7
	s_and_b32 s7, s9, s25
	v_cndmask_b32_e64 v37, 0, 1, s11
	s_wait_alu 0xfffe
	v_cndmask_b32_e64 v42, 0, 1, s7
	s_and_b32 s7, s10, s26
	s_and_b32 s11, s9, s21
	s_wait_alu 0xfffe
	v_cndmask_b32_e64 v43, 0, 1, s7
	v_cmp_ne_u32_e64 s7, 0, v1
	v_cmp_ne_u32_e64 s8, 0, v2
	v_cndmask_b32_e64 v38, 0, 1, s11
	s_and_b32 s11, s10, s22
	v_cmp_ne_u32_e64 s9, 0, v3
	s_wait_alu 0xfffe
	v_cndmask_b32_e64 v39, 0, 1, s11
	v_cmp_ne_u32_e64 s11, 0, v32
	v_cmp_ne_u32_e64 s15, 0, v36
	;; [unrolled: 1-line block ×3, first 2 shown]
	s_bcnt1_i32_b32 s7, s7
	v_cmp_ne_u32_e64 s10, 0, v4
	v_cmp_ne_u32_e64 s16, 0, v37
	;; [unrolled: 1-line block ×3, first 2 shown]
	s_bcnt1_i32_b32 s8, s8
	s_wait_alu 0xfffe
	s_add_co_i32 s7, s7, s79
	v_cmp_ne_u32_e64 s13, 0, v34
	v_cmp_ne_u32_e64 s17, 0, v38
	;; [unrolled: 1-line block ×3, first 2 shown]
	s_bcnt1_i32_b32 s9, s9
	s_wait_alu 0xfffe
	s_add_co_i32 s7, s7, s8
	s_bcnt1_i32_b32 s11, s11
	s_bcnt1_i32_b32 s15, s15
	;; [unrolled: 1-line block ×3, first 2 shown]
	v_cmp_ne_u32_e64 s14, 0, v35
	v_cmp_ne_u32_e64 s18, 0, v39
	;; [unrolled: 1-line block ×3, first 2 shown]
	s_bcnt1_i32_b32 s10, s10
	s_wait_alu 0xfffe
	s_add_co_i32 s7, s7, s9
	s_bcnt1_i32_b32 s12, s12
	s_bcnt1_i32_b32 s16, s16
	;; [unrolled: 1-line block ×3, first 2 shown]
	s_add_co_i32 s11, s11, s78
	s_add_co_i32 s15, s15, s77
	;; [unrolled: 1-line block ×3, first 2 shown]
	s_wait_alu 0xfffe
	s_add_co_i32 s79, s7, s10
	s_wait_alu 0xfffe
	v_dual_mov_b32 v1, s79 :: v_dual_add_nc_u32 v14, s52, v14
	s_bcnt1_i32_b32 s13, s13
	s_bcnt1_i32_b32 s17, s17
	;; [unrolled: 1-line block ×3, first 2 shown]
	s_add_co_i32 s8, s11, s12
	s_add_co_i32 s11, s15, s16
	;; [unrolled: 1-line block ×3, first 2 shown]
	s_bcnt1_i32_b32 s14, s14
	s_bcnt1_i32_b32 s18, s18
	;; [unrolled: 1-line block ×3, first 2 shown]
	s_wait_alu 0xfffe
	s_add_co_i32 s8, s8, s13
	s_add_co_i32 s9, s11, s17
	;; [unrolled: 1-line block ×3, first 2 shown]
	v_cmp_le_u32_e32 vcc_lo, s73, v14
	s_wait_alu 0xfffe
	s_add_co_i32 s78, s8, s14
	s_add_co_i32 s77, s9, s18
	;; [unrolled: 1-line block ×3, first 2 shown]
	s_wait_alu 0xfffe
	v_dual_mov_b32 v3, s77 :: v_dual_add_nc_u32 v6, s64, v6
	v_mov_b32_e32 v2, s78
	v_mov_b32_e32 v4, s76
	s_or_b32 s75, vcc_lo, s75
	s_delay_alu instid0(SALU_CYCLE_1)
	s_and_not1_b32 exec_lo, exec_lo, s75
	s_cbranch_execnz .LBB123_79
; %bb.80:                               ;   in Loop: Header=BB123_29 Depth=1
	s_or_b32 exec_lo, exec_lo, s75
.LBB123_81:                             ;   in Loop: Header=BB123_29 Depth=1
	s_delay_alu instid0(SALU_CYCLE_1) | instskip(SKIP_2) | instid1(VALU_DEP_1)
	s_or_b32 exec_lo, exec_lo, s74
	v_add_nc_u32_e32 v6, s73, v0
	s_mov_b32 s12, exec_lo
	v_cmpx_gt_u32_e64 s42, v6
	s_cbranch_execz .LBB123_85
; %bb.82:                               ;   in Loop: Header=BB123_29 Depth=1
	v_lshlrev_b32_e32 v14, 2, v6
	s_mov_b32 s13, 0
.LBB123_83:                             ;   Parent Loop BB123_29 Depth=1
                                        ; =>  This Inner Loop Header: Depth=2
	ds_load_b32 v32, v14
	v_add_nc_u32_e32 v6, s29, v6
	v_add_nc_u32_e32 v14, s52, v14
	s_delay_alu instid0(VALU_DEP_2) | instskip(SKIP_3) | instid1(VALU_DEP_1)
	v_cmp_le_u32_e32 vcc_lo, s42, v6
	s_wait_dscnt 0x0
	v_cmp_lt_i32_e64 s7, -1, v32
	s_wait_alu 0xf1ff
	v_cndmask_b32_e64 v33, -1, 0x80000000, s7
	v_cmp_o_f32_e64 s7, v32, v32
	s_delay_alu instid0(VALU_DEP_2) | instskip(SKIP_1) | instid1(VALU_DEP_1)
	v_xor_b32_e32 v33, v33, v32
	s_wait_alu 0xf1ff
	v_cndmask_b32_e64 v32, -1, v33, s7
	s_delay_alu instid0(VALU_DEP_1) | instskip(SKIP_1) | instid1(VALU_DEP_2)
	v_and_b32_e32 v33, v32, v30
	v_bfe_u32 v32, v32, s72, 2
	v_cmp_eq_u32_e64 s7, v33, v22
	s_delay_alu instid0(VALU_DEP_2)
	v_cmp_eq_u32_e64 s8, 0, v32
	v_cmp_eq_u32_e64 s9, 1, v32
	;; [unrolled: 1-line block ×4, first 2 shown]
	s_and_b32 s8, s7, s8
	s_wait_alu 0xfffe
	v_cndmask_b32_e64 v32, 0, 1, s8
	s_and_b32 s8, s7, s9
	s_wait_alu 0xfffe
	v_cndmask_b32_e64 v33, 0, 1, s8
	s_and_b32 s8, s7, s10
	s_and_b32 s7, s7, s11
	s_wait_alu 0xfffe
	v_cndmask_b32_e64 v34, 0, 1, s8
	v_cndmask_b32_e64 v35, 0, 1, s7
	v_cmp_ne_u32_e64 s7, 0, v32
	v_cmp_ne_u32_e64 s8, 0, v33
	s_delay_alu instid0(VALU_DEP_4) | instskip(NEXT) | instid1(VALU_DEP_4)
	v_cmp_ne_u32_e64 s9, 0, v34
	v_cmp_ne_u32_e64 s10, 0, v35
	s_bcnt1_i32_b32 s7, s7
	s_bcnt1_i32_b32 s8, s8
	s_wait_alu 0xfffe
	v_add_nc_u32_e32 v1, s7, v1
	s_bcnt1_i32_b32 s9, s9
	s_bcnt1_i32_b32 s10, s10
	v_add_nc_u32_e32 v2, s8, v2
	s_wait_alu 0xfffe
	v_add_nc_u32_e32 v3, s9, v3
	v_add_nc_u32_e32 v4, s10, v4
	s_or_b32 s13, vcc_lo, s13
	s_wait_alu 0xfffe
	s_and_not1_b32 exec_lo, exec_lo, s13
	s_cbranch_execnz .LBB123_83
; %bb.84:                               ;   in Loop: Header=BB123_29 Depth=1
	s_or_b32 exec_lo, exec_lo, s13
.LBB123_85:                             ;   in Loop: Header=BB123_29 Depth=1
	s_wait_alu 0xfffe
	s_or_b32 exec_lo, exec_lo, s12
	v_lshlrev_b32_e32 v6, 7, v29
	s_and_saveexec_b32 s7, s3
	s_cbranch_execnz .LBB123_59
	s_branch .LBB123_60
.LBB123_86:                             ;   in Loop: Header=BB123_29 Depth=1
	v_mov_b32_e32 v1, 0
	s_mov_b32 s8, 0
	s_and_not1_b32 vcc_lo, exec_lo, s60
	s_wait_alu 0xfffe
	s_cbranch_vccnz .LBB123_89
.LBB123_87:                             ;   in Loop: Header=BB123_29 Depth=1
	v_lshlrev_b32_e32 v2, 9, v29
	s_lshl_b32 s8, s8, 4
	s_wait_alu 0xfffe
	s_delay_alu instid0(VALU_DEP_1)
	v_add3_u32 v2, v2, s8, v28
	s_mov_b32 s8, s57
.LBB123_88:                             ;   Parent Loop BB123_29 Depth=1
                                        ; =>  This Inner Loop Header: Depth=2
	ds_load_b32 v3, v2
	v_add_nc_u32_e32 v2, 16, v2
	s_wait_alu 0xfffe
	s_add_co_i32 s8, s8, -1
	s_wait_alu 0xfffe
	s_cmp_lg_u32 s8, 0
	s_wait_dscnt 0x0
	v_add_nc_u32_e32 v1, v3, v1
	s_cbranch_scc1 .LBB123_88
.LBB123_89:                             ;   in Loop: Header=BB123_29 Depth=1
	v_add_lshl_u32 v2, v6, v16, 2
	ds_store_b32 v2, v1 offset:3072
.LBB123_90:                             ;   in Loop: Header=BB123_29 Depth=1
	s_wait_alu 0xfffe
	s_or_b32 exec_lo, exec_lo, s7
	v_lshlrev_b32_e32 v1, 2, v6
	s_wait_loadcnt_dscnt 0x0
	s_barrier_signal -1
	s_barrier_wait -1
	global_inv scope:SCOPE_SE
	ds_load_b128 v[1:4], v1 offset:3072
	s_lshl_b32 s8, 3, s72
	v_cmp_eq_u32_e32 vcc_lo, 1, v31
	s_wait_alu 0xfffe
	s_not_b32 s15, s8
	s_mov_b32 s11, -1
	s_mov_b32 s19, -1
                                        ; implicit-def: $sgpr16
                                        ; implicit-def: $sgpr13
	s_wait_dscnt 0x0
	v_readfirstlane_b32 s10, v1
	v_readfirstlane_b32 s17, v2
	;; [unrolled: 1-line block ×4, first 2 shown]
	s_cmp_eq_u32 s10, 1
	s_cselect_b32 s9, -1, 0
	s_wait_alu 0xfffe
	s_and_b32 s12, s9, vcc_lo
	s_wait_alu 0xfffe
	s_and_saveexec_b32 s9, s12
	s_cbranch_execz .LBB123_118
; %bb.91:                               ;   in Loop: Header=BB123_29 Depth=1
	ds_load_b32 v1, v7 offset:4104
	s_wait_loadcnt_dscnt 0x0
	s_barrier_signal -1
	s_barrier_wait -1
	global_inv scope:SCOPE_SE
	v_readfirstlane_b32 s19, v1
	s_and_saveexec_b32 s13, s1
; %bb.92:                               ;   in Loop: Header=BB123_29 Depth=1
	ds_store_b32 v18, v7
; %bb.93:                               ;   in Loop: Header=BB123_29 Depth=1
	s_wait_alu 0xfffe
	s_or_b32 exec_lo, exec_lo, s13
	v_and_b32_e32 v22, s15, v22
	v_or_b32_e32 v30, s8, v30
	s_mov_b32 s13, -1
	s_mov_b32 s16, 0
	s_cmp_eq_u32 s19, 0
	s_mov_b32 s18, 0
	s_mov_b32 s20, -1
	s_wait_loadcnt_dscnt 0x0
	s_barrier_signal -1
	s_barrier_wait -1
	global_inv scope:SCOPE_SE
                                        ; implicit-def: $vgpr15
	s_cbranch_scc1 .LBB123_105
; %bb.94:                               ;   in Loop: Header=BB123_29 Depth=1
	s_add_co_i32 s42, s19, s53
                                        ; implicit-def: $vgpr15
	s_wait_alu 0xfffe
	s_mul_u64 s[20:21], s[42:43], s[46:47]
	s_wait_alu 0xfffe
	s_mul_i32 s18, s21, s29
	s_mov_b32 s21, exec_lo
	s_wait_alu 0xfffe
	s_sub_co_i32 s18, s42, s18
	s_wait_alu 0xfffe
	s_sub_co_i32 s20, s18, s29
	s_cmp_ge_u32 s18, s29
	s_wait_alu 0xfffe
	s_cselect_b32 s18, s20, s18
	s_wait_alu 0xfffe
	s_sub_co_i32 s20, s18, s29
	s_cmp_ge_u32 s18, s29
	s_wait_alu 0xfffe
	s_cselect_b32 s18, s20, s18
	s_mov_b32 s20, 0
	s_wait_alu 0xfffe
	s_sub_co_i32 s22, s42, s18
	s_mov_b32 s18, 0
	s_wait_alu 0xfffe
	v_cmpx_gt_u32_e64 s22, v0
	s_cbranch_execz .LBB123_104
; %bb.95:                               ;   in Loop: Header=BB123_29 Depth=1
	v_dual_mov_b32 v1, v17 :: v_dual_mov_b32 v2, v0
                                        ; implicit-def: $sgpr23
	s_branch .LBB123_99
.LBB123_96:                             ;   in Loop: Header=BB123_99 Depth=2
	s_wait_alu 0xfffe
	s_or_b32 exec_lo, exec_lo, s24
	s_wait_loadcnt_dscnt 0x0
	s_barrier_signal -1
	s_barrier_wait -1
	global_inv scope:SCOPE_SE
	ds_load_b64 v[14:15], v7 offset:3072
	s_wait_loadcnt_dscnt 0x0
	s_barrier_signal -1
	s_barrier_wait -1
	global_inv scope:SCOPE_SE
	v_cmp_neq_f32_e32 vcc_lo, 0, v14
	s_cbranch_vccnz .LBB123_102
; %bb.97:                               ;   in Loop: Header=BB123_99 Depth=2
	v_add_nc_u32_e32 v2, s29, v2
	v_add_nc_u32_e32 v1, s52, v1
	s_mov_b32 s24, 0
	s_delay_alu instid0(VALU_DEP_2)
	v_cmp_le_u32_e32 vcc_lo, s22, v2
	s_or_not1_b32 s25, vcc_lo, exec_lo
.LBB123_98:                             ;   in Loop: Header=BB123_99 Depth=2
	s_wait_alu 0xfffe
	s_and_b32 s25, exec_lo, s25
	s_wait_alu 0xfffe
	s_or_b32 s18, s25, s18
	s_and_not1_b32 s23, s23, exec_lo
	s_and_b32 s24, s24, exec_lo
	s_wait_alu 0xfffe
	s_or_b32 s23, s23, s24
	s_and_not1_b32 exec_lo, exec_lo, s18
	s_cbranch_execz .LBB123_103
.LBB123_99:                             ;   Parent Loop BB123_29 Depth=1
                                        ; =>  This Inner Loop Header: Depth=2
	s_mov_b32 s24, exec_lo
	s_delay_alu instid0(VALU_DEP_1)
	v_cmpx_gt_u32_e64 s19, v2
	s_cbranch_execz .LBB123_96
; %bb.100:                              ;   in Loop: Header=BB123_99 Depth=2
	ds_load_b32 v14, v1
	s_wait_dscnt 0x0
	v_cmp_lt_i32_e32 vcc_lo, -1, v14
	s_wait_alu 0xfffd
	v_cndmask_b32_e64 v3, -1, 0x80000000, vcc_lo
	v_cmp_o_f32_e32 vcc_lo, v14, v14
	s_delay_alu instid0(VALU_DEP_2) | instskip(SKIP_1) | instid1(VALU_DEP_1)
	v_xor_b32_e32 v3, v3, v14
	s_wait_alu 0xfffd
	v_cndmask_b32_e32 v3, -1, v3, vcc_lo
	s_delay_alu instid0(VALU_DEP_1) | instskip(NEXT) | instid1(VALU_DEP_1)
	v_and_b32_e32 v3, v3, v30
	v_cmp_eq_u32_e32 vcc_lo, v3, v22
	s_and_b32 exec_lo, exec_lo, vcc_lo
	s_cbranch_execz .LBB123_96
; %bb.101:                              ;   in Loop: Header=BB123_99 Depth=2
	ds_store_b64 v7, v[13:14] offset:3072
	s_branch .LBB123_96
.LBB123_102:                            ;   in Loop: Header=BB123_99 Depth=2
	s_mov_b32 s25, -1
	s_mov_b32 s24, -1
                                        ; implicit-def: $vgpr2
                                        ; implicit-def: $vgpr1
	s_branch .LBB123_98
.LBB123_103:                            ;   in Loop: Header=BB123_29 Depth=1
	s_or_b32 exec_lo, exec_lo, s18
	s_wait_alu 0xfffe
	s_and_b32 s18, s23, exec_lo
.LBB123_104:                            ;   in Loop: Header=BB123_29 Depth=1
	s_or_b32 exec_lo, exec_lo, s21
.LBB123_105:                            ;   in Loop: Header=BB123_29 Depth=1
	s_wait_alu 0xfffe
	s_and_b32 vcc_lo, exec_lo, s20
	s_wait_alu 0xfffe
	s_cbranch_vccz .LBB123_117
; %bb.106:                              ;   in Loop: Header=BB123_29 Depth=1
                                        ; implicit-def: $vgpr15
	s_and_saveexec_b32 s13, s6
	s_cbranch_execz .LBB123_116
; %bb.107:                              ;   in Loop: Header=BB123_29 Depth=1
	v_dual_mov_b32 v6, v5 :: v_dual_mov_b32 v1, v0
	s_mov_b32 s16, 0
                                        ; implicit-def: $sgpr19
	s_branch .LBB123_111
.LBB123_108:                            ;   in Loop: Header=BB123_111 Depth=2
	s_wait_alu 0xfffe
	s_or_b32 exec_lo, exec_lo, s20
	s_wait_loadcnt_dscnt 0x0
	s_barrier_signal -1
	s_barrier_wait -1
	global_inv scope:SCOPE_SE
	ds_load_b64 v[14:15], v7 offset:3072
	s_wait_loadcnt_dscnt 0x0
	s_barrier_signal -1
	s_barrier_wait -1
	global_inv scope:SCOPE_SE
	v_cmp_neq_f32_e32 vcc_lo, 0, v14
	s_cbranch_vccnz .LBB123_114
; %bb.109:                              ;   in Loop: Header=BB123_111 Depth=2
	v_add_nc_u32_e32 v1, s29, v1
	v_add_nc_u32_e32 v6, s54, v6
	s_mov_b32 s20, 0
	s_delay_alu instid0(VALU_DEP_2)
	v_cmp_le_u32_e32 vcc_lo, s62, v1
	s_or_not1_b32 s21, vcc_lo, exec_lo
.LBB123_110:                            ;   in Loop: Header=BB123_111 Depth=2
	s_wait_alu 0xfffe
	s_and_b32 s21, exec_lo, s21
	s_wait_alu 0xfffe
	s_or_b32 s16, s21, s16
	s_and_not1_b32 s19, s19, exec_lo
	s_and_b32 s20, s20, exec_lo
	s_wait_alu 0xfffe
	s_or_b32 s19, s19, s20
	s_and_not1_b32 exec_lo, exec_lo, s16
	s_cbranch_execz .LBB123_115
.LBB123_111:                            ;   Parent Loop BB123_29 Depth=1
                                        ; =>  This Inner Loop Header: Depth=2
	s_mov_b32 s20, exec_lo
	s_delay_alu instid0(VALU_DEP_1)
	v_cmpx_gt_u32_e64 s28, v1
	s_cbranch_execz .LBB123_108
; %bb.112:                              ;   in Loop: Header=BB123_111 Depth=2
	v_lshlrev_b64_e32 v[2:3], 2, v[6:7]
	s_delay_alu instid0(VALU_DEP_1) | instskip(SKIP_1) | instid1(VALU_DEP_2)
	v_add_co_u32 v2, vcc_lo, s36, v2
	s_wait_alu 0xfffd
	v_add_co_ci_u32_e64 v3, null, s37, v3, vcc_lo
	global_load_b32 v14, v[2:3], off
	s_wait_loadcnt 0x0
	v_cmp_lt_i32_e32 vcc_lo, -1, v14
	s_wait_alu 0xfffd
	v_cndmask_b32_e64 v2, -1, 0x80000000, vcc_lo
	v_cmp_o_f32_e32 vcc_lo, v14, v14
	s_delay_alu instid0(VALU_DEP_2) | instskip(SKIP_1) | instid1(VALU_DEP_1)
	v_xor_b32_e32 v2, v2, v14
	s_wait_alu 0xfffd
	v_cndmask_b32_e32 v2, -1, v2, vcc_lo
	s_delay_alu instid0(VALU_DEP_1) | instskip(NEXT) | instid1(VALU_DEP_1)
	v_and_b32_e32 v2, v2, v30
	v_cmp_eq_u32_e32 vcc_lo, v2, v22
	s_and_b32 exec_lo, exec_lo, vcc_lo
	s_cbranch_execz .LBB123_108
; %bb.113:                              ;   in Loop: Header=BB123_111 Depth=2
	ds_store_b64 v7, v[13:14] offset:3072
	s_branch .LBB123_108
.LBB123_114:                            ;   in Loop: Header=BB123_111 Depth=2
	s_mov_b32 s21, -1
	s_mov_b32 s20, -1
                                        ; implicit-def: $vgpr1
	s_branch .LBB123_110
.LBB123_115:                            ;   in Loop: Header=BB123_29 Depth=1
	s_or_b32 exec_lo, exec_lo, s16
	s_delay_alu instid0(SALU_CYCLE_1)
	s_and_not1_b32 s16, s18, exec_lo
	s_wait_alu 0xfffe
	s_and_b32 s18, s19, exec_lo
	s_wait_alu 0xfffe
	s_or_b32 s18, s16, s18
.LBB123_116:                            ;   in Loop: Header=BB123_29 Depth=1
	s_wait_alu 0xfffe
	s_or_b32 exec_lo, exec_lo, s13
	s_mov_b32 s13, 0
	s_mov_b32 s16, -1
.LBB123_117:                            ;   in Loop: Header=BB123_29 Depth=1
	s_or_not1_b32 s19, s18, exec_lo
.LBB123_118:                            ;   in Loop: Header=BB123_29 Depth=1
	s_wait_alu 0xfffe
	s_or_b32 exec_lo, exec_lo, s9
	v_readfirstlane_b32 s18, v0
	s_and_not1_b32 s9, s70, exec_lo
	s_and_b32 s16, s16, exec_lo
	s_and_not1_b32 s20, s68, exec_lo
	s_and_b32 s13, s13, exec_lo
	s_and_not1_b32 s67, s67, exec_lo
	s_wait_alu 0xfffe
	s_or_b32 s70, s9, s16
	s_or_b32 s68, s20, s13
                                        ; implicit-def: $vgpr2
	s_and_saveexec_b32 s9, s19
	s_cbranch_execz .LBB123_28
; %bb.119:                              ;   in Loop: Header=BB123_29 Depth=1
	v_dual_mov_b32 v2, 1 :: v_dual_mov_b32 v1, 1
	s_xor_b32 s12, s12, -1
	s_mov_b32 s18, 0
	s_wait_alu 0xfffe
	s_and_saveexec_b32 s11, s12
	s_cbranch_execz .LBB123_128
; %bb.120:                              ;   in Loop: Header=BB123_29 Depth=1
	s_mov_b32 s12, exec_lo
	v_cmpx_ge_u32_e64 s10, v31
	s_wait_alu 0xfffe
	s_xor_b32 s12, exec_lo, s12
	s_cbranch_execz .LBB123_125
; %bb.121:                              ;   in Loop: Header=BB123_29 Depth=1
	ds_load_b32 v1, v7 offset:4104
	v_and_b32_e32 v22, s15, v22
	v_or_b32_e32 v30, s8, v30
	s_wait_dscnt 0x0
	v_cmp_ne_u32_e32 vcc_lo, 0, v1
	s_cbranch_vccnz .LBB123_125
; %bb.122:                              ;   in Loop: Header=BB123_29 Depth=1
	s_and_saveexec_b32 s13, s0
; %bb.123:                              ;   in Loop: Header=BB123_29 Depth=1
	v_mov_b32_e32 v1, s10
	ds_store_b32 v7, v1 offset:4108
; %bb.124:                              ;   in Loop: Header=BB123_29 Depth=1
	s_wait_alu 0xfffe
	s_or_b32 exec_lo, exec_lo, s13
	s_wait_loadcnt_dscnt 0x0
	s_barrier_signal -1
	s_barrier_wait -1
	global_inv scope:SCOPE_SE
.LBB123_125:                            ;   in Loop: Header=BB123_29 Depth=1
	s_wait_alu 0xfffe
	s_or_saveexec_b32 s12, s12
	v_mov_b32_e32 v1, 8
	s_mov_b32 s13, 0
	s_wait_alu 0xfffe
	s_xor_b32 exec_lo, exec_lo, s12
; %bb.126:                              ;   in Loop: Header=BB123_29 Depth=1
	v_subrev_nc_u32_e32 v31, s10, v31
	v_mov_b32_e32 v1, 0
	s_mov_b32 s13, exec_lo
; %bb.127:                              ;   in Loop: Header=BB123_29 Depth=1
	s_or_b32 exec_lo, exec_lo, s12
	s_delay_alu instid0(VALU_DEP_2)
	v_mov_b32_e32 v2, v31
	s_wait_alu 0xfffe
	s_and_b32 s18, s13, exec_lo
.LBB123_128:                            ;   in Loop: Header=BB123_29 Depth=1
	s_wait_alu 0xfffe
	s_or_b32 exec_lo, exec_lo, s11
	s_mov_b32 s10, -1
	s_mov_b32 s16, -1
                                        ; implicit-def: $sgpr12
                                        ; implicit-def: $sgpr13
	s_and_saveexec_b32 s11, s18
	s_wait_alu 0xfffe
	s_xor_b32 s11, exec_lo, s11
	s_cbranch_execz .LBB123_254
; %bb.129:                              ;   in Loop: Header=BB123_29 Depth=1
	v_cmp_eq_u32_e32 vcc_lo, 1, v2
	s_cmp_eq_u32 s17, 1
	s_mov_b32 s19, -1
	s_cselect_b32 s12, -1, 0
                                        ; implicit-def: $sgpr13
	s_wait_alu 0xfffe
	s_and_b32 s18, s12, vcc_lo
                                        ; implicit-def: $sgpr12
	s_wait_alu 0xfffe
	s_and_saveexec_b32 s16, s18
	s_cbranch_execz .LBB123_160
; %bb.130:                              ;   in Loop: Header=BB123_29 Depth=1
	ds_load_b32 v3, v7 offset:4104
	s_wait_loadcnt_dscnt 0x0
	s_barrier_signal -1
	s_barrier_wait -1
	global_inv scope:SCOPE_SE
	v_readfirstlane_b32 s20, v3
	s_and_saveexec_b32 s12, s1
; %bb.131:                              ;   in Loop: Header=BB123_29 Depth=1
	ds_store_b32 v18, v7
; %bb.132:                              ;   in Loop: Header=BB123_29 Depth=1
	s_wait_alu 0xfffe
	s_or_b32 exec_lo, exec_lo, s12
	s_lshl_b32 s12, 1, s72
	v_or_b32_e32 v30, s8, v30
	s_wait_alu 0xfffe
	v_and_or_b32 v22, v22, s15, s12
	s_mov_b32 s12, -1
	s_mov_b32 s13, 0
	s_cmp_eq_u32 s20, 0
	s_mov_b32 s19, 0
	s_mov_b32 s21, -1
	s_wait_loadcnt_dscnt 0x0
	s_barrier_signal -1
	s_barrier_wait -1
	global_inv scope:SCOPE_SE
                                        ; implicit-def: $vgpr15
	s_cbranch_scc1 .LBB123_147
; %bb.133:                              ;   in Loop: Header=BB123_29 Depth=1
	s_add_co_i32 s42, s20, s53
                                        ; implicit-def: $vgpr15
	s_wait_alu 0xfffe
	s_mul_u64 s[22:23], s[42:43], s[46:47]
	s_mov_b32 s22, exec_lo
	s_wait_alu 0xfffe
	s_mul_i32 s19, s23, s29
	s_wait_alu 0xfffe
	s_sub_co_i32 s19, s42, s19
	s_wait_alu 0xfffe
	s_sub_co_i32 s21, s19, s29
	s_cmp_ge_u32 s19, s29
	s_wait_alu 0xfffe
	s_cselect_b32 s19, s21, s19
	s_wait_alu 0xfffe
	s_sub_co_i32 s21, s19, s29
	s_cmp_ge_u32 s19, s29
	s_wait_alu 0xfffe
	s_cselect_b32 s19, s21, s19
	s_mov_b32 s21, 0
	s_wait_alu 0xfffe
	s_sub_co_i32 s23, s42, s19
	s_mov_b32 s19, 0
	s_wait_alu 0xfffe
	v_cmpx_gt_u32_e64 s23, v0
	s_cbranch_execz .LBB123_146
; %bb.134:                              ;   in Loop: Header=BB123_29 Depth=1
	v_dual_mov_b32 v3, v17 :: v_dual_mov_b32 v4, v0
                                        ; implicit-def: $sgpr24
	s_branch .LBB123_138
.LBB123_135:                            ;   in Loop: Header=BB123_138 Depth=2
	s_wait_alu 0xfffe
	s_or_b32 exec_lo, exec_lo, s25
	s_wait_loadcnt_dscnt 0x0
	s_barrier_signal -1
	s_barrier_wait -1
	global_inv scope:SCOPE_SE
	ds_load_b64 v[14:15], v7 offset:3072
	s_wait_loadcnt_dscnt 0x0
	s_barrier_signal -1
	s_barrier_wait -1
	global_inv scope:SCOPE_SE
	v_cmp_neq_f32_e32 vcc_lo, 0, v14
	s_cbranch_vccnz .LBB123_141
; %bb.136:                              ;   in Loop: Header=BB123_138 Depth=2
	v_add_nc_u32_e32 v4, s29, v4
	v_add_nc_u32_e32 v3, s52, v3
	s_mov_b32 s25, 0
	s_delay_alu instid0(VALU_DEP_2)
	v_cmp_le_u32_e32 vcc_lo, s23, v4
	s_or_not1_b32 s26, vcc_lo, exec_lo
.LBB123_137:                            ;   in Loop: Header=BB123_138 Depth=2
	s_wait_alu 0xfffe
	s_and_b32 s26, exec_lo, s26
	s_wait_alu 0xfffe
	s_or_b32 s19, s26, s19
	s_and_not1_b32 s24, s24, exec_lo
	s_and_b32 s25, s25, exec_lo
	s_wait_alu 0xfffe
	s_or_b32 s24, s24, s25
	s_and_not1_b32 exec_lo, exec_lo, s19
	s_cbranch_execz .LBB123_145
.LBB123_138:                            ;   Parent Loop BB123_29 Depth=1
                                        ; =>  This Inner Loop Header: Depth=2
	s_mov_b32 s25, exec_lo
	s_delay_alu instid0(VALU_DEP_1)
	v_cmpx_gt_u32_e64 s20, v4
	s_cbranch_execz .LBB123_135
; %bb.139:                              ;   in Loop: Header=BB123_138 Depth=2
	ds_load_b32 v14, v3
	s_wait_dscnt 0x0
	v_cmp_lt_i32_e32 vcc_lo, -1, v14
	s_wait_alu 0xfffd
	v_cndmask_b32_e64 v6, -1, 0x80000000, vcc_lo
	v_cmp_o_f32_e32 vcc_lo, v14, v14
	s_delay_alu instid0(VALU_DEP_2) | instskip(SKIP_1) | instid1(VALU_DEP_1)
	v_xor_b32_e32 v6, v6, v14
	s_wait_alu 0xfffd
	v_cndmask_b32_e32 v6, -1, v6, vcc_lo
	s_delay_alu instid0(VALU_DEP_1) | instskip(NEXT) | instid1(VALU_DEP_1)
	v_and_b32_e32 v6, v6, v30
	v_cmp_eq_u32_e32 vcc_lo, v6, v22
	s_and_b32 exec_lo, exec_lo, vcc_lo
	s_cbranch_execz .LBB123_135
; %bb.140:                              ;   in Loop: Header=BB123_138 Depth=2
	ds_store_b64 v7, v[13:14] offset:3072
	s_branch .LBB123_135
.LBB123_141:                            ;   in Loop: Header=BB123_138 Depth=2
	s_mov_b32 s26, -1
	s_mov_b32 s25, -1
                                        ; implicit-def: $vgpr4
                                        ; implicit-def: $vgpr3
	s_branch .LBB123_137
.LBB123_142:                            ;   in Loop: Header=BB123_29 Depth=1
	s_wait_alu 0xfffe
	s_or_b32 exec_lo, exec_lo, s10
	s_wait_loadcnt_dscnt 0x0
	s_barrier_signal -1
	s_barrier_wait -1
	global_inv scope:SCOPE_SE
	s_and_saveexec_b32 s7, s0
	s_cbranch_execz .LBB123_144
; %bb.143:                              ;   in Loop: Header=BB123_29 Depth=1
	ds_load_b32 v1, v7 offset:4112
	s_wait_dscnt 0x0
	ds_store_b32 v7, v1 offset:4104
.LBB123_144:                            ;   in Loop: Header=BB123_29 Depth=1
	s_wait_alu 0xfffe
	s_or_b32 exec_lo, exec_lo, s7
	s_wait_loadcnt_dscnt 0x0
	s_barrier_signal -1
	s_mov_b32 s7, -1
	s_barrier_wait -1
	s_and_b32 vcc_lo, exec_lo, s9
	s_wait_alu 0xfffe
	s_cbranch_vccnz .LBB123_45
	s_branch .LBB123_54
.LBB123_145:                            ;   in Loop: Header=BB123_29 Depth=1
	s_or_b32 exec_lo, exec_lo, s19
	s_wait_alu 0xfffe
	s_and_b32 s19, s24, exec_lo
.LBB123_146:                            ;   in Loop: Header=BB123_29 Depth=1
	s_or_b32 exec_lo, exec_lo, s22
.LBB123_147:                            ;   in Loop: Header=BB123_29 Depth=1
	s_wait_alu 0xfffe
	s_and_b32 vcc_lo, exec_lo, s21
	s_wait_alu 0xfffe
	s_cbranch_vccz .LBB123_159
; %bb.148:                              ;   in Loop: Header=BB123_29 Depth=1
                                        ; implicit-def: $vgpr15
	s_and_saveexec_b32 s12, s6
	s_cbranch_execz .LBB123_158
; %bb.149:                              ;   in Loop: Header=BB123_29 Depth=1
	v_dual_mov_b32 v6, v5 :: v_dual_mov_b32 v3, v0
	s_mov_b32 s13, 0
                                        ; implicit-def: $sgpr20
	s_branch .LBB123_153
.LBB123_150:                            ;   in Loop: Header=BB123_153 Depth=2
	s_wait_alu 0xfffe
	s_or_b32 exec_lo, exec_lo, s21
	s_wait_loadcnt_dscnt 0x0
	s_barrier_signal -1
	s_barrier_wait -1
	global_inv scope:SCOPE_SE
	ds_load_b64 v[14:15], v7 offset:3072
	s_wait_loadcnt_dscnt 0x0
	s_barrier_signal -1
	s_barrier_wait -1
	global_inv scope:SCOPE_SE
	v_cmp_eq_f32_e32 vcc_lo, 0, v14
	s_cbranch_vccz .LBB123_156
; %bb.151:                              ;   in Loop: Header=BB123_153 Depth=2
	v_add_nc_u32_e32 v3, s29, v3
	v_add_nc_u32_e32 v6, s54, v6
	s_mov_b32 s21, 0
	s_delay_alu instid0(VALU_DEP_2)
	v_cmp_le_u32_e32 vcc_lo, s62, v3
	s_or_not1_b32 s22, vcc_lo, exec_lo
.LBB123_152:                            ;   in Loop: Header=BB123_153 Depth=2
	s_wait_alu 0xfffe
	s_and_b32 s22, exec_lo, s22
	s_wait_alu 0xfffe
	s_or_b32 s13, s22, s13
	s_and_not1_b32 s20, s20, exec_lo
	s_and_b32 s21, s21, exec_lo
	s_wait_alu 0xfffe
	s_or_b32 s20, s20, s21
	s_and_not1_b32 exec_lo, exec_lo, s13
	s_cbranch_execz .LBB123_157
.LBB123_153:                            ;   Parent Loop BB123_29 Depth=1
                                        ; =>  This Inner Loop Header: Depth=2
	s_mov_b32 s21, exec_lo
	s_delay_alu instid0(VALU_DEP_1)
	v_cmpx_gt_u32_e64 s28, v3
	s_cbranch_execz .LBB123_150
; %bb.154:                              ;   in Loop: Header=BB123_153 Depth=2
	v_lshlrev_b64_e32 v[14:15], 2, v[6:7]
	s_delay_alu instid0(VALU_DEP_1) | instskip(SKIP_1) | instid1(VALU_DEP_2)
	v_add_co_u32 v14, vcc_lo, s36, v14
	s_wait_alu 0xfffd
	v_add_co_ci_u32_e64 v15, null, s37, v15, vcc_lo
	global_load_b32 v14, v[14:15], off
	s_wait_loadcnt 0x0
	v_cmp_lt_i32_e32 vcc_lo, -1, v14
	s_wait_alu 0xfffd
	v_cndmask_b32_e64 v4, -1, 0x80000000, vcc_lo
	v_cmp_o_f32_e32 vcc_lo, v14, v14
	s_delay_alu instid0(VALU_DEP_2) | instskip(SKIP_1) | instid1(VALU_DEP_1)
	v_xor_b32_e32 v4, v4, v14
	s_wait_alu 0xfffd
	v_cndmask_b32_e32 v4, -1, v4, vcc_lo
	s_delay_alu instid0(VALU_DEP_1) | instskip(NEXT) | instid1(VALU_DEP_1)
	v_and_b32_e32 v4, v4, v30
	v_cmp_eq_u32_e32 vcc_lo, v4, v22
	s_and_b32 exec_lo, exec_lo, vcc_lo
	s_cbranch_execz .LBB123_150
; %bb.155:                              ;   in Loop: Header=BB123_153 Depth=2
	ds_store_b64 v7, v[13:14] offset:3072
	s_branch .LBB123_150
.LBB123_156:                            ;   in Loop: Header=BB123_153 Depth=2
	s_mov_b32 s22, -1
	s_mov_b32 s21, -1
                                        ; implicit-def: $vgpr3
	s_branch .LBB123_152
.LBB123_157:                            ;   in Loop: Header=BB123_29 Depth=1
	s_or_b32 exec_lo, exec_lo, s13
	s_delay_alu instid0(SALU_CYCLE_1)
	s_and_not1_b32 s13, s19, exec_lo
	s_wait_alu 0xfffe
	s_and_b32 s19, s20, exec_lo
	s_wait_alu 0xfffe
	s_or_b32 s19, s13, s19
.LBB123_158:                            ;   in Loop: Header=BB123_29 Depth=1
	s_wait_alu 0xfffe
	s_or_b32 exec_lo, exec_lo, s12
	s_mov_b32 s12, 0
	s_mov_b32 s13, -1
.LBB123_159:                            ;   in Loop: Header=BB123_29 Depth=1
	s_or_not1_b32 s19, s19, exec_lo
.LBB123_160:                            ;   in Loop: Header=BB123_29 Depth=1
	s_wait_alu 0xfffe
	s_or_b32 exec_lo, exec_lo, s16
	s_mov_b32 s20, 0
	s_and_saveexec_b32 s16, s19
	s_cbranch_execz .LBB123_253
; %bb.161:                              ;   in Loop: Header=BB123_29 Depth=1
	v_mov_b32_e32 v3, 1
	v_mov_b32_e32 v1, 1
	s_xor_b32 s19, s18, -1
	s_mov_b32 s21, 0
	s_wait_alu 0xfffe
	s_and_saveexec_b32 s18, s19
	s_cbranch_execz .LBB123_170
; %bb.162:                              ;   in Loop: Header=BB123_29 Depth=1
	s_mov_b32 s19, exec_lo
	v_cmpx_ge_u32_e64 s17, v2
	s_wait_alu 0xfffe
	s_xor_b32 s19, exec_lo, s19
	s_cbranch_execz .LBB123_167
; %bb.163:                              ;   in Loop: Header=BB123_29 Depth=1
	ds_load_b32 v1, v7 offset:4104
	s_lshl_b32 s20, 1, s72
	v_or_b32_e32 v30, s8, v30
	s_wait_alu 0xfffe
	v_and_or_b32 v22, v22, s15, s20
	s_wait_dscnt 0x0
	v_cmp_ne_u32_e32 vcc_lo, 0, v1
	s_cbranch_vccnz .LBB123_167
; %bb.164:                              ;   in Loop: Header=BB123_29 Depth=1
	s_and_saveexec_b32 s20, s0
; %bb.165:                              ;   in Loop: Header=BB123_29 Depth=1
	v_mov_b32_e32 v1, s17
	ds_store_b32 v7, v1 offset:4108
; %bb.166:                              ;   in Loop: Header=BB123_29 Depth=1
	s_wait_alu 0xfffe
	s_or_b32 exec_lo, exec_lo, s20
	s_wait_loadcnt_dscnt 0x0
	s_barrier_signal -1
	s_barrier_wait -1
	global_inv scope:SCOPE_SE
.LBB123_167:                            ;   in Loop: Header=BB123_29 Depth=1
	s_wait_alu 0xfffe
	s_or_saveexec_b32 s19, s19
	v_mov_b32_e32 v1, 8
	s_mov_b32 s20, 0
	s_wait_alu 0xfffe
	s_xor_b32 exec_lo, exec_lo, s19
; %bb.168:                              ;   in Loop: Header=BB123_29 Depth=1
	v_subrev_nc_u32_e32 v2, s17, v2
	v_mov_b32_e32 v1, 0
	s_mov_b32 s20, exec_lo
; %bb.169:                              ;   in Loop: Header=BB123_29 Depth=1
	s_or_b32 exec_lo, exec_lo, s19
	s_delay_alu instid0(VALU_DEP_2)
	v_mov_b32_e32 v3, v2
	s_wait_alu 0xfffe
	s_and_b32 s21, s20, exec_lo
.LBB123_170:                            ;   in Loop: Header=BB123_29 Depth=1
	s_wait_alu 0xfffe
	s_or_b32 exec_lo, exec_lo, s18
	s_mov_b32 s20, -1
                                        ; implicit-def: $sgpr18
                                        ; implicit-def: $sgpr19
	s_and_saveexec_b32 s17, s21
	s_cbranch_execz .LBB123_252
; %bb.171:                              ;   in Loop: Header=BB123_29 Depth=1
	v_cmp_eq_u32_e32 vcc_lo, 1, v3
	s_cmp_eq_u32 s14, 1
	s_mov_b32 s22, -1
	s_cselect_b32 s18, -1, 0
                                        ; implicit-def: $sgpr19
	s_wait_alu 0xfffe
	s_and_b32 s21, s18, vcc_lo
                                        ; implicit-def: $sgpr18
	s_wait_alu 0xfffe
	s_and_saveexec_b32 s20, s21
	s_cbranch_execz .LBB123_199
; %bb.172:                              ;   in Loop: Header=BB123_29 Depth=1
	ds_load_b32 v2, v7 offset:4104
	s_wait_loadcnt_dscnt 0x0
	s_barrier_signal -1
	s_barrier_wait -1
	global_inv scope:SCOPE_SE
	v_readfirstlane_b32 s23, v2
	s_and_saveexec_b32 s18, s1
; %bb.173:                              ;   in Loop: Header=BB123_29 Depth=1
	ds_store_b32 v18, v7
; %bb.174:                              ;   in Loop: Header=BB123_29 Depth=1
	s_wait_alu 0xfffe
	s_or_b32 exec_lo, exec_lo, s18
	s_lshl_b32 s18, 2, s72
	v_or_b32_e32 v30, s8, v30
	s_wait_alu 0xfffe
	v_and_or_b32 v22, v22, s15, s18
	s_mov_b32 s18, -1
	s_mov_b32 s19, 0
	s_cmp_eq_u32 s23, 0
	s_mov_b32 s22, 0
	s_mov_b32 s24, -1
	s_wait_loadcnt_dscnt 0x0
	s_barrier_signal -1
	s_barrier_wait -1
	global_inv scope:SCOPE_SE
                                        ; implicit-def: $vgpr15
	s_cbranch_scc1 .LBB123_186
; %bb.175:                              ;   in Loop: Header=BB123_29 Depth=1
	s_add_co_i32 s42, s23, s53
                                        ; implicit-def: $vgpr15
	s_wait_alu 0xfffe
	s_mul_u64 s[24:25], s[42:43], s[46:47]
	s_wait_alu 0xfffe
	s_mul_i32 s22, s25, s29
	s_mov_b32 s25, exec_lo
	s_wait_alu 0xfffe
	s_sub_co_i32 s22, s42, s22
	s_wait_alu 0xfffe
	s_sub_co_i32 s24, s22, s29
	s_cmp_ge_u32 s22, s29
	s_wait_alu 0xfffe
	s_cselect_b32 s22, s24, s22
	s_wait_alu 0xfffe
	s_sub_co_i32 s24, s22, s29
	s_cmp_ge_u32 s22, s29
	s_wait_alu 0xfffe
	s_cselect_b32 s22, s24, s22
	s_mov_b32 s24, 0
	s_wait_alu 0xfffe
	s_sub_co_i32 s26, s42, s22
	s_mov_b32 s22, 0
	s_wait_alu 0xfffe
	v_cmpx_gt_u32_e64 s26, v0
	s_cbranch_execz .LBB123_185
; %bb.176:                              ;   in Loop: Header=BB123_29 Depth=1
	v_mov_b32_e32 v2, v17
	v_mov_b32_e32 v4, v0
                                        ; implicit-def: $sgpr42
	s_branch .LBB123_180
.LBB123_177:                            ;   in Loop: Header=BB123_180 Depth=2
	s_wait_alu 0xfffe
	s_or_b32 exec_lo, exec_lo, s73
	s_wait_loadcnt_dscnt 0x0
	s_barrier_signal -1
	s_barrier_wait -1
	global_inv scope:SCOPE_SE
	ds_load_b64 v[14:15], v7 offset:3072
	s_wait_loadcnt_dscnt 0x0
	s_barrier_signal -1
	s_barrier_wait -1
	global_inv scope:SCOPE_SE
	v_cmp_neq_f32_e32 vcc_lo, 0, v14
	s_cbranch_vccnz .LBB123_183
; %bb.178:                              ;   in Loop: Header=BB123_180 Depth=2
	v_add_nc_u32_e32 v4, s29, v4
	v_add_nc_u32_e32 v2, s52, v2
	s_mov_b32 s73, 0
	s_delay_alu instid0(VALU_DEP_2)
	v_cmp_le_u32_e32 vcc_lo, s26, v4
	s_or_not1_b32 s74, vcc_lo, exec_lo
.LBB123_179:                            ;   in Loop: Header=BB123_180 Depth=2
	s_delay_alu instid0(SALU_CYCLE_1) | instskip(NEXT) | instid1(SALU_CYCLE_1)
	s_and_b32 s74, exec_lo, s74
	s_or_b32 s22, s74, s22
	s_and_not1_b32 s42, s42, exec_lo
	s_wait_alu 0xfffe
	s_and_b32 s73, s73, exec_lo
	s_wait_alu 0xfffe
	s_or_b32 s42, s42, s73
	s_and_not1_b32 exec_lo, exec_lo, s22
	s_cbranch_execz .LBB123_184
.LBB123_180:                            ;   Parent Loop BB123_29 Depth=1
                                        ; =>  This Inner Loop Header: Depth=2
	s_mov_b32 s73, exec_lo
	s_delay_alu instid0(VALU_DEP_1)
	v_cmpx_gt_u32_e64 s23, v4
	s_cbranch_execz .LBB123_177
; %bb.181:                              ;   in Loop: Header=BB123_180 Depth=2
	ds_load_b32 v14, v2
	s_wait_dscnt 0x0
	v_cmp_lt_i32_e32 vcc_lo, -1, v14
	s_wait_alu 0xfffd
	v_cndmask_b32_e64 v6, -1, 0x80000000, vcc_lo
	v_cmp_o_f32_e32 vcc_lo, v14, v14
	s_delay_alu instid0(VALU_DEP_2) | instskip(SKIP_1) | instid1(VALU_DEP_1)
	v_xor_b32_e32 v6, v6, v14
	s_wait_alu 0xfffd
	v_cndmask_b32_e32 v6, -1, v6, vcc_lo
	s_delay_alu instid0(VALU_DEP_1) | instskip(NEXT) | instid1(VALU_DEP_1)
	v_and_b32_e32 v6, v6, v30
	v_cmp_eq_u32_e32 vcc_lo, v6, v22
	s_and_b32 exec_lo, exec_lo, vcc_lo
	s_cbranch_execz .LBB123_177
; %bb.182:                              ;   in Loop: Header=BB123_180 Depth=2
	ds_store_b64 v7, v[13:14] offset:3072
	s_branch .LBB123_177
.LBB123_183:                            ;   in Loop: Header=BB123_180 Depth=2
	s_mov_b32 s74, -1
	s_mov_b32 s73, -1
                                        ; implicit-def: $vgpr4
                                        ; implicit-def: $vgpr2
	s_branch .LBB123_179
.LBB123_184:                            ;   in Loop: Header=BB123_29 Depth=1
	s_or_b32 exec_lo, exec_lo, s22
	s_wait_alu 0xfffe
	s_and_b32 s22, s42, exec_lo
.LBB123_185:                            ;   in Loop: Header=BB123_29 Depth=1
	s_or_b32 exec_lo, exec_lo, s25
.LBB123_186:                            ;   in Loop: Header=BB123_29 Depth=1
	s_wait_alu 0xfffe
	s_and_b32 vcc_lo, exec_lo, s24
	s_wait_alu 0xfffe
	s_cbranch_vccz .LBB123_198
; %bb.187:                              ;   in Loop: Header=BB123_29 Depth=1
                                        ; implicit-def: $vgpr15
	s_and_saveexec_b32 s18, s6
	s_cbranch_execz .LBB123_197
; %bb.188:                              ;   in Loop: Header=BB123_29 Depth=1
	v_mov_b32_e32 v6, v5
	v_mov_b32_e32 v2, v0
	s_mov_b32 s19, 0
                                        ; implicit-def: $sgpr23
	s_branch .LBB123_192
.LBB123_189:                            ;   in Loop: Header=BB123_192 Depth=2
	s_wait_alu 0xfffe
	s_or_b32 exec_lo, exec_lo, s24
	s_wait_loadcnt_dscnt 0x0
	s_barrier_signal -1
	s_barrier_wait -1
	global_inv scope:SCOPE_SE
	ds_load_b64 v[14:15], v7 offset:3072
	s_wait_loadcnt_dscnt 0x0
	s_barrier_signal -1
	s_barrier_wait -1
	global_inv scope:SCOPE_SE
	v_cmp_eq_f32_e32 vcc_lo, 0, v14
	s_cbranch_vccz .LBB123_195
; %bb.190:                              ;   in Loop: Header=BB123_192 Depth=2
	v_add_nc_u32_e32 v2, s29, v2
	v_add_nc_u32_e32 v6, s54, v6
	s_mov_b32 s24, 0
	s_delay_alu instid0(VALU_DEP_2)
	v_cmp_le_u32_e32 vcc_lo, s62, v2
	s_or_not1_b32 s25, vcc_lo, exec_lo
.LBB123_191:                            ;   in Loop: Header=BB123_192 Depth=2
	s_wait_alu 0xfffe
	s_and_b32 s25, exec_lo, s25
	s_wait_alu 0xfffe
	s_or_b32 s19, s25, s19
	s_and_not1_b32 s23, s23, exec_lo
	s_and_b32 s24, s24, exec_lo
	s_wait_alu 0xfffe
	s_or_b32 s23, s23, s24
	s_and_not1_b32 exec_lo, exec_lo, s19
	s_cbranch_execz .LBB123_196
.LBB123_192:                            ;   Parent Loop BB123_29 Depth=1
                                        ; =>  This Inner Loop Header: Depth=2
	s_mov_b32 s24, exec_lo
	s_delay_alu instid0(VALU_DEP_1)
	v_cmpx_gt_u32_e64 s28, v2
	s_cbranch_execz .LBB123_189
; %bb.193:                              ;   in Loop: Header=BB123_192 Depth=2
	v_lshlrev_b64_e32 v[14:15], 2, v[6:7]
	s_delay_alu instid0(VALU_DEP_1) | instskip(SKIP_1) | instid1(VALU_DEP_2)
	v_add_co_u32 v14, vcc_lo, s36, v14
	s_wait_alu 0xfffd
	v_add_co_ci_u32_e64 v15, null, s37, v15, vcc_lo
	global_load_b32 v14, v[14:15], off
	s_wait_loadcnt 0x0
	v_cmp_lt_i32_e32 vcc_lo, -1, v14
	s_wait_alu 0xfffd
	v_cndmask_b32_e64 v4, -1, 0x80000000, vcc_lo
	v_cmp_o_f32_e32 vcc_lo, v14, v14
	s_delay_alu instid0(VALU_DEP_2) | instskip(SKIP_1) | instid1(VALU_DEP_1)
	v_xor_b32_e32 v4, v4, v14
	s_wait_alu 0xfffd
	v_cndmask_b32_e32 v4, -1, v4, vcc_lo
	s_delay_alu instid0(VALU_DEP_1) | instskip(NEXT) | instid1(VALU_DEP_1)
	v_and_b32_e32 v4, v4, v30
	v_cmp_eq_u32_e32 vcc_lo, v4, v22
	s_and_b32 exec_lo, exec_lo, vcc_lo
	s_cbranch_execz .LBB123_189
; %bb.194:                              ;   in Loop: Header=BB123_192 Depth=2
	ds_store_b64 v7, v[13:14] offset:3072
	s_branch .LBB123_189
.LBB123_195:                            ;   in Loop: Header=BB123_192 Depth=2
	s_mov_b32 s25, -1
	s_mov_b32 s24, -1
                                        ; implicit-def: $vgpr2
	s_branch .LBB123_191
.LBB123_196:                            ;   in Loop: Header=BB123_29 Depth=1
	s_or_b32 exec_lo, exec_lo, s19
	s_delay_alu instid0(SALU_CYCLE_1)
	s_and_not1_b32 s19, s22, exec_lo
	s_wait_alu 0xfffe
	s_and_b32 s22, s23, exec_lo
	s_wait_alu 0xfffe
	s_or_b32 s22, s19, s22
.LBB123_197:                            ;   in Loop: Header=BB123_29 Depth=1
	s_wait_alu 0xfffe
	s_or_b32 exec_lo, exec_lo, s18
	s_mov_b32 s18, 0
	s_mov_b32 s19, -1
.LBB123_198:                            ;   in Loop: Header=BB123_29 Depth=1
	s_or_not1_b32 s22, s22, exec_lo
.LBB123_199:                            ;   in Loop: Header=BB123_29 Depth=1
	s_wait_alu 0xfffe
	s_or_b32 exec_lo, exec_lo, s20
	s_mov_b32 s23, 0
	s_and_saveexec_b32 s20, s22
	s_cbranch_execz .LBB123_251
; %bb.200:                              ;   in Loop: Header=BB123_29 Depth=1
	v_dual_mov_b32 v2, 1 :: v_dual_mov_b32 v1, 1
	s_xor_b32 s22, s21, -1
	s_wait_alu 0xfffe
	s_and_saveexec_b32 s21, s22
	s_cbranch_execz .LBB123_209
; %bb.201:                              ;   in Loop: Header=BB123_29 Depth=1
	s_mov_b32 s22, exec_lo
	v_cmpx_ge_u32_e64 s14, v3
	s_wait_alu 0xfffe
	s_xor_b32 s22, exec_lo, s22
	s_cbranch_execz .LBB123_206
; %bb.202:                              ;   in Loop: Header=BB123_29 Depth=1
	ds_load_b32 v1, v7 offset:4104
	s_lshl_b32 s23, 2, s72
	v_or_b32_e32 v30, s8, v30
	s_wait_alu 0xfffe
	v_and_or_b32 v22, v22, s15, s23
	s_wait_dscnt 0x0
	v_cmp_ne_u32_e32 vcc_lo, 0, v1
	s_cbranch_vccnz .LBB123_206
; %bb.203:                              ;   in Loop: Header=BB123_29 Depth=1
	s_and_saveexec_b32 s15, s0
; %bb.204:                              ;   in Loop: Header=BB123_29 Depth=1
	v_mov_b32_e32 v1, s14
	ds_store_b32 v7, v1 offset:4108
; %bb.205:                              ;   in Loop: Header=BB123_29 Depth=1
	s_wait_alu 0xfffe
	s_or_b32 exec_lo, exec_lo, s15
	s_wait_loadcnt_dscnt 0x0
	s_barrier_signal -1
	s_barrier_wait -1
	global_inv scope:SCOPE_SE
.LBB123_206:                            ;   in Loop: Header=BB123_29 Depth=1
	s_wait_alu 0xfffe
	s_or_saveexec_b32 s15, s22
	v_mov_b32_e32 v1, 8
	s_mov_b32 s22, 0
	s_wait_alu 0xfffe
	s_xor_b32 exec_lo, exec_lo, s15
; %bb.207:                              ;   in Loop: Header=BB123_29 Depth=1
	v_subrev_nc_u32_e32 v3, s14, v3
	v_mov_b32_e32 v1, 0
	s_mov_b32 s22, exec_lo
; %bb.208:                              ;   in Loop: Header=BB123_29 Depth=1
	s_or_b32 exec_lo, exec_lo, s15
	s_delay_alu instid0(VALU_DEP_2)
	v_mov_b32_e32 v2, v3
	s_wait_alu 0xfffe
	s_and_b32 s23, s22, exec_lo
.LBB123_209:                            ;   in Loop: Header=BB123_29 Depth=1
	s_wait_alu 0xfffe
	s_or_b32 exec_lo, exec_lo, s21
	s_mov_b32 s15, -1
                                        ; implicit-def: $sgpr22
                                        ; implicit-def: $sgpr21
	s_and_saveexec_b32 s14, s23
	s_cbranch_execz .LBB123_250
; %bb.210:                              ;   in Loop: Header=BB123_29 Depth=1
	v_cmp_eq_u32_e32 vcc_lo, 1, v2
	s_cmp_eq_u32 s7, 1
	s_mov_b32 s24, -1
	s_cselect_b32 s15, -1, 0
                                        ; implicit-def: $sgpr22
                                        ; implicit-def: $sgpr21
	s_wait_alu 0xfffe
	s_and_b32 s15, s15, vcc_lo
	s_wait_alu 0xfffe
	s_and_saveexec_b32 s23, s15
	s_cbranch_execz .LBB123_238
; %bb.211:                              ;   in Loop: Header=BB123_29 Depth=1
	ds_load_b32 v3, v7 offset:4104
	s_wait_loadcnt_dscnt 0x0
	s_barrier_signal -1
	s_barrier_wait -1
	global_inv scope:SCOPE_SE
	v_readfirstlane_b32 s25, v3
	s_and_saveexec_b32 s21, s1
; %bb.212:                              ;   in Loop: Header=BB123_29 Depth=1
	ds_store_b32 v18, v7
; %bb.213:                              ;   in Loop: Header=BB123_29 Depth=1
	s_wait_alu 0xfffe
	s_or_b32 exec_lo, exec_lo, s21
	v_or_b32_e32 v22, s8, v22
	v_or_b32_e32 v30, s8, v30
	s_mov_b32 s21, -1
	s_mov_b32 s22, 0
	s_cmp_eq_u32 s25, 0
	s_mov_b32 s24, 0
	s_mov_b32 s26, -1
	s_wait_loadcnt_dscnt 0x0
	s_barrier_signal -1
	s_barrier_wait -1
	global_inv scope:SCOPE_SE
                                        ; implicit-def: $vgpr15
	s_cbranch_scc1 .LBB123_225
; %bb.214:                              ;   in Loop: Header=BB123_29 Depth=1
	s_add_co_i32 s42, s25, s53
                                        ; implicit-def: $vgpr15
	s_wait_alu 0xfffe
	s_mul_u64 s[74:75], s[42:43], s[46:47]
	s_delay_alu instid0(SALU_CYCLE_1)
	s_mul_i32 s24, s75, s29
	s_wait_alu 0xfffe
	s_sub_co_i32 s24, s42, s24
	s_wait_alu 0xfffe
	s_sub_co_i32 s26, s24, s29
	s_cmp_ge_u32 s24, s29
	s_wait_alu 0xfffe
	s_cselect_b32 s24, s26, s24
	s_wait_alu 0xfffe
	s_sub_co_i32 s26, s24, s29
	s_cmp_ge_u32 s24, s29
	s_wait_alu 0xfffe
	s_cselect_b32 s24, s26, s24
	s_mov_b32 s26, 0
	s_wait_alu 0xfffe
	s_sub_co_i32 s73, s42, s24
	s_mov_b32 s24, 0
	s_mov_b32 s42, exec_lo
	s_wait_alu 0xfffe
	v_cmpx_gt_u32_e64 s73, v0
	s_cbranch_execz .LBB123_224
; %bb.215:                              ;   in Loop: Header=BB123_29 Depth=1
	v_dual_mov_b32 v3, v17 :: v_dual_mov_b32 v4, v0
                                        ; implicit-def: $sgpr74
	s_branch .LBB123_219
.LBB123_216:                            ;   in Loop: Header=BB123_219 Depth=2
	s_or_b32 exec_lo, exec_lo, s75
	s_wait_loadcnt_dscnt 0x0
	s_barrier_signal -1
	s_barrier_wait -1
	global_inv scope:SCOPE_SE
	ds_load_b64 v[14:15], v7 offset:3072
	s_wait_loadcnt_dscnt 0x0
	s_barrier_signal -1
	s_barrier_wait -1
	global_inv scope:SCOPE_SE
	v_cmp_neq_f32_e32 vcc_lo, 0, v14
	s_cbranch_vccnz .LBB123_222
; %bb.217:                              ;   in Loop: Header=BB123_219 Depth=2
	v_add_nc_u32_e32 v4, s29, v4
	v_add_nc_u32_e32 v3, s52, v3
	s_mov_b32 s75, 0
	s_delay_alu instid0(VALU_DEP_2)
	v_cmp_le_u32_e32 vcc_lo, s73, v4
	s_or_not1_b32 s76, vcc_lo, exec_lo
.LBB123_218:                            ;   in Loop: Header=BB123_219 Depth=2
	s_wait_alu 0xfffe
	s_and_b32 s76, exec_lo, s76
	s_wait_alu 0xfffe
	s_or_b32 s24, s76, s24
	s_and_not1_b32 s74, s74, exec_lo
	s_and_b32 s75, s75, exec_lo
	s_delay_alu instid0(SALU_CYCLE_1)
	s_or_b32 s74, s74, s75
	s_wait_alu 0xfffe
	s_and_not1_b32 exec_lo, exec_lo, s24
	s_cbranch_execz .LBB123_223
.LBB123_219:                            ;   Parent Loop BB123_29 Depth=1
                                        ; =>  This Inner Loop Header: Depth=2
	s_mov_b32 s75, exec_lo
	s_delay_alu instid0(VALU_DEP_1)
	v_cmpx_gt_u32_e64 s25, v4
	s_cbranch_execz .LBB123_216
; %bb.220:                              ;   in Loop: Header=BB123_219 Depth=2
	ds_load_b32 v14, v3
	s_wait_dscnt 0x0
	v_cmp_lt_i32_e32 vcc_lo, -1, v14
	s_wait_alu 0xfffd
	v_cndmask_b32_e64 v6, -1, 0x80000000, vcc_lo
	v_cmp_o_f32_e32 vcc_lo, v14, v14
	s_delay_alu instid0(VALU_DEP_2) | instskip(SKIP_1) | instid1(VALU_DEP_1)
	v_xor_b32_e32 v6, v6, v14
	s_wait_alu 0xfffd
	v_cndmask_b32_e32 v6, -1, v6, vcc_lo
	s_delay_alu instid0(VALU_DEP_1) | instskip(NEXT) | instid1(VALU_DEP_1)
	v_and_b32_e32 v6, v6, v30
	v_cmp_eq_u32_e32 vcc_lo, v6, v22
	s_and_b32 exec_lo, exec_lo, vcc_lo
	s_cbranch_execz .LBB123_216
; %bb.221:                              ;   in Loop: Header=BB123_219 Depth=2
	ds_store_b64 v7, v[13:14] offset:3072
	s_branch .LBB123_216
.LBB123_222:                            ;   in Loop: Header=BB123_219 Depth=2
	s_mov_b32 s76, -1
	s_mov_b32 s75, -1
                                        ; implicit-def: $vgpr4
                                        ; implicit-def: $vgpr3
	s_branch .LBB123_218
.LBB123_223:                            ;   in Loop: Header=BB123_29 Depth=1
	s_or_b32 exec_lo, exec_lo, s24
	s_delay_alu instid0(SALU_CYCLE_1)
	s_and_b32 s24, s74, exec_lo
.LBB123_224:                            ;   in Loop: Header=BB123_29 Depth=1
	s_or_b32 exec_lo, exec_lo, s42
.LBB123_225:                            ;   in Loop: Header=BB123_29 Depth=1
	s_wait_alu 0xfffe
	s_and_b32 vcc_lo, exec_lo, s26
	s_wait_alu 0xfffe
	s_cbranch_vccz .LBB123_237
; %bb.226:                              ;   in Loop: Header=BB123_29 Depth=1
                                        ; implicit-def: $vgpr15
	s_and_saveexec_b32 s21, s6
	s_cbranch_execz .LBB123_236
; %bb.227:                              ;   in Loop: Header=BB123_29 Depth=1
	v_dual_mov_b32 v6, v5 :: v_dual_mov_b32 v3, v0
	s_mov_b32 s22, 0
                                        ; implicit-def: $sgpr25
	s_branch .LBB123_231
.LBB123_228:                            ;   in Loop: Header=BB123_231 Depth=2
	s_wait_alu 0xfffe
	s_or_b32 exec_lo, exec_lo, s26
	s_wait_loadcnt_dscnt 0x0
	s_barrier_signal -1
	s_barrier_wait -1
	global_inv scope:SCOPE_SE
	ds_load_b64 v[14:15], v7 offset:3072
	s_wait_loadcnt_dscnt 0x0
	s_barrier_signal -1
	s_barrier_wait -1
	global_inv scope:SCOPE_SE
	v_cmp_eq_f32_e32 vcc_lo, 0, v14
	s_cbranch_vccz .LBB123_234
; %bb.229:                              ;   in Loop: Header=BB123_231 Depth=2
	v_add_nc_u32_e32 v3, s29, v3
	v_add_nc_u32_e32 v6, s54, v6
	s_mov_b32 s26, 0
	s_delay_alu instid0(VALU_DEP_2)
	v_cmp_le_u32_e32 vcc_lo, s62, v3
	s_or_not1_b32 s42, vcc_lo, exec_lo
.LBB123_230:                            ;   in Loop: Header=BB123_231 Depth=2
	s_wait_alu 0xfffe
	s_and_b32 s42, exec_lo, s42
	s_wait_alu 0xfffe
	s_or_b32 s22, s42, s22
	s_and_not1_b32 s25, s25, exec_lo
	s_and_b32 s26, s26, exec_lo
	s_wait_alu 0xfffe
	s_or_b32 s25, s25, s26
	s_and_not1_b32 exec_lo, exec_lo, s22
	s_cbranch_execz .LBB123_235
.LBB123_231:                            ;   Parent Loop BB123_29 Depth=1
                                        ; =>  This Inner Loop Header: Depth=2
	s_mov_b32 s26, exec_lo
	s_delay_alu instid0(VALU_DEP_1)
	v_cmpx_gt_u32_e64 s28, v3
	s_cbranch_execz .LBB123_228
; %bb.232:                              ;   in Loop: Header=BB123_231 Depth=2
	v_lshlrev_b64_e32 v[14:15], 2, v[6:7]
	s_delay_alu instid0(VALU_DEP_1) | instskip(SKIP_1) | instid1(VALU_DEP_2)
	v_add_co_u32 v14, vcc_lo, s36, v14
	s_wait_alu 0xfffd
	v_add_co_ci_u32_e64 v15, null, s37, v15, vcc_lo
	global_load_b32 v14, v[14:15], off
	s_wait_loadcnt 0x0
	v_cmp_lt_i32_e32 vcc_lo, -1, v14
	s_wait_alu 0xfffd
	v_cndmask_b32_e64 v4, -1, 0x80000000, vcc_lo
	v_cmp_o_f32_e32 vcc_lo, v14, v14
	s_delay_alu instid0(VALU_DEP_2) | instskip(SKIP_1) | instid1(VALU_DEP_1)
	v_xor_b32_e32 v4, v4, v14
	s_wait_alu 0xfffd
	v_cndmask_b32_e32 v4, -1, v4, vcc_lo
	s_delay_alu instid0(VALU_DEP_1) | instskip(NEXT) | instid1(VALU_DEP_1)
	v_and_b32_e32 v4, v4, v30
	v_cmp_eq_u32_e32 vcc_lo, v4, v22
	s_and_b32 exec_lo, exec_lo, vcc_lo
	s_cbranch_execz .LBB123_228
; %bb.233:                              ;   in Loop: Header=BB123_231 Depth=2
	ds_store_b64 v7, v[13:14] offset:3072
	s_branch .LBB123_228
.LBB123_234:                            ;   in Loop: Header=BB123_231 Depth=2
	s_mov_b32 s42, -1
	s_mov_b32 s26, -1
                                        ; implicit-def: $vgpr3
	s_branch .LBB123_230
.LBB123_235:                            ;   in Loop: Header=BB123_29 Depth=1
	s_or_b32 exec_lo, exec_lo, s22
	s_delay_alu instid0(SALU_CYCLE_1)
	s_and_not1_b32 s22, s24, exec_lo
	s_wait_alu 0xfffe
	s_and_b32 s24, s25, exec_lo
	s_wait_alu 0xfffe
	s_or_b32 s24, s22, s24
.LBB123_236:                            ;   in Loop: Header=BB123_29 Depth=1
	s_wait_alu 0xfffe
	s_or_b32 exec_lo, exec_lo, s21
	s_mov_b32 s21, 0
	s_mov_b32 s22, -1
.LBB123_237:                            ;   in Loop: Header=BB123_29 Depth=1
	s_or_not1_b32 s24, s24, exec_lo
.LBB123_238:                            ;   in Loop: Header=BB123_29 Depth=1
	s_wait_alu 0xfffe
	s_or_b32 exec_lo, exec_lo, s23
	s_mov_b32 s25, 0
	s_and_saveexec_b32 s23, s24
	s_cbranch_execz .LBB123_249
; %bb.239:                              ;   in Loop: Header=BB123_29 Depth=1
	v_mov_b32_e32 v1, 1
	v_mov_b32_e32 v3, 1
	s_xor_b32 s24, s15, -1
	s_wait_alu 0xfffe
	s_and_saveexec_b32 s15, s24
	s_cbranch_execz .LBB123_248
; %bb.240:                              ;   in Loop: Header=BB123_29 Depth=1
	s_mov_b32 s24, exec_lo
	v_cmpx_ge_u32_e64 s7, v2
	s_wait_alu 0xfffe
	s_xor_b32 s24, exec_lo, s24
	s_cbranch_execz .LBB123_245
; %bb.241:                              ;   in Loop: Header=BB123_29 Depth=1
	ds_load_b32 v1, v7 offset:4104
	v_or_b32_e32 v22, s8, v22
	v_or_b32_e32 v30, s8, v30
	s_wait_dscnt 0x0
	v_cmp_ne_u32_e32 vcc_lo, 0, v1
	s_cbranch_vccnz .LBB123_245
; %bb.242:                              ;   in Loop: Header=BB123_29 Depth=1
	s_and_saveexec_b32 s8, s0
; %bb.243:                              ;   in Loop: Header=BB123_29 Depth=1
	v_mov_b32_e32 v1, s7
	ds_store_b32 v7, v1 offset:4108
; %bb.244:                              ;   in Loop: Header=BB123_29 Depth=1
	s_wait_alu 0xfffe
	s_or_b32 exec_lo, exec_lo, s8
	s_wait_loadcnt_dscnt 0x0
	s_barrier_signal -1
	s_barrier_wait -1
	global_inv scope:SCOPE_SE
.LBB123_245:                            ;   in Loop: Header=BB123_29 Depth=1
	s_wait_alu 0xfffe
	s_and_not1_saveexec_b32 s8, s24
; %bb.246:                              ;   in Loop: Header=BB123_29 Depth=1
	v_subrev_nc_u32_e32 v2, s7, v2
; %bb.247:                              ;   in Loop: Header=BB123_29 Depth=1
	s_wait_alu 0xfffe
	s_or_b32 exec_lo, exec_lo, s8
	v_mov_b32_e32 v1, 8
	s_delay_alu instid0(VALU_DEP_2)
	v_mov_b32_e32 v3, v2
.LBB123_248:                            ;   in Loop: Header=BB123_29 Depth=1
	s_wait_alu 0xfffe
	s_or_b32 exec_lo, exec_lo, s15
	s_delay_alu instid0(VALU_DEP_1)
	v_mov_b32_e32 v2, v3
	s_mov_b32 s25, exec_lo
.LBB123_249:                            ;   in Loop: Header=BB123_29 Depth=1
	s_wait_alu 0xfffe
	s_or_b32 exec_lo, exec_lo, s23
	s_delay_alu instid0(SALU_CYCLE_1)
	s_or_not1_b32 s15, s25, exec_lo
.LBB123_250:                            ;   in Loop: Header=BB123_29 Depth=1
	s_wait_alu 0xfffe
	s_or_b32 exec_lo, exec_lo, s14
	v_mov_b32_e32 v3, v2
	s_and_not1_b32 s7, s19, exec_lo
	s_and_b32 s8, s22, exec_lo
	s_and_not1_b32 s14, s18, exec_lo
	s_and_b32 s18, s21, exec_lo
	s_wait_alu 0xfffe
	s_or_b32 s19, s7, s8
	s_or_b32 s18, s14, s18
	s_and_b32 s23, s15, exec_lo
.LBB123_251:                            ;   in Loop: Header=BB123_29 Depth=1
	s_wait_alu 0xfffe
	s_or_b32 exec_lo, exec_lo, s20
	s_delay_alu instid0(SALU_CYCLE_1)
	s_or_not1_b32 s20, s23, exec_lo
.LBB123_252:                            ;   in Loop: Header=BB123_29 Depth=1
	s_wait_alu 0xfffe
	s_or_b32 exec_lo, exec_lo, s17
	v_mov_b32_e32 v2, v3
	s_and_not1_b32 s7, s13, exec_lo
	s_and_b32 s8, s19, exec_lo
	s_and_not1_b32 s12, s12, exec_lo
	s_and_b32 s14, s18, exec_lo
	s_wait_alu 0xfffe
	s_or_b32 s13, s7, s8
	s_or_b32 s12, s12, s14
	s_and_b32 s20, s20, exec_lo
.LBB123_253:                            ;   in Loop: Header=BB123_29 Depth=1
	s_wait_alu 0xfffe
	s_or_b32 exec_lo, exec_lo, s16
	s_delay_alu instid0(SALU_CYCLE_1)
	s_or_not1_b32 s16, s20, exec_lo
.LBB123_254:                            ;   in Loop: Header=BB123_29 Depth=1
	s_wait_alu 0xfffe
	s_or_b32 exec_lo, exec_lo, s11
	s_mov_b32 s8, 0
                                        ; implicit-def: $sgpr18
	s_and_saveexec_b32 s7, s16
	s_wait_alu 0xfffe
	s_xor_b32 s7, exec_lo, s7
	s_cbranch_execz .LBB123_27
; %bb.255:                              ;   in Loop: Header=BB123_29 Depth=1
	v_and_b32_e32 v1, 7, v1
	s_mov_b32 s10, -1
	s_mov_b32 s8, -1
	s_mov_b32 s11, exec_lo
                                        ; implicit-def: $sgpr18
	s_delay_alu instid0(VALU_DEP_1)
	v_cmpx_eq_u32_e32 0, v1
	s_cbranch_execz .LBB123_26
; %bb.256:                              ;   in Loop: Header=BB123_29 Depth=1
	s_add_co_i32 s18, s72, -2
	s_cmp_eq_u32 s72, 0
	v_xor_b32_e32 v29, 1, v29
	s_cselect_b32 s10, -1, 0
	s_xor_b32 s8, exec_lo, -1
	s_wait_alu 0xfffe
	s_or_not1_b32 s10, s10, exec_lo
	s_branch .LBB123_26
.LBB123_257:
	s_or_b32 exec_lo, exec_lo, s65
	s_xor_b32 s4, s71, -1
	s_xor_b32 s3, s69, -1
	;; [unrolled: 1-line block ×3, first 2 shown]
	s_mov_b32 s0, 0
	s_wait_alu 0xfffe
	s_and_saveexec_b32 s5, s3
	s_wait_alu 0xfffe
	s_xor_b32 s3, exec_lo, s5
	s_cbranch_execnz .LBB123_262
; %bb.258:
	s_wait_alu 0xfffe
	s_and_not1_saveexec_b32 s1, s3
	s_cbranch_execnz .LBB123_275
.LBB123_259:
	s_or_b32 exec_lo, exec_lo, s1
	s_and_saveexec_b32 s1, s0
.LBB123_260:
	; divergent unreachable
.LBB123_261:
	s_endpgm
.LBB123_262:
	s_and_saveexec_b32 s0, s4
	s_delay_alu instid0(SALU_CYCLE_1)
	s_xor_b32 s4, exec_lo, s0
	s_cbranch_execz .LBB123_273
; %bb.263:
	s_and_saveexec_b32 s0, s1
	s_delay_alu instid0(SALU_CYCLE_1)
	s_xor_b32 s0, exec_lo, s0
; %bb.264:
	v_cmp_lt_i32_e32 vcc_lo, -1, v22
	s_wait_alu 0xfffd
	v_cndmask_b32_e64 v1, 0x80000000, -1, vcc_lo
	s_delay_alu instid0(VALU_DEP_1)
	v_xor_b32_e32 v15, v1, v22
; %bb.265:
	s_or_b32 exec_lo, exec_lo, s0
	s_mul_i32 s0, s51, s34
	s_mov_b32 s1, 0
	s_add_co_i32 s0, s0, s35
	v_mov_b32_e32 v6, 0
	s_lshl_b64 s[6:7], s[0:1], 2
	s_wait_alu 0xfffe
	s_add_nc_u64 s[6:7], s[40:41], s[6:7]
	global_store_b32 v6, v15, s[6:7]
	s_and_saveexec_b32 s5, s2
	s_cbranch_execz .LBB123_272
; %bb.266:
	v_cmp_u_f32_e32 vcc_lo, v15, v15
                                        ; implicit-def: $sgpr2
                                        ; implicit-def: $sgpr8
                                        ; implicit-def: $sgpr7
	s_xor_b32 s6, vcc_lo, -1
	s_branch .LBB123_268
.LBB123_267:                            ;   in Loop: Header=BB123_268 Depth=1
	s_or_b32 exec_lo, exec_lo, s0
	s_wait_alu 0xfffe
	s_and_b32 s0, exec_lo, s8
	s_delay_alu instid0(SALU_CYCLE_1)
	s_or_b32 s1, s0, s1
	s_and_not1_b32 s0, s2, exec_lo
	s_and_b32 s2, s7, exec_lo
	s_wait_alu 0xfffe
	s_or_b32 s2, s0, s2
	s_and_not1_b32 exec_lo, exec_lo, s1
	s_cbranch_execz .LBB123_270
.LBB123_268:                            ; =>This Inner Loop Header: Depth=1
	v_lshlrev_b64_e32 v[1:2], 2, v[5:6]
	s_wait_alu 0xfffe
	s_or_b32 s7, s7, exec_lo
	s_or_b32 s8, s8, exec_lo
	s_delay_alu instid0(VALU_DEP_1)
	v_add_co_u32 v1, vcc_lo, s36, v1
	s_wait_alu 0xfffd
	v_add_co_ci_u32_e64 v2, null, s37, v2, vcc_lo
	global_load_b32 v1, v[1:2], off
	s_wait_loadcnt 0x0
	v_cmp_o_f32_e32 vcc_lo, v1, v1
	v_cmp_neq_f32_e64 s0, v1, v15
	v_mov_b32_e32 v1, v0
                                        ; implicit-def: $vgpr0
	s_or_b32 s9, vcc_lo, s6
	s_wait_alu 0xfffe
	s_and_b32 s9, s0, s9
	s_wait_alu 0xfffe
	s_and_saveexec_b32 s0, s9
	s_cbranch_execz .LBB123_267
; %bb.269:                              ;   in Loop: Header=BB123_268 Depth=1
	v_add_nc_u32_e32 v0, s29, v1
	v_add_nc_u32_e32 v5, s54, v5
	s_and_not1_b32 s8, s8, exec_lo
	s_and_not1_b32 s7, s7, exec_lo
	s_delay_alu instid0(VALU_DEP_2)
	v_cmp_le_u32_e32 vcc_lo, s28, v0
	s_and_b32 s9, vcc_lo, exec_lo
	s_wait_alu 0xfffe
	s_or_b32 s8, s8, s9
	s_branch .LBB123_267
.LBB123_270:
	s_or_b32 exec_lo, exec_lo, s1
	s_wait_alu 0xfffe
	s_and_saveexec_b32 s0, s2
	s_delay_alu instid0(SALU_CYCLE_1)
	s_xor_b32 s0, exec_lo, s0
	s_cbranch_execz .LBB123_272
; %bb.271:
	s_mul_i32 s0, s50, s33
	s_mov_b32 s1, 0
	s_add_co_i32 s0, s0, s27
	v_mov_b32_e32 v2, 0
	s_lshl_b64 s[0:1], s[0:1], 3
	s_delay_alu instid0(SALU_CYCLE_1)
	s_add_nc_u64 s[0:1], s[38:39], s[0:1]
	global_store_b64 v2, v[1:2], s[0:1]
.LBB123_272:
	s_wait_alu 0xfffe
	s_or_b32 exec_lo, exec_lo, s5
.LBB123_273:
	s_wait_alu 0xfffe
	s_or_saveexec_b32 s0, s4
	s_mov_b32 s1, 0
	s_xor_b32 exec_lo, exec_lo, s0
	s_cbranch_execnz .LBB123_276
.LBB123_274:
	s_or_b32 exec_lo, exec_lo, s0
	s_delay_alu instid0(SALU_CYCLE_1)
	s_and_b32 s0, s1, exec_lo
	s_and_not1_saveexec_b32 s1, s3
	s_cbranch_execz .LBB123_259
.LBB123_275:
	s_or_b32 s0, s0, exec_lo
	s_trap 2
	s_or_b32 exec_lo, exec_lo, s1
	s_and_saveexec_b32 s1, s0
	s_cbranch_execnz .LBB123_260
	s_branch .LBB123_261
.LBB123_276:
	s_mov_b32 s1, exec_lo
	s_trap 2
	s_branch .LBB123_274
	.section	.rodata,"a",@progbits
	.p2align	6, 0x0
	.amdhsa_kernel _ZN2at6native12_GLOBAL__N_112gatherMedianIfjLin1EEEvNS_4cuda6detail10TensorInfoIT_T0_EENS5_IlS7_EENS5_IKS6_S7_EES7_S7_S7_b
		.amdhsa_group_segment_fixed_size 4120
		.amdhsa_private_segment_fixed_size 0
		.amdhsa_kernarg_size 920
		.amdhsa_user_sgpr_count 2
		.amdhsa_user_sgpr_dispatch_ptr 0
		.amdhsa_user_sgpr_queue_ptr 0
		.amdhsa_user_sgpr_kernarg_segment_ptr 1
		.amdhsa_user_sgpr_dispatch_id 0
		.amdhsa_user_sgpr_private_segment_size 0
		.amdhsa_wavefront_size32 1
		.amdhsa_uses_dynamic_stack 0
		.amdhsa_enable_private_segment 0
		.amdhsa_system_sgpr_workgroup_id_x 1
		.amdhsa_system_sgpr_workgroup_id_y 1
		.amdhsa_system_sgpr_workgroup_id_z 1
		.amdhsa_system_sgpr_workgroup_info 0
		.amdhsa_system_vgpr_workitem_id 0
		.amdhsa_next_free_vgpr 44
		.amdhsa_next_free_sgpr 80
		.amdhsa_reserve_vcc 1
		.amdhsa_float_round_mode_32 0
		.amdhsa_float_round_mode_16_64 0
		.amdhsa_float_denorm_mode_32 3
		.amdhsa_float_denorm_mode_16_64 3
		.amdhsa_fp16_overflow 0
		.amdhsa_workgroup_processor_mode 1
		.amdhsa_memory_ordered 1
		.amdhsa_forward_progress 1
		.amdhsa_inst_pref_size 96
		.amdhsa_round_robin_scheduling 0
		.amdhsa_exception_fp_ieee_invalid_op 0
		.amdhsa_exception_fp_denorm_src 0
		.amdhsa_exception_fp_ieee_div_zero 0
		.amdhsa_exception_fp_ieee_overflow 0
		.amdhsa_exception_fp_ieee_underflow 0
		.amdhsa_exception_fp_ieee_inexact 0
		.amdhsa_exception_int_div_zero 0
	.end_amdhsa_kernel
	.section	.text._ZN2at6native12_GLOBAL__N_112gatherMedianIfjLin1EEEvNS_4cuda6detail10TensorInfoIT_T0_EENS5_IlS7_EENS5_IKS6_S7_EES7_S7_S7_b,"axG",@progbits,_ZN2at6native12_GLOBAL__N_112gatherMedianIfjLin1EEEvNS_4cuda6detail10TensorInfoIT_T0_EENS5_IlS7_EENS5_IKS6_S7_EES7_S7_S7_b,comdat
.Lfunc_end123:
	.size	_ZN2at6native12_GLOBAL__N_112gatherMedianIfjLin1EEEvNS_4cuda6detail10TensorInfoIT_T0_EENS5_IlS7_EENS5_IKS6_S7_EES7_S7_S7_b, .Lfunc_end123-_ZN2at6native12_GLOBAL__N_112gatherMedianIfjLin1EEEvNS_4cuda6detail10TensorInfoIT_T0_EENS5_IlS7_EENS5_IKS6_S7_EES7_S7_S7_b
                                        ; -- End function
	.set _ZN2at6native12_GLOBAL__N_112gatherMedianIfjLin1EEEvNS_4cuda6detail10TensorInfoIT_T0_EENS5_IlS7_EENS5_IKS6_S7_EES7_S7_S7_b.num_vgpr, 44
	.set _ZN2at6native12_GLOBAL__N_112gatherMedianIfjLin1EEEvNS_4cuda6detail10TensorInfoIT_T0_EENS5_IlS7_EENS5_IKS6_S7_EES7_S7_S7_b.num_agpr, 0
	.set _ZN2at6native12_GLOBAL__N_112gatherMedianIfjLin1EEEvNS_4cuda6detail10TensorInfoIT_T0_EENS5_IlS7_EENS5_IKS6_S7_EES7_S7_S7_b.numbered_sgpr, 80
	.set _ZN2at6native12_GLOBAL__N_112gatherMedianIfjLin1EEEvNS_4cuda6detail10TensorInfoIT_T0_EENS5_IlS7_EENS5_IKS6_S7_EES7_S7_S7_b.num_named_barrier, 0
	.set _ZN2at6native12_GLOBAL__N_112gatherMedianIfjLin1EEEvNS_4cuda6detail10TensorInfoIT_T0_EENS5_IlS7_EENS5_IKS6_S7_EES7_S7_S7_b.private_seg_size, 0
	.set _ZN2at6native12_GLOBAL__N_112gatherMedianIfjLin1EEEvNS_4cuda6detail10TensorInfoIT_T0_EENS5_IlS7_EENS5_IKS6_S7_EES7_S7_S7_b.uses_vcc, 1
	.set _ZN2at6native12_GLOBAL__N_112gatherMedianIfjLin1EEEvNS_4cuda6detail10TensorInfoIT_T0_EENS5_IlS7_EENS5_IKS6_S7_EES7_S7_S7_b.uses_flat_scratch, 0
	.set _ZN2at6native12_GLOBAL__N_112gatherMedianIfjLin1EEEvNS_4cuda6detail10TensorInfoIT_T0_EENS5_IlS7_EENS5_IKS6_S7_EES7_S7_S7_b.has_dyn_sized_stack, 0
	.set _ZN2at6native12_GLOBAL__N_112gatherMedianIfjLin1EEEvNS_4cuda6detail10TensorInfoIT_T0_EENS5_IlS7_EENS5_IKS6_S7_EES7_S7_S7_b.has_recursion, 0
	.set _ZN2at6native12_GLOBAL__N_112gatherMedianIfjLin1EEEvNS_4cuda6detail10TensorInfoIT_T0_EENS5_IlS7_EENS5_IKS6_S7_EES7_S7_S7_b.has_indirect_call, 0
	.section	.AMDGPU.csdata,"",@progbits
; Kernel info:
; codeLenInByte = 12220
; TotalNumSgprs: 82
; NumVgprs: 44
; ScratchSize: 0
; MemoryBound: 0
; FloatMode: 240
; IeeeMode: 1
; LDSByteSize: 4120 bytes/workgroup (compile time only)
; SGPRBlocks: 0
; VGPRBlocks: 5
; NumSGPRsForWavesPerEU: 82
; NumVGPRsForWavesPerEU: 44
; Occupancy: 16
; WaveLimiterHint : 1
; COMPUTE_PGM_RSRC2:SCRATCH_EN: 0
; COMPUTE_PGM_RSRC2:USER_SGPR: 2
; COMPUTE_PGM_RSRC2:TRAP_HANDLER: 0
; COMPUTE_PGM_RSRC2:TGID_X_EN: 1
; COMPUTE_PGM_RSRC2:TGID_Y_EN: 1
; COMPUTE_PGM_RSRC2:TGID_Z_EN: 1
; COMPUTE_PGM_RSRC2:TIDIG_COMP_CNT: 0
	.section	.text._ZN2at6native12_GLOBAL__N_112gatherMedianIfmLi1EEEvNS_4cuda6detail10TensorInfoIT_T0_EENS5_IlS7_EENS5_IKS6_S7_EES7_S7_S7_b,"axG",@progbits,_ZN2at6native12_GLOBAL__N_112gatherMedianIfmLi1EEEvNS_4cuda6detail10TensorInfoIT_T0_EENS5_IlS7_EENS5_IKS6_S7_EES7_S7_S7_b,comdat
	.globl	_ZN2at6native12_GLOBAL__N_112gatherMedianIfmLi1EEEvNS_4cuda6detail10TensorInfoIT_T0_EENS5_IlS7_EENS5_IKS6_S7_EES7_S7_S7_b ; -- Begin function _ZN2at6native12_GLOBAL__N_112gatherMedianIfmLi1EEEvNS_4cuda6detail10TensorInfoIT_T0_EENS5_IlS7_EENS5_IKS6_S7_EES7_S7_S7_b
	.p2align	8
	.type	_ZN2at6native12_GLOBAL__N_112gatherMedianIfmLi1EEEvNS_4cuda6detail10TensorInfoIT_T0_EENS5_IlS7_EENS5_IKS6_S7_EES7_S7_S7_b,@function
_ZN2at6native12_GLOBAL__N_112gatherMedianIfmLi1EEEvNS_4cuda6detail10TensorInfoIT_T0_EENS5_IlS7_EENS5_IKS6_S7_EES7_S7_S7_b: ; @_ZN2at6native12_GLOBAL__N_112gatherMedianIfmLi1EEEvNS_4cuda6detail10TensorInfoIT_T0_EENS5_IlS7_EENS5_IKS6_S7_EES7_S7_S7_b
; %bb.0:
	s_clause 0x1
	s_load_b64 s[8:9], s[0:1], 0x500
	s_load_b128 s[24:27], s[0:1], 0x4e0
	s_lshr_b32 s2, ttmp7, 16
	s_and_b32 s3, ttmp7, 0xffff
	s_mov_b32 s29, 0
	s_wait_kmcnt 0x0
	s_mul_i32 s2, s9, s2
	s_delay_alu instid0(SALU_CYCLE_1) | instskip(NEXT) | instid1(SALU_CYCLE_1)
	s_add_co_i32 s2, s2, s3
	s_mul_i32 s2, s2, s8
	s_delay_alu instid0(SALU_CYCLE_1) | instskip(NEXT) | instid1(SALU_CYCLE_1)
	s_add_co_i32 s28, s2, ttmp9
	v_cmp_le_u64_e64 s2, s[26:27], s[28:29]
	s_and_b32 vcc_lo, exec_lo, s2
	s_cbranch_vccnz .LBB124_289
; %bb.1:
	s_clause 0x2
	s_load_b64 s[10:11], s[0:1], 0x410
	s_load_b64 s[34:35], s[0:1], 0x4f0
	;; [unrolled: 1-line block ×3, first 2 shown]
	v_dual_mov_b32 v1, 0 :: v_dual_mov_b32 v2, 0
	v_mov_b32_e32 v3, 0
	s_add_nc_u64 s[6:7], s[0:1], 0x500
	s_delay_alu instid0(VALU_DEP_2)
	v_cmp_gt_u64_e64 s2, s[24:25], v[0:1]
	s_wait_kmcnt 0x0
	s_mul_u64 s[10:11], s[10:11], s[28:29]
	s_and_saveexec_b32 s9, s2
	s_cbranch_execz .LBB124_5
; %bb.2:
	v_mad_co_u64_u32 v[2:3], null, s34, v0, 0
	s_load_b32 s3, s[6:7], 0xc
	s_lshl_b64 s[14:15], s[10:11], 2
	s_mov_b32 s13, 0
	s_add_nc_u64 s[14:15], s[4:5], s[14:15]
	v_dual_mov_b32 v7, v1 :: v_dual_mov_b32 v6, v0
	v_mad_co_u64_u32 v[3:4], null, s35, v0, v[3:4]
	s_delay_alu instid0(VALU_DEP_1) | instskip(SKIP_4) | instid1(VALU_DEP_3)
	v_lshlrev_b64_e32 v[4:5], 2, v[2:3]
	v_mov_b32_e32 v2, 0
	v_mov_b32_e32 v3, 0
	s_wait_kmcnt 0x0
	s_and_b32 s12, s3, 0xffff
	v_add_co_u32 v4, vcc_lo, s14, v4
	s_delay_alu instid0(VALU_DEP_1)
	v_add_co_ci_u32_e64 v5, null, s15, v5, vcc_lo
	s_mul_u64 s[14:15], s[34:35], s[12:13]
	s_wait_alu 0xfffe
	s_lshl_b64 s[14:15], s[14:15], 2
.LBB124_3:                              ; =>This Inner Loop Header: Depth=1
	global_load_b32 v8, v[4:5], off
	v_add_co_u32 v6, vcc_lo, v6, s12
	s_wait_alu 0xfffd
	v_add_co_ci_u32_e64 v7, null, 0, v7, vcc_lo
	s_wait_alu 0xfffe
	v_add_co_u32 v4, vcc_lo, v4, s14
	s_wait_alu 0xfffd
	v_add_co_ci_u32_e64 v5, null, s15, v5, vcc_lo
	s_wait_loadcnt 0x0
	v_cmp_u_f32_e32 vcc_lo, v8, v8
	s_wait_alu 0xfffd
	v_cndmask_b32_e64 v8, 0, 1, vcc_lo
	v_cmp_le_u64_e32 vcc_lo, s[24:25], v[6:7]
	s_delay_alu instid0(VALU_DEP_2)
	v_add_co_u32 v2, s3, v2, v8
	s_wait_alu 0xf1ff
	v_add_co_ci_u32_e64 v3, null, 0, v3, s3
	s_or_b32 s13, vcc_lo, s13
	s_wait_alu 0xfffe
	s_and_not1_b32 exec_lo, exec_lo, s13
	s_cbranch_execnz .LBB124_3
; %bb.4:
	s_or_b32 exec_lo, exec_lo, s13
.LBB124_5:
	s_delay_alu instid0(SALU_CYCLE_1)
	s_or_b32 exec_lo, exec_lo, s9
	s_clause 0x3
	s_load_b64 s[30:31], s[0:1], 0x270
	s_load_b64 s[26:27], s[0:1], 0x1a0
	;; [unrolled: 1-line block ×4, first 2 shown]
	v_cmp_eq_u32_e64 s3, 0, v0
	s_and_saveexec_b32 s9, s3
; %bb.6:
	v_mov_b32_e32 v4, 0
	s_delay_alu instid0(VALU_DEP_1)
	v_mov_b32_e32 v5, v4
	ds_store_b64 v4, v[4:5] offset:5136
; %bb.7:
	s_or_b32 exec_lo, exec_lo, s9
	s_mov_b64 s[12:13], 0
	s_mov_b32 s9, exec_lo
	s_wait_dscnt 0x0
	s_barrier_signal -1
	s_barrier_wait -1
	global_inv scope:SCOPE_SE
	v_cmpx_ne_u64_e32 0, v[2:3]
	s_cbranch_execz .LBB124_12
; %bb.8:
	s_mov_b32 s14, exec_lo
.LBB124_9:                              ; =>This Inner Loop Header: Depth=1
	s_wait_alu 0xfffe
	s_ctz_i32_b32 s15, s14
	s_wait_alu 0xfffe
	v_readlane_b32 s17, v3, s15
	v_readlane_b32 s16, v2, s15
	s_lshl_b32 s15, 1, s15
	s_wait_alu 0xfffe
	s_and_not1_b32 s14, s14, s15
	s_wait_alu 0xfffe
	s_cmp_lg_u32 s14, 0
	s_add_nc_u64 s[12:13], s[12:13], s[16:17]
	s_cbranch_scc1 .LBB124_9
; %bb.10:
	v_mbcnt_lo_u32_b32 v2, exec_lo, 0
	s_mov_b32 s14, exec_lo
	s_delay_alu instid0(VALU_DEP_1)
	v_cmpx_eq_u32_e32 0, v2
	s_wait_alu 0xfffe
	s_xor_b32 s14, exec_lo, s14
; %bb.11:
	v_mov_b32_e32 v2, s12
	v_dual_mov_b32 v4, 0 :: v_dual_mov_b32 v3, s13
	ds_add_u64 v4, v[2:3] offset:5136
.LBB124_12:
	s_or_b32 exec_lo, exec_lo, s9
	v_dual_mov_b32 v2, 0 :: v_dual_mov_b32 v27, s25
	s_wait_loadcnt_dscnt 0x0
	s_barrier_signal -1
	s_barrier_wait -1
	global_inv scope:SCOPE_SE
	ds_load_b64 v[2:3], v2 offset:5136
	s_load_b32 s0, s[0:1], 0x4f8
	v_mov_b32_e32 v26, s24
	s_wait_dscnt 0x0
	v_cmp_gt_i64_e32 vcc_lo, 1, v[2:3]
	s_wait_kmcnt 0x0
	s_bitcmp1_b32 s0, 0
	s_cselect_b32 s0, -1, 0
	s_delay_alu instid0(SALU_CYCLE_1) | instskip(NEXT) | instid1(SALU_CYCLE_1)
	s_or_b32 s0, s0, vcc_lo
	s_and_not1_b32 vcc_lo, exec_lo, s0
	s_wait_alu 0xfffe
	s_cbranch_vccnz .LBB124_14
; %bb.13:
	v_not_b32_e32 v2, v2
	v_not_b32_e32 v3, v3
	s_delay_alu instid0(VALU_DEP_2) | instskip(SKIP_1) | instid1(VALU_DEP_2)
	v_add_co_u32 v2, vcc_lo, s24, v2
	s_wait_alu 0xfffd
	v_add_co_ci_u32_e64 v3, null, s25, v3, vcc_lo
	s_delay_alu instid0(VALU_DEP_1) | instskip(NEXT) | instid1(VALU_DEP_1)
	v_lshrrev_b64 v[2:3], 1, v[2:3]
	v_add_co_u32 v26, vcc_lo, v2, 1
	s_wait_alu 0xfffd
	s_delay_alu instid0(VALU_DEP_2)
	v_add_co_ci_u32_e64 v27, null, 0, v3, vcc_lo
.LBB124_14:
	s_and_saveexec_b32 s0, s3
	s_cbranch_execz .LBB124_16
; %bb.15:
	v_dual_mov_b32 v2, 0 :: v_dual_mov_b32 v5, s25
	s_delay_alu instid0(VALU_DEP_1)
	v_dual_mov_b32 v4, s24 :: v_dual_mov_b32 v3, v2
	ds_store_b32 v2, v2 offset:5144
	ds_store_b128 v2, v[2:5] offset:5120
.LBB124_16:
	s_or_b32 exec_lo, exec_lo, s0
	v_mad_co_u64_u32 v[2:3], null, s34, v0, 0
	v_mbcnt_lo_u32_b32 v32, -1, 0
	v_dual_mov_b32 v15, 0 :: v_dual_lshlrev_b32 v12, 2, v0
	s_wait_loadcnt_dscnt 0x0
	s_barrier_signal -1
	s_barrier_wait -1
	s_delay_alu instid0(VALU_DEP_3)
	v_mad_co_u64_u32 v[3:4], null, s35, v0, v[3:4]
	v_lshlrev_b64_e64 v[4:5], v32, -1
	global_inv scope:SCOPE_SE
	s_load_b32 s9, s[6:7], 0xc
	v_mov_b32_e32 v13, v15
	s_lshl_b64 s[10:11], s[10:11], 2
	v_cmp_gt_u32_e32 vcc_lo, 32, v0
	v_not_b32_e32 v34, v4
	v_lshlrev_b32_e32 v4, 4, v0
	v_lshlrev_b64_e32 v[5:6], 2, v[2:3]
	s_add_nc_u64 s[46:47], s[4:5], s[10:11]
	v_cmp_gt_i32_e64 s4, 4, v32
	s_mov_b32 s45, 0
	v_or_b32_e32 v7, 12, v4
	v_or_b32_e32 v9, 8, v4
	;; [unrolled: 1-line block ×3, first 2 shown]
	s_and_b32 s72, vcc_lo, s4
	v_add_co_u32 v10, vcc_lo, s46, v5
	v_mad_co_u64_u32 v[16:17], null, s34, v7, 0
	v_mad_co_u64_u32 v[18:19], null, s34, v9, 0
	;; [unrolled: 1-line block ×3, first 2 shown]
	v_add_nc_u32_e32 v33, 0xc00, v12
	s_wait_kmcnt 0x0
	s_and_b32 s40, s9, 0xffff
	s_delay_alu instid0(VALU_DEP_4) | instskip(SKIP_1) | instid1(VALU_DEP_4)
	v_mov_b32_e32 v4, v17
	s_bfe_u32 s4, s9, 0xb0005
	v_mov_b32_e32 v5, v19
	s_cmp_gt_u32 s40, 31
	s_wait_alu 0xfffd
	v_add_co_ci_u32_e64 v11, null, s47, v6, vcc_lo
	s_cselect_b32 s73, -1, 0
	s_cmp_lt_u32 ttmp9, s8
	v_mov_b32_e32 v6, v21
	v_mad_co_u64_u32 v[7:8], null, s35, v7, v[4:5]
	s_cselect_b32 s44, 12, 18
	s_add_co_i32 s5, s4, -1
	s_bfe_u32 s74, s40, 0x30005
	s_and_b32 s5, s5, 0xffff
	v_mad_co_u64_u32 v[4:5], null, s35, v9, v[5:6]
	s_cmp_gt_u32 s5, 6
	v_mad_co_u64_u32 v[5:6], null, s35, v14, v[6:7]
	s_cselect_b32 s75, -1, 0
	s_and_b32 s76, s4, 0x7f8
	s_cmp_lg_u32 s74, 0
	s_movk_i32 s5, 0x3e0
	s_cselect_b32 s77, -1, 0
	s_lshl_b64 s[52:53], s[34:35], 2
	s_lshl_b64 s[54:55], s[34:35], 4
	v_mul_lo_u32 v40, 0, s52
	v_mul_lo_u32 v41, 0, s54
	v_cmp_lt_u64_e64 s33, 0x300, s[24:25]
	s_mov_b32 s41, s45
	v_lshlrev_b64_e32 v[21:22], 4, v[2:3]
	v_cmp_gt_u32_e64 s0, 2, v0
	v_cmp_eq_u32_e64 s1, 0, v32
	v_and_or_b32 v17, v0, s5, 0xc00
	v_dual_mov_b32 v35, v7 :: v_dual_mov_b32 v36, v4
	v_dual_mov_b32 v37, v5 :: v_dual_lshlrev_b32 v38, 4, v0
	v_lshl_or_b32 v39, v32, 3, 0xc00
	v_dual_mov_b32 v23, 1.0 :: v_dual_mov_b32 v42, 0
	v_mov_b32_e32 v25, 0
	v_mov_b32_e32 v19, 0
	s_add_nc_u64 s[48:49], s[40:41], -1
	s_mul_u64 s[4:5], s[34:35], s[40:41]
	s_add_nc_u64 s[50:51], s[48:49], s[24:25]
	s_lshl_b32 s78, s40, 2
	s_wait_alu 0xfffe
	s_lshl_b64 s[42:43], s[4:5], 2
	s_mov_b32 s79, 30
	s_add_nc_u64 s[56:57], s[6:7], s[44:45]
	s_mov_b32 s81, 0x4f800000
	s_mov_b32 s80, 0
	;; [unrolled: 1-line block ×3, first 2 shown]
                                        ; implicit-def: $sgpr86
                                        ; implicit-def: $sgpr88
                                        ; implicit-def: $sgpr83
                                        ; implicit-def: $sgpr85
                                        ; implicit-def: $sgpr87
                                        ; implicit-def: $sgpr84
	s_branch .LBB124_20
.LBB124_17:                             ;   in Loop: Header=BB124_20 Depth=1
	s_wait_alu 0xfffe
	s_or_b32 exec_lo, exec_lo, s7
	s_delay_alu instid0(SALU_CYCLE_1)
	s_and_b32 s5, s5, exec_lo
	s_and_not1_b32 s20, s20, exec_lo
	s_and_not1_b32 s19, s19, exec_lo
	s_or_not1_b32 s16, s6, exec_lo
.LBB124_18:                             ;   in Loop: Header=BB124_20 Depth=1
	s_wait_alu 0xfffe
	s_or_b32 exec_lo, exec_lo, s4
	s_delay_alu instid0(SALU_CYCLE_1)
	s_and_not1_b32 s4, s84, exec_lo
	s_and_b32 s5, s5, exec_lo
	s_and_not1_b32 s6, s85, exec_lo
	s_wait_alu 0xfffe
	s_or_b32 s84, s4, s5
	s_and_not1_b32 s4, s87, exec_lo
	s_and_b32 s5, s20, exec_lo
	s_and_b32 s7, s19, exec_lo
	s_wait_alu 0xfffe
	s_or_b32 s87, s4, s5
	s_or_b32 s85, s6, s7
	s_or_not1_b32 s16, s16, exec_lo
.LBB124_19:                             ;   in Loop: Header=BB124_20 Depth=1
	s_wait_alu 0xfffe
	s_or_b32 exec_lo, exec_lo, s15
	s_delay_alu instid0(SALU_CYCLE_1)
	s_and_b32 s4, exec_lo, s16
	v_dual_mov_b32 v27, v7 :: v_dual_mov_b32 v26, v6
	s_wait_alu 0xfffe
	s_or_b32 s80, s4, s80
	s_and_not1_b32 s4, s83, exec_lo
	s_and_b32 s5, s84, exec_lo
	s_and_not1_b32 s6, s88, exec_lo
	s_wait_alu 0xfffe
	s_or_b32 s83, s4, s5
	s_and_b32 s4, s87, exec_lo
	s_and_not1_b32 s5, s86, exec_lo
	s_and_b32 s7, s85, exec_lo
	s_wait_alu 0xfffe
	s_or_b32 s88, s6, s4
	s_or_b32 s86, s5, s7
	s_and_not1_b32 exec_lo, exec_lo, s80
	s_cbranch_execz .LBB124_285
.LBB124_20:                             ; =>This Loop Header: Depth=1
                                        ;     Child Loop BB124_26 Depth 2
                                        ;     Child Loop BB124_39 Depth 2
	;; [unrolled: 1-line block ×16, first 2 shown]
	ds_load_b128 v[2:5], v15 offset:5120
	s_wait_dscnt 0x0
	v_readfirstlane_b32 s59, v3
	v_readfirstlane_b32 s58, v2
	s_cmp_lg_u64 s[58:59], 0
	s_cbranch_scc1 .LBB124_47
; %bb.21:                               ;   in Loop: Header=BB124_20 Depth=1
	s_and_b32 vcc_lo, exec_lo, s33
	s_wait_alu 0xfffe
	s_cbranch_vccz .LBB124_34
; %bb.22:                               ;   in Loop: Header=BB124_20 Depth=1
	v_cmp_gt_u64_e32 vcc_lo, 0x301, v[4:5]
	s_mov_b32 s6, 0
	s_mov_b32 s4, 0
	s_cbranch_vccz .LBB124_35
; %bb.23:                               ;   in Loop: Header=BB124_20 Depth=1
	s_and_saveexec_b32 s7, s2
	s_cbranch_execz .LBB124_147
; %bb.24:                               ;   in Loop: Header=BB124_20 Depth=1
	global_load_u16 v2, v15, s[56:57]
	global_load_b32 v7, v[10:11], off
	s_mov_b32 s8, 0
	s_wait_loadcnt 0x1
	v_and_b32_e32 v6, 0xffff, v2
	s_delay_alu instid0(VALU_DEP_1) | instskip(SKIP_2) | instid1(VALU_DEP_3)
	v_add_nc_u32_e32 v4, v0, v6
	v_mul_lo_u32 v5, v6, s53
	v_mul_hi_u32 v9, v6, s52
	v_mad_co_u64_u32 v[2:3], null, s52, v4, s[46:47]
	s_delay_alu instid0(VALU_DEP_1) | instskip(NEXT) | instid1(VALU_DEP_4)
	v_mad_co_u64_u32 v[3:4], null, s53, v4, v[3:4]
	v_add_nc_u32_e32 v4, v5, v40
	s_delay_alu instid0(VALU_DEP_1)
	v_add_nc_u32_e32 v9, v4, v9
	v_mov_b32_e32 v5, v1
	v_mul_lo_u32 v8, v6, s52
	v_mov_b32_e32 v4, v0
	s_branch .LBB124_26
.LBB124_25:                             ;   in Loop: Header=BB124_26 Depth=2
	s_wait_alu 0xfffe
	s_or_b32 exec_lo, exec_lo, s5
	v_add_co_u32 v2, vcc_lo, v2, v8
	s_wait_alu 0xfffd
	v_add_co_ci_u32_e64 v3, null, v3, v9, vcc_lo
	v_mov_b32_e32 v7, v14
	s_and_not1_b32 exec_lo, exec_lo, s8
	s_cbranch_execz .LBB124_147
.LBB124_26:                             ;   Parent Loop BB124_20 Depth=1
                                        ; =>  This Inner Loop Header: Depth=2
	s_delay_alu instid0(VALU_DEP_1)
	v_add_co_u32 v4, vcc_lo, v4, v6
	s_wait_alu 0xfffd
	v_add_co_ci_u32_e64 v5, null, 0, v5, vcc_lo
	s_wait_dscnt 0x0
	v_mov_b32_e32 v24, 0
	v_mov_b32_e32 v14, 0
	s_mov_b32 s5, exec_lo
	v_cmp_le_u64_e32 vcc_lo, s[24:25], v[4:5]
	v_cmpx_gt_u64_e64 s[24:25], v[4:5]
	s_cbranch_execz .LBB124_28
; %bb.27:                               ;   in Loop: Header=BB124_26 Depth=2
	global_load_b32 v14, v[2:3], off
.LBB124_28:                             ;   in Loop: Header=BB124_26 Depth=2
	s_wait_alu 0xfffe
	s_or_b32 exec_lo, exec_lo, s5
	s_wait_loadcnt 0x0
	v_cmp_lt_i32_e64 s4, -1, v7
	s_wait_alu 0xf1ff
	s_delay_alu instid0(VALU_DEP_1) | instskip(SKIP_1) | instid1(VALU_DEP_2)
	v_cndmask_b32_e64 v28, -1, 0x80000000, s4
	v_cmp_o_f32_e64 s4, v7, v7
	v_xor_b32_e32 v28, v28, v7
	s_wait_alu 0xf1ff
	s_delay_alu instid0(VALU_DEP_1) | instskip(NEXT) | instid1(VALU_DEP_1)
	v_cndmask_b32_e64 v28, -1, v28, s4
	v_and_b32_e32 v28, v28, v42
	s_delay_alu instid0(VALU_DEP_1)
	v_cmp_eq_u32_e64 s4, v28, v19
	s_cmp_lg_u32 s4, 0
	s_cselect_b32 s5, -1, 0
	s_wait_alu 0xfffe
	s_and_b32 s5, s1, s5
	s_wait_alu 0xfffe
	s_and_saveexec_b32 s9, s5
	s_cbranch_execz .LBB124_32
; %bb.29:                               ;   in Loop: Header=BB124_26 Depth=2
	s_mov_b32 s12, exec_lo
	s_bcnt1_i32_b32 s10, s4
	s_wait_alu 0xfffe
	v_mbcnt_lo_u32_b32 v24, s12, 0
	s_mov_b32 s11, exec_lo
                                        ; implicit-def: $vgpr28
	s_delay_alu instid0(VALU_DEP_1)
	v_cmpx_eq_u32_e32 0, v24
; %bb.30:                               ;   in Loop: Header=BB124_26 Depth=2
	s_bcnt1_i32_b32 s5, s12
	s_wait_alu 0xfffe
	s_mul_i32 s5, s10, s5
	s_wait_alu 0xfffe
	v_mov_b32_e32 v28, s5
	ds_add_rtn_u32 v28, v15, v28 offset:5144
; %bb.31:                               ;   in Loop: Header=BB124_26 Depth=2
	s_or_b32 exec_lo, exec_lo, s11
	s_wait_dscnt 0x0
	v_readfirstlane_b32 s5, v28
	s_wait_alu 0xf1ff
	s_delay_alu instid0(VALU_DEP_1)
	v_mad_u32_u24 v24, s10, v24, s5
.LBB124_32:                             ;   in Loop: Header=BB124_26 Depth=2
	s_wait_alu 0xfffe
	s_or_b32 exec_lo, exec_lo, s9
	ds_bpermute_b32 v24, v15, v24
	s_and_b32 s5, exec_lo, vcc_lo
	s_wait_alu 0xfffe
	s_or_b32 s8, s5, s8
	s_and_saveexec_b32 s5, s4
	s_cbranch_execz .LBB124_25
; %bb.33:                               ;   in Loop: Header=BB124_26 Depth=2
	v_and_b32_e32 v28, s4, v34
	s_delay_alu instid0(VALU_DEP_1) | instskip(NEXT) | instid1(VALU_DEP_1)
	v_bcnt_u32_b32 v28, v28, 0
	v_lshlrev_b32_e32 v28, 2, v28
	s_wait_dscnt 0x0
	s_delay_alu instid0(VALU_DEP_1)
	v_lshl_add_u32 v24, v24, 2, v28
	ds_store_b32 v24, v7
	s_branch .LBB124_25
.LBB124_34:                             ;   in Loop: Header=BB124_20 Depth=1
	s_mov_b32 s6, -1
	s_mov_b32 s4, 0
.LBB124_35:                             ;   in Loop: Header=BB124_20 Depth=1
	s_wait_alu 0xfffe
	s_and_b32 vcc_lo, exec_lo, s6
	s_wait_alu 0xfffe
	s_cbranch_vccz .LBB124_45
.LBB124_36:                             ;   in Loop: Header=BB124_20 Depth=1
	s_and_saveexec_b32 s5, s2
	s_cbranch_execz .LBB124_42
; %bb.37:                               ;   in Loop: Header=BB124_20 Depth=1
	global_load_u16 v2, v15, s[56:57]
	global_load_b32 v8, v[10:11], off
	s_mov_b32 s6, exec_lo
	s_wait_loadcnt 0x1
	v_dual_mov_b32 v2, v0 :: v_dual_and_b32 v9, 0xffff, v2
	s_delay_alu instid0(VALU_DEP_1) | instskip(NEXT) | instid1(VALU_DEP_1)
	v_add_nc_u32_e32 v14, v9, v0
	v_cmpx_gt_u64_e64 s[24:25], v[14:15]
	s_cbranch_execz .LBB124_41
; %bb.38:                               ;   in Loop: Header=BB124_20 Depth=1
	v_mul_lo_u32 v5, v9, s53
	v_mad_co_u64_u32 v[2:3], null, s52, v14, s[46:47]
	v_mul_hi_u32 v6, v9, s52
	v_mul_lo_u32 v24, v9, s52
	s_mov_b32 s7, 0
	s_delay_alu instid0(VALU_DEP_4) | instskip(NEXT) | instid1(VALU_DEP_4)
	v_add_nc_u32_e32 v7, v5, v40
	v_mad_co_u64_u32 v[3:4], null, s53, v14, v[3:4]
	v_dual_mov_b32 v4, v14 :: v_dual_mov_b32 v5, v15
	s_delay_alu instid0(VALU_DEP_3)
	v_dual_mov_b32 v7, v1 :: v_dual_add_nc_u32 v14, v7, v6
	v_mov_b32_e32 v6, v0
.LBB124_39:                             ;   Parent Loop BB124_20 Depth=1
                                        ; =>  This Inner Loop Header: Depth=2
	global_load_b32 v28, v[2:3], off
	v_dual_mov_b32 v30, v5 :: v_dual_mov_b32 v29, v4
	v_lshlrev_b32_e32 v6, 2, v6
	s_delay_alu instid0(VALU_DEP_2) | instskip(SKIP_1) | instid1(VALU_DEP_3)
	v_add_co_u32 v4, vcc_lo, v29, v9
	s_wait_alu 0xfffd
	v_add_co_ci_u32_e64 v5, null, 0, v30, vcc_lo
	v_add_co_u32 v2, vcc_lo, v2, v24
	s_wait_alu 0xfffd
	v_add_co_ci_u32_e64 v3, null, v3, v14, vcc_lo
	s_delay_alu instid0(VALU_DEP_3)
	v_cmp_le_u64_e64 s4, s[24:25], v[4:5]
	s_wait_loadcnt 0x1
	ds_store_b32 v6, v8
	v_dual_mov_b32 v6, v29 :: v_dual_mov_b32 v7, v30
	s_wait_alu 0xfffe
	s_or_b32 s7, s4, s7
	s_wait_loadcnt 0x0
	v_mov_b32_e32 v8, v28
	s_wait_alu 0xfffe
	s_and_not1_b32 exec_lo, exec_lo, s7
	s_cbranch_execnz .LBB124_39
; %bb.40:                               ;   in Loop: Header=BB124_20 Depth=1
	s_or_b32 exec_lo, exec_lo, s7
	v_sub_nc_u32_e32 v2, v4, v9
	v_mov_b32_e32 v8, v28
.LBB124_41:                             ;   in Loop: Header=BB124_20 Depth=1
	s_wait_alu 0xfffe
	s_or_b32 exec_lo, exec_lo, s6
	s_delay_alu instid0(VALU_DEP_2)
	v_lshlrev_b32_e32 v2, 2, v2
	s_wait_loadcnt 0x0
	ds_store_b32 v2, v8
.LBB124_42:                             ;   in Loop: Header=BB124_20 Depth=1
	s_wait_alu 0xfffe
	s_or_b32 exec_lo, exec_lo, s5
	s_wait_loadcnt_dscnt 0x0
	s_barrier_signal -1
	s_barrier_wait -1
	global_inv scope:SCOPE_SE
	s_and_saveexec_b32 s4, s3
; %bb.43:                               ;   in Loop: Header=BB124_20 Depth=1
	v_dual_mov_b32 v2, s24 :: v_dual_mov_b32 v3, s25
	ds_store_b64 v15, v[2:3] offset:5120
; %bb.44:                               ;   in Loop: Header=BB124_20 Depth=1
	s_wait_alu 0xfffe
	s_or_b32 exec_lo, exec_lo, s4
	s_mov_b32 s4, -1
	s_wait_loadcnt_dscnt 0x0
	s_barrier_signal -1
	s_barrier_wait -1
.LBB124_45:                             ;   in Loop: Header=BB124_20 Depth=1
	s_wait_alu 0xfffe
	s_and_b32 vcc_lo, exec_lo, s4
	s_mov_b64 s[58:59], 0
	s_wait_alu 0xfffe
	s_cbranch_vccz .LBB124_47
; %bb.46:                               ;   in Loop: Header=BB124_20 Depth=1
	s_wait_loadcnt 0x0
	global_inv scope:SCOPE_SE
	ds_load_b64 v[2:3], v15 offset:5120
	s_wait_dscnt 0x0
	v_readfirstlane_b32 s58, v2
.LBB124_47:                             ;   in Loop: Header=BB124_20 Depth=1
	s_delay_alu instid0(VALU_DEP_1)
	s_cmp_lt_i32 s58, 1
	s_mov_b32 s4, -1
                                        ; implicit-def: $vgpr2_vgpr3
                                        ; implicit-def: $vgpr6_vgpr7
	s_cbranch_scc1 .LBB124_57
; %bb.48:                               ;   in Loop: Header=BB124_20 Depth=1
	s_wait_alu 0xfffe
	s_and_b32 vcc_lo, exec_lo, s4
	s_wait_alu 0xfffe
	s_cbranch_vccnz .LBB124_71
.LBB124_49:                             ;   in Loop: Header=BB124_20 Depth=1
	s_lshl_b32 s4, s82, 7
	s_and_saveexec_b32 s5, s1
	s_cbranch_execz .LBB124_51
.LBB124_50:                             ;   in Loop: Header=BB124_20 Depth=1
	s_wait_alu 0xfffe
	v_lshl_add_u32 v14, s4, 3, v17
	ds_store_b128 v14, v[2:5]
	ds_store_b128 v14, v[6:9] offset:16
.LBB124_51:                             ;   in Loop: Header=BB124_20 Depth=1
	s_wait_alu 0xfffe
	s_or_b32 exec_lo, exec_lo, s5
	s_wait_loadcnt_dscnt 0x0
	s_barrier_signal -1
	s_barrier_wait -1
	global_inv scope:SCOPE_SE
	s_and_saveexec_b32 s5, s72
	s_cbranch_execz .LBB124_85
; %bb.52:                               ;   in Loop: Header=BB124_20 Depth=1
	v_mov_b32_e32 v2, 0
	v_mov_b32_e32 v3, 0
	s_and_not1_b32 vcc_lo, exec_lo, s73
	s_wait_alu 0xfffe
	s_cbranch_vccnz .LBB124_84
; %bb.53:                               ;   in Loop: Header=BB124_20 Depth=1
	v_mov_b32_e32 v2, 0
	v_mov_b32_e32 v3, 0
	s_and_not1_b32 vcc_lo, exec_lo, s75
	s_wait_alu 0xfffe
	s_cbranch_vccnz .LBB124_81
; %bb.54:                               ;   in Loop: Header=BB124_20 Depth=1
	v_lshl_add_u32 v4, s82, 10, v39
	s_mov_b32 s6, 0
.LBB124_55:                             ;   Parent Loop BB124_20 Depth=1
                                        ; =>  This Inner Loop Header: Depth=2
	ds_load_2addr_b64 v[5:8], v4 offset1:4
	ds_load_2addr_b64 v[28:31], v4 offset0:8 offset1:12
	ds_load_2addr_b64 v[43:46], v4 offset0:16 offset1:20
	s_wait_alu 0xfffe
	s_add_co_i32 s6, s6, 8
	s_wait_alu 0xfffe
	s_cmp_eq_u32 s76, s6
	s_wait_dscnt 0x2
	v_add_co_u32 v2, vcc_lo, v5, v2
	s_wait_alu 0xfffd
	v_add_co_ci_u32_e64 v3, null, v6, v3, vcc_lo
	s_delay_alu instid0(VALU_DEP_2) | instskip(SKIP_1) | instid1(VALU_DEP_2)
	v_add_co_u32 v2, vcc_lo, v7, v2
	s_wait_alu 0xfffd
	v_add_co_ci_u32_e64 v3, null, v8, v3, vcc_lo
	ds_load_2addr_b64 v[5:8], v4 offset0:24 offset1:28
	s_wait_dscnt 0x2
	v_add_co_u32 v2, vcc_lo, v28, v2
	s_wait_alu 0xfffd
	v_add_co_ci_u32_e64 v3, null, v29, v3, vcc_lo
	v_add_nc_u32_e32 v4, 0x100, v4
	s_delay_alu instid0(VALU_DEP_3) | instskip(SKIP_1) | instid1(VALU_DEP_3)
	v_add_co_u32 v2, vcc_lo, v30, v2
	s_wait_alu 0xfffd
	v_add_co_ci_u32_e64 v3, null, v31, v3, vcc_lo
	s_wait_dscnt 0x1
	s_delay_alu instid0(VALU_DEP_2) | instskip(SKIP_1) | instid1(VALU_DEP_2)
	v_add_co_u32 v2, vcc_lo, v43, v2
	s_wait_alu 0xfffd
	v_add_co_ci_u32_e64 v3, null, v44, v3, vcc_lo
	s_delay_alu instid0(VALU_DEP_2) | instskip(SKIP_1) | instid1(VALU_DEP_2)
	v_add_co_u32 v2, vcc_lo, v45, v2
	s_wait_alu 0xfffd
	v_add_co_ci_u32_e64 v3, null, v46, v3, vcc_lo
	s_wait_dscnt 0x0
	s_delay_alu instid0(VALU_DEP_2) | instskip(SKIP_1) | instid1(VALU_DEP_2)
	v_add_co_u32 v2, vcc_lo, v5, v2
	s_wait_alu 0xfffd
	v_add_co_ci_u32_e64 v3, null, v6, v3, vcc_lo
	s_delay_alu instid0(VALU_DEP_2) | instskip(SKIP_1) | instid1(VALU_DEP_2)
	v_add_co_u32 v2, vcc_lo, v7, v2
	s_wait_alu 0xfffd
	v_add_co_ci_u32_e64 v3, null, v8, v3, vcc_lo
	s_cbranch_scc0 .LBB124_55
; %bb.56:                               ;   in Loop: Header=BB124_20 Depth=1
	s_mov_b32 s6, s76
	s_and_not1_b32 vcc_lo, exec_lo, s77
	s_wait_alu 0xfffe
	s_cbranch_vccz .LBB124_82
	s_branch .LBB124_84
.LBB124_57:                             ;   in Loop: Header=BB124_20 Depth=1
	global_load_u16 v14, v15, s[56:57]
	s_mov_b32 s5, s25
	s_wait_loadcnt 0x0
	v_readfirstlane_b32 s4, v14
	s_wait_alu 0xfffe
	s_and_b32 s6, 0xffff, s4
	s_mov_b32 s4, s45
	s_wait_alu 0xfffe
	s_lshl_b32 s60, s6, 2
	s_cmp_lg_u64 s[4:5], 0
	s_cbranch_scc0 .LBB124_80
; %bb.58:                               ;   in Loop: Header=BB124_20 Depth=1
	s_wait_alu 0xfffe
	s_cvt_f32_u32 s4, s60
	s_mov_b32 s61, s45
	s_wait_alu 0xfffe
	s_sub_nc_u64 s[6:7], 0, s[60:61]
	s_fmamk_f32 s4, s81, 0x0, s4
	s_wait_alu 0xfffe
	s_delay_alu instid0(SALU_CYCLE_2) | instskip(NEXT) | instid1(TRANS32_DEP_1)
	v_s_rcp_f32 s4, s4
	s_mul_f32 s4, s4, 0x5f7ffffc
	s_wait_alu 0xfffe
	s_delay_alu instid0(SALU_CYCLE_2) | instskip(SKIP_1) | instid1(SALU_CYCLE_2)
	s_mul_f32 s5, s4, 0x2f800000
	s_wait_alu 0xfffe
	s_trunc_f32 s5, s5
	s_wait_alu 0xfffe
	s_delay_alu instid0(SALU_CYCLE_2) | instskip(SKIP_2) | instid1(SALU_CYCLE_1)
	s_fmamk_f32 s4, s5, 0xcf800000, s4
	s_cvt_u32_f32 s5, s5
	s_wait_alu 0xfffe
	s_cvt_u32_f32 s4, s4
	s_wait_alu 0xfffe
	s_delay_alu instid0(SALU_CYCLE_2)
	s_mul_u64 s[8:9], s[6:7], s[4:5]
	s_wait_alu 0xfffe
	s_mul_hi_u32 s11, s4, s9
	s_mul_i32 s10, s4, s9
	s_mul_hi_u32 s44, s4, s8
	s_mul_i32 s13, s5, s8
	s_wait_alu 0xfffe
	s_add_nc_u64 s[10:11], s[44:45], s[10:11]
	s_mul_hi_u32 s12, s5, s8
	s_mul_hi_u32 s14, s5, s9
	s_mul_i32 s8, s5, s9
	s_wait_alu 0xfffe
	s_add_co_u32 s9, s10, s13
	s_add_co_ci_u32 s44, s11, s12
	s_add_co_ci_u32 s9, s14, 0
	s_wait_alu 0xfffe
	s_add_nc_u64 s[8:9], s[44:45], s[8:9]
	s_wait_alu 0xfffe
	s_add_co_u32 s4, s4, s8
	s_cselect_b32 s8, -1, 0
	s_wait_alu 0xfffe
	s_cmp_lg_u32 s8, 0
	s_add_co_ci_u32 s5, s5, s9
	s_wait_alu 0xfffe
	s_mul_u64 s[6:7], s[6:7], s[4:5]
	s_wait_alu 0xfffe
	s_mul_hi_u32 s9, s4, s7
	s_mul_i32 s8, s4, s7
	s_mul_hi_u32 s44, s4, s6
	s_mul_i32 s11, s5, s6
	s_wait_alu 0xfffe
	s_add_nc_u64 s[8:9], s[44:45], s[8:9]
	s_mul_hi_u32 s10, s5, s6
	s_mul_hi_u32 s12, s5, s7
	s_mul_i32 s6, s5, s7
	s_wait_alu 0xfffe
	s_add_co_u32 s7, s8, s11
	s_add_co_ci_u32 s44, s9, s10
	s_add_co_ci_u32 s7, s12, 0
	s_wait_alu 0xfffe
	s_add_nc_u64 s[6:7], s[44:45], s[6:7]
	s_wait_alu 0xfffe
	s_add_co_u32 s4, s4, s6
	s_cselect_b32 s6, -1, 0
	s_wait_alu 0xfffe
	s_mul_hi_u32 s44, s24, s4
	s_cmp_lg_u32 s6, 0
	s_mul_hi_u32 s8, s25, s4
	s_add_co_ci_u32 s6, s5, s7
	s_mul_i32 s7, s25, s4
	s_wait_alu 0xfffe
	s_mul_hi_u32 s5, s24, s6
	s_mul_i32 s4, s24, s6
	s_mul_hi_u32 s9, s25, s6
	s_wait_alu 0xfffe
	s_add_nc_u64 s[4:5], s[44:45], s[4:5]
	s_mul_i32 s6, s25, s6
	s_wait_alu 0xfffe
	s_add_co_u32 s4, s4, s7
	s_add_co_ci_u32 s44, s5, s8
	s_add_co_ci_u32 s7, s9, 0
	s_wait_alu 0xfffe
	s_add_nc_u64 s[4:5], s[44:45], s[6:7]
	s_wait_alu 0xfffe
	s_mul_u64 s[4:5], s[60:61], s[4:5]
	s_wait_alu 0xfffe
	s_sub_co_u32 s4, s24, s4
	s_cselect_b32 s6, -1, 0
	s_wait_alu 0xfffe
	s_cmp_lg_u32 s6, 0
	s_sub_co_ci_u32 s5, s25, s5
	s_sub_co_u32 s6, s4, s60
	s_cselect_b32 s7, -1, 0
	s_wait_alu 0xfffe
	s_cmp_lg_u32 s7, 0
	s_sub_co_ci_u32 s7, s5, 0
	;; [unrolled: 5-line block ×3, first 2 shown]
	s_cmp_ge_u32 s6, s60
	s_cselect_b32 s10, -1, 0
	s_cmp_eq_u32 s7, 0
	s_wait_alu 0xfffe
	s_cselect_b32 s10, s10, -1
	s_wait_alu 0xfffe
	s_cmp_lg_u32 s10, 0
	s_cselect_b32 s7, s9, s7
	s_cselect_b32 s6, s8, s6
	s_cmp_ge_u32 s4, s60
	s_cselect_b32 s8, -1, 0
	s_cmp_eq_u32 s5, 0
	s_wait_alu 0xfffe
	s_cselect_b32 s8, s8, -1
	s_wait_alu 0xfffe
	s_cmp_lg_u32 s8, 0
	s_cselect_b32 s5, s7, s5
	s_cselect_b32 s4, s6, s4
	s_cbranch_execnz .LBB124_60
.LBB124_59:                             ;   in Loop: Header=BB124_20 Depth=1
	s_wait_alu 0xfffe
	v_cvt_f32_u32_e32 v2, s60
	s_sub_co_i32 s5, 0, s60
	s_delay_alu instid0(VALU_DEP_1) | instskip(NEXT) | instid1(TRANS32_DEP_1)
	v_rcp_iflag_f32_e32 v2, v2
	v_mul_f32_e32 v2, 0x4f7ffffe, v2
	s_delay_alu instid0(VALU_DEP_1) | instskip(NEXT) | instid1(VALU_DEP_1)
	v_cvt_u32_f32_e32 v2, v2
	v_readfirstlane_b32 s4, v2
	s_wait_alu 0xfffe
	s_mul_i32 s5, s5, s4
	s_wait_alu 0xfffe
	s_mul_hi_u32 s5, s4, s5
	s_wait_alu 0xfffe
	s_add_co_i32 s4, s4, s5
	s_wait_alu 0xfffe
	s_mul_hi_u32 s4, s24, s4
	s_wait_alu 0xfffe
	s_mul_i32 s4, s4, s60
	s_wait_alu 0xfffe
	s_sub_co_i32 s4, s24, s4
	s_wait_alu 0xfffe
	s_sub_co_i32 s5, s4, s60
	s_cmp_ge_u32 s4, s60
	s_wait_alu 0xfffe
	s_cselect_b32 s4, s5, s4
	s_wait_alu 0xfffe
	s_sub_co_i32 s5, s4, s60
	s_cmp_ge_u32 s4, s60
	s_wait_alu 0xfffe
	s_cselect_b32 s44, s5, s4
	s_wait_alu 0xfffe
	s_mov_b64 s[4:5], s[44:45]
.LBB124_60:                             ;   in Loop: Header=BB124_20 Depth=1
	v_mov_b32_e32 v2, 0
	v_dual_mov_b32 v6, 0 :: v_dual_mov_b32 v3, 0
	v_dual_mov_b32 v4, 0 :: v_dual_mov_b32 v7, 0
	;; [unrolled: 1-line block ×3, first 2 shown]
	v_dual_mov_b32 v9, 0 :: v_dual_and_b32 v14, 0xffff, v14
	s_wait_alu 0xfffe
	s_sub_nc_u64 s[62:63], s[24:25], s[4:5]
	s_mov_b32 s59, exec_lo
	s_wait_alu 0xfffe
	v_cmpx_gt_u64_e64 s[62:63], v[12:13]
	s_cbranch_execz .LBB124_64
; %bb.61:                               ;   in Loop: Header=BB124_20 Depth=1
	v_mul_lo_u32 v2, v14, s55
	v_mul_hi_u32 v3, v14, s54
	v_mul_lo_u32 v24, v14, s54
	v_dual_mov_b32 v31, v13 :: v_dual_mov_b32 v30, v12
	s_mov_b64 s[64:65], 0
	s_mov_b32 s61, 0
	s_mov_b64 s[66:67], 0
	s_delay_alu instid0(VALU_DEP_4) | instskip(SKIP_3) | instid1(VALU_DEP_2)
	v_add_nc_u32_e32 v2, v2, v41
	v_dual_mov_b32 v28, s46 :: v_dual_mov_b32 v29, s47
	s_mov_b64 s[68:69], 0
	s_mov_b64 s[70:71], 0
	v_add_nc_u32_e32 v43, v2, v3
.LBB124_62:                             ;   Parent Loop BB124_20 Depth=1
                                        ; =>  This Inner Loop Header: Depth=2
	s_delay_alu instid0(VALU_DEP_2)
	v_add_co_u32 v2, vcc_lo, v28, v21
	s_wait_alu 0xfffd
	v_add_co_ci_u32_e64 v3, null, v29, v22, vcc_lo
	v_add_co_u32 v4, vcc_lo, v28, v20
	s_wait_alu 0xfffd
	v_add_co_ci_u32_e64 v5, null, v29, v37, vcc_lo
	;; [unrolled: 3-line block ×4, first 2 shown]
	s_clause 0x3
	global_load_b32 v2, v[2:3], off
	global_load_b32 v3, v[4:5], off
	;; [unrolled: 1-line block ×4, first 2 shown]
	v_add_co_u32 v30, vcc_lo, v30, s60
	s_wait_alu 0xfffd
	v_add_co_ci_u32_e64 v31, null, 0, v31, vcc_lo
	v_add_co_u32 v28, vcc_lo, v28, v24
	s_wait_alu 0xfffd
	v_add_co_ci_u32_e64 v29, null, v29, v43, vcc_lo
	s_delay_alu instid0(VALU_DEP_3)
	v_cmp_le_u64_e32 vcc_lo, s[62:63], v[30:31]
	s_wait_loadcnt 0x3
	v_cmp_lt_i32_e64 s4, -1, v2
	v_cmp_o_f32_e64 s7, v2, v2
	s_wait_loadcnt 0x1
	v_cmp_o_f32_e64 s5, v4, v4
	s_wait_loadcnt 0x0
	v_cmp_o_f32_e64 s6, v5, v5
	s_wait_alu 0xf1ff
	v_cndmask_b32_e64 v6, -1, 0x80000000, s4
	v_cmp_lt_i32_e64 s4, -1, v3
	s_delay_alu instid0(VALU_DEP_2) | instskip(SKIP_1) | instid1(VALU_DEP_2)
	v_xor_b32_e32 v6, v6, v2
	s_wait_alu 0xf1ff
	v_cndmask_b32_e64 v7, -1, 0x80000000, s4
	v_cmp_lt_i32_e64 s4, -1, v4
	s_delay_alu instid0(VALU_DEP_3) | instskip(NEXT) | instid1(VALU_DEP_3)
	v_cndmask_b32_e64 v2, -1, v6, s7
	v_xor_b32_e32 v7, v7, v3
	s_wait_alu 0xf1ff
	s_delay_alu instid0(VALU_DEP_3) | instskip(SKIP_4) | instid1(VALU_DEP_3)
	v_cndmask_b32_e64 v8, -1, 0x80000000, s4
	v_cmp_lt_i32_e64 s4, -1, v5
	v_and_b32_e32 v6, v2, v42
	v_bfe_u32 v2, v2, s79, 2
	s_wait_alu 0xf1ff
	v_cndmask_b32_e64 v9, -1, 0x80000000, s4
	v_cmp_o_f32_e64 s4, v3, v3
	v_xor_b32_e32 v3, v8, v4
	v_cmp_eq_u32_e64 s8, 0, v2
	v_cmp_eq_u32_e64 s12, 1, v2
	v_xor_b32_e32 v4, v9, v5
	s_wait_alu 0xf1ff
	v_cndmask_b32_e64 v5, -1, v7, s4
	v_cndmask_b32_e64 v3, -1, v3, s5
	v_cmp_eq_u32_e64 s4, v6, v19
	v_cmp_eq_u32_e64 s16, 2, v2
	v_cndmask_b32_e64 v4, -1, v4, s6
	v_and_b32_e32 v7, v5, v42
	v_bfe_u32 v5, v5, s79, 2
	v_and_b32_e32 v8, v3, v42
	v_bfe_u32 v3, v3, s79, 2
	;; [unrolled: 2-line block ×3, first 2 shown]
	v_cmp_eq_u32_e64 s5, v7, v19
	v_cmp_eq_u32_e64 s9, 0, v5
	;; [unrolled: 1-line block ×4, first 2 shown]
	s_and_b32 s8, s4, s8
	v_cmp_eq_u32_e64 s7, v9, v19
	v_cmp_eq_u32_e64 s11, 0, v4
	;; [unrolled: 1-line block ×3, first 2 shown]
	s_wait_alu 0xfffe
	v_cndmask_b32_e64 v2, 0, 1, s8
	s_and_b32 s8, s5, s9
	v_cmp_eq_u32_e64 s14, 1, v3
	v_cmp_eq_u32_e64 s18, 2, v3
	;; [unrolled: 1-line block ×3, first 2 shown]
	s_wait_alu 0xfffe
	v_cndmask_b32_e64 v3, 0, 1, s8
	s_and_b32 s8, s6, s10
	v_cmp_eq_u32_e64 s13, 1, v5
	v_cmp_eq_u32_e64 s15, 1, v4
	;; [unrolled: 1-line block ×4, first 2 shown]
	s_wait_alu 0xfffe
	v_cndmask_b32_e64 v4, 0, 1, s8
	s_and_b32 s8, s7, s11
	v_cmp_eq_u32_e64 s17, 2, v5
	v_cmp_eq_u32_e64 s21, 3, v5
	s_wait_alu 0xfffe
	v_cndmask_b32_e64 v5, 0, 1, s8
	s_and_b32 s8, s4, s12
	s_wait_alu 0xfffe
	v_cndmask_b32_e64 v6, 0, 1, s8
	s_and_b32 s8, s5, s13
	;; [unrolled: 3-line block ×4, first 2 shown]
	v_cmp_ne_u32_e64 s9, 0, v7
	s_wait_alu 0xfffe
	v_cndmask_b32_e64 v9, 0, 1, s8
	s_and_b32 s8, s4, s16
	s_and_b32 s4, s4, s20
	s_wait_alu 0xfffe
	v_cndmask_b32_e64 v44, 0, 1, s8
	v_cndmask_b32_e64 v48, 0, 1, s4
	s_and_b32 s4, s5, s21
	s_and_b32 s8, s5, s17
	s_wait_alu 0xfffe
	v_cndmask_b32_e64 v49, 0, 1, s4
	s_and_b32 s4, s6, s22
	v_cndmask_b32_e64 v45, 0, 1, s8
	s_and_b32 s8, s6, s18
	s_wait_alu 0xfffe
	v_cndmask_b32_e64 v50, 0, 1, s4
	s_and_b32 s4, s7, s23
	v_cndmask_b32_e64 v46, 0, 1, s8
	s_and_b32 s8, s7, s19
	s_wait_alu 0xfffe
	v_cndmask_b32_e64 v51, 0, 1, s4
	v_cmp_ne_u32_e64 s4, 0, v2
	v_cmp_ne_u32_e64 s5, 0, v3
	v_cndmask_b32_e64 v47, 0, 1, s8
	v_cmp_ne_u32_e64 s6, 0, v4
	v_cmp_ne_u32_e64 s8, 0, v6
	;; [unrolled: 1-line block ×6, first 2 shown]
	s_bcnt1_i32_b32 s4, s4
	s_bcnt1_i32_b32 s5, s5
	v_cmp_ne_u32_e64 s11, 0, v9
	v_cmp_ne_u32_e64 s14, 0, v46
	;; [unrolled: 1-line block ×4, first 2 shown]
	s_bcnt1_i32_b32 s6, s6
	s_bcnt1_i32_b32 s8, s8
	;; [unrolled: 1-line block ×3, first 2 shown]
	s_wait_alu 0xfffe
	s_add_co_i32 s4, s5, s4
	v_cmp_ne_u32_e64 s15, 0, v47
	v_cmp_ne_u32_e64 s18, 0, v50
	s_bcnt1_i32_b32 s7, s7
	s_bcnt1_i32_b32 s10, s10
	s_bcnt1_i32_b32 s12, s12
	s_bcnt1_i32_b32 s13, s13
	s_add_co_i32 s5, s9, s8
	s_wait_alu 0xfffe
	s_add_co_i32 s4, s4, s6
	v_cmp_ne_u32_e64 s19, 0, v51
	s_bcnt1_i32_b32 s11, s11
	s_bcnt1_i32_b32 s14, s14
	;; [unrolled: 1-line block ×4, first 2 shown]
	s_add_co_i32 s8, s13, s12
	s_add_co_i32 s5, s5, s10
	s_wait_alu 0xfffe
	s_add_co_i32 s44, s4, s7
	s_bcnt1_i32_b32 s15, s15
	s_bcnt1_i32_b32 s18, s18
	s_add_co_i32 s9, s17, s16
	s_add_co_i32 s6, s8, s14
	s_wait_alu 0xfffe
	s_add_nc_u64 s[70:71], s[70:71], s[44:45]
	s_add_co_i32 s44, s5, s11
	s_bcnt1_i32_b32 s19, s19
	s_add_co_i32 s8, s9, s18
	s_wait_alu 0xfffe
	s_add_nc_u64 s[68:69], s[68:69], s[44:45]
	s_add_co_i32 s44, s6, s15
	v_mov_b32_e32 v2, s70
	s_wait_alu 0xfffe
	s_add_nc_u64 s[66:67], s[66:67], s[44:45]
	s_add_co_i32 s44, s8, s19
	v_mov_b32_e32 v4, s68
	s_wait_alu 0xfffe
	s_add_nc_u64 s[64:65], s[64:65], s[44:45]
	v_mov_b32_e32 v3, s71
	v_dual_mov_b32 v5, s69 :: v_dual_mov_b32 v6, s66
	s_wait_alu 0xfffe
	v_dual_mov_b32 v7, s67 :: v_dual_mov_b32 v8, s64
	v_mov_b32_e32 v9, s65
	s_or_b32 s61, vcc_lo, s61
	s_wait_alu 0xfffe
	s_and_not1_b32 exec_lo, exec_lo, s61
	s_cbranch_execnz .LBB124_62
; %bb.63:                               ;   in Loop: Header=BB124_20 Depth=1
	s_or_b32 exec_lo, exec_lo, s61
.LBB124_64:                             ;   in Loop: Header=BB124_20 Depth=1
	s_delay_alu instid0(SALU_CYCLE_1)
	s_or_b32 exec_lo, exec_lo, s59
	v_add_co_u32 v28, s4, s62, v0
	s_wait_alu 0xf1ff
	v_add_co_ci_u32_e64 v29, null, s63, 0, s4
	s_mov_b32 s8, exec_lo
	v_cmpx_gt_u64_e64 s[24:25], v[28:29]
	s_cbranch_execz .LBB124_70
; %bb.65:                               ;   in Loop: Header=BB124_20 Depth=1
	v_mul_lo_u32 v24, v29, s34
	v_mul_lo_u32 v43, v28, s35
	v_mad_co_u64_u32 v[30:31], null, v28, s34, 0
	s_mov_b32 s9, 0
	v_add3_u32 v31, v31, v43, v24
	s_delay_alu instid0(VALU_DEP_1) | instskip(NEXT) | instid1(VALU_DEP_1)
	v_lshlrev_b64_e32 v[30:31], 2, v[30:31]
	v_add_co_u32 v30, vcc_lo, s46, v30
	s_wait_alu 0xfffd
	s_delay_alu instid0(VALU_DEP_2)
	v_add_co_ci_u32_e64 v31, null, s47, v31, vcc_lo
	global_load_b32 v30, v[30:31], off
	s_branch .LBB124_67
.LBB124_66:                             ;   in Loop: Header=BB124_67 Depth=2
	s_wait_alu 0xfffe
	s_or_b32 exec_lo, exec_lo, s5
	s_wait_loadcnt 0x0
	v_cmp_lt_i32_e64 s4, -1, v30
	s_and_b32 s5, exec_lo, vcc_lo
	s_wait_alu 0xfffe
	s_or_b32 s9, s5, s9
	v_cndmask_b32_e64 v31, -1, 0x80000000, s4
	v_cmp_o_f32_e64 s4, v30, v30
	s_delay_alu instid0(VALU_DEP_2) | instskip(SKIP_1) | instid1(VALU_DEP_1)
	v_xor_b32_e32 v31, v31, v30
	s_wait_alu 0xf1ff
	v_cndmask_b32_e64 v30, -1, v31, s4
	s_delay_alu instid0(VALU_DEP_1) | instskip(SKIP_1) | instid1(VALU_DEP_2)
	v_and_b32_e32 v31, v30, v42
	v_bfe_u32 v30, v30, s79, 2
	v_cmp_eq_u32_e32 vcc_lo, v31, v19
	s_delay_alu instid0(VALU_DEP_2)
	v_cmp_eq_u32_e64 s4, 0, v30
	v_cmp_eq_u32_e64 s5, 1, v30
	;; [unrolled: 1-line block ×4, first 2 shown]
	s_and_b32 s4, vcc_lo, s4
	s_wait_alu 0xfffe
	v_cndmask_b32_e64 v30, 0, 1, s4
	s_and_b32 s4, vcc_lo, s5
	s_wait_alu 0xfffe
	v_cndmask_b32_e64 v31, 0, 1, s4
	;; [unrolled: 3-line block ×3, first 2 shown]
	s_and_b32 s4, vcc_lo, s7
	v_cmp_ne_u32_e32 vcc_lo, 0, v30
	s_wait_alu 0xfffe
	v_cndmask_b32_e64 v44, 0, 1, s4
	v_cmp_ne_u32_e64 s4, 0, v31
	v_cmp_ne_u32_e64 s5, 0, v43
	v_mov_b32_e32 v30, v24
	s_bcnt1_i32_b32 s7, vcc_lo
	v_cmp_ne_u32_e64 s6, 0, v44
	s_bcnt1_i32_b32 s4, s4
	s_wait_alu 0xfffe
	v_add_co_u32 v2, vcc_lo, v2, s7
	s_bcnt1_i32_b32 s5, s5
	s_wait_alu 0xfffd
	v_add_co_ci_u32_e64 v3, null, 0, v3, vcc_lo
	v_add_co_u32 v4, vcc_lo, v4, s4
	s_wait_alu 0xfffd
	v_add_co_ci_u32_e64 v5, null, 0, v5, vcc_lo
	s_wait_alu 0xfffe
	v_add_co_u32 v6, vcc_lo, v6, s5
	s_bcnt1_i32_b32 s4, s6
	s_wait_alu 0xfffd
	v_add_co_ci_u32_e64 v7, null, 0, v7, vcc_lo
	s_wait_alu 0xfffe
	v_add_co_u32 v8, vcc_lo, v8, s4
	s_wait_alu 0xfffd
	v_add_co_ci_u32_e64 v9, null, 0, v9, vcc_lo
	s_and_not1_b32 exec_lo, exec_lo, s9
	s_cbranch_execz .LBB124_69
.LBB124_67:                             ;   Parent Loop BB124_20 Depth=1
                                        ; =>  This Inner Loop Header: Depth=2
	v_add_co_u32 v28, vcc_lo, v28, v14
	s_wait_alu 0xfffd
	v_add_co_ci_u32_e64 v29, null, 0, v29, vcc_lo
	v_mov_b32_e32 v24, 0
	s_mov_b32 s5, exec_lo
	s_delay_alu instid0(VALU_DEP_2)
	v_cmp_le_u64_e32 vcc_lo, s[24:25], v[28:29]
	v_cmpx_gt_u64_e64 s[24:25], v[28:29]
	s_cbranch_execz .LBB124_66
; %bb.68:                               ;   in Loop: Header=BB124_67 Depth=2
	v_mul_lo_u32 v24, v29, s34
	v_mul_lo_u32 v31, v28, s35
	v_mad_co_u64_u32 v[43:44], null, v28, s34, 0
	s_delay_alu instid0(VALU_DEP_1) | instskip(NEXT) | instid1(VALU_DEP_1)
	v_add3_u32 v44, v44, v31, v24
	v_lshlrev_b64_e32 v[43:44], 2, v[43:44]
	s_delay_alu instid0(VALU_DEP_1) | instskip(SKIP_1) | instid1(VALU_DEP_2)
	v_add_co_u32 v43, s4, s46, v43
	s_wait_alu 0xf1ff
	v_add_co_ci_u32_e64 v44, null, s47, v44, s4
	global_load_b32 v24, v[43:44], off
	s_branch .LBB124_66
.LBB124_69:                             ;   in Loop: Header=BB124_20 Depth=1
	s_or_b32 exec_lo, exec_lo, s9
.LBB124_70:                             ;   in Loop: Header=BB124_20 Depth=1
	s_wait_alu 0xfffe
	s_or_b32 exec_lo, exec_lo, s8
	s_branch .LBB124_49
.LBB124_71:                             ;   in Loop: Header=BB124_20 Depth=1
	global_load_u16 v2, v15, s[56:57]
	v_mov_b32_e32 v4, 0
	v_mov_b32_e32 v6, 0
	v_dual_mov_b32 v8, 0 :: v_dual_mov_b32 v7, 0
	v_mov_b32_e32 v9, 0
	s_mov_b32 s70, exec_lo
	v_mov_b32_e32 v5, 0
	s_wait_loadcnt 0x0
	v_readfirstlane_b32 s4, v2
	v_and_b32_e32 v14, 0xffff, v2
	s_and_b32 s68, 0xffff, s4
	s_wait_alu 0xfffe
	s_lshl_b32 s59, s68, 2
	s_wait_alu 0xfffe
	s_cvt_f32_u32 s4, s59
	s_sub_co_i32 s5, 0, s59
	s_wait_alu 0xfffe
	s_delay_alu instid0(SALU_CYCLE_1) | instskip(NEXT) | instid1(TRANS32_DEP_1)
	v_rcp_iflag_f32_e32 v3, s4
	v_readfirstlane_b32 s4, v3
	s_mul_f32 s4, s4, 0x4f7ffffe
	s_wait_alu 0xfffe
	s_delay_alu instid0(SALU_CYCLE_2) | instskip(SKIP_1) | instid1(SALU_CYCLE_2)
	s_cvt_u32_f32 s4, s4
	s_wait_alu 0xfffe
	s_mul_i32 s5, s5, s4
	s_wait_alu 0xfffe
	s_mul_hi_u32 s5, s4, s5
	s_wait_alu 0xfffe
	s_add_co_i32 s4, s4, s5
	s_wait_alu 0xfffe
	s_mul_hi_u32 s4, s58, s4
	s_wait_alu 0xfffe
	s_mul_i32 s5, s4, s59
	s_add_co_i32 s6, s4, 1
	s_wait_alu 0xfffe
	s_sub_co_i32 s5, s58, s5
	s_wait_alu 0xfffe
	s_sub_co_i32 s7, s5, s59
	s_cmp_ge_u32 s5, s59
	s_cselect_b32 s4, s6, s4
	s_wait_alu 0xfffe
	s_cselect_b32 s5, s7, s5
	s_add_co_i32 s6, s4, 1
	s_wait_alu 0xfffe
	s_cmp_ge_u32 s5, s59
	s_cselect_b32 s69, s6, s4
	s_wait_alu 0xfffe
	v_mul_hi_u32 v3, s69, v14
	v_mul_lo_u32 v2, s69, v14
	s_delay_alu instid0(VALU_DEP_1) | instskip(SKIP_2) | instid1(VALU_DEP_3)
	v_lshlrev_b64_e32 v[28:29], 2, v[2:3]
	v_mov_b32_e32 v2, 0
	v_mov_b32_e32 v3, 0
	v_cmpx_gt_u64_e64 v[28:29], v[12:13]
	s_cbranch_execz .LBB124_75
; %bb.72:                               ;   in Loop: Header=BB124_20 Depth=1
	v_dual_mov_b32 v24, v38 :: v_dual_mov_b32 v31, v13
	v_mov_b32_e32 v30, v12
	s_lshl_b32 s71, s68, 4
	s_mov_b64 s[60:61], 0
	s_mov_b32 s89, 0
	s_mov_b64 s[62:63], 0
	s_mov_b64 s[64:65], 0
	;; [unrolled: 1-line block ×3, first 2 shown]
.LBB124_73:                             ;   Parent Loop BB124_20 Depth=1
                                        ; =>  This Inner Loop Header: Depth=2
	ds_load_b128 v[2:5], v24
	v_add_co_u32 v30, vcc_lo, v30, s59
	s_wait_alu 0xfffd
	v_add_co_ci_u32_e64 v31, null, 0, v31, vcc_lo
	s_delay_alu instid0(VALU_DEP_1)
	v_cmp_ge_u64_e32 vcc_lo, v[30:31], v[28:29]
	s_wait_dscnt 0x0
	v_cmp_lt_i32_e64 s4, -1, v2
	v_cmp_o_f32_e64 s7, v2, v2
	v_cmp_o_f32_e64 s5, v4, v4
	;; [unrolled: 1-line block ×3, first 2 shown]
	s_wait_alu 0xf1ff
	v_cndmask_b32_e64 v6, -1, 0x80000000, s4
	v_cmp_lt_i32_e64 s4, -1, v3
	s_delay_alu instid0(VALU_DEP_2) | instskip(SKIP_1) | instid1(VALU_DEP_2)
	v_xor_b32_e32 v6, v6, v2
	s_wait_alu 0xf1ff
	v_cndmask_b32_e64 v7, -1, 0x80000000, s4
	v_cmp_lt_i32_e64 s4, -1, v4
	s_delay_alu instid0(VALU_DEP_3) | instskip(NEXT) | instid1(VALU_DEP_3)
	v_cndmask_b32_e64 v2, -1, v6, s7
	v_xor_b32_e32 v7, v7, v3
	s_wait_alu 0xf1ff
	s_delay_alu instid0(VALU_DEP_3) | instskip(SKIP_4) | instid1(VALU_DEP_3)
	v_cndmask_b32_e64 v8, -1, 0x80000000, s4
	v_cmp_lt_i32_e64 s4, -1, v5
	v_and_b32_e32 v6, v2, v42
	v_bfe_u32 v2, v2, s79, 2
	s_wait_alu 0xf1ff
	v_cndmask_b32_e64 v9, -1, 0x80000000, s4
	v_cmp_o_f32_e64 s4, v3, v3
	v_xor_b32_e32 v3, v8, v4
	v_cmp_eq_u32_e64 s8, 0, v2
	v_cmp_eq_u32_e64 s12, 1, v2
	v_xor_b32_e32 v4, v9, v5
	s_wait_alu 0xf1ff
	v_cndmask_b32_e64 v5, -1, v7, s4
	v_cndmask_b32_e64 v3, -1, v3, s5
	v_cmp_eq_u32_e64 s4, v6, v19
	v_cmp_eq_u32_e64 s16, 2, v2
	v_cndmask_b32_e64 v4, -1, v4, s6
	v_and_b32_e32 v7, v5, v42
	v_bfe_u32 v5, v5, s79, 2
	v_and_b32_e32 v8, v3, v42
	v_bfe_u32 v3, v3, s79, 2
	;; [unrolled: 2-line block ×3, first 2 shown]
	v_cmp_eq_u32_e64 s5, v7, v19
	v_cmp_eq_u32_e64 s9, 0, v5
	;; [unrolled: 1-line block ×4, first 2 shown]
	s_and_b32 s8, s4, s8
	v_cmp_eq_u32_e64 s7, v9, v19
	v_cmp_eq_u32_e64 s11, 0, v4
	;; [unrolled: 1-line block ×3, first 2 shown]
	s_wait_alu 0xfffe
	v_cndmask_b32_e64 v2, 0, 1, s8
	s_and_b32 s8, s5, s9
	v_cmp_eq_u32_e64 s14, 1, v3
	v_cmp_eq_u32_e64 s18, 2, v3
	;; [unrolled: 1-line block ×3, first 2 shown]
	s_wait_alu 0xfffe
	v_cndmask_b32_e64 v3, 0, 1, s8
	s_and_b32 s8, s6, s10
	v_cmp_eq_u32_e64 s13, 1, v5
	v_cmp_eq_u32_e64 s15, 1, v4
	;; [unrolled: 1-line block ×4, first 2 shown]
	s_wait_alu 0xfffe
	v_cndmask_b32_e64 v4, 0, 1, s8
	s_and_b32 s8, s7, s11
	v_cmp_eq_u32_e64 s17, 2, v5
	v_cmp_eq_u32_e64 s21, 3, v5
	s_wait_alu 0xfffe
	v_cndmask_b32_e64 v5, 0, 1, s8
	s_and_b32 s8, s4, s12
	s_wait_alu 0xfffe
	v_cndmask_b32_e64 v6, 0, 1, s8
	s_and_b32 s8, s5, s13
	;; [unrolled: 3-line block ×4, first 2 shown]
	v_cmp_ne_u32_e64 s9, 0, v7
	s_wait_alu 0xfffe
	v_cndmask_b32_e64 v9, 0, 1, s8
	s_and_b32 s8, s4, s16
	s_and_b32 s4, s4, s20
	s_wait_alu 0xfffe
	v_cndmask_b32_e64 v43, 0, 1, s8
	v_cndmask_b32_e64 v47, 0, 1, s4
	s_and_b32 s4, s5, s21
	s_and_b32 s8, s5, s17
	s_wait_alu 0xfffe
	v_cndmask_b32_e64 v48, 0, 1, s4
	s_and_b32 s4, s6, s22
	v_cndmask_b32_e64 v44, 0, 1, s8
	s_and_b32 s8, s6, s18
	s_wait_alu 0xfffe
	v_cndmask_b32_e64 v49, 0, 1, s4
	s_and_b32 s4, s7, s23
	v_cndmask_b32_e64 v45, 0, 1, s8
	s_and_b32 s8, s7, s19
	s_wait_alu 0xfffe
	v_cndmask_b32_e64 v50, 0, 1, s4
	v_cmp_ne_u32_e64 s4, 0, v2
	v_cmp_ne_u32_e64 s5, 0, v3
	v_cndmask_b32_e64 v46, 0, 1, s8
	v_cmp_ne_u32_e64 s6, 0, v4
	v_cmp_ne_u32_e64 s8, 0, v6
	;; [unrolled: 1-line block ×6, first 2 shown]
	s_bcnt1_i32_b32 s4, s4
	s_bcnt1_i32_b32 s5, s5
	v_cmp_ne_u32_e64 s11, 0, v9
	v_cmp_ne_u32_e64 s14, 0, v45
	;; [unrolled: 1-line block ×4, first 2 shown]
	s_bcnt1_i32_b32 s6, s6
	s_bcnt1_i32_b32 s8, s8
	;; [unrolled: 1-line block ×3, first 2 shown]
	s_wait_alu 0xfffe
	s_add_co_i32 s4, s5, s4
	v_cmp_ne_u32_e64 s15, 0, v46
	v_cmp_ne_u32_e64 s18, 0, v49
	s_bcnt1_i32_b32 s7, s7
	s_bcnt1_i32_b32 s10, s10
	;; [unrolled: 1-line block ×4, first 2 shown]
	s_add_co_i32 s5, s9, s8
	s_wait_alu 0xfffe
	s_add_co_i32 s4, s4, s6
	v_cmp_ne_u32_e64 s19, 0, v50
	s_bcnt1_i32_b32 s11, s11
	s_bcnt1_i32_b32 s14, s14
	;; [unrolled: 1-line block ×4, first 2 shown]
	s_add_co_i32 s8, s13, s12
	s_add_co_i32 s5, s5, s10
	s_wait_alu 0xfffe
	s_add_co_i32 s44, s4, s7
	s_bcnt1_i32_b32 s15, s15
	s_bcnt1_i32_b32 s18, s18
	s_add_co_i32 s9, s17, s16
	s_add_co_i32 s6, s8, s14
	s_wait_alu 0xfffe
	s_add_nc_u64 s[66:67], s[66:67], s[44:45]
	s_add_co_i32 s44, s5, s11
	s_bcnt1_i32_b32 s19, s19
	s_add_co_i32 s8, s9, s18
	s_wait_alu 0xfffe
	s_add_nc_u64 s[64:65], s[64:65], s[44:45]
	s_add_co_i32 s44, s6, s15
	v_mov_b32_e32 v2, s66
	s_wait_alu 0xfffe
	s_add_nc_u64 s[62:63], s[62:63], s[44:45]
	s_add_co_i32 s44, s8, s19
	v_mov_b32_e32 v4, s64
	s_wait_alu 0xfffe
	s_add_nc_u64 s[60:61], s[60:61], s[44:45]
	v_mov_b32_e32 v6, s62
	s_wait_alu 0xfffe
	v_mov_b32_e32 v8, s60
	v_dual_mov_b32 v3, s67 :: v_dual_add_nc_u32 v24, s71, v24
	v_mov_b32_e32 v5, s65
	v_mov_b32_e32 v7, s63
	;; [unrolled: 1-line block ×3, first 2 shown]
	s_or_b32 s89, vcc_lo, s89
	s_delay_alu instid0(SALU_CYCLE_1)
	s_and_not1_b32 exec_lo, exec_lo, s89
	s_cbranch_execnz .LBB124_73
; %bb.74:                               ;   in Loop: Header=BB124_20 Depth=1
	s_or_b32 exec_lo, exec_lo, s89
.LBB124_75:                             ;   in Loop: Header=BB124_20 Depth=1
	s_delay_alu instid0(SALU_CYCLE_1)
	s_or_b32 exec_lo, exec_lo, s70
	v_add_co_u32 v28, vcc_lo, v28, v0
	s_wait_alu 0xfffd
	v_add_co_ci_u32_e64 v29, null, 0, v29, vcc_lo
	s_and_b32 s44, s58, 0x7fffffff
	s_mov_b32 s9, exec_lo
	s_wait_alu 0xfffe
	v_cmpx_gt_u64_e64 s[44:45], v[28:29]
	s_cbranch_execz .LBB124_79
; %bb.76:                               ;   in Loop: Header=BB124_20 Depth=1
	s_mul_i32 s69, s69, s68
	s_mov_b32 s10, 0
	s_wait_alu 0xfffe
	v_lshl_add_u32 v24, s69, 4, v12
.LBB124_77:                             ;   Parent Loop BB124_20 Depth=1
                                        ; =>  This Inner Loop Header: Depth=2
	ds_load_b32 v30, v24
	v_add_co_u32 v28, vcc_lo, v28, v14
	s_wait_alu 0xfffd
	v_add_co_ci_u32_e64 v29, null, 0, v29, vcc_lo
	v_add_nc_u32_e32 v24, s59, v24
	s_delay_alu instid0(VALU_DEP_2) | instskip(SKIP_3) | instid1(VALU_DEP_1)
	v_cmp_le_u64_e32 vcc_lo, s[44:45], v[28:29]
	s_wait_dscnt 0x0
	v_cmp_lt_i32_e64 s4, -1, v30
	s_wait_alu 0xf1ff
	v_cndmask_b32_e64 v31, -1, 0x80000000, s4
	v_cmp_o_f32_e64 s4, v30, v30
	s_delay_alu instid0(VALU_DEP_2) | instskip(SKIP_1) | instid1(VALU_DEP_1)
	v_xor_b32_e32 v31, v31, v30
	s_wait_alu 0xf1ff
	v_cndmask_b32_e64 v30, -1, v31, s4
	s_delay_alu instid0(VALU_DEP_1) | instskip(SKIP_1) | instid1(VALU_DEP_2)
	v_and_b32_e32 v31, v30, v42
	v_bfe_u32 v30, v30, s79, 2
	v_cmp_eq_u32_e64 s4, v31, v19
	s_delay_alu instid0(VALU_DEP_2)
	v_cmp_eq_u32_e64 s5, 0, v30
	v_cmp_eq_u32_e64 s6, 1, v30
	;; [unrolled: 1-line block ×4, first 2 shown]
	s_and_b32 s5, s4, s5
	s_wait_alu 0xfffe
	v_cndmask_b32_e64 v30, 0, 1, s5
	s_and_b32 s5, s4, s6
	s_wait_alu 0xfffe
	v_cndmask_b32_e64 v31, 0, 1, s5
	s_and_b32 s5, s4, s7
	s_and_b32 s4, s4, s8
	s_wait_alu 0xfffe
	v_cndmask_b32_e64 v43, 0, 1, s5
	v_cndmask_b32_e64 v44, 0, 1, s4
	v_cmp_ne_u32_e64 s4, 0, v30
	v_cmp_ne_u32_e64 s5, 0, v31
	s_delay_alu instid0(VALU_DEP_4) | instskip(NEXT) | instid1(VALU_DEP_4)
	v_cmp_ne_u32_e64 s6, 0, v43
	v_cmp_ne_u32_e64 s7, 0, v44
	s_bcnt1_i32_b32 s4, s4
	s_bcnt1_i32_b32 s5, s5
	s_wait_alu 0xfffe
	v_add_co_u32 v2, s4, v2, s4
	s_bcnt1_i32_b32 s6, s6
	v_add_co_ci_u32_e64 v3, null, 0, v3, s4
	v_add_co_u32 v4, s4, v4, s5
	s_bcnt1_i32_b32 s7, s7
	v_add_co_ci_u32_e64 v5, null, 0, v5, s4
	s_wait_alu 0xfffe
	v_add_co_u32 v6, s4, v6, s6
	s_wait_alu 0xf1ff
	v_add_co_ci_u32_e64 v7, null, 0, v7, s4
	v_add_co_u32 v8, s4, v8, s7
	s_wait_alu 0xf1ff
	v_add_co_ci_u32_e64 v9, null, 0, v9, s4
	s_or_b32 s10, vcc_lo, s10
	s_wait_alu 0xfffe
	s_and_not1_b32 exec_lo, exec_lo, s10
	s_cbranch_execnz .LBB124_77
; %bb.78:                               ;   in Loop: Header=BB124_20 Depth=1
	s_or_b32 exec_lo, exec_lo, s10
.LBB124_79:                             ;   in Loop: Header=BB124_20 Depth=1
	s_wait_alu 0xfffe
	s_or_b32 exec_lo, exec_lo, s9
	s_lshl_b32 s4, s82, 7
	s_and_saveexec_b32 s5, s1
	s_cbranch_execnz .LBB124_50
	s_branch .LBB124_51
.LBB124_80:                             ;   in Loop: Header=BB124_20 Depth=1
                                        ; implicit-def: $sgpr4_sgpr5
	s_branch .LBB124_59
.LBB124_81:                             ;   in Loop: Header=BB124_20 Depth=1
	s_mov_b32 s6, 0
	s_and_not1_b32 vcc_lo, exec_lo, s77
	s_wait_alu 0xfffe
	s_cbranch_vccnz .LBB124_84
.LBB124_82:                             ;   in Loop: Header=BB124_20 Depth=1
	s_lshl_b32 s7, s82, 10
	s_lshl_b32 s6, s6, 5
	s_wait_alu 0xfffe
	v_add3_u32 v4, s7, s6, v39
	s_mov_b32 s6, s74
.LBB124_83:                             ;   Parent Loop BB124_20 Depth=1
                                        ; =>  This Inner Loop Header: Depth=2
	ds_load_b64 v[5:6], v4
	v_add_nc_u32_e32 v4, 32, v4
	s_wait_alu 0xfffe
	s_add_co_i32 s6, s6, -1
	s_wait_alu 0xfffe
	s_cmp_lg_u32 s6, 0
	s_wait_dscnt 0x0
	v_add_co_u32 v2, vcc_lo, v5, v2
	s_wait_alu 0xfffd
	v_add_co_ci_u32_e64 v3, null, v6, v3, vcc_lo
	s_cbranch_scc1 .LBB124_83
.LBB124_84:                             ;   in Loop: Header=BB124_20 Depth=1
	v_add_lshl_u32 v4, s4, v32, 3
	ds_store_b64 v4, v[2:3] offset:3072
.LBB124_85:                             ;   in Loop: Header=BB124_20 Depth=1
	s_wait_alu 0xfffe
	s_or_b32 exec_lo, exec_lo, s5
	s_lshl_b32 s4, s4, 3
	s_wait_loadcnt_dscnt 0x0
	s_wait_alu 0xfffe
	v_mov_b32_e32 v6, s4
	s_barrier_signal -1
	s_barrier_wait -1
	global_inv scope:SCOPE_SE
	v_cmp_eq_u64_e32 vcc_lo, 1, v[26:27]
	ds_load_b128 v[2:5], v6 offset:3072
	ds_load_b128 v[6:9], v6 offset:3088
	s_lshl_b32 s14, 3, s79
	s_mov_b32 s16, -1
	s_wait_alu 0xfffe
	s_not_b32 s18, s14
                                        ; implicit-def: $sgpr20
                                        ; implicit-def: $sgpr19
	s_wait_dscnt 0x1
	v_cmp_eq_u64_e64 s4, 1, v[2:3]
	s_wait_dscnt 0x0
	v_readfirstlane_b32 s8, v6
	v_readfirstlane_b32 s9, v7
	;; [unrolled: 1-line block ×4, first 2 shown]
	s_and_b32 s17, s4, vcc_lo
	s_mov_b32 s4, -1
	s_and_saveexec_b32 s15, s17
	s_cbranch_execz .LBB124_119
; %bb.86:                               ;   in Loop: Header=BB124_20 Depth=1
	ds_load_b64 v[6:7], v15 offset:5120
	s_wait_loadcnt_dscnt 0x0
	s_barrier_signal -1
	s_barrier_wait -1
	global_inv scope:SCOPE_SE
	v_readfirstlane_b32 s4, v6
	v_readfirstlane_b32 s5, v7
	s_and_saveexec_b32 s10, s0
; %bb.87:                               ;   in Loop: Header=BB124_20 Depth=1
	ds_store_b32 v33, v15
; %bb.88:                               ;   in Loop: Header=BB124_20 Depth=1
	s_wait_alu 0xfffe
	s_or_b32 exec_lo, exec_lo, s10
	v_and_b32_e32 v19, s18, v19
	v_or_b32_e32 v42, s14, v42
	s_mov_b32 s19, -1
	s_mov_b32 s20, 0
	s_cmp_eq_u64 s[4:5], 0
	s_mov_b32 s12, 0
	s_mov_b32 s13, -1
	s_wait_loadcnt_dscnt 0x0
	s_barrier_signal -1
	s_barrier_wait -1
	global_inv scope:SCOPE_SE
                                        ; implicit-def: $vgpr25
	s_cbranch_scc1 .LBB124_103
; %bb.89:                               ;   in Loop: Header=BB124_20 Depth=1
	s_add_nc_u64 s[10:11], s[4:5], s[48:49]
	s_mov_b32 s12, s45
	s_wait_alu 0xfffe
	s_mov_b32 s13, s11
	s_wait_alu 0xfffe
	s_cmp_lg_u64 s[12:13], 0
	s_cbranch_scc0 .LBB124_146
; %bb.90:                               ;   in Loop: Header=BB124_20 Depth=1
	s_cvt_f32_u32 s12, s40
	s_sub_nc_u64 s[22:23], 0, s[40:41]
	s_wait_alu 0xfffe
	s_delay_alu instid0(SALU_CYCLE_1) | instskip(SKIP_1) | instid1(SALU_CYCLE_2)
	s_fmamk_f32 s12, s81, 0x0, s12
	s_wait_alu 0xfffe
	v_s_rcp_f32 s12, s12
	s_delay_alu instid0(TRANS32_DEP_1) | instskip(SKIP_1) | instid1(SALU_CYCLE_2)
	s_mul_f32 s12, s12, 0x5f7ffffc
	s_wait_alu 0xfffe
	s_mul_f32 s13, s12, 0x2f800000
	s_wait_alu 0xfffe
	s_delay_alu instid0(SALU_CYCLE_2) | instskip(SKIP_1) | instid1(SALU_CYCLE_2)
	s_trunc_f32 s13, s13
	s_wait_alu 0xfffe
	s_fmamk_f32 s12, s13, 0xcf800000, s12
	s_cvt_u32_f32 s13, s13
	s_wait_alu 0xfffe
	s_delay_alu instid0(SALU_CYCLE_1) | instskip(SKIP_1) | instid1(SALU_CYCLE_2)
	s_cvt_u32_f32 s12, s12
	s_wait_alu 0xfffe
	s_mul_u64 s[58:59], s[22:23], s[12:13]
	s_wait_alu 0xfffe
	s_mul_hi_u32 s61, s12, s59
	s_mul_i32 s60, s12, s59
	s_mul_hi_u32 s44, s12, s58
	s_mul_i32 s62, s13, s58
	s_wait_alu 0xfffe
	s_add_nc_u64 s[60:61], s[44:45], s[60:61]
	s_mul_hi_u32 s21, s13, s58
	s_mul_hi_u32 s63, s13, s59
	s_wait_alu 0xfffe
	s_add_co_u32 s44, s60, s62
	s_add_co_ci_u32 s44, s61, s21
	s_mul_i32 s58, s13, s59
	s_add_co_ci_u32 s59, s63, 0
	s_wait_alu 0xfffe
	s_add_nc_u64 s[58:59], s[44:45], s[58:59]
	s_wait_alu 0xfffe
	s_add_co_u32 s12, s12, s58
	s_cselect_b32 s21, -1, 0
	s_delay_alu instid0(SALU_CYCLE_1) | instskip(SKIP_3) | instid1(SALU_CYCLE_1)
	s_cmp_lg_u32 s21, 0
	s_add_co_ci_u32 s13, s13, s59
	s_wait_alu 0xfffe
	s_mul_u64 s[22:23], s[22:23], s[12:13]
	s_mul_hi_u32 s59, s12, s23
	s_mul_i32 s58, s12, s23
	s_mul_hi_u32 s44, s12, s22
	s_mul_i32 s60, s13, s22
	s_wait_alu 0xfffe
	s_add_nc_u64 s[58:59], s[44:45], s[58:59]
	s_mul_hi_u32 s21, s13, s22
	s_mul_hi_u32 s61, s13, s23
	s_mul_i32 s22, s13, s23
	s_wait_alu 0xfffe
	s_add_co_u32 s23, s58, s60
	s_add_co_ci_u32 s44, s59, s21
	s_add_co_ci_u32 s23, s61, 0
	s_wait_alu 0xfffe
	s_add_nc_u64 s[22:23], s[44:45], s[22:23]
	s_delay_alu instid0(SALU_CYCLE_1)
	s_add_co_u32 s12, s12, s22
	s_cselect_b32 s21, -1, 0
	s_wait_alu 0xfffe
	s_mul_hi_u32 s44, s10, s12
	s_cmp_lg_u32 s21, 0
	s_mul_hi_u32 s21, s11, s12
	s_add_co_ci_u32 s22, s13, s23
	s_mul_i32 s23, s11, s12
	s_mul_hi_u32 s13, s10, s22
	s_mul_i32 s12, s10, s22
	s_mul_hi_u32 s58, s11, s22
	s_wait_alu 0xfffe
	s_add_nc_u64 s[12:13], s[44:45], s[12:13]
	s_mul_i32 s22, s11, s22
	s_wait_alu 0xfffe
	s_add_co_u32 s12, s12, s23
	s_add_co_ci_u32 s44, s13, s21
	s_add_co_ci_u32 s23, s58, 0
	s_wait_alu 0xfffe
	s_add_nc_u64 s[12:13], s[44:45], s[22:23]
	s_wait_alu 0xfffe
	s_mul_u64 s[12:13], s[40:41], s[12:13]
	s_wait_alu 0xfffe
	s_sub_co_u32 s12, s10, s12
	s_cselect_b32 s21, -1, 0
	s_delay_alu instid0(SALU_CYCLE_1) | instskip(SKIP_4) | instid1(SALU_CYCLE_1)
	s_cmp_lg_u32 s21, 0
	s_sub_co_ci_u32 s13, s11, s13
	s_wait_alu 0xfffe
	s_sub_co_u32 s21, s12, s40
	s_cselect_b32 s22, -1, 0
	s_cmp_lg_u32 s22, 0
	s_sub_co_ci_u32 s22, s13, 0
	s_sub_co_u32 s23, s21, s40
	s_cselect_b32 s44, -1, 0
	s_wait_alu 0xfffe
	s_cmp_lg_u32 s44, 0
	s_sub_co_ci_u32 s44, s22, 0
	s_cmp_ge_u32 s21, s40
	s_cselect_b32 s58, -1, 0
	s_cmp_eq_u32 s22, 0
	s_wait_alu 0xfffe
	s_cselect_b32 s58, s58, -1
	s_wait_alu 0xfffe
	s_cmp_lg_u32 s58, 0
	s_cselect_b32 s22, s44, s22
	s_cselect_b32 s21, s23, s21
	s_cmp_ge_u32 s12, s40
	s_cselect_b32 s23, -1, 0
	s_cmp_eq_u32 s13, 0
	s_cselect_b32 s23, s23, -1
	s_delay_alu instid0(SALU_CYCLE_1)
	s_cmp_lg_u32 s23, 0
	s_cselect_b32 s13, s22, s13
	s_cselect_b32 s12, s21, s12
	s_cbranch_execnz .LBB124_92
.LBB124_91:                             ;   in Loop: Header=BB124_20 Depth=1
	v_cvt_f32_u32_e32 v6, s40
	s_sub_co_i32 s13, 0, s40
	s_delay_alu instid0(VALU_DEP_1) | instskip(NEXT) | instid1(TRANS32_DEP_1)
	v_rcp_iflag_f32_e32 v6, v6
	v_mul_f32_e32 v6, 0x4f7ffffe, v6
	s_delay_alu instid0(VALU_DEP_1) | instskip(NEXT) | instid1(VALU_DEP_1)
	v_cvt_u32_f32_e32 v6, v6
	v_readfirstlane_b32 s12, v6
	s_wait_alu 0xfffe
	s_mul_i32 s13, s13, s12
	s_wait_alu 0xfffe
	s_mul_hi_u32 s13, s12, s13
	s_wait_alu 0xfffe
	s_add_co_i32 s12, s12, s13
	s_wait_alu 0xfffe
	s_mul_hi_u32 s12, s10, s12
	s_wait_alu 0xfffe
	s_mul_i32 s12, s12, s40
	s_wait_alu 0xfffe
	s_sub_co_i32 s12, s10, s12
	s_wait_alu 0xfffe
	s_sub_co_i32 s13, s12, s40
	s_cmp_ge_u32 s12, s40
	s_wait_alu 0xfffe
	s_cselect_b32 s12, s13, s12
	s_wait_alu 0xfffe
	s_sub_co_i32 s13, s12, s40
	s_cmp_ge_u32 s12, s40
	s_wait_alu 0xfffe
	s_cselect_b32 s44, s13, s12
	s_wait_alu 0xfffe
	s_mov_b64 s[12:13], s[44:45]
.LBB124_92:                             ;   in Loop: Header=BB124_20 Depth=1
	s_wait_alu 0xfffe
	s_sub_nc_u64 s[10:11], s[10:11], s[12:13]
	s_mov_b32 s13, 0
	s_mov_b32 s12, 0
	s_mov_b32 s21, exec_lo
                                        ; implicit-def: $vgpr25
	s_wait_alu 0xfffe
	v_cmpx_gt_u64_e64 s[10:11], v[0:1]
	s_cbranch_execz .LBB124_102
; %bb.93:                               ;   in Loop: Header=BB124_20 Depth=1
	v_dual_mov_b32 v8, v12 :: v_dual_mov_b32 v7, v1
	v_mov_b32_e32 v6, v0
                                        ; implicit-def: $sgpr22
	s_branch .LBB124_97
.LBB124_94:                             ;   in Loop: Header=BB124_97 Depth=2
	s_or_b32 exec_lo, exec_lo, s23
	s_wait_loadcnt_dscnt 0x0
	s_barrier_signal -1
	s_barrier_wait -1
	global_inv scope:SCOPE_SE
	ds_load_b64 v[24:25], v15 offset:3072
	s_wait_loadcnt_dscnt 0x0
	s_barrier_signal -1
	s_barrier_wait -1
	global_inv scope:SCOPE_SE
	v_cmp_neq_f32_e32 vcc_lo, 0, v24
	s_cbranch_vccnz .LBB124_100
; %bb.95:                               ;   in Loop: Header=BB124_97 Depth=2
	v_add_co_u32 v6, vcc_lo, v6, s40
	s_wait_alu 0xfffd
	v_add_co_ci_u32_e64 v7, null, 0, v7, vcc_lo
	v_add_nc_u32_e32 v8, s78, v8
	s_mov_b32 s23, 0
	s_delay_alu instid0(VALU_DEP_2)
	v_cmp_le_u64_e32 vcc_lo, s[10:11], v[6:7]
	s_or_not1_b32 s44, vcc_lo, exec_lo
.LBB124_96:                             ;   in Loop: Header=BB124_97 Depth=2
	s_wait_alu 0xfffe
	s_and_b32 s44, exec_lo, s44
	s_wait_alu 0xfffe
	s_or_b32 s12, s44, s12
	s_and_not1_b32 s22, s22, exec_lo
	s_and_b32 s23, s23, exec_lo
	s_delay_alu instid0(SALU_CYCLE_1)
	s_or_b32 s22, s22, s23
	s_wait_alu 0xfffe
	s_and_not1_b32 exec_lo, exec_lo, s12
	s_cbranch_execz .LBB124_101
.LBB124_97:                             ;   Parent Loop BB124_20 Depth=1
                                        ; =>  This Inner Loop Header: Depth=2
	s_mov_b32 s23, exec_lo
	s_delay_alu instid0(VALU_DEP_1)
	v_cmpx_gt_u64_e64 s[4:5], v[6:7]
	s_cbranch_execz .LBB124_94
; %bb.98:                               ;   in Loop: Header=BB124_97 Depth=2
	ds_load_b32 v24, v8
	s_wait_dscnt 0x0
	v_cmp_lt_i32_e32 vcc_lo, -1, v24
	s_wait_alu 0xfffd
	v_cndmask_b32_e64 v9, -1, 0x80000000, vcc_lo
	v_cmp_o_f32_e32 vcc_lo, v24, v24
	s_delay_alu instid0(VALU_DEP_2) | instskip(SKIP_1) | instid1(VALU_DEP_1)
	v_xor_b32_e32 v9, v9, v24
	s_wait_alu 0xfffd
	v_cndmask_b32_e32 v9, -1, v9, vcc_lo
	s_delay_alu instid0(VALU_DEP_1) | instskip(NEXT) | instid1(VALU_DEP_1)
	v_and_b32_e32 v9, v9, v42
	v_cmp_eq_u32_e32 vcc_lo, v9, v19
	s_and_b32 exec_lo, exec_lo, vcc_lo
	s_cbranch_execz .LBB124_94
; %bb.99:                               ;   in Loop: Header=BB124_97 Depth=2
	ds_store_b64 v15, v[23:24] offset:3072
	s_branch .LBB124_94
.LBB124_100:                            ;   in Loop: Header=BB124_97 Depth=2
	s_mov_b32 s44, -1
	s_mov_b32 s23, -1
                                        ; implicit-def: $vgpr6_vgpr7
                                        ; implicit-def: $vgpr8
	s_branch .LBB124_96
.LBB124_101:                            ;   in Loop: Header=BB124_20 Depth=1
	s_or_b32 exec_lo, exec_lo, s12
	s_delay_alu instid0(SALU_CYCLE_1)
	s_and_b32 s12, s22, exec_lo
.LBB124_102:                            ;   in Loop: Header=BB124_20 Depth=1
	s_or_b32 exec_lo, exec_lo, s21
.LBB124_103:                            ;   in Loop: Header=BB124_20 Depth=1
	s_wait_alu 0xfffe
	s_and_b32 vcc_lo, exec_lo, s13
	s_wait_alu 0xfffe
	s_cbranch_vccz .LBB124_118
; %bb.104:                              ;   in Loop: Header=BB124_20 Depth=1
	s_mov_b32 s4, s45
	s_mov_b32 s5, s51
	s_wait_alu 0xfffe
	s_cmp_lg_u64 s[4:5], 0
	s_cbranch_scc0 .LBB124_150
; %bb.105:                              ;   in Loop: Header=BB124_20 Depth=1
	s_cvt_f32_u32 s4, s40
	s_sub_nc_u64 s[10:11], 0, s[40:41]
	s_wait_alu 0xfffe
	s_delay_alu instid0(SALU_CYCLE_1) | instskip(SKIP_1) | instid1(SALU_CYCLE_2)
	s_fmamk_f32 s4, s81, 0x0, s4
	s_wait_alu 0xfffe
	v_s_rcp_f32 s4, s4
	s_delay_alu instid0(TRANS32_DEP_1) | instskip(SKIP_1) | instid1(SALU_CYCLE_2)
	s_mul_f32 s4, s4, 0x5f7ffffc
	s_wait_alu 0xfffe
	s_mul_f32 s5, s4, 0x2f800000
	s_wait_alu 0xfffe
	s_delay_alu instid0(SALU_CYCLE_2) | instskip(SKIP_1) | instid1(SALU_CYCLE_2)
	s_trunc_f32 s5, s5
	s_wait_alu 0xfffe
	s_fmamk_f32 s4, s5, 0xcf800000, s4
	s_cvt_u32_f32 s5, s5
	s_wait_alu 0xfffe
	s_delay_alu instid0(SALU_CYCLE_1) | instskip(SKIP_1) | instid1(SALU_CYCLE_2)
	s_cvt_u32_f32 s4, s4
	s_wait_alu 0xfffe
	s_mul_u64 s[20:21], s[10:11], s[4:5]
	s_delay_alu instid0(SALU_CYCLE_1)
	s_mul_hi_u32 s23, s4, s21
	s_mul_i32 s22, s4, s21
	s_mul_hi_u32 s44, s4, s20
	s_mul_i32 s19, s5, s20
	s_wait_alu 0xfffe
	s_add_nc_u64 s[22:23], s[44:45], s[22:23]
	s_mul_hi_u32 s13, s5, s20
	s_mul_hi_u32 s58, s5, s21
	s_add_co_u32 s19, s22, s19
	s_wait_alu 0xfffe
	s_add_co_ci_u32 s44, s23, s13
	s_mul_i32 s20, s5, s21
	s_add_co_ci_u32 s21, s58, 0
	s_wait_alu 0xfffe
	s_add_nc_u64 s[20:21], s[44:45], s[20:21]
	s_delay_alu instid0(SALU_CYCLE_1)
	s_add_co_u32 s4, s4, s20
	s_cselect_b32 s13, -1, 0
	s_wait_alu 0xfffe
	s_cmp_lg_u32 s13, 0
	s_add_co_ci_u32 s5, s5, s21
	s_wait_alu 0xfffe
	s_mul_u64 s[10:11], s[10:11], s[4:5]
	s_wait_alu 0xfffe
	s_mul_hi_u32 s21, s4, s11
	s_mul_i32 s20, s4, s11
	s_mul_hi_u32 s44, s4, s10
	s_mul_i32 s19, s5, s10
	s_wait_alu 0xfffe
	s_add_nc_u64 s[20:21], s[44:45], s[20:21]
	s_mul_hi_u32 s13, s5, s10
	s_mul_hi_u32 s22, s5, s11
	s_mul_i32 s10, s5, s11
	s_add_co_u32 s11, s20, s19
	s_wait_alu 0xfffe
	s_add_co_ci_u32 s44, s21, s13
	s_add_co_ci_u32 s11, s22, 0
	s_wait_alu 0xfffe
	s_add_nc_u64 s[10:11], s[44:45], s[10:11]
	s_wait_alu 0xfffe
	s_add_co_u32 s4, s4, s10
	s_cselect_b32 s10, -1, 0
	s_wait_alu 0xfffe
	s_mul_hi_u32 s44, s50, s4
	s_cmp_lg_u32 s10, 0
	s_mul_hi_u32 s13, s51, s4
	s_add_co_ci_u32 s10, s5, s11
	s_mul_i32 s11, s51, s4
	s_wait_alu 0xfffe
	s_mul_hi_u32 s5, s50, s10
	s_mul_i32 s4, s50, s10
	s_mul_hi_u32 s19, s51, s10
	s_wait_alu 0xfffe
	s_add_nc_u64 s[4:5], s[44:45], s[4:5]
	s_mul_i32 s10, s51, s10
	s_wait_alu 0xfffe
	s_add_co_u32 s4, s4, s11
	s_add_co_ci_u32 s44, s5, s13
	s_add_co_ci_u32 s11, s19, 0
	s_wait_alu 0xfffe
	s_add_nc_u64 s[4:5], s[44:45], s[10:11]
	s_wait_alu 0xfffe
	s_mul_u64 s[4:5], s[40:41], s[4:5]
	s_wait_alu 0xfffe
	s_sub_co_u32 s4, s50, s4
	s_cselect_b32 s10, -1, 0
	s_wait_alu 0xfffe
	s_cmp_lg_u32 s10, 0
	s_sub_co_ci_u32 s5, s51, s5
	s_sub_co_u32 s10, s4, s40
	s_cselect_b32 s11, -1, 0
	s_wait_alu 0xfffe
	s_cmp_lg_u32 s11, 0
	s_sub_co_ci_u32 s11, s5, 0
	;; [unrolled: 5-line block ×3, first 2 shown]
	s_cmp_ge_u32 s10, s40
	s_cselect_b32 s20, -1, 0
	s_cmp_eq_u32 s11, 0
	s_cselect_b32 s20, s20, -1
	s_delay_alu instid0(SALU_CYCLE_1)
	s_cmp_lg_u32 s20, 0
	s_wait_alu 0xfffe
	s_cselect_b32 s11, s19, s11
	s_cselect_b32 s10, s13, s10
	s_cmp_ge_u32 s4, s40
	s_cselect_b32 s13, -1, 0
	s_cmp_eq_u32 s5, 0
	s_wait_alu 0xfffe
	s_cselect_b32 s13, s13, -1
	s_wait_alu 0xfffe
	s_cmp_lg_u32 s13, 0
	s_cselect_b32 s5, s11, s5
	s_cselect_b32 s4, s10, s4
	s_cbranch_execnz .LBB124_107
.LBB124_106:                            ;   in Loop: Header=BB124_20 Depth=1
	v_cvt_f32_u32_e32 v6, s40
	s_sub_co_i32 s5, 0, s40
	s_delay_alu instid0(VALU_DEP_1) | instskip(NEXT) | instid1(TRANS32_DEP_1)
	v_rcp_iflag_f32_e32 v6, v6
	v_mul_f32_e32 v6, 0x4f7ffffe, v6
	s_delay_alu instid0(VALU_DEP_1) | instskip(NEXT) | instid1(VALU_DEP_1)
	v_cvt_u32_f32_e32 v6, v6
	v_readfirstlane_b32 s4, v6
	s_wait_alu 0xfffe
	s_mul_i32 s5, s5, s4
	s_wait_alu 0xfffe
	s_mul_hi_u32 s5, s4, s5
	s_wait_alu 0xfffe
	s_add_co_i32 s4, s4, s5
	s_wait_alu 0xfffe
	s_mul_hi_u32 s4, s50, s4
	s_wait_alu 0xfffe
	s_mul_i32 s4, s4, s40
	s_wait_alu 0xfffe
	s_sub_co_i32 s4, s50, s4
	s_wait_alu 0xfffe
	s_sub_co_i32 s5, s4, s40
	s_cmp_ge_u32 s4, s40
	s_wait_alu 0xfffe
	s_cselect_b32 s4, s5, s4
	s_wait_alu 0xfffe
	s_sub_co_i32 s5, s4, s40
	s_cmp_ge_u32 s4, s40
	s_wait_alu 0xfffe
	s_cselect_b32 s44, s5, s4
	s_wait_alu 0xfffe
	s_mov_b64 s[4:5], s[44:45]
.LBB124_107:                            ;   in Loop: Header=BB124_20 Depth=1
	s_wait_alu 0xfffe
	s_sub_nc_u64 s[10:11], s[50:51], s[4:5]
	s_mov_b32 s5, exec_lo
                                        ; implicit-def: $vgpr25
	s_wait_alu 0xfffe
	v_cmpx_gt_u64_e64 s[10:11], v[0:1]
	s_cbranch_execz .LBB124_117
; %bb.108:                              ;   in Loop: Header=BB124_20 Depth=1
	v_dual_mov_b32 v6, v10 :: v_dual_mov_b32 v7, v11
	v_dual_mov_b32 v9, v1 :: v_dual_mov_b32 v8, v0
	s_mov_b32 s13, 0
                                        ; implicit-def: $sgpr19
	s_branch .LBB124_112
.LBB124_109:                            ;   in Loop: Header=BB124_112 Depth=2
	s_wait_alu 0xfffe
	s_or_b32 exec_lo, exec_lo, s4
	s_wait_loadcnt_dscnt 0x0
	s_barrier_signal -1
	s_barrier_wait -1
	global_inv scope:SCOPE_SE
	ds_load_b64 v[24:25], v15 offset:3072
	s_wait_loadcnt_dscnt 0x0
	s_barrier_signal -1
	s_barrier_wait -1
	global_inv scope:SCOPE_SE
	v_cmp_neq_f32_e32 vcc_lo, 0, v24
	s_cbranch_vccnz .LBB124_115
; %bb.110:                              ;   in Loop: Header=BB124_112 Depth=2
	v_add_co_u32 v8, vcc_lo, v8, s40
	s_wait_alu 0xfffd
	v_add_co_ci_u32_e64 v9, null, 0, v9, vcc_lo
	v_add_co_u32 v6, s4, v6, s42
	s_wait_alu 0xf1ff
	v_add_co_ci_u32_e64 v7, null, s43, v7, s4
	s_delay_alu instid0(VALU_DEP_3)
	v_cmp_le_u64_e32 vcc_lo, s[10:11], v[8:9]
	s_mov_b32 s4, 0
	s_or_not1_b32 s20, vcc_lo, exec_lo
.LBB124_111:                            ;   in Loop: Header=BB124_112 Depth=2
	s_delay_alu instid0(SALU_CYCLE_1) | instskip(NEXT) | instid1(SALU_CYCLE_1)
	s_and_b32 s20, exec_lo, s20
	s_or_b32 s13, s20, s13
	s_and_not1_b32 s19, s19, exec_lo
	s_wait_alu 0xfffe
	s_and_b32 s4, s4, exec_lo
	s_wait_alu 0xfffe
	s_or_b32 s19, s19, s4
	s_and_not1_b32 exec_lo, exec_lo, s13
	s_cbranch_execz .LBB124_116
.LBB124_112:                            ;   Parent Loop BB124_20 Depth=1
                                        ; =>  This Inner Loop Header: Depth=2
	s_mov_b32 s4, exec_lo
	s_delay_alu instid0(VALU_DEP_1)
	v_cmpx_gt_u64_e64 s[24:25], v[8:9]
	s_cbranch_execz .LBB124_109
; %bb.113:                              ;   in Loop: Header=BB124_112 Depth=2
	global_load_b32 v24, v[6:7], off
	s_wait_loadcnt 0x0
	v_cmp_lt_i32_e32 vcc_lo, -1, v24
	s_wait_alu 0xfffd
	v_cndmask_b32_e64 v14, -1, 0x80000000, vcc_lo
	v_cmp_o_f32_e32 vcc_lo, v24, v24
	s_delay_alu instid0(VALU_DEP_2) | instskip(SKIP_1) | instid1(VALU_DEP_1)
	v_xor_b32_e32 v14, v14, v24
	s_wait_alu 0xfffd
	v_cndmask_b32_e32 v14, -1, v14, vcc_lo
	s_delay_alu instid0(VALU_DEP_1) | instskip(NEXT) | instid1(VALU_DEP_1)
	v_and_b32_e32 v14, v14, v42
	v_cmp_eq_u32_e32 vcc_lo, v14, v19
	s_and_b32 exec_lo, exec_lo, vcc_lo
	s_cbranch_execz .LBB124_109
; %bb.114:                              ;   in Loop: Header=BB124_112 Depth=2
	ds_store_b64 v15, v[23:24] offset:3072
	s_branch .LBB124_109
.LBB124_115:                            ;   in Loop: Header=BB124_112 Depth=2
	s_mov_b32 s20, -1
	s_mov_b32 s4, -1
                                        ; implicit-def: $vgpr8_vgpr9
                                        ; implicit-def: $vgpr6_vgpr7
	s_branch .LBB124_111
.LBB124_116:                            ;   in Loop: Header=BB124_20 Depth=1
	s_or_b32 exec_lo, exec_lo, s13
	s_delay_alu instid0(SALU_CYCLE_1)
	s_and_not1_b32 s4, s12, exec_lo
	s_wait_alu 0xfffe
	s_and_b32 s10, s19, exec_lo
	s_wait_alu 0xfffe
	s_or_b32 s12, s4, s10
.LBB124_117:                            ;   in Loop: Header=BB124_20 Depth=1
	s_or_b32 exec_lo, exec_lo, s5
	s_mov_b32 s19, 0
	s_mov_b32 s20, -1
.LBB124_118:                            ;   in Loop: Header=BB124_20 Depth=1
	s_wait_alu 0xfffe
	s_or_not1_b32 s4, s12, exec_lo
.LBB124_119:                            ;   in Loop: Header=BB124_20 Depth=1
	s_wait_alu 0xfffe
	s_or_b32 exec_lo, exec_lo, s15
	s_delay_alu instid0(SALU_CYCLE_1)
	s_and_not1_b32 s5, s87, exec_lo
	s_and_b32 s10, s20, exec_lo
	s_and_not1_b32 s11, s85, exec_lo
	s_and_b32 s12, s19, exec_lo
	s_and_not1_b32 s84, s84, exec_lo
	s_wait_alu 0xfffe
	s_or_b32 s87, s5, s10
	s_or_b32 s85, s11, s12
                                        ; implicit-def: $vgpr6_vgpr7
	s_and_saveexec_b32 s15, s4
	s_cbranch_execz .LBB124_19
; %bb.120:                              ;   in Loop: Header=BB124_20 Depth=1
	v_mov_b32_e32 v6, 1
	v_dual_mov_b32 v7, 0 :: v_dual_mov_b32 v14, 1
	s_xor_b32 s10, s17, -1
	s_mov_b32 s5, 0
	s_wait_alu 0xfffe
	s_and_saveexec_b32 s4, s10
	s_cbranch_execz .LBB124_129
; %bb.121:                              ;   in Loop: Header=BB124_20 Depth=1
	s_mov_b32 s5, exec_lo
	v_cmpx_le_u64_e64 v[26:27], v[2:3]
	s_wait_alu 0xfffe
	s_xor_b32 s5, exec_lo, s5
	s_cbranch_execz .LBB124_126
; %bb.122:                              ;   in Loop: Header=BB124_20 Depth=1
	ds_load_b64 v[6:7], v15 offset:5120
	v_and_b32_e32 v19, s18, v19
	v_or_b32_e32 v42, s14, v42
	s_wait_dscnt 0x0
	v_cmp_ne_u64_e32 vcc_lo, 0, v[6:7]
	s_cbranch_vccnz .LBB124_126
; %bb.123:                              ;   in Loop: Header=BB124_20 Depth=1
	s_and_saveexec_b32 s10, s3
; %bb.124:                              ;   in Loop: Header=BB124_20 Depth=1
	ds_store_b64 v15, v[2:3] offset:5128
; %bb.125:                              ;   in Loop: Header=BB124_20 Depth=1
	s_wait_alu 0xfffe
	s_or_b32 exec_lo, exec_lo, s10
	s_wait_loadcnt_dscnt 0x0
	s_barrier_signal -1
	s_barrier_wait -1
	global_inv scope:SCOPE_SE
.LBB124_126:                            ;   in Loop: Header=BB124_20 Depth=1
	s_wait_alu 0xfffe
	s_or_saveexec_b32 s5, s5
	v_mov_b32_e32 v14, 8
	s_mov_b32 s10, 0
	s_wait_alu 0xfffe
	s_xor_b32 exec_lo, exec_lo, s5
; %bb.127:                              ;   in Loop: Header=BB124_20 Depth=1
	v_sub_co_u32 v26, vcc_lo, v26, v2
	s_wait_alu 0xfffd
	v_sub_co_ci_u32_e64 v27, null, v27, v3, vcc_lo
	v_mov_b32_e32 v14, 0
	s_mov_b32 s10, exec_lo
; %bb.128:                              ;   in Loop: Header=BB124_20 Depth=1
	s_or_b32 exec_lo, exec_lo, s5
	s_delay_alu instid0(VALU_DEP_2)
	v_dual_mov_b32 v6, v26 :: v_dual_mov_b32 v7, v27
	s_wait_alu 0xfffe
	s_and_b32 s5, s10, exec_lo
.LBB124_129:                            ;   in Loop: Header=BB124_20 Depth=1
	s_wait_alu 0xfffe
	s_or_b32 exec_lo, exec_lo, s4
	s_mov_b32 s16, -1
	s_mov_b32 s4, -1
                                        ; implicit-def: $sgpr19
                                        ; implicit-def: $sgpr20
	s_and_saveexec_b32 s10, s5
	s_wait_alu 0xfffe
	s_xor_b32 s17, exec_lo, s10
	s_cbranch_execz .LBB124_280
; %bb.130:                              ;   in Loop: Header=BB124_20 Depth=1
	v_cmp_eq_u64_e32 vcc_lo, 1, v[4:5]
	v_cmp_eq_u64_e64 s4, 1, v[6:7]
                                        ; implicit-def: $sgpr20
                                        ; implicit-def: $sgpr19
	s_and_b32 s22, vcc_lo, s4
	s_mov_b32 s4, -1
	s_and_saveexec_b32 s21, s22
	s_cbranch_execz .LBB124_169
; %bb.131:                              ;   in Loop: Header=BB124_20 Depth=1
	ds_load_b64 v[2:3], v15 offset:5120
	s_wait_loadcnt_dscnt 0x0
	s_barrier_signal -1
	s_barrier_wait -1
	global_inv scope:SCOPE_SE
	v_readfirstlane_b32 s4, v2
	v_readfirstlane_b32 s5, v3
	s_and_saveexec_b32 s10, s0
; %bb.132:                              ;   in Loop: Header=BB124_20 Depth=1
	ds_store_b32 v33, v15
; %bb.133:                              ;   in Loop: Header=BB124_20 Depth=1
	s_wait_alu 0xfffe
	s_or_b32 exec_lo, exec_lo, s10
	s_lshl_b32 s10, 1, s79
	v_or_b32_e32 v42, s14, v42
	s_wait_alu 0xfffe
	v_and_or_b32 v19, v19, s18, s10
	s_mov_b32 s19, -1
	s_mov_b32 s20, 0
	s_cmp_eq_u64 s[4:5], 0
	s_mov_b32 s12, 0
	s_mov_b32 s13, -1
	s_wait_loadcnt_dscnt 0x0
	s_barrier_signal -1
	s_barrier_wait -1
	global_inv scope:SCOPE_SE
                                        ; implicit-def: $vgpr25
	s_cbranch_scc1 .LBB124_153
; %bb.134:                              ;   in Loop: Header=BB124_20 Depth=1
	s_add_nc_u64 s[10:11], s[4:5], s[48:49]
	s_mov_b32 s12, s45
	s_wait_alu 0xfffe
	s_mov_b32 s13, s11
	s_wait_alu 0xfffe
	s_cmp_lg_u64 s[12:13], 0
	s_cbranch_scc0 .LBB124_197
; %bb.135:                              ;   in Loop: Header=BB124_20 Depth=1
	s_cvt_f32_u32 s12, s40
	s_sub_nc_u64 s[58:59], 0, s[40:41]
	s_wait_alu 0xfffe
	s_delay_alu instid0(SALU_CYCLE_1) | instskip(SKIP_1) | instid1(SALU_CYCLE_2)
	s_fmamk_f32 s12, s81, 0x0, s12
	s_wait_alu 0xfffe
	v_s_rcp_f32 s12, s12
	s_delay_alu instid0(TRANS32_DEP_1) | instskip(SKIP_1) | instid1(SALU_CYCLE_2)
	s_mul_f32 s12, s12, 0x5f7ffffc
	s_wait_alu 0xfffe
	s_mul_f32 s13, s12, 0x2f800000
	s_wait_alu 0xfffe
	s_delay_alu instid0(SALU_CYCLE_2) | instskip(SKIP_1) | instid1(SALU_CYCLE_2)
	s_trunc_f32 s13, s13
	s_wait_alu 0xfffe
	s_fmamk_f32 s12, s13, 0xcf800000, s12
	s_cvt_u32_f32 s13, s13
	s_wait_alu 0xfffe
	s_delay_alu instid0(SALU_CYCLE_1) | instskip(SKIP_1) | instid1(SALU_CYCLE_2)
	s_cvt_u32_f32 s12, s12
	s_wait_alu 0xfffe
	s_mul_u64 s[60:61], s[58:59], s[12:13]
	s_wait_alu 0xfffe
	s_mul_hi_u32 s63, s12, s61
	s_mul_i32 s62, s12, s61
	s_mul_hi_u32 s44, s12, s60
	s_mul_i32 s64, s13, s60
	s_wait_alu 0xfffe
	s_add_nc_u64 s[62:63], s[44:45], s[62:63]
	s_mul_hi_u32 s23, s13, s60
	s_mul_hi_u32 s65, s13, s61
	s_wait_alu 0xfffe
	s_add_co_u32 s44, s62, s64
	s_add_co_ci_u32 s44, s63, s23
	s_mul_i32 s60, s13, s61
	s_add_co_ci_u32 s61, s65, 0
	s_wait_alu 0xfffe
	s_add_nc_u64 s[60:61], s[44:45], s[60:61]
	s_wait_alu 0xfffe
	s_add_co_u32 s12, s12, s60
	s_cselect_b32 s23, -1, 0
	s_delay_alu instid0(SALU_CYCLE_1)
	s_cmp_lg_u32 s23, 0
	s_add_co_ci_u32 s13, s13, s61
	s_wait_alu 0xfffe
	s_mul_u64 s[58:59], s[58:59], s[12:13]
	s_wait_alu 0xfffe
	s_mul_hi_u32 s61, s12, s59
	s_mul_i32 s60, s12, s59
	s_mul_hi_u32 s44, s12, s58
	s_mul_i32 s62, s13, s58
	s_wait_alu 0xfffe
	s_add_nc_u64 s[60:61], s[44:45], s[60:61]
	s_mul_hi_u32 s23, s13, s58
	s_mul_hi_u32 s63, s13, s59
	s_wait_alu 0xfffe
	s_add_co_u32 s44, s60, s62
	s_add_co_ci_u32 s44, s61, s23
	s_mul_i32 s58, s13, s59
	s_add_co_ci_u32 s59, s63, 0
	s_wait_alu 0xfffe
	s_add_nc_u64 s[58:59], s[44:45], s[58:59]
	s_wait_alu 0xfffe
	s_add_co_u32 s12, s12, s58
	s_cselect_b32 s23, -1, 0
	s_wait_alu 0xfffe
	s_mul_hi_u32 s44, s10, s12
	s_cmp_lg_u32 s23, 0
	s_mul_hi_u32 s23, s11, s12
	s_add_co_ci_u32 s58, s13, s59
	s_mul_i32 s59, s11, s12
	s_wait_alu 0xfffe
	s_mul_hi_u32 s13, s10, s58
	s_mul_i32 s12, s10, s58
	s_mul_hi_u32 s60, s11, s58
	s_wait_alu 0xfffe
	s_add_nc_u64 s[12:13], s[44:45], s[12:13]
	s_mul_i32 s58, s11, s58
	s_wait_alu 0xfffe
	s_add_co_u32 s12, s12, s59
	s_add_co_ci_u32 s44, s13, s23
	s_add_co_ci_u32 s59, s60, 0
	s_wait_alu 0xfffe
	s_add_nc_u64 s[12:13], s[44:45], s[58:59]
	s_wait_alu 0xfffe
	s_mul_u64 s[12:13], s[40:41], s[12:13]
	s_wait_alu 0xfffe
	s_sub_co_u32 s12, s10, s12
	s_cselect_b32 s23, -1, 0
	s_delay_alu instid0(SALU_CYCLE_1)
	s_cmp_lg_u32 s23, 0
	s_sub_co_ci_u32 s13, s11, s13
	s_wait_alu 0xfffe
	s_sub_co_u32 s23, s12, s40
	s_cselect_b32 s44, -1, 0
	s_wait_alu 0xfffe
	s_cmp_lg_u32 s44, 0
	s_sub_co_ci_u32 s44, s13, 0
	s_sub_co_u32 s58, s23, s40
	s_cselect_b32 s59, -1, 0
	s_wait_alu 0xfffe
	s_cmp_lg_u32 s59, 0
	s_sub_co_ci_u32 s59, s44, 0
	s_cmp_ge_u32 s23, s40
	s_cselect_b32 s60, -1, 0
	s_cmp_eq_u32 s44, 0
	s_wait_alu 0xfffe
	s_cselect_b32 s60, s60, -1
	s_wait_alu 0xfffe
	s_cmp_lg_u32 s60, 0
	s_cselect_b32 s44, s59, s44
	s_cselect_b32 s23, s58, s23
	s_cmp_ge_u32 s12, s40
	s_cselect_b32 s58, -1, 0
	s_cmp_eq_u32 s13, 0
	s_wait_alu 0xfffe
	s_cselect_b32 s58, s58, -1
	s_wait_alu 0xfffe
	s_cmp_lg_u32 s58, 0
	s_cselect_b32 s13, s44, s13
	s_cselect_b32 s12, s23, s12
	s_cbranch_execnz .LBB124_137
.LBB124_136:                            ;   in Loop: Header=BB124_20 Depth=1
	v_cvt_f32_u32_e32 v2, s40
	s_sub_co_i32 s13, 0, s40
	s_delay_alu instid0(VALU_DEP_1) | instskip(NEXT) | instid1(TRANS32_DEP_1)
	v_rcp_iflag_f32_e32 v2, v2
	v_mul_f32_e32 v2, 0x4f7ffffe, v2
	s_delay_alu instid0(VALU_DEP_1) | instskip(NEXT) | instid1(VALU_DEP_1)
	v_cvt_u32_f32_e32 v2, v2
	v_readfirstlane_b32 s12, v2
	s_wait_alu 0xfffe
	s_mul_i32 s13, s13, s12
	s_wait_alu 0xfffe
	s_mul_hi_u32 s13, s12, s13
	s_wait_alu 0xfffe
	s_add_co_i32 s12, s12, s13
	s_wait_alu 0xfffe
	s_mul_hi_u32 s12, s10, s12
	s_wait_alu 0xfffe
	s_mul_i32 s12, s12, s40
	s_wait_alu 0xfffe
	s_sub_co_i32 s12, s10, s12
	s_wait_alu 0xfffe
	s_sub_co_i32 s13, s12, s40
	s_cmp_ge_u32 s12, s40
	s_wait_alu 0xfffe
	s_cselect_b32 s12, s13, s12
	s_wait_alu 0xfffe
	s_sub_co_i32 s13, s12, s40
	s_cmp_ge_u32 s12, s40
	s_wait_alu 0xfffe
	s_cselect_b32 s44, s13, s12
	s_wait_alu 0xfffe
	s_mov_b64 s[12:13], s[44:45]
.LBB124_137:                            ;   in Loop: Header=BB124_20 Depth=1
	s_wait_alu 0xfffe
	s_sub_nc_u64 s[10:11], s[10:11], s[12:13]
	s_mov_b32 s13, 0
	s_mov_b32 s12, 0
	s_mov_b32 s23, exec_lo
                                        ; implicit-def: $vgpr25
	s_wait_alu 0xfffe
	v_cmpx_gt_u64_e64 s[10:11], v[0:1]
	s_cbranch_execz .LBB124_152
; %bb.138:                              ;   in Loop: Header=BB124_20 Depth=1
	v_dual_mov_b32 v8, v12 :: v_dual_mov_b32 v3, v1
	v_mov_b32_e32 v2, v0
                                        ; implicit-def: $sgpr44
	s_branch .LBB124_142
.LBB124_139:                            ;   in Loop: Header=BB124_142 Depth=2
	s_wait_alu 0xfffe
	s_or_b32 exec_lo, exec_lo, s58
	s_wait_loadcnt_dscnt 0x0
	s_barrier_signal -1
	s_barrier_wait -1
	global_inv scope:SCOPE_SE
	ds_load_b64 v[24:25], v15 offset:3072
	s_wait_loadcnt_dscnt 0x0
	s_barrier_signal -1
	s_barrier_wait -1
	global_inv scope:SCOPE_SE
	v_cmp_neq_f32_e32 vcc_lo, 0, v24
	s_cbranch_vccnz .LBB124_145
; %bb.140:                              ;   in Loop: Header=BB124_142 Depth=2
	v_add_co_u32 v2, vcc_lo, v2, s40
	s_wait_alu 0xfffd
	v_add_co_ci_u32_e64 v3, null, 0, v3, vcc_lo
	v_add_nc_u32_e32 v8, s78, v8
	s_mov_b32 s58, 0
	s_delay_alu instid0(VALU_DEP_2)
	v_cmp_le_u64_e32 vcc_lo, s[10:11], v[2:3]
	s_or_not1_b32 s59, vcc_lo, exec_lo
.LBB124_141:                            ;   in Loop: Header=BB124_142 Depth=2
	s_wait_alu 0xfffe
	s_and_b32 s59, exec_lo, s59
	s_wait_alu 0xfffe
	s_or_b32 s12, s59, s12
	s_and_not1_b32 s44, s44, exec_lo
	s_and_b32 s58, s58, exec_lo
	s_wait_alu 0xfffe
	s_or_b32 s44, s44, s58
	s_and_not1_b32 exec_lo, exec_lo, s12
	s_cbranch_execz .LBB124_151
.LBB124_142:                            ;   Parent Loop BB124_20 Depth=1
                                        ; =>  This Inner Loop Header: Depth=2
	s_mov_b32 s58, exec_lo
	s_delay_alu instid0(VALU_DEP_1)
	v_cmpx_gt_u64_e64 s[4:5], v[2:3]
	s_cbranch_execz .LBB124_139
; %bb.143:                              ;   in Loop: Header=BB124_142 Depth=2
	ds_load_b32 v24, v8
	s_wait_dscnt 0x0
	v_cmp_lt_i32_e32 vcc_lo, -1, v24
	s_wait_alu 0xfffd
	v_cndmask_b32_e64 v9, -1, 0x80000000, vcc_lo
	v_cmp_o_f32_e32 vcc_lo, v24, v24
	s_delay_alu instid0(VALU_DEP_2) | instskip(SKIP_1) | instid1(VALU_DEP_1)
	v_xor_b32_e32 v9, v9, v24
	s_wait_alu 0xfffd
	v_cndmask_b32_e32 v9, -1, v9, vcc_lo
	s_delay_alu instid0(VALU_DEP_1) | instskip(NEXT) | instid1(VALU_DEP_1)
	v_and_b32_e32 v9, v9, v42
	v_cmp_eq_u32_e32 vcc_lo, v9, v19
	s_and_b32 exec_lo, exec_lo, vcc_lo
	s_cbranch_execz .LBB124_139
; %bb.144:                              ;   in Loop: Header=BB124_142 Depth=2
	ds_store_b64 v15, v[23:24] offset:3072
	s_branch .LBB124_139
.LBB124_145:                            ;   in Loop: Header=BB124_142 Depth=2
	s_mov_b32 s59, -1
	s_mov_b32 s58, -1
                                        ; implicit-def: $vgpr2_vgpr3
                                        ; implicit-def: $vgpr8
	s_branch .LBB124_141
.LBB124_146:                            ;   in Loop: Header=BB124_20 Depth=1
                                        ; implicit-def: $sgpr12_sgpr13
	s_branch .LBB124_91
.LBB124_147:                            ;   in Loop: Header=BB124_20 Depth=1
	s_wait_alu 0xfffe
	s_or_b32 exec_lo, exec_lo, s7
	s_wait_loadcnt_dscnt 0x0
	s_barrier_signal -1
	s_barrier_wait -1
	global_inv scope:SCOPE_SE
	s_and_saveexec_b32 s4, s3
	s_cbranch_execz .LBB124_149
; %bb.148:                              ;   in Loop: Header=BB124_20 Depth=1
	ds_load_b32 v2, v15 offset:5144
	s_wait_dscnt 0x0
	v_ashrrev_i32_e32 v3, 31, v2
	ds_store_b64 v15, v[2:3] offset:5120
.LBB124_149:                            ;   in Loop: Header=BB124_20 Depth=1
	s_wait_alu 0xfffe
	s_or_b32 exec_lo, exec_lo, s4
	s_wait_loadcnt_dscnt 0x0
	s_barrier_signal -1
	s_mov_b32 s4, -1
	s_barrier_wait -1
	s_and_b32 vcc_lo, exec_lo, s6
	s_wait_alu 0xfffe
	s_cbranch_vccnz .LBB124_36
	s_branch .LBB124_45
.LBB124_150:                            ;   in Loop: Header=BB124_20 Depth=1
                                        ; implicit-def: $sgpr4_sgpr5
	s_branch .LBB124_106
.LBB124_151:                            ;   in Loop: Header=BB124_20 Depth=1
	s_or_b32 exec_lo, exec_lo, s12
	s_wait_alu 0xfffe
	s_and_b32 s12, s44, exec_lo
.LBB124_152:                            ;   in Loop: Header=BB124_20 Depth=1
	s_or_b32 exec_lo, exec_lo, s23
.LBB124_153:                            ;   in Loop: Header=BB124_20 Depth=1
	s_wait_alu 0xfffe
	s_and_b32 vcc_lo, exec_lo, s13
	s_wait_alu 0xfffe
	s_cbranch_vccz .LBB124_168
; %bb.154:                              ;   in Loop: Header=BB124_20 Depth=1
	s_mov_b32 s4, s45
	s_mov_b32 s5, s51
	s_wait_alu 0xfffe
	s_cmp_lg_u64 s[4:5], 0
	s_cbranch_scc0 .LBB124_198
; %bb.155:                              ;   in Loop: Header=BB124_20 Depth=1
	s_cvt_f32_u32 s4, s40
	s_sub_nc_u64 s[10:11], 0, s[40:41]
	s_wait_alu 0xfffe
	s_delay_alu instid0(SALU_CYCLE_1) | instskip(SKIP_1) | instid1(SALU_CYCLE_2)
	s_fmamk_f32 s4, s81, 0x0, s4
	s_wait_alu 0xfffe
	v_s_rcp_f32 s4, s4
	s_delay_alu instid0(TRANS32_DEP_1) | instskip(SKIP_1) | instid1(SALU_CYCLE_2)
	s_mul_f32 s4, s4, 0x5f7ffffc
	s_wait_alu 0xfffe
	s_mul_f32 s5, s4, 0x2f800000
	s_wait_alu 0xfffe
	s_delay_alu instid0(SALU_CYCLE_2) | instskip(SKIP_1) | instid1(SALU_CYCLE_2)
	s_trunc_f32 s5, s5
	s_wait_alu 0xfffe
	s_fmamk_f32 s4, s5, 0xcf800000, s4
	s_cvt_u32_f32 s5, s5
	s_wait_alu 0xfffe
	s_delay_alu instid0(SALU_CYCLE_1) | instskip(SKIP_1) | instid1(SALU_CYCLE_2)
	s_cvt_u32_f32 s4, s4
	s_wait_alu 0xfffe
	s_mul_u64 s[58:59], s[10:11], s[4:5]
	s_wait_alu 0xfffe
	s_mul_hi_u32 s61, s4, s59
	s_mul_i32 s60, s4, s59
	s_mul_hi_u32 s44, s4, s58
	s_mul_i32 s19, s5, s58
	s_wait_alu 0xfffe
	s_add_nc_u64 s[60:61], s[44:45], s[60:61]
	s_mul_hi_u32 s13, s5, s58
	s_mul_hi_u32 s20, s5, s59
	s_wait_alu 0xfffe
	s_add_co_u32 s19, s60, s19
	s_add_co_ci_u32 s44, s61, s13
	s_mul_i32 s58, s5, s59
	s_add_co_ci_u32 s59, s20, 0
	s_wait_alu 0xfffe
	s_add_nc_u64 s[58:59], s[44:45], s[58:59]
	s_wait_alu 0xfffe
	s_add_co_u32 s4, s4, s58
	s_cselect_b32 s13, -1, 0
	s_wait_alu 0xfffe
	s_cmp_lg_u32 s13, 0
	s_add_co_ci_u32 s5, s5, s59
	s_wait_alu 0xfffe
	s_mul_u64 s[10:11], s[10:11], s[4:5]
	s_wait_alu 0xfffe
	s_mul_hi_u32 s59, s4, s11
	s_mul_i32 s58, s4, s11
	s_mul_hi_u32 s44, s4, s10
	s_mul_i32 s19, s5, s10
	s_wait_alu 0xfffe
	s_add_nc_u64 s[58:59], s[44:45], s[58:59]
	s_mul_hi_u32 s13, s5, s10
	s_mul_hi_u32 s20, s5, s11
	s_mul_i32 s10, s5, s11
	s_wait_alu 0xfffe
	s_add_co_u32 s11, s58, s19
	s_add_co_ci_u32 s44, s59, s13
	s_add_co_ci_u32 s11, s20, 0
	s_wait_alu 0xfffe
	s_add_nc_u64 s[10:11], s[44:45], s[10:11]
	s_wait_alu 0xfffe
	s_add_co_u32 s4, s4, s10
	s_cselect_b32 s10, -1, 0
	s_wait_alu 0xfffe
	s_mul_hi_u32 s44, s50, s4
	s_cmp_lg_u32 s10, 0
	s_mul_hi_u32 s13, s51, s4
	s_add_co_ci_u32 s10, s5, s11
	s_mul_i32 s11, s51, s4
	s_wait_alu 0xfffe
	s_mul_hi_u32 s5, s50, s10
	s_mul_i32 s4, s50, s10
	s_mul_hi_u32 s19, s51, s10
	s_wait_alu 0xfffe
	s_add_nc_u64 s[4:5], s[44:45], s[4:5]
	s_mul_i32 s10, s51, s10
	s_wait_alu 0xfffe
	s_add_co_u32 s4, s4, s11
	s_add_co_ci_u32 s44, s5, s13
	s_add_co_ci_u32 s11, s19, 0
	s_wait_alu 0xfffe
	s_add_nc_u64 s[4:5], s[44:45], s[10:11]
	s_wait_alu 0xfffe
	s_mul_u64 s[4:5], s[40:41], s[4:5]
	s_wait_alu 0xfffe
	s_sub_co_u32 s4, s50, s4
	s_cselect_b32 s10, -1, 0
	s_wait_alu 0xfffe
	s_cmp_lg_u32 s10, 0
	s_sub_co_ci_u32 s5, s51, s5
	s_sub_co_u32 s10, s4, s40
	s_cselect_b32 s11, -1, 0
	s_wait_alu 0xfffe
	s_cmp_lg_u32 s11, 0
	s_sub_co_ci_u32 s11, s5, 0
	;; [unrolled: 5-line block ×3, first 2 shown]
	s_cmp_ge_u32 s10, s40
	s_cselect_b32 s20, -1, 0
	s_cmp_eq_u32 s11, 0
	s_cselect_b32 s20, s20, -1
	s_delay_alu instid0(SALU_CYCLE_1)
	s_cmp_lg_u32 s20, 0
	s_wait_alu 0xfffe
	s_cselect_b32 s11, s19, s11
	s_cselect_b32 s10, s13, s10
	s_cmp_ge_u32 s4, s40
	s_cselect_b32 s13, -1, 0
	s_cmp_eq_u32 s5, 0
	s_wait_alu 0xfffe
	s_cselect_b32 s13, s13, -1
	s_wait_alu 0xfffe
	s_cmp_lg_u32 s13, 0
	s_cselect_b32 s5, s11, s5
	s_cselect_b32 s4, s10, s4
	s_cbranch_execnz .LBB124_157
.LBB124_156:                            ;   in Loop: Header=BB124_20 Depth=1
	v_cvt_f32_u32_e32 v2, s40
	s_sub_co_i32 s5, 0, s40
	s_delay_alu instid0(VALU_DEP_1) | instskip(NEXT) | instid1(TRANS32_DEP_1)
	v_rcp_iflag_f32_e32 v2, v2
	v_mul_f32_e32 v2, 0x4f7ffffe, v2
	s_delay_alu instid0(VALU_DEP_1) | instskip(NEXT) | instid1(VALU_DEP_1)
	v_cvt_u32_f32_e32 v2, v2
	v_readfirstlane_b32 s4, v2
	s_wait_alu 0xfffe
	s_mul_i32 s5, s5, s4
	s_wait_alu 0xfffe
	s_mul_hi_u32 s5, s4, s5
	s_wait_alu 0xfffe
	s_add_co_i32 s4, s4, s5
	s_wait_alu 0xfffe
	s_mul_hi_u32 s4, s50, s4
	s_wait_alu 0xfffe
	s_mul_i32 s4, s4, s40
	s_wait_alu 0xfffe
	s_sub_co_i32 s4, s50, s4
	s_wait_alu 0xfffe
	s_sub_co_i32 s5, s4, s40
	s_cmp_ge_u32 s4, s40
	s_wait_alu 0xfffe
	s_cselect_b32 s4, s5, s4
	s_wait_alu 0xfffe
	s_sub_co_i32 s5, s4, s40
	s_cmp_ge_u32 s4, s40
	s_wait_alu 0xfffe
	s_cselect_b32 s44, s5, s4
	s_wait_alu 0xfffe
	s_mov_b64 s[4:5], s[44:45]
.LBB124_157:                            ;   in Loop: Header=BB124_20 Depth=1
	s_wait_alu 0xfffe
	s_sub_nc_u64 s[10:11], s[50:51], s[4:5]
	s_mov_b32 s5, exec_lo
                                        ; implicit-def: $vgpr25
	s_wait_alu 0xfffe
	v_cmpx_gt_u64_e64 s[10:11], v[0:1]
	s_cbranch_execz .LBB124_167
; %bb.158:                              ;   in Loop: Header=BB124_20 Depth=1
	v_dual_mov_b32 v2, v10 :: v_dual_mov_b32 v3, v11
	v_dual_mov_b32 v9, v1 :: v_dual_mov_b32 v8, v0
	s_mov_b32 s13, 0
                                        ; implicit-def: $sgpr19
	s_branch .LBB124_162
.LBB124_159:                            ;   in Loop: Header=BB124_162 Depth=2
	s_wait_alu 0xfffe
	s_or_b32 exec_lo, exec_lo, s4
	s_wait_loadcnt_dscnt 0x0
	s_barrier_signal -1
	s_barrier_wait -1
	global_inv scope:SCOPE_SE
	ds_load_b64 v[24:25], v15 offset:3072
	s_wait_loadcnt_dscnt 0x0
	s_barrier_signal -1
	s_barrier_wait -1
	global_inv scope:SCOPE_SE
	v_cmp_eq_f32_e32 vcc_lo, 0, v24
	s_cbranch_vccz .LBB124_165
; %bb.160:                              ;   in Loop: Header=BB124_162 Depth=2
	v_add_co_u32 v8, vcc_lo, v8, s40
	s_wait_alu 0xfffd
	v_add_co_ci_u32_e64 v9, null, 0, v9, vcc_lo
	v_add_co_u32 v2, s4, v2, s42
	s_wait_alu 0xf1ff
	v_add_co_ci_u32_e64 v3, null, s43, v3, s4
	s_delay_alu instid0(VALU_DEP_3)
	v_cmp_le_u64_e32 vcc_lo, s[10:11], v[8:9]
	s_mov_b32 s4, 0
	s_or_not1_b32 s20, vcc_lo, exec_lo
.LBB124_161:                            ;   in Loop: Header=BB124_162 Depth=2
	s_delay_alu instid0(SALU_CYCLE_1) | instskip(NEXT) | instid1(SALU_CYCLE_1)
	s_and_b32 s20, exec_lo, s20
	s_or_b32 s13, s20, s13
	s_and_not1_b32 s19, s19, exec_lo
	s_wait_alu 0xfffe
	s_and_b32 s4, s4, exec_lo
	s_wait_alu 0xfffe
	s_or_b32 s19, s19, s4
	s_and_not1_b32 exec_lo, exec_lo, s13
	s_cbranch_execz .LBB124_166
.LBB124_162:                            ;   Parent Loop BB124_20 Depth=1
                                        ; =>  This Inner Loop Header: Depth=2
	s_mov_b32 s4, exec_lo
	s_delay_alu instid0(VALU_DEP_1)
	v_cmpx_gt_u64_e64 s[24:25], v[8:9]
	s_cbranch_execz .LBB124_159
; %bb.163:                              ;   in Loop: Header=BB124_162 Depth=2
	global_load_b32 v24, v[2:3], off
	s_wait_loadcnt 0x0
	v_cmp_lt_i32_e32 vcc_lo, -1, v24
	s_wait_alu 0xfffd
	v_cndmask_b32_e64 v25, -1, 0x80000000, vcc_lo
	v_cmp_o_f32_e32 vcc_lo, v24, v24
	s_delay_alu instid0(VALU_DEP_2) | instskip(SKIP_1) | instid1(VALU_DEP_1)
	v_xor_b32_e32 v25, v25, v24
	s_wait_alu 0xfffd
	v_cndmask_b32_e32 v25, -1, v25, vcc_lo
	s_delay_alu instid0(VALU_DEP_1) | instskip(NEXT) | instid1(VALU_DEP_1)
	v_and_b32_e32 v25, v25, v42
	v_cmp_eq_u32_e32 vcc_lo, v25, v19
	s_and_b32 exec_lo, exec_lo, vcc_lo
	s_cbranch_execz .LBB124_159
; %bb.164:                              ;   in Loop: Header=BB124_162 Depth=2
	ds_store_b64 v15, v[23:24] offset:3072
	s_branch .LBB124_159
.LBB124_165:                            ;   in Loop: Header=BB124_162 Depth=2
	s_mov_b32 s20, -1
	s_mov_b32 s4, -1
                                        ; implicit-def: $vgpr8_vgpr9
                                        ; implicit-def: $vgpr2_vgpr3
	s_branch .LBB124_161
.LBB124_166:                            ;   in Loop: Header=BB124_20 Depth=1
	s_or_b32 exec_lo, exec_lo, s13
	s_delay_alu instid0(SALU_CYCLE_1)
	s_and_not1_b32 s4, s12, exec_lo
	s_wait_alu 0xfffe
	s_and_b32 s10, s19, exec_lo
	s_wait_alu 0xfffe
	s_or_b32 s12, s4, s10
.LBB124_167:                            ;   in Loop: Header=BB124_20 Depth=1
	s_or_b32 exec_lo, exec_lo, s5
	s_mov_b32 s19, 0
	s_mov_b32 s20, -1
.LBB124_168:                            ;   in Loop: Header=BB124_20 Depth=1
	s_wait_alu 0xfffe
	s_or_not1_b32 s4, s12, exec_lo
.LBB124_169:                            ;   in Loop: Header=BB124_20 Depth=1
	s_or_b32 exec_lo, exec_lo, s21
	s_mov_b32 s5, 0
	s_wait_alu 0xfffe
	s_and_saveexec_b32 s21, s4
	s_cbranch_execz .LBB124_279
; %bb.170:                              ;   in Loop: Header=BB124_20 Depth=1
	v_mov_b32_e32 v2, 1
	v_dual_mov_b32 v3, 0 :: v_dual_mov_b32 v14, 1
	s_xor_b32 s10, s22, -1
	s_wait_alu 0xfffe
	s_and_saveexec_b32 s4, s10
	s_cbranch_execz .LBB124_180
; %bb.171:                              ;   in Loop: Header=BB124_20 Depth=1
	s_mov_b32 s5, exec_lo
	v_cmpx_le_u64_e64 v[6:7], v[4:5]
	s_wait_alu 0xfffe
	s_xor_b32 s5, exec_lo, s5
	s_cbranch_execz .LBB124_177
; %bb.172:                              ;   in Loop: Header=BB124_20 Depth=1
	ds_load_b64 v[2:3], v15 offset:5120
	s_lshl_b32 s10, 1, s79
	v_or_b32_e32 v42, s14, v42
	s_wait_alu 0xfffe
	v_and_or_b32 v19, v19, s18, s10
	s_wait_dscnt 0x0
	v_cmp_ne_u64_e32 vcc_lo, 0, v[2:3]
	s_cbranch_vccnz .LBB124_176
; %bb.173:                              ;   in Loop: Header=BB124_20 Depth=1
	s_and_saveexec_b32 s10, s3
; %bb.174:                              ;   in Loop: Header=BB124_20 Depth=1
	ds_store_b64 v15, v[4:5] offset:5128
; %bb.175:                              ;   in Loop: Header=BB124_20 Depth=1
	s_wait_alu 0xfffe
	s_or_b32 exec_lo, exec_lo, s10
	s_wait_loadcnt_dscnt 0x0
	s_barrier_signal -1
	s_barrier_wait -1
	global_inv scope:SCOPE_SE
.LBB124_176:                            ;   in Loop: Header=BB124_20 Depth=1
                                        ; implicit-def: $vgpr2_vgpr3_vgpr4_vgpr5
.LBB124_177:                            ;   in Loop: Header=BB124_20 Depth=1
	s_wait_alu 0xfffe
	s_or_saveexec_b32 s5, s5
	v_mov_b32_e32 v14, 8
	s_mov_b32 s10, 0
	s_wait_alu 0xfffe
	s_xor_b32 exec_lo, exec_lo, s5
; %bb.178:                              ;   in Loop: Header=BB124_20 Depth=1
	v_sub_co_u32 v6, vcc_lo, v6, v4
	s_wait_alu 0xfffd
	v_sub_co_ci_u32_e64 v7, null, v7, v5, vcc_lo
	v_mov_b32_e32 v14, 0
	s_mov_b32 s10, exec_lo
; %bb.179:                              ;   in Loop: Header=BB124_20 Depth=1
	s_or_b32 exec_lo, exec_lo, s5
	s_delay_alu instid0(VALU_DEP_2)
	v_dual_mov_b32 v2, v6 :: v_dual_mov_b32 v3, v7
	s_wait_alu 0xfffe
	s_and_b32 s5, s10, exec_lo
.LBB124_180:                            ;   in Loop: Header=BB124_20 Depth=1
	s_wait_alu 0xfffe
	s_or_b32 exec_lo, exec_lo, s4
	s_mov_b32 s4, -1
                                        ; implicit-def: $sgpr23
                                        ; implicit-def: $sgpr58
	s_and_saveexec_b32 s22, s5
	s_cbranch_execz .LBB124_278
; %bb.181:                              ;   in Loop: Header=BB124_20 Depth=1
	v_cmp_eq_u64_e32 vcc_lo, 1, v[2:3]
	s_cmp_eq_u64 s[8:9], 1
                                        ; implicit-def: $sgpr58
                                        ; implicit-def: $sgpr23
	s_cselect_b32 s4, -1, 0
	s_wait_alu 0xfffe
	s_and_b32 s59, s4, vcc_lo
	s_mov_b32 s4, -1
	s_wait_alu 0xfffe
	s_and_saveexec_b32 s60, s59
	s_cbranch_execz .LBB124_217
; %bb.182:                              ;   in Loop: Header=BB124_20 Depth=1
	ds_load_b64 v[4:5], v15 offset:5120
	s_wait_loadcnt_dscnt 0x0
	s_barrier_signal -1
	s_barrier_wait -1
	global_inv scope:SCOPE_SE
	v_readfirstlane_b32 s4, v4
	v_readfirstlane_b32 s5, v5
	s_and_saveexec_b32 s10, s0
; %bb.183:                              ;   in Loop: Header=BB124_20 Depth=1
	ds_store_b32 v33, v15
; %bb.184:                              ;   in Loop: Header=BB124_20 Depth=1
	s_wait_alu 0xfffe
	s_or_b32 exec_lo, exec_lo, s10
	s_lshl_b32 s10, 2, s79
	v_or_b32_e32 v42, s14, v42
	s_wait_alu 0xfffe
	v_and_or_b32 v19, v19, s18, s10
	s_mov_b32 s23, -1
	s_mov_b32 s58, 0
	s_cmp_eq_u64 s[4:5], 0
	s_mov_b32 s12, 0
	s_mov_b32 s13, -1
	s_wait_loadcnt_dscnt 0x0
	s_barrier_signal -1
	s_barrier_wait -1
	global_inv scope:SCOPE_SE
                                        ; implicit-def: $vgpr25
	s_cbranch_scc1 .LBB124_201
; %bb.185:                              ;   in Loop: Header=BB124_20 Depth=1
	s_add_nc_u64 s[10:11], s[4:5], s[48:49]
	s_mov_b32 s12, s45
	s_wait_alu 0xfffe
	s_mov_b32 s13, s11
	s_wait_alu 0xfffe
	s_cmp_lg_u64 s[12:13], 0
	s_cbranch_scc0 .LBB124_244
; %bb.186:                              ;   in Loop: Header=BB124_20 Depth=1
	s_cvt_f32_u32 s12, s40
	s_sub_nc_u64 s[62:63], 0, s[40:41]
	s_wait_alu 0xfffe
	s_delay_alu instid0(SALU_CYCLE_1) | instskip(SKIP_1) | instid1(SALU_CYCLE_2)
	s_fmamk_f32 s12, s81, 0x0, s12
	s_wait_alu 0xfffe
	v_s_rcp_f32 s12, s12
	s_delay_alu instid0(TRANS32_DEP_1) | instskip(SKIP_1) | instid1(SALU_CYCLE_2)
	s_mul_f32 s12, s12, 0x5f7ffffc
	s_wait_alu 0xfffe
	s_mul_f32 s13, s12, 0x2f800000
	s_wait_alu 0xfffe
	s_delay_alu instid0(SALU_CYCLE_2) | instskip(SKIP_1) | instid1(SALU_CYCLE_2)
	s_trunc_f32 s13, s13
	s_wait_alu 0xfffe
	s_fmamk_f32 s12, s13, 0xcf800000, s12
	s_cvt_u32_f32 s13, s13
	s_wait_alu 0xfffe
	s_delay_alu instid0(SALU_CYCLE_1) | instskip(SKIP_1) | instid1(SALU_CYCLE_2)
	s_cvt_u32_f32 s12, s12
	s_wait_alu 0xfffe
	s_mul_u64 s[64:65], s[62:63], s[12:13]
	s_wait_alu 0xfffe
	s_mul_hi_u32 s67, s12, s65
	s_mul_i32 s66, s12, s65
	s_mul_hi_u32 s44, s12, s64
	s_mul_i32 s68, s13, s64
	s_wait_alu 0xfffe
	s_add_nc_u64 s[66:67], s[44:45], s[66:67]
	s_mul_hi_u32 s61, s13, s64
	s_mul_hi_u32 s69, s13, s65
	s_wait_alu 0xfffe
	s_add_co_u32 s44, s66, s68
	s_add_co_ci_u32 s44, s67, s61
	s_mul_i32 s64, s13, s65
	s_add_co_ci_u32 s65, s69, 0
	s_wait_alu 0xfffe
	s_add_nc_u64 s[64:65], s[44:45], s[64:65]
	s_wait_alu 0xfffe
	s_add_co_u32 s12, s12, s64
	s_cselect_b32 s44, -1, 0
	s_wait_alu 0xfffe
	s_cmp_lg_u32 s44, 0
	s_add_co_ci_u32 s13, s13, s65
	s_wait_alu 0xfffe
	s_mul_u64 s[62:63], s[62:63], s[12:13]
	s_wait_alu 0xfffe
	s_mul_hi_u32 s65, s12, s63
	s_mul_i32 s64, s12, s63
	s_mul_hi_u32 s44, s12, s62
	s_mul_i32 s66, s13, s62
	s_wait_alu 0xfffe
	s_add_nc_u64 s[64:65], s[44:45], s[64:65]
	s_mul_hi_u32 s61, s13, s62
	s_mul_hi_u32 s67, s13, s63
	s_wait_alu 0xfffe
	s_add_co_u32 s44, s64, s66
	s_add_co_ci_u32 s44, s65, s61
	s_mul_i32 s62, s13, s63
	s_add_co_ci_u32 s63, s67, 0
	s_wait_alu 0xfffe
	s_add_nc_u64 s[62:63], s[44:45], s[62:63]
	s_wait_alu 0xfffe
	s_add_co_u32 s12, s12, s62
	s_cselect_b32 s61, -1, 0
	s_wait_alu 0xfffe
	s_mul_hi_u32 s44, s10, s12
	s_cmp_lg_u32 s61, 0
	s_mul_hi_u32 s61, s11, s12
	s_add_co_ci_u32 s62, s13, s63
	s_mul_i32 s63, s11, s12
	s_wait_alu 0xfffe
	s_mul_hi_u32 s13, s10, s62
	s_mul_i32 s12, s10, s62
	s_mul_hi_u32 s64, s11, s62
	s_wait_alu 0xfffe
	s_add_nc_u64 s[12:13], s[44:45], s[12:13]
	s_mul_i32 s62, s11, s62
	s_wait_alu 0xfffe
	s_add_co_u32 s12, s12, s63
	s_add_co_ci_u32 s44, s13, s61
	s_add_co_ci_u32 s63, s64, 0
	s_wait_alu 0xfffe
	s_add_nc_u64 s[12:13], s[44:45], s[62:63]
	s_wait_alu 0xfffe
	s_mul_u64 s[12:13], s[40:41], s[12:13]
	s_wait_alu 0xfffe
	s_sub_co_u32 s12, s10, s12
	s_cselect_b32 s44, -1, 0
	s_wait_alu 0xfffe
	s_cmp_lg_u32 s44, 0
	s_sub_co_ci_u32 s13, s11, s13
	s_sub_co_u32 s44, s12, s40
	s_cselect_b32 s61, -1, 0
	s_wait_alu 0xfffe
	s_cmp_lg_u32 s61, 0
	s_sub_co_ci_u32 s61, s13, 0
	;; [unrolled: 5-line block ×3, first 2 shown]
	s_cmp_ge_u32 s44, s40
	s_cselect_b32 s64, -1, 0
	s_cmp_eq_u32 s61, 0
	s_wait_alu 0xfffe
	s_cselect_b32 s64, s64, -1
	s_wait_alu 0xfffe
	s_cmp_lg_u32 s64, 0
	s_cselect_b32 s61, s63, s61
	s_cselect_b32 s44, s62, s44
	s_cmp_ge_u32 s12, s40
	s_cselect_b32 s62, -1, 0
	s_cmp_eq_u32 s13, 0
	s_wait_alu 0xfffe
	s_cselect_b32 s62, s62, -1
	s_wait_alu 0xfffe
	s_cmp_lg_u32 s62, 0
	s_cselect_b32 s13, s61, s13
	s_cselect_b32 s12, s44, s12
	s_cbranch_execnz .LBB124_188
.LBB124_187:                            ;   in Loop: Header=BB124_20 Depth=1
	v_cvt_f32_u32_e32 v4, s40
	s_sub_co_i32 s13, 0, s40
	s_delay_alu instid0(VALU_DEP_1) | instskip(NEXT) | instid1(TRANS32_DEP_1)
	v_rcp_iflag_f32_e32 v4, v4
	v_mul_f32_e32 v4, 0x4f7ffffe, v4
	s_delay_alu instid0(VALU_DEP_1) | instskip(NEXT) | instid1(VALU_DEP_1)
	v_cvt_u32_f32_e32 v4, v4
	v_readfirstlane_b32 s12, v4
	s_wait_alu 0xfffe
	s_mul_i32 s13, s13, s12
	s_wait_alu 0xfffe
	s_mul_hi_u32 s13, s12, s13
	s_wait_alu 0xfffe
	s_add_co_i32 s12, s12, s13
	s_wait_alu 0xfffe
	s_mul_hi_u32 s12, s10, s12
	s_wait_alu 0xfffe
	s_mul_i32 s12, s12, s40
	s_wait_alu 0xfffe
	s_sub_co_i32 s12, s10, s12
	s_wait_alu 0xfffe
	s_sub_co_i32 s13, s12, s40
	s_cmp_ge_u32 s12, s40
	s_wait_alu 0xfffe
	s_cselect_b32 s12, s13, s12
	s_wait_alu 0xfffe
	s_sub_co_i32 s13, s12, s40
	s_cmp_ge_u32 s12, s40
	s_wait_alu 0xfffe
	s_cselect_b32 s44, s13, s12
	s_wait_alu 0xfffe
	s_mov_b64 s[12:13], s[44:45]
.LBB124_188:                            ;   in Loop: Header=BB124_20 Depth=1
	s_wait_alu 0xfffe
	s_sub_nc_u64 s[10:11], s[10:11], s[12:13]
	s_mov_b32 s13, 0
	s_mov_b32 s12, 0
	s_mov_b32 s44, exec_lo
                                        ; implicit-def: $vgpr25
	s_wait_alu 0xfffe
	v_cmpx_gt_u64_e64 s[10:11], v[0:1]
	s_cbranch_execz .LBB124_200
; %bb.189:                              ;   in Loop: Header=BB124_20 Depth=1
	v_dual_mov_b32 v6, v12 :: v_dual_mov_b32 v5, v1
	v_mov_b32_e32 v4, v0
                                        ; implicit-def: $sgpr61
	s_branch .LBB124_193
.LBB124_190:                            ;   in Loop: Header=BB124_193 Depth=2
	s_wait_alu 0xfffe
	s_or_b32 exec_lo, exec_lo, s62
	s_wait_loadcnt_dscnt 0x0
	s_barrier_signal -1
	s_barrier_wait -1
	global_inv scope:SCOPE_SE
	ds_load_b64 v[24:25], v15 offset:3072
	s_wait_loadcnt_dscnt 0x0
	s_barrier_signal -1
	s_barrier_wait -1
	global_inv scope:SCOPE_SE
	v_cmp_neq_f32_e32 vcc_lo, 0, v24
	s_cbranch_vccnz .LBB124_196
; %bb.191:                              ;   in Loop: Header=BB124_193 Depth=2
	v_add_co_u32 v4, vcc_lo, v4, s40
	s_wait_alu 0xfffd
	v_add_co_ci_u32_e64 v5, null, 0, v5, vcc_lo
	v_add_nc_u32_e32 v6, s78, v6
	s_mov_b32 s62, 0
	s_delay_alu instid0(VALU_DEP_2)
	v_cmp_le_u64_e32 vcc_lo, s[10:11], v[4:5]
	s_or_not1_b32 s63, vcc_lo, exec_lo
.LBB124_192:                            ;   in Loop: Header=BB124_193 Depth=2
	s_wait_alu 0xfffe
	s_and_b32 s63, exec_lo, s63
	s_wait_alu 0xfffe
	s_or_b32 s12, s63, s12
	s_and_not1_b32 s61, s61, exec_lo
	s_and_b32 s62, s62, exec_lo
	s_wait_alu 0xfffe
	s_or_b32 s61, s61, s62
	s_and_not1_b32 exec_lo, exec_lo, s12
	s_cbranch_execz .LBB124_199
.LBB124_193:                            ;   Parent Loop BB124_20 Depth=1
                                        ; =>  This Inner Loop Header: Depth=2
	s_mov_b32 s62, exec_lo
	s_delay_alu instid0(VALU_DEP_1)
	v_cmpx_gt_u64_e64 s[4:5], v[4:5]
	s_cbranch_execz .LBB124_190
; %bb.194:                              ;   in Loop: Header=BB124_193 Depth=2
	ds_load_b32 v24, v6
	s_wait_dscnt 0x0
	v_cmp_lt_i32_e32 vcc_lo, -1, v24
	s_wait_alu 0xfffd
	v_cndmask_b32_e64 v7, -1, 0x80000000, vcc_lo
	v_cmp_o_f32_e32 vcc_lo, v24, v24
	s_delay_alu instid0(VALU_DEP_2) | instskip(SKIP_1) | instid1(VALU_DEP_1)
	v_xor_b32_e32 v7, v7, v24
	s_wait_alu 0xfffd
	v_cndmask_b32_e32 v7, -1, v7, vcc_lo
	s_delay_alu instid0(VALU_DEP_1) | instskip(NEXT) | instid1(VALU_DEP_1)
	v_and_b32_e32 v7, v7, v42
	v_cmp_eq_u32_e32 vcc_lo, v7, v19
	s_and_b32 exec_lo, exec_lo, vcc_lo
	s_cbranch_execz .LBB124_190
; %bb.195:                              ;   in Loop: Header=BB124_193 Depth=2
	ds_store_b64 v15, v[23:24] offset:3072
	s_branch .LBB124_190
.LBB124_196:                            ;   in Loop: Header=BB124_193 Depth=2
	s_mov_b32 s63, -1
	s_mov_b32 s62, -1
                                        ; implicit-def: $vgpr4_vgpr5
                                        ; implicit-def: $vgpr6
	s_branch .LBB124_192
.LBB124_197:                            ;   in Loop: Header=BB124_20 Depth=1
                                        ; implicit-def: $sgpr12_sgpr13
	s_branch .LBB124_136
.LBB124_198:                            ;   in Loop: Header=BB124_20 Depth=1
                                        ; implicit-def: $sgpr4_sgpr5
	s_branch .LBB124_156
.LBB124_199:                            ;   in Loop: Header=BB124_20 Depth=1
	s_or_b32 exec_lo, exec_lo, s12
	s_wait_alu 0xfffe
	s_and_b32 s12, s61, exec_lo
.LBB124_200:                            ;   in Loop: Header=BB124_20 Depth=1
	s_or_b32 exec_lo, exec_lo, s44
.LBB124_201:                            ;   in Loop: Header=BB124_20 Depth=1
	s_wait_alu 0xfffe
	s_and_b32 vcc_lo, exec_lo, s13
	s_wait_alu 0xfffe
	s_cbranch_vccz .LBB124_216
; %bb.202:                              ;   in Loop: Header=BB124_20 Depth=1
	s_mov_b32 s4, s45
	s_mov_b32 s5, s51
	s_wait_alu 0xfffe
	s_cmp_lg_u64 s[4:5], 0
	s_cbranch_scc0 .LBB124_245
; %bb.203:                              ;   in Loop: Header=BB124_20 Depth=1
	s_cvt_f32_u32 s4, s40
	s_sub_nc_u64 s[10:11], 0, s[40:41]
	s_wait_alu 0xfffe
	s_delay_alu instid0(SALU_CYCLE_1) | instskip(SKIP_1) | instid1(SALU_CYCLE_2)
	s_fmamk_f32 s4, s81, 0x0, s4
	s_wait_alu 0xfffe
	v_s_rcp_f32 s4, s4
	s_delay_alu instid0(TRANS32_DEP_1) | instskip(SKIP_1) | instid1(SALU_CYCLE_2)
	s_mul_f32 s4, s4, 0x5f7ffffc
	s_wait_alu 0xfffe
	s_mul_f32 s5, s4, 0x2f800000
	s_wait_alu 0xfffe
	s_delay_alu instid0(SALU_CYCLE_2) | instskip(SKIP_1) | instid1(SALU_CYCLE_2)
	s_trunc_f32 s5, s5
	s_wait_alu 0xfffe
	s_fmamk_f32 s4, s5, 0xcf800000, s4
	s_cvt_u32_f32 s5, s5
	s_wait_alu 0xfffe
	s_delay_alu instid0(SALU_CYCLE_1) | instskip(SKIP_1) | instid1(SALU_CYCLE_2)
	s_cvt_u32_f32 s4, s4
	s_wait_alu 0xfffe
	s_mul_u64 s[62:63], s[10:11], s[4:5]
	s_wait_alu 0xfffe
	s_mul_hi_u32 s65, s4, s63
	s_mul_i32 s64, s4, s63
	s_mul_hi_u32 s44, s4, s62
	s_mul_i32 s23, s5, s62
	s_wait_alu 0xfffe
	s_add_nc_u64 s[64:65], s[44:45], s[64:65]
	s_mul_hi_u32 s13, s5, s62
	s_mul_hi_u32 s58, s5, s63
	s_wait_alu 0xfffe
	s_add_co_u32 s23, s64, s23
	s_add_co_ci_u32 s44, s65, s13
	s_mul_i32 s62, s5, s63
	s_add_co_ci_u32 s63, s58, 0
	s_wait_alu 0xfffe
	s_add_nc_u64 s[62:63], s[44:45], s[62:63]
	s_wait_alu 0xfffe
	s_add_co_u32 s4, s4, s62
	s_cselect_b32 s13, -1, 0
	s_wait_alu 0xfffe
	s_cmp_lg_u32 s13, 0
	s_add_co_ci_u32 s5, s5, s63
	s_wait_alu 0xfffe
	s_mul_u64 s[10:11], s[10:11], s[4:5]
	s_wait_alu 0xfffe
	s_mul_hi_u32 s63, s4, s11
	s_mul_i32 s62, s4, s11
	s_mul_hi_u32 s44, s4, s10
	s_mul_i32 s23, s5, s10
	s_wait_alu 0xfffe
	s_add_nc_u64 s[62:63], s[44:45], s[62:63]
	s_mul_hi_u32 s13, s5, s10
	s_mul_hi_u32 s58, s5, s11
	s_mul_i32 s10, s5, s11
	s_wait_alu 0xfffe
	s_add_co_u32 s11, s62, s23
	s_add_co_ci_u32 s44, s63, s13
	s_add_co_ci_u32 s11, s58, 0
	s_wait_alu 0xfffe
	s_add_nc_u64 s[10:11], s[44:45], s[10:11]
	s_wait_alu 0xfffe
	s_add_co_u32 s4, s4, s10
	s_cselect_b32 s10, -1, 0
	s_wait_alu 0xfffe
	s_mul_hi_u32 s44, s50, s4
	s_cmp_lg_u32 s10, 0
	s_mul_hi_u32 s13, s51, s4
	s_add_co_ci_u32 s10, s5, s11
	s_mul_i32 s11, s51, s4
	s_wait_alu 0xfffe
	s_mul_hi_u32 s5, s50, s10
	s_mul_i32 s4, s50, s10
	s_mul_hi_u32 s23, s51, s10
	s_wait_alu 0xfffe
	s_add_nc_u64 s[4:5], s[44:45], s[4:5]
	s_mul_i32 s10, s51, s10
	s_wait_alu 0xfffe
	s_add_co_u32 s4, s4, s11
	s_add_co_ci_u32 s44, s5, s13
	s_add_co_ci_u32 s11, s23, 0
	s_wait_alu 0xfffe
	s_add_nc_u64 s[4:5], s[44:45], s[10:11]
	s_wait_alu 0xfffe
	s_mul_u64 s[4:5], s[40:41], s[4:5]
	s_wait_alu 0xfffe
	s_sub_co_u32 s4, s50, s4
	s_cselect_b32 s10, -1, 0
	s_wait_alu 0xfffe
	s_cmp_lg_u32 s10, 0
	s_sub_co_ci_u32 s5, s51, s5
	s_sub_co_u32 s10, s4, s40
	s_cselect_b32 s11, -1, 0
	s_wait_alu 0xfffe
	s_cmp_lg_u32 s11, 0
	s_sub_co_ci_u32 s11, s5, 0
	s_sub_co_u32 s13, s10, s40
	s_cselect_b32 s23, -1, 0
	s_delay_alu instid0(SALU_CYCLE_1)
	s_cmp_lg_u32 s23, 0
	s_wait_alu 0xfffe
	s_sub_co_ci_u32 s23, s11, 0
	s_cmp_ge_u32 s10, s40
	s_cselect_b32 s44, -1, 0
	s_cmp_eq_u32 s11, 0
	s_wait_alu 0xfffe
	s_cselect_b32 s44, s44, -1
	s_wait_alu 0xfffe
	s_cmp_lg_u32 s44, 0
	s_cselect_b32 s11, s23, s11
	s_cselect_b32 s10, s13, s10
	s_cmp_ge_u32 s4, s40
	s_cselect_b32 s13, -1, 0
	s_cmp_eq_u32 s5, 0
	s_wait_alu 0xfffe
	s_cselect_b32 s13, s13, -1
	s_wait_alu 0xfffe
	s_cmp_lg_u32 s13, 0
	s_cselect_b32 s5, s11, s5
	s_cselect_b32 s4, s10, s4
	s_cbranch_execnz .LBB124_205
.LBB124_204:                            ;   in Loop: Header=BB124_20 Depth=1
	v_cvt_f32_u32_e32 v4, s40
	s_sub_co_i32 s5, 0, s40
	s_delay_alu instid0(VALU_DEP_1) | instskip(NEXT) | instid1(TRANS32_DEP_1)
	v_rcp_iflag_f32_e32 v4, v4
	v_mul_f32_e32 v4, 0x4f7ffffe, v4
	s_delay_alu instid0(VALU_DEP_1) | instskip(NEXT) | instid1(VALU_DEP_1)
	v_cvt_u32_f32_e32 v4, v4
	v_readfirstlane_b32 s4, v4
	s_wait_alu 0xfffe
	s_mul_i32 s5, s5, s4
	s_wait_alu 0xfffe
	s_mul_hi_u32 s5, s4, s5
	s_wait_alu 0xfffe
	s_add_co_i32 s4, s4, s5
	s_wait_alu 0xfffe
	s_mul_hi_u32 s4, s50, s4
	s_wait_alu 0xfffe
	s_mul_i32 s4, s4, s40
	s_wait_alu 0xfffe
	s_sub_co_i32 s4, s50, s4
	s_wait_alu 0xfffe
	s_sub_co_i32 s5, s4, s40
	s_cmp_ge_u32 s4, s40
	s_wait_alu 0xfffe
	s_cselect_b32 s4, s5, s4
	s_wait_alu 0xfffe
	s_sub_co_i32 s5, s4, s40
	s_cmp_ge_u32 s4, s40
	s_wait_alu 0xfffe
	s_cselect_b32 s44, s5, s4
	s_wait_alu 0xfffe
	s_mov_b64 s[4:5], s[44:45]
.LBB124_205:                            ;   in Loop: Header=BB124_20 Depth=1
	s_wait_alu 0xfffe
	s_sub_nc_u64 s[10:11], s[50:51], s[4:5]
	s_mov_b32 s5, exec_lo
                                        ; implicit-def: $vgpr25
	s_wait_alu 0xfffe
	v_cmpx_gt_u64_e64 s[10:11], v[0:1]
	s_cbranch_execz .LBB124_215
; %bb.206:                              ;   in Loop: Header=BB124_20 Depth=1
	v_dual_mov_b32 v4, v10 :: v_dual_mov_b32 v5, v11
	v_dual_mov_b32 v7, v1 :: v_dual_mov_b32 v6, v0
	s_mov_b32 s13, 0
                                        ; implicit-def: $sgpr23
	s_branch .LBB124_210
.LBB124_207:                            ;   in Loop: Header=BB124_210 Depth=2
	s_wait_alu 0xfffe
	s_or_b32 exec_lo, exec_lo, s4
	s_wait_loadcnt_dscnt 0x0
	s_barrier_signal -1
	s_barrier_wait -1
	global_inv scope:SCOPE_SE
	ds_load_b64 v[24:25], v15 offset:3072
	s_wait_loadcnt_dscnt 0x0
	s_barrier_signal -1
	s_barrier_wait -1
	global_inv scope:SCOPE_SE
	v_cmp_eq_f32_e32 vcc_lo, 0, v24
	s_cbranch_vccz .LBB124_213
; %bb.208:                              ;   in Loop: Header=BB124_210 Depth=2
	v_add_co_u32 v6, vcc_lo, v6, s40
	s_wait_alu 0xfffd
	v_add_co_ci_u32_e64 v7, null, 0, v7, vcc_lo
	v_add_co_u32 v4, s4, v4, s42
	s_wait_alu 0xf1ff
	v_add_co_ci_u32_e64 v5, null, s43, v5, s4
	s_delay_alu instid0(VALU_DEP_3)
	v_cmp_le_u64_e32 vcc_lo, s[10:11], v[6:7]
	s_mov_b32 s4, 0
	s_or_not1_b32 s44, vcc_lo, exec_lo
.LBB124_209:                            ;   in Loop: Header=BB124_210 Depth=2
	s_wait_alu 0xfffe
	s_and_b32 s44, exec_lo, s44
	s_wait_alu 0xfffe
	s_or_b32 s13, s44, s13
	s_and_not1_b32 s23, s23, exec_lo
	s_and_b32 s4, s4, exec_lo
	s_wait_alu 0xfffe
	s_or_b32 s23, s23, s4
	s_and_not1_b32 exec_lo, exec_lo, s13
	s_cbranch_execz .LBB124_214
.LBB124_210:                            ;   Parent Loop BB124_20 Depth=1
                                        ; =>  This Inner Loop Header: Depth=2
	s_mov_b32 s4, exec_lo
	s_delay_alu instid0(VALU_DEP_1)
	v_cmpx_gt_u64_e64 s[24:25], v[6:7]
	s_cbranch_execz .LBB124_207
; %bb.211:                              ;   in Loop: Header=BB124_210 Depth=2
	global_load_b32 v24, v[4:5], off
	s_wait_loadcnt 0x0
	v_cmp_lt_i32_e32 vcc_lo, -1, v24
	s_wait_alu 0xfffd
	v_cndmask_b32_e64 v8, -1, 0x80000000, vcc_lo
	v_cmp_o_f32_e32 vcc_lo, v24, v24
	s_delay_alu instid0(VALU_DEP_2) | instskip(SKIP_1) | instid1(VALU_DEP_1)
	v_xor_b32_e32 v8, v8, v24
	s_wait_alu 0xfffd
	v_cndmask_b32_e32 v8, -1, v8, vcc_lo
	s_delay_alu instid0(VALU_DEP_1) | instskip(NEXT) | instid1(VALU_DEP_1)
	v_and_b32_e32 v8, v8, v42
	v_cmp_eq_u32_e32 vcc_lo, v8, v19
	s_and_b32 exec_lo, exec_lo, vcc_lo
	s_cbranch_execz .LBB124_207
; %bb.212:                              ;   in Loop: Header=BB124_210 Depth=2
	ds_store_b64 v15, v[23:24] offset:3072
	s_branch .LBB124_207
.LBB124_213:                            ;   in Loop: Header=BB124_210 Depth=2
	s_mov_b32 s44, -1
	s_mov_b32 s4, -1
                                        ; implicit-def: $vgpr6_vgpr7
                                        ; implicit-def: $vgpr4_vgpr5
	s_branch .LBB124_209
.LBB124_214:                            ;   in Loop: Header=BB124_20 Depth=1
	s_or_b32 exec_lo, exec_lo, s13
	s_delay_alu instid0(SALU_CYCLE_1)
	s_and_not1_b32 s4, s12, exec_lo
	s_and_b32 s10, s23, exec_lo
	s_wait_alu 0xfffe
	s_or_b32 s12, s4, s10
.LBB124_215:                            ;   in Loop: Header=BB124_20 Depth=1
	s_or_b32 exec_lo, exec_lo, s5
	s_mov_b32 s23, 0
	s_mov_b32 s58, -1
.LBB124_216:                            ;   in Loop: Header=BB124_20 Depth=1
	s_wait_alu 0xfffe
	s_or_not1_b32 s4, s12, exec_lo
.LBB124_217:                            ;   in Loop: Header=BB124_20 Depth=1
	s_wait_alu 0xfffe
	s_or_b32 exec_lo, exec_lo, s60
	s_mov_b32 s5, 0
	s_and_saveexec_b32 s12, s4
	s_cbranch_execz .LBB124_277
; %bb.218:                              ;   in Loop: Header=BB124_20 Depth=1
	v_mov_b32_e32 v4, 1
	v_dual_mov_b32 v5, 0 :: v_dual_mov_b32 v14, 1
	s_xor_b32 s10, s59, -1
	s_wait_alu 0xfffe
	s_and_saveexec_b32 s4, s10
	s_cbranch_execz .LBB124_227
; %bb.219:                              ;   in Loop: Header=BB124_20 Depth=1
	s_mov_b32 s5, exec_lo
	v_cmpx_ge_u64_e64 s[8:9], v[2:3]
	s_wait_alu 0xfffe
	s_xor_b32 s5, exec_lo, s5
	s_cbranch_execz .LBB124_224
; %bb.220:                              ;   in Loop: Header=BB124_20 Depth=1
	ds_load_b64 v[4:5], v15 offset:5120
	s_lshl_b32 s10, 2, s79
	v_or_b32_e32 v42, s14, v42
	s_wait_alu 0xfffe
	v_and_or_b32 v19, v19, s18, s10
	s_wait_dscnt 0x0
	v_cmp_ne_u64_e32 vcc_lo, 0, v[4:5]
	s_cbranch_vccnz .LBB124_224
; %bb.221:                              ;   in Loop: Header=BB124_20 Depth=1
	s_and_saveexec_b32 s10, s3
; %bb.222:                              ;   in Loop: Header=BB124_20 Depth=1
	v_dual_mov_b32 v4, s8 :: v_dual_mov_b32 v5, s9
	ds_store_b64 v15, v[4:5] offset:5128
; %bb.223:                              ;   in Loop: Header=BB124_20 Depth=1
	s_wait_alu 0xfffe
	s_or_b32 exec_lo, exec_lo, s10
	s_wait_loadcnt_dscnt 0x0
	s_barrier_signal -1
	s_barrier_wait -1
	global_inv scope:SCOPE_SE
.LBB124_224:                            ;   in Loop: Header=BB124_20 Depth=1
	s_wait_alu 0xfffe
	s_or_saveexec_b32 s5, s5
	v_mov_b32_e32 v14, 8
	s_mov_b32 s10, 0
	s_wait_alu 0xfffe
	s_xor_b32 exec_lo, exec_lo, s5
; %bb.225:                              ;   in Loop: Header=BB124_20 Depth=1
	v_sub_co_u32 v2, vcc_lo, v2, s8
	s_wait_alu 0xfffd
	v_subrev_co_ci_u32_e64 v3, null, s9, v3, vcc_lo
	v_mov_b32_e32 v14, 0
	s_mov_b32 s10, exec_lo
; %bb.226:                              ;   in Loop: Header=BB124_20 Depth=1
	s_or_b32 exec_lo, exec_lo, s5
	s_delay_alu instid0(VALU_DEP_2)
	v_dual_mov_b32 v5, v3 :: v_dual_mov_b32 v4, v2
	s_wait_alu 0xfffe
	s_and_b32 s5, s10, exec_lo
.LBB124_227:                            ;   in Loop: Header=BB124_20 Depth=1
	s_wait_alu 0xfffe
	s_or_b32 exec_lo, exec_lo, s4
	s_mov_b32 s4, -1
                                        ; implicit-def: $sgpr61
                                        ; implicit-def: $sgpr60
	s_and_saveexec_b32 s13, s5
	s_cbranch_execz .LBB124_276
; %bb.228:                              ;   in Loop: Header=BB124_20 Depth=1
	v_cmp_eq_u64_e32 vcc_lo, 1, v[4:5]
	s_cmp_eq_u64 s[6:7], 1
	s_mov_b32 s5, -1
	s_cselect_b32 s4, -1, 0
                                        ; implicit-def: $sgpr61
                                        ; implicit-def: $sgpr60
	s_wait_alu 0xfffe
	s_and_b32 s18, s4, vcc_lo
	s_wait_alu 0xfffe
	s_and_saveexec_b32 s59, s18
	s_cbranch_execz .LBB124_264
; %bb.229:                              ;   in Loop: Header=BB124_20 Depth=1
	ds_load_b64 v[2:3], v15 offset:5120
	s_wait_loadcnt_dscnt 0x0
	s_barrier_signal -1
	s_barrier_wait -1
	global_inv scope:SCOPE_SE
	v_readfirstlane_b32 s4, v2
	v_readfirstlane_b32 s5, v3
	s_and_saveexec_b32 s8, s0
; %bb.230:                              ;   in Loop: Header=BB124_20 Depth=1
	ds_store_b32 v33, v15
; %bb.231:                              ;   in Loop: Header=BB124_20 Depth=1
	s_wait_alu 0xfffe
	s_or_b32 exec_lo, exec_lo, s8
	v_or_b32_e32 v19, s14, v19
	v_or_b32_e32 v42, s14, v42
	s_mov_b32 s60, -1
	s_mov_b32 s61, 0
	s_cmp_eq_u64 s[4:5], 0
	s_mov_b32 s10, 0
	s_mov_b32 s11, -1
	s_wait_loadcnt_dscnt 0x0
	s_barrier_signal -1
	s_barrier_wait -1
	global_inv scope:SCOPE_SE
                                        ; implicit-def: $vgpr25
	s_cbranch_scc1 .LBB124_248
; %bb.232:                              ;   in Loop: Header=BB124_20 Depth=1
	s_add_nc_u64 s[8:9], s[4:5], s[48:49]
	s_mov_b32 s10, s45
	s_wait_alu 0xfffe
	s_mov_b32 s11, s9
	s_wait_alu 0xfffe
	s_cmp_lg_u64 s[10:11], 0
	s_cbranch_scc0 .LBB124_283
; %bb.233:                              ;   in Loop: Header=BB124_20 Depth=1
	s_cvt_f32_u32 s10, s40
	s_sub_nc_u64 s[62:63], 0, s[40:41]
	s_wait_alu 0xfffe
	s_delay_alu instid0(SALU_CYCLE_1) | instskip(SKIP_1) | instid1(SALU_CYCLE_2)
	s_fmamk_f32 s10, s81, 0x0, s10
	s_wait_alu 0xfffe
	v_s_rcp_f32 s10, s10
	s_delay_alu instid0(TRANS32_DEP_1) | instskip(SKIP_1) | instid1(SALU_CYCLE_2)
	s_mul_f32 s10, s10, 0x5f7ffffc
	s_wait_alu 0xfffe
	s_mul_f32 s11, s10, 0x2f800000
	s_wait_alu 0xfffe
	s_delay_alu instid0(SALU_CYCLE_2) | instskip(SKIP_1) | instid1(SALU_CYCLE_2)
	s_trunc_f32 s11, s11
	s_wait_alu 0xfffe
	s_fmamk_f32 s10, s11, 0xcf800000, s10
	s_cvt_u32_f32 s11, s11
	s_wait_alu 0xfffe
	s_delay_alu instid0(SALU_CYCLE_1) | instskip(SKIP_1) | instid1(SALU_CYCLE_2)
	s_cvt_u32_f32 s10, s10
	s_wait_alu 0xfffe
	s_mul_u64 s[64:65], s[62:63], s[10:11]
	s_wait_alu 0xfffe
	s_mul_hi_u32 s67, s10, s65
	s_mul_i32 s66, s10, s65
	s_mul_hi_u32 s44, s10, s64
	s_mul_i32 s69, s11, s64
	s_wait_alu 0xfffe
	s_add_nc_u64 s[66:67], s[44:45], s[66:67]
	s_mul_hi_u32 s68, s11, s64
	s_mul_hi_u32 s70, s11, s65
	s_wait_alu 0xfffe
	s_add_co_u32 s44, s66, s69
	s_add_co_ci_u32 s44, s67, s68
	s_mul_i32 s64, s11, s65
	s_add_co_ci_u32 s65, s70, 0
	s_wait_alu 0xfffe
	s_add_nc_u64 s[64:65], s[44:45], s[64:65]
	s_wait_alu 0xfffe
	s_add_co_u32 s10, s10, s64
	s_cselect_b32 s44, -1, 0
	s_wait_alu 0xfffe
	s_cmp_lg_u32 s44, 0
	s_add_co_ci_u32 s11, s11, s65
	s_wait_alu 0xfffe
	s_mul_u64 s[62:63], s[62:63], s[10:11]
	s_wait_alu 0xfffe
	s_mul_hi_u32 s65, s10, s63
	s_mul_i32 s64, s10, s63
	s_mul_hi_u32 s44, s10, s62
	s_mul_i32 s67, s11, s62
	s_wait_alu 0xfffe
	s_add_nc_u64 s[64:65], s[44:45], s[64:65]
	s_mul_hi_u32 s66, s11, s62
	s_mul_hi_u32 s68, s11, s63
	s_wait_alu 0xfffe
	s_add_co_u32 s44, s64, s67
	s_add_co_ci_u32 s44, s65, s66
	s_mul_i32 s62, s11, s63
	s_add_co_ci_u32 s63, s68, 0
	s_wait_alu 0xfffe
	s_add_nc_u64 s[62:63], s[44:45], s[62:63]
	s_wait_alu 0xfffe
	s_add_co_u32 s10, s10, s62
	s_cselect_b32 s62, -1, 0
	s_wait_alu 0xfffe
	s_mul_hi_u32 s44, s8, s10
	s_cmp_lg_u32 s62, 0
	s_mul_hi_u32 s64, s9, s10
	s_add_co_ci_u32 s62, s11, s63
	s_mul_i32 s63, s9, s10
	s_wait_alu 0xfffe
	s_mul_hi_u32 s11, s8, s62
	s_mul_i32 s10, s8, s62
	s_mul_hi_u32 s65, s9, s62
	s_wait_alu 0xfffe
	s_add_nc_u64 s[10:11], s[44:45], s[10:11]
	s_mul_i32 s62, s9, s62
	s_wait_alu 0xfffe
	s_add_co_u32 s10, s10, s63
	s_add_co_ci_u32 s44, s11, s64
	s_add_co_ci_u32 s63, s65, 0
	s_wait_alu 0xfffe
	s_add_nc_u64 s[10:11], s[44:45], s[62:63]
	s_wait_alu 0xfffe
	s_mul_u64 s[10:11], s[40:41], s[10:11]
	s_wait_alu 0xfffe
	s_sub_co_u32 s10, s8, s10
	s_cselect_b32 s44, -1, 0
	s_wait_alu 0xfffe
	s_cmp_lg_u32 s44, 0
	s_sub_co_ci_u32 s11, s9, s11
	s_sub_co_u32 s44, s10, s40
	s_cselect_b32 s62, -1, 0
	s_wait_alu 0xfffe
	s_cmp_lg_u32 s62, 0
	s_sub_co_ci_u32 s62, s11, 0
	;; [unrolled: 5-line block ×3, first 2 shown]
	s_cmp_ge_u32 s44, s40
	s_cselect_b32 s65, -1, 0
	s_cmp_eq_u32 s62, 0
	s_wait_alu 0xfffe
	s_cselect_b32 s65, s65, -1
	s_wait_alu 0xfffe
	s_cmp_lg_u32 s65, 0
	s_cselect_b32 s62, s64, s62
	s_cselect_b32 s44, s63, s44
	s_cmp_ge_u32 s10, s40
	s_cselect_b32 s63, -1, 0
	s_cmp_eq_u32 s11, 0
	s_wait_alu 0xfffe
	s_cselect_b32 s63, s63, -1
	s_wait_alu 0xfffe
	s_cmp_lg_u32 s63, 0
	s_cselect_b32 s11, s62, s11
	s_cselect_b32 s10, s44, s10
	s_cbranch_execnz .LBB124_235
.LBB124_234:                            ;   in Loop: Header=BB124_20 Depth=1
	v_cvt_f32_u32_e32 v2, s40
	s_sub_co_i32 s11, 0, s40
	s_delay_alu instid0(VALU_DEP_1) | instskip(NEXT) | instid1(TRANS32_DEP_1)
	v_rcp_iflag_f32_e32 v2, v2
	v_mul_f32_e32 v2, 0x4f7ffffe, v2
	s_delay_alu instid0(VALU_DEP_1) | instskip(NEXT) | instid1(VALU_DEP_1)
	v_cvt_u32_f32_e32 v2, v2
	v_readfirstlane_b32 s10, v2
	s_wait_alu 0xfffe
	s_mul_i32 s11, s11, s10
	s_wait_alu 0xfffe
	s_mul_hi_u32 s11, s10, s11
	s_wait_alu 0xfffe
	s_add_co_i32 s10, s10, s11
	s_wait_alu 0xfffe
	s_mul_hi_u32 s10, s8, s10
	s_wait_alu 0xfffe
	s_mul_i32 s10, s10, s40
	s_wait_alu 0xfffe
	s_sub_co_i32 s10, s8, s10
	s_wait_alu 0xfffe
	s_sub_co_i32 s11, s10, s40
	s_cmp_ge_u32 s10, s40
	s_wait_alu 0xfffe
	s_cselect_b32 s10, s11, s10
	s_wait_alu 0xfffe
	s_sub_co_i32 s11, s10, s40
	s_cmp_ge_u32 s10, s40
	s_wait_alu 0xfffe
	s_cselect_b32 s44, s11, s10
	s_wait_alu 0xfffe
	s_mov_b64 s[10:11], s[44:45]
.LBB124_235:                            ;   in Loop: Header=BB124_20 Depth=1
	s_wait_alu 0xfffe
	s_sub_nc_u64 s[8:9], s[8:9], s[10:11]
	s_mov_b32 s11, 0
	s_mov_b32 s10, 0
	s_mov_b32 s44, exec_lo
                                        ; implicit-def: $vgpr25
	s_wait_alu 0xfffe
	v_cmpx_gt_u64_e64 s[8:9], v[0:1]
	s_cbranch_execz .LBB124_247
; %bb.236:                              ;   in Loop: Header=BB124_20 Depth=1
	v_dual_mov_b32 v6, v12 :: v_dual_mov_b32 v3, v1
	v_mov_b32_e32 v2, v0
                                        ; implicit-def: $sgpr62
	s_branch .LBB124_240
.LBB124_237:                            ;   in Loop: Header=BB124_240 Depth=2
	s_wait_alu 0xfffe
	s_or_b32 exec_lo, exec_lo, s63
	s_wait_loadcnt_dscnt 0x0
	s_barrier_signal -1
	s_barrier_wait -1
	global_inv scope:SCOPE_SE
	ds_load_b64 v[24:25], v15 offset:3072
	s_wait_loadcnt_dscnt 0x0
	s_barrier_signal -1
	s_barrier_wait -1
	global_inv scope:SCOPE_SE
	v_cmp_neq_f32_e32 vcc_lo, 0, v24
	s_cbranch_vccnz .LBB124_243
; %bb.238:                              ;   in Loop: Header=BB124_240 Depth=2
	v_add_co_u32 v2, vcc_lo, v2, s40
	s_wait_alu 0xfffd
	v_add_co_ci_u32_e64 v3, null, 0, v3, vcc_lo
	v_add_nc_u32_e32 v6, s78, v6
	s_mov_b32 s63, 0
	s_delay_alu instid0(VALU_DEP_2)
	v_cmp_le_u64_e32 vcc_lo, s[8:9], v[2:3]
	s_or_not1_b32 s64, vcc_lo, exec_lo
.LBB124_239:                            ;   in Loop: Header=BB124_240 Depth=2
	s_wait_alu 0xfffe
	s_and_b32 s64, exec_lo, s64
	s_wait_alu 0xfffe
	s_or_b32 s10, s64, s10
	s_and_not1_b32 s62, s62, exec_lo
	s_and_b32 s63, s63, exec_lo
	s_wait_alu 0xfffe
	s_or_b32 s62, s62, s63
	s_and_not1_b32 exec_lo, exec_lo, s10
	s_cbranch_execz .LBB124_246
.LBB124_240:                            ;   Parent Loop BB124_20 Depth=1
                                        ; =>  This Inner Loop Header: Depth=2
	s_mov_b32 s63, exec_lo
	s_delay_alu instid0(VALU_DEP_1)
	v_cmpx_gt_u64_e64 s[4:5], v[2:3]
	s_cbranch_execz .LBB124_237
; %bb.241:                              ;   in Loop: Header=BB124_240 Depth=2
	ds_load_b32 v24, v6
	s_wait_dscnt 0x0
	v_cmp_lt_i32_e32 vcc_lo, -1, v24
	s_wait_alu 0xfffd
	v_cndmask_b32_e64 v7, -1, 0x80000000, vcc_lo
	v_cmp_o_f32_e32 vcc_lo, v24, v24
	s_delay_alu instid0(VALU_DEP_2) | instskip(SKIP_1) | instid1(VALU_DEP_1)
	v_xor_b32_e32 v7, v7, v24
	s_wait_alu 0xfffd
	v_cndmask_b32_e32 v7, -1, v7, vcc_lo
	s_delay_alu instid0(VALU_DEP_1) | instskip(NEXT) | instid1(VALU_DEP_1)
	v_and_b32_e32 v7, v7, v42
	v_cmp_eq_u32_e32 vcc_lo, v7, v19
	s_and_b32 exec_lo, exec_lo, vcc_lo
	s_cbranch_execz .LBB124_237
; %bb.242:                              ;   in Loop: Header=BB124_240 Depth=2
	ds_store_b64 v15, v[23:24] offset:3072
	s_branch .LBB124_237
.LBB124_243:                            ;   in Loop: Header=BB124_240 Depth=2
	s_mov_b32 s64, -1
	s_mov_b32 s63, -1
                                        ; implicit-def: $vgpr2_vgpr3
                                        ; implicit-def: $vgpr6
	s_branch .LBB124_239
.LBB124_244:                            ;   in Loop: Header=BB124_20 Depth=1
                                        ; implicit-def: $sgpr12_sgpr13
	s_branch .LBB124_187
.LBB124_245:                            ;   in Loop: Header=BB124_20 Depth=1
                                        ; implicit-def: $sgpr4_sgpr5
	s_branch .LBB124_204
.LBB124_246:                            ;   in Loop: Header=BB124_20 Depth=1
	s_or_b32 exec_lo, exec_lo, s10
	s_wait_alu 0xfffe
	s_and_b32 s10, s62, exec_lo
.LBB124_247:                            ;   in Loop: Header=BB124_20 Depth=1
	s_or_b32 exec_lo, exec_lo, s44
.LBB124_248:                            ;   in Loop: Header=BB124_20 Depth=1
	s_wait_alu 0xfffe
	s_and_b32 vcc_lo, exec_lo, s11
	s_wait_alu 0xfffe
	s_cbranch_vccz .LBB124_263
; %bb.249:                              ;   in Loop: Header=BB124_20 Depth=1
	s_mov_b32 s4, s45
	s_mov_b32 s5, s51
	s_wait_alu 0xfffe
	s_cmp_lg_u64 s[4:5], 0
	s_cbranch_scc0 .LBB124_284
; %bb.250:                              ;   in Loop: Header=BB124_20 Depth=1
	s_cvt_f32_u32 s4, s40
	s_sub_nc_u64 s[8:9], 0, s[40:41]
	s_wait_alu 0xfffe
	s_delay_alu instid0(SALU_CYCLE_1) | instskip(SKIP_1) | instid1(SALU_CYCLE_2)
	s_fmamk_f32 s4, s81, 0x0, s4
	s_wait_alu 0xfffe
	v_s_rcp_f32 s4, s4
	s_delay_alu instid0(TRANS32_DEP_1) | instskip(SKIP_1) | instid1(SALU_CYCLE_2)
	s_mul_f32 s4, s4, 0x5f7ffffc
	s_wait_alu 0xfffe
	s_mul_f32 s5, s4, 0x2f800000
	s_wait_alu 0xfffe
	s_delay_alu instid0(SALU_CYCLE_2) | instskip(SKIP_1) | instid1(SALU_CYCLE_2)
	s_trunc_f32 s5, s5
	s_wait_alu 0xfffe
	s_fmamk_f32 s4, s5, 0xcf800000, s4
	s_cvt_u32_f32 s5, s5
	s_wait_alu 0xfffe
	s_delay_alu instid0(SALU_CYCLE_1) | instskip(SKIP_1) | instid1(SALU_CYCLE_2)
	s_cvt_u32_f32 s4, s4
	s_wait_alu 0xfffe
	s_mul_u64 s[60:61], s[8:9], s[4:5]
	s_wait_alu 0xfffe
	s_mul_hi_u32 s63, s4, s61
	s_mul_i32 s62, s4, s61
	s_mul_hi_u32 s44, s4, s60
	s_mul_i32 s64, s5, s60
	s_wait_alu 0xfffe
	s_add_nc_u64 s[62:63], s[44:45], s[62:63]
	s_mul_hi_u32 s11, s5, s60
	s_mul_hi_u32 s65, s5, s61
	s_wait_alu 0xfffe
	s_add_co_u32 s44, s62, s64
	s_add_co_ci_u32 s44, s63, s11
	s_mul_i32 s60, s5, s61
	s_add_co_ci_u32 s61, s65, 0
	s_wait_alu 0xfffe
	s_add_nc_u64 s[60:61], s[44:45], s[60:61]
	s_wait_alu 0xfffe
	s_add_co_u32 s4, s4, s60
	s_cselect_b32 s11, -1, 0
	s_wait_alu 0xfffe
	s_cmp_lg_u32 s11, 0
	s_add_co_ci_u32 s5, s5, s61
	s_wait_alu 0xfffe
	s_mul_u64 s[8:9], s[8:9], s[4:5]
	s_wait_alu 0xfffe
	s_mul_hi_u32 s61, s4, s9
	s_mul_i32 s60, s4, s9
	s_mul_hi_u32 s44, s4, s8
	s_mul_i32 s62, s5, s8
	s_wait_alu 0xfffe
	s_add_nc_u64 s[60:61], s[44:45], s[60:61]
	s_mul_hi_u32 s11, s5, s8
	s_mul_hi_u32 s63, s5, s9
	s_mul_i32 s8, s5, s9
	s_wait_alu 0xfffe
	s_add_co_u32 s9, s60, s62
	s_add_co_ci_u32 s44, s61, s11
	s_add_co_ci_u32 s9, s63, 0
	s_wait_alu 0xfffe
	s_add_nc_u64 s[8:9], s[44:45], s[8:9]
	s_wait_alu 0xfffe
	s_add_co_u32 s4, s4, s8
	s_cselect_b32 s8, -1, 0
	s_wait_alu 0xfffe
	s_mul_hi_u32 s44, s50, s4
	s_cmp_lg_u32 s8, 0
	s_mul_hi_u32 s11, s51, s4
	s_add_co_ci_u32 s8, s5, s9
	s_mul_i32 s9, s51, s4
	s_wait_alu 0xfffe
	s_mul_hi_u32 s5, s50, s8
	s_mul_i32 s4, s50, s8
	s_mul_hi_u32 s60, s51, s8
	s_wait_alu 0xfffe
	s_add_nc_u64 s[4:5], s[44:45], s[4:5]
	s_mul_i32 s8, s51, s8
	s_wait_alu 0xfffe
	s_add_co_u32 s4, s4, s9
	s_add_co_ci_u32 s44, s5, s11
	s_add_co_ci_u32 s9, s60, 0
	s_wait_alu 0xfffe
	s_add_nc_u64 s[4:5], s[44:45], s[8:9]
	s_wait_alu 0xfffe
	s_mul_u64 s[4:5], s[40:41], s[4:5]
	s_wait_alu 0xfffe
	s_sub_co_u32 s4, s50, s4
	s_cselect_b32 s8, -1, 0
	s_wait_alu 0xfffe
	s_cmp_lg_u32 s8, 0
	s_sub_co_ci_u32 s5, s51, s5
	s_sub_co_u32 s8, s4, s40
	s_cselect_b32 s9, -1, 0
	s_wait_alu 0xfffe
	s_cmp_lg_u32 s9, 0
	s_sub_co_ci_u32 s9, s5, 0
	;; [unrolled: 5-line block ×3, first 2 shown]
	s_cmp_ge_u32 s8, s40
	s_cselect_b32 s60, -1, 0
	s_cmp_eq_u32 s9, 0
	s_wait_alu 0xfffe
	s_cselect_b32 s60, s60, -1
	s_wait_alu 0xfffe
	s_cmp_lg_u32 s60, 0
	s_cselect_b32 s9, s44, s9
	s_cselect_b32 s8, s11, s8
	s_cmp_ge_u32 s4, s40
	s_cselect_b32 s11, -1, 0
	s_cmp_eq_u32 s5, 0
	s_wait_alu 0xfffe
	s_cselect_b32 s11, s11, -1
	s_wait_alu 0xfffe
	s_cmp_lg_u32 s11, 0
	s_cselect_b32 s5, s9, s5
	s_cselect_b32 s4, s8, s4
	s_cbranch_execnz .LBB124_252
.LBB124_251:                            ;   in Loop: Header=BB124_20 Depth=1
	v_cvt_f32_u32_e32 v2, s40
	s_sub_co_i32 s5, 0, s40
	s_delay_alu instid0(VALU_DEP_1) | instskip(NEXT) | instid1(TRANS32_DEP_1)
	v_rcp_iflag_f32_e32 v2, v2
	v_mul_f32_e32 v2, 0x4f7ffffe, v2
	s_delay_alu instid0(VALU_DEP_1) | instskip(NEXT) | instid1(VALU_DEP_1)
	v_cvt_u32_f32_e32 v2, v2
	v_readfirstlane_b32 s4, v2
	s_wait_alu 0xfffe
	s_mul_i32 s5, s5, s4
	s_wait_alu 0xfffe
	s_mul_hi_u32 s5, s4, s5
	s_wait_alu 0xfffe
	s_add_co_i32 s4, s4, s5
	s_wait_alu 0xfffe
	s_mul_hi_u32 s4, s50, s4
	s_wait_alu 0xfffe
	s_mul_i32 s4, s4, s40
	s_wait_alu 0xfffe
	s_sub_co_i32 s4, s50, s4
	s_wait_alu 0xfffe
	s_sub_co_i32 s5, s4, s40
	s_cmp_ge_u32 s4, s40
	s_wait_alu 0xfffe
	s_cselect_b32 s4, s5, s4
	s_wait_alu 0xfffe
	s_sub_co_i32 s5, s4, s40
	s_cmp_ge_u32 s4, s40
	s_wait_alu 0xfffe
	s_cselect_b32 s44, s5, s4
	s_wait_alu 0xfffe
	s_mov_b64 s[4:5], s[44:45]
.LBB124_252:                            ;   in Loop: Header=BB124_20 Depth=1
	s_wait_alu 0xfffe
	s_sub_nc_u64 s[8:9], s[50:51], s[4:5]
	s_mov_b32 s5, exec_lo
                                        ; implicit-def: $vgpr25
	s_wait_alu 0xfffe
	v_cmpx_gt_u64_e64 s[8:9], v[0:1]
	s_cbranch_execz .LBB124_262
; %bb.253:                              ;   in Loop: Header=BB124_20 Depth=1
	v_dual_mov_b32 v2, v10 :: v_dual_mov_b32 v3, v11
	v_dual_mov_b32 v7, v1 :: v_dual_mov_b32 v6, v0
	s_mov_b32 s11, 0
                                        ; implicit-def: $sgpr44
	s_branch .LBB124_257
.LBB124_254:                            ;   in Loop: Header=BB124_257 Depth=2
	s_wait_alu 0xfffe
	s_or_b32 exec_lo, exec_lo, s4
	s_wait_loadcnt_dscnt 0x0
	s_barrier_signal -1
	s_barrier_wait -1
	global_inv scope:SCOPE_SE
	ds_load_b64 v[24:25], v15 offset:3072
	s_wait_loadcnt_dscnt 0x0
	s_barrier_signal -1
	s_barrier_wait -1
	global_inv scope:SCOPE_SE
	v_cmp_eq_f32_e32 vcc_lo, 0, v24
	s_cbranch_vccz .LBB124_260
; %bb.255:                              ;   in Loop: Header=BB124_257 Depth=2
	v_add_co_u32 v6, vcc_lo, v6, s40
	s_wait_alu 0xfffd
	v_add_co_ci_u32_e64 v7, null, 0, v7, vcc_lo
	v_add_co_u32 v2, s4, v2, s42
	s_wait_alu 0xf1ff
	v_add_co_ci_u32_e64 v3, null, s43, v3, s4
	s_delay_alu instid0(VALU_DEP_3)
	v_cmp_le_u64_e32 vcc_lo, s[8:9], v[6:7]
	s_mov_b32 s4, 0
	s_or_not1_b32 s60, vcc_lo, exec_lo
.LBB124_256:                            ;   in Loop: Header=BB124_257 Depth=2
	s_wait_alu 0xfffe
	s_and_b32 s60, exec_lo, s60
	s_wait_alu 0xfffe
	s_or_b32 s11, s60, s11
	s_and_not1_b32 s44, s44, exec_lo
	s_and_b32 s4, s4, exec_lo
	s_wait_alu 0xfffe
	s_or_b32 s44, s44, s4
	s_and_not1_b32 exec_lo, exec_lo, s11
	s_cbranch_execz .LBB124_261
.LBB124_257:                            ;   Parent Loop BB124_20 Depth=1
                                        ; =>  This Inner Loop Header: Depth=2
	s_mov_b32 s4, exec_lo
	s_delay_alu instid0(VALU_DEP_1)
	v_cmpx_gt_u64_e64 s[24:25], v[6:7]
	s_cbranch_execz .LBB124_254
; %bb.258:                              ;   in Loop: Header=BB124_257 Depth=2
	global_load_b32 v24, v[2:3], off
	s_wait_loadcnt 0x0
	v_cmp_lt_i32_e32 vcc_lo, -1, v24
	s_wait_alu 0xfffd
	v_cndmask_b32_e64 v8, -1, 0x80000000, vcc_lo
	v_cmp_o_f32_e32 vcc_lo, v24, v24
	s_delay_alu instid0(VALU_DEP_2) | instskip(SKIP_1) | instid1(VALU_DEP_1)
	v_xor_b32_e32 v8, v8, v24
	s_wait_alu 0xfffd
	v_cndmask_b32_e32 v8, -1, v8, vcc_lo
	s_delay_alu instid0(VALU_DEP_1) | instskip(NEXT) | instid1(VALU_DEP_1)
	v_and_b32_e32 v8, v8, v42
	v_cmp_eq_u32_e32 vcc_lo, v8, v19
	s_and_b32 exec_lo, exec_lo, vcc_lo
	s_cbranch_execz .LBB124_254
; %bb.259:                              ;   in Loop: Header=BB124_257 Depth=2
	ds_store_b64 v15, v[23:24] offset:3072
	s_branch .LBB124_254
.LBB124_260:                            ;   in Loop: Header=BB124_257 Depth=2
	s_mov_b32 s60, -1
	s_mov_b32 s4, -1
                                        ; implicit-def: $vgpr6_vgpr7
                                        ; implicit-def: $vgpr2_vgpr3
	s_branch .LBB124_256
.LBB124_261:                            ;   in Loop: Header=BB124_20 Depth=1
	s_or_b32 exec_lo, exec_lo, s11
	s_delay_alu instid0(SALU_CYCLE_1)
	s_and_not1_b32 s4, s10, exec_lo
	s_wait_alu 0xfffe
	s_and_b32 s8, s44, exec_lo
	s_wait_alu 0xfffe
	s_or_b32 s10, s4, s8
.LBB124_262:                            ;   in Loop: Header=BB124_20 Depth=1
	s_or_b32 exec_lo, exec_lo, s5
	s_mov_b32 s60, 0
	s_mov_b32 s61, -1
.LBB124_263:                            ;   in Loop: Header=BB124_20 Depth=1
	s_wait_alu 0xfffe
	s_or_not1_b32 s5, s10, exec_lo
.LBB124_264:                            ;   in Loop: Header=BB124_20 Depth=1
	s_wait_alu 0xfffe
	s_or_b32 exec_lo, exec_lo, s59
	s_mov_b32 s8, 0
	s_and_saveexec_b32 s4, s5
	s_cbranch_execz .LBB124_275
; %bb.265:                              ;   in Loop: Header=BB124_20 Depth=1
	v_mov_b32_e32 v2, 1
	v_dual_mov_b32 v3, 0 :: v_dual_mov_b32 v14, 1
	s_xor_b32 s8, s18, -1
	s_wait_alu 0xfffe
	s_and_saveexec_b32 s5, s8
	s_cbranch_execz .LBB124_274
; %bb.266:                              ;   in Loop: Header=BB124_20 Depth=1
	s_mov_b32 s8, exec_lo
	v_cmpx_ge_u64_e64 s[6:7], v[4:5]
	s_wait_alu 0xfffe
	s_xor_b32 s8, exec_lo, s8
	s_cbranch_execz .LBB124_271
; %bb.267:                              ;   in Loop: Header=BB124_20 Depth=1
	ds_load_b64 v[2:3], v15 offset:5120
	v_or_b32_e32 v19, s14, v19
	v_or_b32_e32 v42, s14, v42
	s_wait_dscnt 0x0
	v_cmp_ne_u64_e32 vcc_lo, 0, v[2:3]
	s_cbranch_vccnz .LBB124_271
; %bb.268:                              ;   in Loop: Header=BB124_20 Depth=1
	s_and_saveexec_b32 s9, s3
; %bb.269:                              ;   in Loop: Header=BB124_20 Depth=1
	v_dual_mov_b32 v2, s6 :: v_dual_mov_b32 v3, s7
	ds_store_b64 v15, v[2:3] offset:5128
; %bb.270:                              ;   in Loop: Header=BB124_20 Depth=1
	s_wait_alu 0xfffe
	s_or_b32 exec_lo, exec_lo, s9
	s_wait_loadcnt_dscnt 0x0
	s_barrier_signal -1
	s_barrier_wait -1
	global_inv scope:SCOPE_SE
.LBB124_271:                            ;   in Loop: Header=BB124_20 Depth=1
	s_wait_alu 0xfffe
	s_and_not1_saveexec_b32 s8, s8
; %bb.272:                              ;   in Loop: Header=BB124_20 Depth=1
	v_sub_co_u32 v4, vcc_lo, v4, s6
	s_wait_alu 0xfffd
	v_subrev_co_ci_u32_e64 v5, null, s7, v5, vcc_lo
; %bb.273:                              ;   in Loop: Header=BB124_20 Depth=1
	s_wait_alu 0xfffe
	s_or_b32 exec_lo, exec_lo, s8
	v_mov_b32_e32 v2, v4
	s_delay_alu instid0(VALU_DEP_2)
	v_dual_mov_b32 v14, 8 :: v_dual_mov_b32 v3, v5
.LBB124_274:                            ;   in Loop: Header=BB124_20 Depth=1
	s_wait_alu 0xfffe
	s_or_b32 exec_lo, exec_lo, s5
	s_delay_alu instid0(VALU_DEP_1)
	v_dual_mov_b32 v5, v3 :: v_dual_mov_b32 v4, v2
	s_mov_b32 s8, exec_lo
.LBB124_275:                            ;   in Loop: Header=BB124_20 Depth=1
	s_wait_alu 0xfffe
	s_or_b32 exec_lo, exec_lo, s4
	s_delay_alu instid0(SALU_CYCLE_1)
	s_or_not1_b32 s4, s8, exec_lo
.LBB124_276:                            ;   in Loop: Header=BB124_20 Depth=1
	s_wait_alu 0xfffe
	s_or_b32 exec_lo, exec_lo, s13
	v_dual_mov_b32 v2, v4 :: v_dual_mov_b32 v3, v5
	s_and_not1_b32 s5, s58, exec_lo
	s_and_b32 s6, s61, exec_lo
	s_and_not1_b32 s7, s23, exec_lo
	s_and_b32 s8, s60, exec_lo
	s_wait_alu 0xfffe
	s_or_b32 s58, s5, s6
	s_or_b32 s23, s7, s8
	s_and_b32 s5, s4, exec_lo
.LBB124_277:                            ;   in Loop: Header=BB124_20 Depth=1
	s_wait_alu 0xfffe
	s_or_b32 exec_lo, exec_lo, s12
	s_delay_alu instid0(SALU_CYCLE_1)
	s_or_not1_b32 s4, s5, exec_lo
.LBB124_278:                            ;   in Loop: Header=BB124_20 Depth=1
	s_or_b32 exec_lo, exec_lo, s22
	v_dual_mov_b32 v7, v3 :: v_dual_mov_b32 v6, v2
	s_and_not1_b32 s5, s20, exec_lo
	s_and_b32 s6, s58, exec_lo
	s_and_not1_b32 s7, s19, exec_lo
	s_and_b32 s8, s23, exec_lo
	s_wait_alu 0xfffe
	s_or_b32 s20, s5, s6
	s_or_b32 s19, s7, s8
	s_and_b32 s5, s4, exec_lo
.LBB124_279:                            ;   in Loop: Header=BB124_20 Depth=1
	s_or_b32 exec_lo, exec_lo, s21
	s_wait_alu 0xfffe
	s_or_not1_b32 s4, s5, exec_lo
.LBB124_280:                            ;   in Loop: Header=BB124_20 Depth=1
	s_or_b32 exec_lo, exec_lo, s17
	s_mov_b32 s5, 0
	s_wait_alu 0xfffe
	s_and_saveexec_b32 s6, s4
	s_wait_alu 0xfffe
	s_xor_b32 s4, exec_lo, s6
	s_cbranch_execz .LBB124_18
; %bb.281:                              ;   in Loop: Header=BB124_20 Depth=1
	v_and_b32_e32 v2, 7, v14
	s_mov_b32 s6, -1
	s_mov_b32 s5, -1
	s_mov_b32 s7, exec_lo
	s_delay_alu instid0(VALU_DEP_1)
	v_cmpx_eq_u32_e32 0, v2
	s_cbranch_execz .LBB124_17
; %bb.282:                              ;   in Loop: Header=BB124_20 Depth=1
	s_xor_b32 s82, s82, 1
	s_add_co_i32 s8, s79, -2
	s_cmp_eq_u32 s79, 0
	s_wait_alu 0xfffe
	s_mov_b32 s79, s8
	s_cselect_b32 s6, -1, 0
	s_xor_b32 s5, exec_lo, -1
	s_wait_alu 0xfffe
	s_or_not1_b32 s6, s6, exec_lo
	s_branch .LBB124_17
.LBB124_283:                            ;   in Loop: Header=BB124_20 Depth=1
                                        ; implicit-def: $sgpr10_sgpr11
	s_branch .LBB124_234
.LBB124_284:                            ;   in Loop: Header=BB124_20 Depth=1
                                        ; implicit-def: $sgpr4_sgpr5
	s_branch .LBB124_251
.LBB124_285:
	s_or_b32 exec_lo, exec_lo, s80
	s_xor_b32 s3, s88, -1
	s_xor_b32 s1, s86, -1
	s_xor_b32 s4, s83, -1
	s_mov_b32 s0, 0
	s_and_saveexec_b32 s5, s1
	s_wait_alu 0xfffe
	s_xor_b32 s1, exec_lo, s5
	s_cbranch_execnz .LBB124_290
; %bb.286:
	s_and_not1_saveexec_b32 s1, s1
	s_cbranch_execnz .LBB124_303
.LBB124_287:
	s_wait_alu 0xfffe
	s_or_b32 exec_lo, exec_lo, s1
	s_and_saveexec_b32 s1, s0
.LBB124_288:
	; divergent unreachable
.LBB124_289:
	s_endpgm
.LBB124_290:
	s_and_saveexec_b32 s0, s3
	s_delay_alu instid0(SALU_CYCLE_1)
	s_xor_b32 s3, exec_lo, s0
	s_cbranch_execz .LBB124_301
; %bb.291:
	s_and_saveexec_b32 s0, s4
	s_delay_alu instid0(SALU_CYCLE_1)
	s_xor_b32 s0, exec_lo, s0
; %bb.292:
	v_cmp_lt_i32_e32 vcc_lo, -1, v19
	s_wait_alu 0xfffd
	v_cndmask_b32_e64 v2, 0x80000000, -1, vcc_lo
	s_delay_alu instid0(VALU_DEP_1)
	v_xor_b32_e32 v25, v2, v19
; %bb.293:
	s_or_b32 exec_lo, exec_lo, s0
	s_mul_u64 s[4:5], s[38:39], s[28:29]
	v_mov_b32_e32 v2, 0
	s_wait_alu 0xfffe
	s_lshl_b64 s[4:5], s[4:5], 2
	s_wait_alu 0xfffe
	s_add_nc_u64 s[4:5], s[36:37], s[4:5]
	global_store_b32 v2, v25, s[4:5]
	s_and_saveexec_b32 s4, s2
	s_cbranch_execz .LBB124_300
; %bb.294:
	v_cmp_u_f32_e32 vcc_lo, v25, v25
	s_mov_b32 s2, 0
                                        ; implicit-def: $sgpr5
                                        ; implicit-def: $sgpr8
                                        ; implicit-def: $sgpr7
	s_xor_b32 s6, vcc_lo, -1
	s_branch .LBB124_296
.LBB124_295:                            ;   in Loop: Header=BB124_296 Depth=1
	s_wait_alu 0xfffe
	s_or_b32 exec_lo, exec_lo, s9
	s_delay_alu instid0(SALU_CYCLE_1)
	s_and_b32 s0, exec_lo, s8
	s_wait_alu 0xfffe
	s_or_b32 s2, s0, s2
	s_and_not1_b32 s0, s5, exec_lo
	s_and_b32 s5, s7, exec_lo
	s_wait_alu 0xfffe
	s_or_b32 s5, s0, s5
	s_and_not1_b32 exec_lo, exec_lo, s2
	s_cbranch_execz .LBB124_298
.LBB124_296:                            ; =>This Inner Loop Header: Depth=1
	global_load_b32 v2, v[10:11], off
	s_or_b32 s7, s7, exec_lo
	s_or_b32 s8, s8, exec_lo
	s_wait_loadcnt 0x0
	v_cmp_o_f32_e32 vcc_lo, v2, v2
	v_cmp_neq_f32_e64 s0, v2, v25
	v_dual_mov_b32 v3, v1 :: v_dual_mov_b32 v2, v0
                                        ; implicit-def: $vgpr0_vgpr1
	s_wait_alu 0xfffe
	s_or_b32 s9, vcc_lo, s6
	s_wait_alu 0xfffe
	s_and_b32 s0, s0, s9
	s_wait_alu 0xfffe
	s_and_saveexec_b32 s9, s0
	s_cbranch_execz .LBB124_295
; %bb.297:                              ;   in Loop: Header=BB124_296 Depth=1
	v_add_co_u32 v0, vcc_lo, v2, s40
	s_wait_alu 0xfffd
	v_add_co_ci_u32_e64 v1, null, 0, v3, vcc_lo
	v_add_co_u32 v10, s0, v10, s42
	s_wait_alu 0xf1ff
	v_add_co_ci_u32_e64 v11, null, s43, v11, s0
	s_delay_alu instid0(VALU_DEP_3)
	v_cmp_le_u64_e32 vcc_lo, s[24:25], v[0:1]
	s_and_not1_b32 s0, s8, exec_lo
	s_and_not1_b32 s7, s7, exec_lo
	s_and_b32 s8, vcc_lo, exec_lo
	s_wait_alu 0xfffe
	s_or_b32 s8, s0, s8
	s_branch .LBB124_295
.LBB124_298:
	s_or_b32 exec_lo, exec_lo, s2
	s_wait_alu 0xfffe
	s_and_saveexec_b32 s0, s5
	s_wait_alu 0xfffe
	s_xor_b32 s0, exec_lo, s0
	s_cbranch_execz .LBB124_300
; %bb.299:
	s_mul_u64 s[6:7], s[30:31], s[28:29]
	v_mov_b32_e32 v0, 0
	s_wait_alu 0xfffe
	s_lshl_b64 s[6:7], s[6:7], 3
	s_wait_alu 0xfffe
	s_add_nc_u64 s[6:7], s[26:27], s[6:7]
	global_store_b64 v0, v[2:3], s[6:7]
.LBB124_300:
	s_wait_alu 0xfffe
	s_or_b32 exec_lo, exec_lo, s4
.LBB124_301:
	s_wait_alu 0xfffe
	s_or_saveexec_b32 s0, s3
	s_mov_b32 s2, 0
	s_wait_alu 0xfffe
	s_xor_b32 exec_lo, exec_lo, s0
	s_cbranch_execnz .LBB124_304
.LBB124_302:
	s_or_b32 exec_lo, exec_lo, s0
	s_wait_alu 0xfffe
	s_and_b32 s0, s2, exec_lo
	s_and_not1_saveexec_b32 s1, s1
	s_cbranch_execz .LBB124_287
.LBB124_303:
	s_wait_alu 0xfffe
	s_or_b32 s0, s0, exec_lo
	s_trap 2
	s_or_b32 exec_lo, exec_lo, s1
	s_wait_alu 0xfffe
	s_and_saveexec_b32 s1, s0
	s_cbranch_execnz .LBB124_288
	s_branch .LBB124_289
.LBB124_304:
	s_mov_b32 s2, exec_lo
	s_trap 2
	s_branch .LBB124_302
	.section	.rodata,"a",@progbits
	.p2align	6, 0x0
	.amdhsa_kernel _ZN2at6native12_GLOBAL__N_112gatherMedianIfmLi1EEEvNS_4cuda6detail10TensorInfoIT_T0_EENS5_IlS7_EENS5_IKS6_S7_EES7_S7_S7_b
		.amdhsa_group_segment_fixed_size 5152
		.amdhsa_private_segment_fixed_size 0
		.amdhsa_kernarg_size 1536
		.amdhsa_user_sgpr_count 2
		.amdhsa_user_sgpr_dispatch_ptr 0
		.amdhsa_user_sgpr_queue_ptr 0
		.amdhsa_user_sgpr_kernarg_segment_ptr 1
		.amdhsa_user_sgpr_dispatch_id 0
		.amdhsa_user_sgpr_private_segment_size 0
		.amdhsa_wavefront_size32 1
		.amdhsa_uses_dynamic_stack 0
		.amdhsa_enable_private_segment 0
		.amdhsa_system_sgpr_workgroup_id_x 1
		.amdhsa_system_sgpr_workgroup_id_y 1
		.amdhsa_system_sgpr_workgroup_id_z 1
		.amdhsa_system_sgpr_workgroup_info 0
		.amdhsa_system_vgpr_workitem_id 0
		.amdhsa_next_free_vgpr 52
		.amdhsa_next_free_sgpr 90
		.amdhsa_reserve_vcc 1
		.amdhsa_float_round_mode_32 0
		.amdhsa_float_round_mode_16_64 0
		.amdhsa_float_denorm_mode_32 3
		.amdhsa_float_denorm_mode_16_64 3
		.amdhsa_fp16_overflow 0
		.amdhsa_workgroup_processor_mode 1
		.amdhsa_memory_ordered 1
		.amdhsa_forward_progress 1
		.amdhsa_inst_pref_size 144
		.amdhsa_round_robin_scheduling 0
		.amdhsa_exception_fp_ieee_invalid_op 0
		.amdhsa_exception_fp_denorm_src 0
		.amdhsa_exception_fp_ieee_div_zero 0
		.amdhsa_exception_fp_ieee_overflow 0
		.amdhsa_exception_fp_ieee_underflow 0
		.amdhsa_exception_fp_ieee_inexact 0
		.amdhsa_exception_int_div_zero 0
	.end_amdhsa_kernel
	.section	.text._ZN2at6native12_GLOBAL__N_112gatherMedianIfmLi1EEEvNS_4cuda6detail10TensorInfoIT_T0_EENS5_IlS7_EENS5_IKS6_S7_EES7_S7_S7_b,"axG",@progbits,_ZN2at6native12_GLOBAL__N_112gatherMedianIfmLi1EEEvNS_4cuda6detail10TensorInfoIT_T0_EENS5_IlS7_EENS5_IKS6_S7_EES7_S7_S7_b,comdat
.Lfunc_end124:
	.size	_ZN2at6native12_GLOBAL__N_112gatherMedianIfmLi1EEEvNS_4cuda6detail10TensorInfoIT_T0_EENS5_IlS7_EENS5_IKS6_S7_EES7_S7_S7_b, .Lfunc_end124-_ZN2at6native12_GLOBAL__N_112gatherMedianIfmLi1EEEvNS_4cuda6detail10TensorInfoIT_T0_EENS5_IlS7_EENS5_IKS6_S7_EES7_S7_S7_b
                                        ; -- End function
	.set _ZN2at6native12_GLOBAL__N_112gatherMedianIfmLi1EEEvNS_4cuda6detail10TensorInfoIT_T0_EENS5_IlS7_EENS5_IKS6_S7_EES7_S7_S7_b.num_vgpr, 52
	.set _ZN2at6native12_GLOBAL__N_112gatherMedianIfmLi1EEEvNS_4cuda6detail10TensorInfoIT_T0_EENS5_IlS7_EENS5_IKS6_S7_EES7_S7_S7_b.num_agpr, 0
	.set _ZN2at6native12_GLOBAL__N_112gatherMedianIfmLi1EEEvNS_4cuda6detail10TensorInfoIT_T0_EENS5_IlS7_EENS5_IKS6_S7_EES7_S7_S7_b.numbered_sgpr, 90
	.set _ZN2at6native12_GLOBAL__N_112gatherMedianIfmLi1EEEvNS_4cuda6detail10TensorInfoIT_T0_EENS5_IlS7_EENS5_IKS6_S7_EES7_S7_S7_b.num_named_barrier, 0
	.set _ZN2at6native12_GLOBAL__N_112gatherMedianIfmLi1EEEvNS_4cuda6detail10TensorInfoIT_T0_EENS5_IlS7_EENS5_IKS6_S7_EES7_S7_S7_b.private_seg_size, 0
	.set _ZN2at6native12_GLOBAL__N_112gatherMedianIfmLi1EEEvNS_4cuda6detail10TensorInfoIT_T0_EENS5_IlS7_EENS5_IKS6_S7_EES7_S7_S7_b.uses_vcc, 1
	.set _ZN2at6native12_GLOBAL__N_112gatherMedianIfmLi1EEEvNS_4cuda6detail10TensorInfoIT_T0_EENS5_IlS7_EENS5_IKS6_S7_EES7_S7_S7_b.uses_flat_scratch, 0
	.set _ZN2at6native12_GLOBAL__N_112gatherMedianIfmLi1EEEvNS_4cuda6detail10TensorInfoIT_T0_EENS5_IlS7_EENS5_IKS6_S7_EES7_S7_S7_b.has_dyn_sized_stack, 0
	.set _ZN2at6native12_GLOBAL__N_112gatherMedianIfmLi1EEEvNS_4cuda6detail10TensorInfoIT_T0_EENS5_IlS7_EENS5_IKS6_S7_EES7_S7_S7_b.has_recursion, 0
	.set _ZN2at6native12_GLOBAL__N_112gatherMedianIfmLi1EEEvNS_4cuda6detail10TensorInfoIT_T0_EENS5_IlS7_EENS5_IKS6_S7_EES7_S7_S7_b.has_indirect_call, 0
	.section	.AMDGPU.csdata,"",@progbits
; Kernel info:
; codeLenInByte = 18368
; TotalNumSgprs: 92
; NumVgprs: 52
; ScratchSize: 0
; MemoryBound: 0
; FloatMode: 240
; IeeeMode: 1
; LDSByteSize: 5152 bytes/workgroup (compile time only)
; SGPRBlocks: 0
; VGPRBlocks: 6
; NumSGPRsForWavesPerEU: 92
; NumVGPRsForWavesPerEU: 52
; Occupancy: 16
; WaveLimiterHint : 1
; COMPUTE_PGM_RSRC2:SCRATCH_EN: 0
; COMPUTE_PGM_RSRC2:USER_SGPR: 2
; COMPUTE_PGM_RSRC2:TRAP_HANDLER: 0
; COMPUTE_PGM_RSRC2:TGID_X_EN: 1
; COMPUTE_PGM_RSRC2:TGID_Y_EN: 1
; COMPUTE_PGM_RSRC2:TGID_Z_EN: 1
; COMPUTE_PGM_RSRC2:TIDIG_COMP_CNT: 0
	.section	.text._ZN2at6native12_GLOBAL__N_112gatherMedianIfmLi2EEEvNS_4cuda6detail10TensorInfoIT_T0_EENS5_IlS7_EENS5_IKS6_S7_EES7_S7_S7_b,"axG",@progbits,_ZN2at6native12_GLOBAL__N_112gatherMedianIfmLi2EEEvNS_4cuda6detail10TensorInfoIT_T0_EENS5_IlS7_EENS5_IKS6_S7_EES7_S7_S7_b,comdat
	.globl	_ZN2at6native12_GLOBAL__N_112gatherMedianIfmLi2EEEvNS_4cuda6detail10TensorInfoIT_T0_EENS5_IlS7_EENS5_IKS6_S7_EES7_S7_S7_b ; -- Begin function _ZN2at6native12_GLOBAL__N_112gatherMedianIfmLi2EEEvNS_4cuda6detail10TensorInfoIT_T0_EENS5_IlS7_EENS5_IKS6_S7_EES7_S7_S7_b
	.p2align	8
	.type	_ZN2at6native12_GLOBAL__N_112gatherMedianIfmLi2EEEvNS_4cuda6detail10TensorInfoIT_T0_EENS5_IlS7_EENS5_IKS6_S7_EES7_S7_S7_b,@function
_ZN2at6native12_GLOBAL__N_112gatherMedianIfmLi2EEEvNS_4cuda6detail10TensorInfoIT_T0_EENS5_IlS7_EENS5_IKS6_S7_EES7_S7_S7_b: ; @_ZN2at6native12_GLOBAL__N_112gatherMedianIfmLi2EEEvNS_4cuda6detail10TensorInfoIT_T0_EENS5_IlS7_EENS5_IKS6_S7_EES7_S7_S7_b
; %bb.0:
	s_clause 0x1
	s_load_b64 s[8:9], s[0:1], 0x500
	s_load_b128 s[24:27], s[0:1], 0x4e0
	s_lshr_b32 s2, ttmp7, 16
	s_and_b32 s3, ttmp7, 0xffff
	s_mov_b32 s35, 0
	s_wait_kmcnt 0x0
	s_mul_i32 s2, s9, s2
	s_delay_alu instid0(SALU_CYCLE_1) | instskip(NEXT) | instid1(SALU_CYCLE_1)
	s_add_co_i32 s2, s2, s3
	s_mul_i32 s2, s2, s8
	s_delay_alu instid0(SALU_CYCLE_1) | instskip(NEXT) | instid1(SALU_CYCLE_1)
	s_add_co_i32 s34, s2, ttmp9
	v_cmp_le_u64_e64 s2, s[26:27], s[34:35]
	s_and_b32 vcc_lo, exec_lo, s2
	s_cbranch_vccnz .LBB125_295
; %bb.1:
	s_clause 0x2
	s_load_b64 s[44:45], s[0:1], 0x10
	s_load_b64 s[40:41], s[0:1], 0x4f0
	;; [unrolled: 1-line block ×3, first 2 shown]
	s_mov_b64 s[42:43], 0
	s_mov_b64 s[46:47], 0
	s_wait_kmcnt 0x0
	v_cmp_lt_u64_e64 s2, s[34:35], s[44:45]
	s_and_b32 vcc_lo, exec_lo, s2
	s_cbranch_vccnz .LBB125_3
; %bb.2:
	v_cvt_f32_u32_e32 v1, s44
	s_sub_co_i32 s3, 0, s44
	s_mov_b32 s47, 0
	s_delay_alu instid0(VALU_DEP_1) | instskip(NEXT) | instid1(TRANS32_DEP_1)
	v_rcp_iflag_f32_e32 v1, v1
	v_mul_f32_e32 v1, 0x4f7ffffe, v1
	s_delay_alu instid0(VALU_DEP_1) | instskip(NEXT) | instid1(VALU_DEP_1)
	v_cvt_u32_f32_e32 v1, v1
	v_readfirstlane_b32 s2, v1
	s_mul_i32 s3, s3, s2
	s_delay_alu instid0(SALU_CYCLE_1) | instskip(NEXT) | instid1(SALU_CYCLE_1)
	s_mul_hi_u32 s3, s2, s3
	s_add_co_i32 s2, s2, s3
	s_delay_alu instid0(SALU_CYCLE_1) | instskip(NEXT) | instid1(SALU_CYCLE_1)
	s_mul_hi_u32 s2, s34, s2
	s_mul_i32 s3, s2, s44
	s_add_co_i32 s4, s2, 1
	s_sub_co_i32 s3, s34, s3
	s_delay_alu instid0(SALU_CYCLE_1)
	s_sub_co_i32 s5, s3, s44
	s_cmp_ge_u32 s3, s44
	s_cselect_b32 s2, s4, s2
	s_cselect_b32 s3, s5, s3
	s_add_co_i32 s4, s2, 1
	s_cmp_ge_u32 s3, s44
	s_cselect_b32 s46, s4, s2
.LBB125_3:
	s_load_b64 s[2:3], s[0:1], 0x350
	v_cmp_lt_u64_e64 s4, s[34:35], s[26:27]
	s_and_b32 vcc_lo, exec_lo, s4
	s_cbranch_vccnz .LBB125_5
; %bb.4:
	v_cvt_f32_u32_e32 v1, s26
	s_sub_co_i32 s5, 0, s26
	s_mov_b32 s43, 0
	s_delay_alu instid0(VALU_DEP_1) | instskip(NEXT) | instid1(TRANS32_DEP_1)
	v_rcp_iflag_f32_e32 v1, v1
	v_mul_f32_e32 v1, 0x4f7ffffe, v1
	s_delay_alu instid0(VALU_DEP_1) | instskip(NEXT) | instid1(VALU_DEP_1)
	v_cvt_u32_f32_e32 v1, v1
	v_readfirstlane_b32 s4, v1
	s_mul_i32 s5, s5, s4
	s_delay_alu instid0(SALU_CYCLE_1) | instskip(NEXT) | instid1(SALU_CYCLE_1)
	s_mul_hi_u32 s5, s4, s5
	s_add_co_i32 s4, s4, s5
	s_delay_alu instid0(SALU_CYCLE_1) | instskip(NEXT) | instid1(SALU_CYCLE_1)
	s_mul_hi_u32 s4, s34, s4
	s_mul_i32 s5, s4, s26
	s_add_co_i32 s6, s4, 1
	s_sub_co_i32 s5, s34, s5
	s_delay_alu instid0(SALU_CYCLE_1)
	s_sub_co_i32 s7, s5, s26
	s_cmp_ge_u32 s5, s26
	s_cselect_b32 s4, s6, s4
	s_cselect_b32 s5, s7, s5
	s_add_co_i32 s6, s4, 1
	s_cmp_ge_u32 s5, s26
	s_cselect_b32 s42, s6, s4
.LBB125_5:
	s_clause 0x1
	s_load_b128 s[4:7], s[0:1], 0x410
	s_load_b64 s[10:11], s[0:1], 0x340
	s_wait_kmcnt 0x0
	v_cmp_lt_u64_e64 s9, s[34:35], s[2:3]
	s_mov_b64 s[12:13], 0
	s_and_b32 vcc_lo, exec_lo, s9
	s_cbranch_vccnz .LBB125_7
; %bb.6:
	v_cvt_f32_u32_e32 v1, s2
	s_sub_co_i32 s12, 0, s2
	s_delay_alu instid0(VALU_DEP_1) | instskip(NEXT) | instid1(TRANS32_DEP_1)
	v_rcp_iflag_f32_e32 v1, v1
	v_mul_f32_e32 v1, 0x4f7ffffe, v1
	s_delay_alu instid0(VALU_DEP_1) | instskip(NEXT) | instid1(VALU_DEP_1)
	v_cvt_u32_f32_e32 v1, v1
	v_readfirstlane_b32 s9, v1
	s_mul_i32 s12, s12, s9
	s_delay_alu instid0(SALU_CYCLE_1) | instskip(NEXT) | instid1(SALU_CYCLE_1)
	s_mul_hi_u32 s12, s9, s12
	s_add_co_i32 s9, s9, s12
	s_delay_alu instid0(SALU_CYCLE_1) | instskip(NEXT) | instid1(SALU_CYCLE_1)
	s_mul_hi_u32 s9, s34, s9
	s_mul_i32 s12, s9, s2
	s_add_co_i32 s13, s9, 1
	s_sub_co_i32 s12, s34, s12
	s_delay_alu instid0(SALU_CYCLE_1)
	s_sub_co_i32 s14, s12, s2
	s_cmp_ge_u32 s12, s2
	s_cselect_b32 s9, s13, s9
	s_cselect_b32 s12, s14, s12
	s_add_co_i32 s14, s9, 1
	s_cmp_ge_u32 s12, s2
	s_mov_b32 s13, 0
	s_cselect_b32 s12, s14, s9
.LBB125_7:
	v_dual_mov_b32 v1, 0 :: v_dual_mov_b32 v2, 0
	s_mul_u64 s[2:3], s[12:13], s[2:3]
	s_mul_u64 s[4:5], s[12:13], s[4:5]
	s_wait_alu 0xfffe
	s_sub_nc_u64 s[2:3], s[34:35], s[2:3]
	s_lshl_b64 s[4:5], s[4:5], 2
	s_wait_alu 0xfffe
	s_mul_u64 s[6:7], s[2:3], s[6:7]
	v_cmp_gt_u64_e64 s2, s[24:25], v[0:1]
	v_mov_b32_e32 v3, 0
	s_add_nc_u64 s[4:5], s[10:11], s[4:5]
	s_lshl_b64 s[10:11], s[6:7], 2
	s_add_nc_u64 s[6:7], s[0:1], 0x500
	s_add_nc_u64 s[48:49], s[4:5], s[10:11]
	s_and_saveexec_b32 s4, s2
	s_cbranch_execz .LBB125_11
; %bb.8:
	s_load_b32 s3, s[6:7], 0xc
	v_dual_mov_b32 v2, 0 :: v_dual_mov_b32 v5, v1
	v_dual_mov_b32 v3, 0 :: v_dual_mov_b32 v4, v0
	s_mov_b32 s5, 0
	s_wait_kmcnt 0x0
	s_and_b32 s9, s3, 0xffff
.LBB125_9:                              ; =>This Inner Loop Header: Depth=1
	v_mul_lo_u32 v8, v5, s40
	v_mul_lo_u32 v9, v4, s41
	v_mad_co_u64_u32 v[6:7], null, v4, s40, 0
	s_delay_alu instid0(VALU_DEP_1) | instskip(NEXT) | instid1(VALU_DEP_1)
	v_add3_u32 v7, v7, v9, v8
	v_lshlrev_b64_e32 v[6:7], 2, v[6:7]
	s_delay_alu instid0(VALU_DEP_1) | instskip(SKIP_1) | instid1(VALU_DEP_2)
	v_add_co_u32 v6, vcc_lo, s48, v6
	s_wait_alu 0xfffd
	v_add_co_ci_u32_e64 v7, null, s49, v7, vcc_lo
	v_add_co_u32 v4, vcc_lo, v4, s9
	s_wait_alu 0xfffd
	v_add_co_ci_u32_e64 v5, null, 0, v5, vcc_lo
	global_load_b32 v6, v[6:7], off
	s_wait_loadcnt 0x0
	v_cmp_u_f32_e32 vcc_lo, v6, v6
	s_wait_alu 0xfffd
	v_cndmask_b32_e64 v6, 0, 1, vcc_lo
	v_cmp_le_u64_e32 vcc_lo, s[24:25], v[4:5]
	s_delay_alu instid0(VALU_DEP_2) | instskip(SKIP_3) | instid1(SALU_CYCLE_1)
	v_add_co_u32 v2, s3, v2, v6
	s_wait_alu 0xf1ff
	v_add_co_ci_u32_e64 v3, null, 0, v3, s3
	s_or_b32 s5, vcc_lo, s5
	s_and_not1_b32 exec_lo, exec_lo, s5
	s_cbranch_execnz .LBB125_9
; %bb.10:
	s_or_b32 exec_lo, exec_lo, s5
.LBB125_11:
	s_delay_alu instid0(SALU_CYCLE_1)
	s_or_b32 exec_lo, exec_lo, s4
	s_clause 0x3
	s_load_b128 s[28:31], s[0:1], 0x270
	s_load_b64 s[50:51], s[0:1], 0x1a0
	s_load_b128 s[36:39], s[0:1], 0xd0
	s_load_b64 s[52:53], s[0:1], 0x0
	v_cmp_eq_u32_e64 s3, 0, v0
	s_and_saveexec_b32 s4, s3
; %bb.12:
	v_mov_b32_e32 v4, 0
	s_delay_alu instid0(VALU_DEP_1)
	v_mov_b32_e32 v5, v4
	ds_store_b64 v4, v[4:5] offset:5136
; %bb.13:
	s_or_b32 exec_lo, exec_lo, s4
	s_mov_b64 s[4:5], 0
	s_mov_b32 s9, exec_lo
	s_wait_dscnt 0x0
	s_barrier_signal -1
	s_barrier_wait -1
	global_inv scope:SCOPE_SE
	v_cmpx_ne_u64_e32 0, v[2:3]
	s_cbranch_execz .LBB125_18
; %bb.14:
	s_mov_b32 s10, exec_lo
.LBB125_15:                             ; =>This Inner Loop Header: Depth=1
	s_delay_alu instid0(SALU_CYCLE_1)
	s_ctz_i32_b32 s11, s10
	s_wait_alu 0xfffe
	v_readlane_b32 s13, v3, s11
	v_readlane_b32 s12, v2, s11
	s_lshl_b32 s11, 1, s11
	s_wait_alu 0xfffe
	s_and_not1_b32 s10, s10, s11
	s_wait_alu 0xfffe
	s_cmp_lg_u32 s10, 0
	s_add_nc_u64 s[4:5], s[4:5], s[12:13]
	s_cbranch_scc1 .LBB125_15
; %bb.16:
	v_mbcnt_lo_u32_b32 v2, exec_lo, 0
	s_mov_b32 s10, exec_lo
	s_delay_alu instid0(VALU_DEP_1)
	v_cmpx_eq_u32_e32 0, v2
	s_wait_alu 0xfffe
	s_xor_b32 s10, exec_lo, s10
; %bb.17:
	v_mov_b32_e32 v2, s4
	v_dual_mov_b32 v4, 0 :: v_dual_mov_b32 v3, s5
	ds_add_u64 v4, v[2:3] offset:5136
.LBB125_18:
	s_wait_alu 0xfffe
	s_or_b32 exec_lo, exec_lo, s9
	v_dual_mov_b32 v2, 0 :: v_dual_mov_b32 v19, s24
	s_wait_loadcnt_dscnt 0x0
	s_barrier_signal -1
	s_barrier_wait -1
	global_inv scope:SCOPE_SE
	ds_load_b64 v[2:3], v2 offset:5136
	s_load_b32 s0, s[0:1], 0x4f8
	v_mov_b32_e32 v20, s25
	s_wait_dscnt 0x0
	v_cmp_gt_i64_e32 vcc_lo, 1, v[2:3]
	s_wait_kmcnt 0x0
	s_bitcmp1_b32 s0, 0
	s_cselect_b32 s0, -1, 0
	s_delay_alu instid0(SALU_CYCLE_1) | instskip(NEXT) | instid1(SALU_CYCLE_1)
	s_or_b32 s0, s0, vcc_lo
	s_and_not1_b32 vcc_lo, exec_lo, s0
	s_wait_alu 0xfffe
	s_cbranch_vccnz .LBB125_20
; %bb.19:
	v_not_b32_e32 v2, v2
	v_not_b32_e32 v3, v3
	s_delay_alu instid0(VALU_DEP_2) | instskip(SKIP_1) | instid1(VALU_DEP_2)
	v_add_co_u32 v2, vcc_lo, s24, v2
	s_wait_alu 0xfffd
	v_add_co_ci_u32_e64 v3, null, s25, v3, vcc_lo
	s_delay_alu instid0(VALU_DEP_1) | instskip(NEXT) | instid1(VALU_DEP_1)
	v_lshrrev_b64 v[2:3], 1, v[2:3]
	v_add_co_u32 v19, vcc_lo, v2, 1
	s_wait_alu 0xfffd
	s_delay_alu instid0(VALU_DEP_2)
	v_add_co_ci_u32_e64 v20, null, 0, v3, vcc_lo
.LBB125_20:
	s_and_saveexec_b32 s0, s3
	s_cbranch_execz .LBB125_22
; %bb.21:
	v_dual_mov_b32 v2, 0 :: v_dual_mov_b32 v5, s25
	s_delay_alu instid0(VALU_DEP_1)
	v_dual_mov_b32 v4, s24 :: v_dual_mov_b32 v3, v2
	ds_store_b32 v2, v2 offset:5144
	ds_store_b128 v2, v[2:5] offset:5120
.LBB125_22:
	s_or_b32 exec_lo, exec_lo, s0
	s_wait_loadcnt_dscnt 0x0
	s_barrier_signal -1
	s_barrier_wait -1
	global_inv scope:SCOPE_SE
	s_load_b32 s5, s[6:7], 0xc
	v_mad_co_u64_u32 v[2:3], null, s40, v0, 0
	v_mbcnt_lo_u32_b32 v25, -1, 0
	v_cmp_gt_u32_e32 vcc_lo, 32, v0
	v_dual_mov_b32 v13, 0 :: v_dual_lshlrev_b32 v10, 2, v0
	s_mov_b32 s57, 0
	s_delay_alu instid0(VALU_DEP_3)
	v_cmp_gt_i32_e64 s4, 4, v25
	v_mad_co_u64_u32 v[3:4], null, s41, v0, v[3:4]
	v_lshlrev_b64_e64 v[4:5], v25, -1
	v_cmp_lt_u64_e64 s33, 0x300, s[24:25]
	s_and_b32 s74, vcc_lo, s4
	s_mov_b32 s55, s57
	v_cmp_gt_u32_e64 s0, 2, v0
	v_cmp_eq_u32_e64 s1, 0, v25
	v_lshlrev_b64_e32 v[2:3], 2, v[2:3]
	v_dual_mov_b32 v11, v13 :: v_dual_add_nc_u32 v26, 0xc00, v10
	s_wait_kmcnt 0x0
	s_and_b32 s54, s5, 0xffff
	s_bfe_u32 s4, s5, 0xb0005
	s_cmp_gt_u32 s54, 31
	v_add_co_u32 v14, vcc_lo, s48, v2
	s_cselect_b32 s75, -1, 0
	s_cmp_lt_u32 ttmp9, s8
	v_not_b32_e32 v27, v4
	s_cselect_b32 s56, 12, 18
	s_wait_alu 0xfffe
	s_add_co_i32 s5, s4, -1
	s_bfe_u32 s76, s54, 0x30005
	s_wait_alu 0xfffe
	s_and_b32 s5, s5, 0xffff
	s_wait_alu 0xfffd
	v_add_co_ci_u32_e64 v15, null, s49, v3, vcc_lo
	s_wait_alu 0xfffe
	s_cmp_gt_u32 s5, 6
	s_movk_i32 s5, 0x3e0
	s_cselect_b32 s77, -1, 0
	s_and_b32 s78, s4, 0x7f8
	s_wait_alu 0xfffe
	v_and_or_b32 v29, v0, s5, 0xc00
	v_lshlrev_b32_e32 v30, 4, v0
	v_lshl_or_b32 v31, v25, 3, 0xc00
	v_mov_b32_e32 v16, 1.0
	v_mov_b32_e32 v18, 0
	v_mov_b32_e32 v28, 0
	;; [unrolled: 1-line block ×3, first 2 shown]
	s_add_nc_u64 s[58:59], s[54:55], -1
	s_cmp_lg_u32 s76, 0
	s_add_nc_u64 s[60:61], s[58:59], s[24:25]
	s_cselect_b32 s79, -1, 0
	s_lshl_b32 s80, s54, 2
	s_mov_b32 s81, 30
	s_add_nc_u64 s[62:63], s[6:7], s[56:57]
	s_mov_b32 s83, 0x4f800000
	s_mov_b32 s82, 0
	s_mov_b32 s84, 0
                                        ; implicit-def: $sgpr88
                                        ; implicit-def: $sgpr90
                                        ; implicit-def: $sgpr85
                                        ; implicit-def: $sgpr87
                                        ; implicit-def: $sgpr89
                                        ; implicit-def: $sgpr86
	s_branch .LBB125_26
.LBB125_23:                             ;   in Loop: Header=BB125_26 Depth=1
	s_wait_alu 0xfffe
	s_or_b32 exec_lo, exec_lo, s7
	s_delay_alu instid0(SALU_CYCLE_1)
	s_and_b32 s5, s5, exec_lo
	s_and_not1_b32 s20, s20, exec_lo
	s_and_not1_b32 s19, s19, exec_lo
	s_or_not1_b32 s16, s6, exec_lo
.LBB125_24:                             ;   in Loop: Header=BB125_26 Depth=1
	s_wait_alu 0xfffe
	s_or_b32 exec_lo, exec_lo, s4
	s_delay_alu instid0(SALU_CYCLE_1)
	s_and_not1_b32 s4, s86, exec_lo
	s_and_b32 s5, s5, exec_lo
	s_and_not1_b32 s6, s87, exec_lo
	s_wait_alu 0xfffe
	s_or_b32 s86, s4, s5
	s_and_not1_b32 s4, s89, exec_lo
	s_and_b32 s5, s20, exec_lo
	s_and_b32 s7, s19, exec_lo
	s_wait_alu 0xfffe
	s_or_b32 s89, s4, s5
	s_or_b32 s87, s6, s7
	s_or_not1_b32 s16, s16, exec_lo
.LBB125_25:                             ;   in Loop: Header=BB125_26 Depth=1
	s_wait_alu 0xfffe
	s_or_b32 exec_lo, exec_lo, s15
	s_delay_alu instid0(SALU_CYCLE_1)
	s_and_b32 s4, exec_lo, s16
	v_dual_mov_b32 v20, v7 :: v_dual_mov_b32 v19, v6
	s_wait_alu 0xfffe
	s_or_b32 s82, s4, s82
	s_and_not1_b32 s4, s85, exec_lo
	s_and_b32 s5, s86, exec_lo
	s_and_not1_b32 s6, s90, exec_lo
	s_wait_alu 0xfffe
	s_or_b32 s85, s4, s5
	s_and_b32 s4, s89, exec_lo
	s_and_not1_b32 s5, s88, exec_lo
	s_and_b32 s7, s87, exec_lo
	s_wait_alu 0xfffe
	s_or_b32 s90, s6, s4
	s_or_b32 s88, s5, s7
	s_and_not1_b32 exec_lo, exec_lo, s82
	s_cbranch_execz .LBB125_291
.LBB125_26:                             ; =>This Loop Header: Depth=1
                                        ;     Child Loop BB125_32 Depth 2
                                        ;     Child Loop BB125_45 Depth 2
	;; [unrolled: 1-line block ×16, first 2 shown]
	ds_load_b128 v[2:5], v13 offset:5120
	s_wait_dscnt 0x0
	v_readfirstlane_b32 s65, v3
	v_readfirstlane_b32 s64, v2
	s_cmp_lg_u64 s[64:65], 0
	s_cbranch_scc1 .LBB125_53
; %bb.27:                               ;   in Loop: Header=BB125_26 Depth=1
	s_and_b32 vcc_lo, exec_lo, s33
	s_wait_alu 0xfffe
	s_cbranch_vccz .LBB125_40
; %bb.28:                               ;   in Loop: Header=BB125_26 Depth=1
	v_cmp_gt_u64_e32 vcc_lo, 0x301, v[4:5]
	s_mov_b32 s6, 0
	s_mov_b32 s4, 0
	s_cbranch_vccz .LBB125_41
; %bb.29:                               ;   in Loop: Header=BB125_26 Depth=1
	s_and_saveexec_b32 s7, s2
	s_cbranch_execz .LBB125_153
; %bb.30:                               ;   in Loop: Header=BB125_26 Depth=1
	global_load_u16 v2, v13, s[62:63]
	global_load_b32 v5, v[14:15], off
	s_mov_b32 s8, 0
	s_wait_loadcnt 0x1
	v_dual_mov_b32 v3, v1 :: v_dual_and_b32 v4, 0xffff, v2
	v_mov_b32_e32 v2, v0
	s_branch .LBB125_32
.LBB125_31:                             ;   in Loop: Header=BB125_32 Depth=2
	s_wait_alu 0xfffe
	s_or_b32 exec_lo, exec_lo, s5
	v_mov_b32_e32 v5, v6
	s_and_not1_b32 exec_lo, exec_lo, s8
	s_cbranch_execz .LBB125_153
.LBB125_32:                             ;   Parent Loop BB125_26 Depth=1
                                        ; =>  This Inner Loop Header: Depth=2
	s_delay_alu instid0(VALU_DEP_1)
	v_add_co_u32 v2, vcc_lo, v2, v4
	s_wait_alu 0xfffd
	v_add_co_ci_u32_e64 v3, null, 0, v3, vcc_lo
	s_wait_dscnt 0x0
	v_dual_mov_b32 v7, 0 :: v_dual_mov_b32 v6, 0
	s_mov_b32 s5, exec_lo
	s_delay_alu instid0(VALU_DEP_2)
	v_cmp_le_u64_e32 vcc_lo, s[24:25], v[2:3]
	v_cmpx_gt_u64_e64 s[24:25], v[2:3]
	s_cbranch_execz .LBB125_34
; %bb.33:                               ;   in Loop: Header=BB125_32 Depth=2
	v_mul_lo_u32 v6, v3, s40
	v_mul_lo_u32 v12, v2, s41
	v_mad_co_u64_u32 v[8:9], null, v2, s40, 0
	s_delay_alu instid0(VALU_DEP_1) | instskip(NEXT) | instid1(VALU_DEP_1)
	v_add3_u32 v9, v9, v12, v6
	v_lshlrev_b64_e32 v[8:9], 2, v[8:9]
	s_delay_alu instid0(VALU_DEP_1) | instskip(SKIP_1) | instid1(VALU_DEP_2)
	v_add_co_u32 v8, s4, s48, v8
	s_wait_alu 0xf1fe
	v_add_co_ci_u32_e64 v9, null, s49, v9, s4
	global_load_b32 v6, v[8:9], off
.LBB125_34:                             ;   in Loop: Header=BB125_32 Depth=2
	s_wait_alu 0xfffe
	s_or_b32 exec_lo, exec_lo, s5
	s_wait_loadcnt 0x0
	v_cmp_lt_i32_e64 s4, -1, v5
	s_wait_alu 0xf1ff
	s_delay_alu instid0(VALU_DEP_1) | instskip(SKIP_1) | instid1(VALU_DEP_2)
	v_cndmask_b32_e64 v8, -1, 0x80000000, s4
	v_cmp_o_f32_e64 s4, v5, v5
	v_xor_b32_e32 v8, v8, v5
	s_wait_alu 0xf1ff
	s_delay_alu instid0(VALU_DEP_1) | instskip(NEXT) | instid1(VALU_DEP_1)
	v_cndmask_b32_e64 v8, -1, v8, s4
	v_and_b32_e32 v8, v8, v32
	s_delay_alu instid0(VALU_DEP_1)
	v_cmp_eq_u32_e64 s4, v8, v28
	s_cmp_lg_u32 s4, 0
	s_cselect_b32 s5, -1, 0
	s_wait_alu 0xfffe
	s_and_b32 s5, s1, s5
	s_wait_alu 0xfffe
	s_and_saveexec_b32 s9, s5
	s_cbranch_execz .LBB125_38
; %bb.35:                               ;   in Loop: Header=BB125_32 Depth=2
	s_mov_b32 s12, exec_lo
	s_bcnt1_i32_b32 s10, s4
	s_wait_alu 0xfffe
	v_mbcnt_lo_u32_b32 v7, s12, 0
	s_mov_b32 s11, exec_lo
                                        ; implicit-def: $vgpr8
	s_delay_alu instid0(VALU_DEP_1)
	v_cmpx_eq_u32_e32 0, v7
; %bb.36:                               ;   in Loop: Header=BB125_32 Depth=2
	s_bcnt1_i32_b32 s5, s12
	s_wait_alu 0xfffe
	s_mul_i32 s5, s10, s5
	s_wait_alu 0xfffe
	v_mov_b32_e32 v8, s5
	ds_add_rtn_u32 v8, v13, v8 offset:5144
; %bb.37:                               ;   in Loop: Header=BB125_32 Depth=2
	s_or_b32 exec_lo, exec_lo, s11
	s_wait_dscnt 0x0
	v_readfirstlane_b32 s5, v8
	s_wait_alu 0xf1ff
	s_delay_alu instid0(VALU_DEP_1)
	v_mad_u32_u24 v7, s10, v7, s5
.LBB125_38:                             ;   in Loop: Header=BB125_32 Depth=2
	s_wait_alu 0xfffe
	s_or_b32 exec_lo, exec_lo, s9
	ds_bpermute_b32 v7, v13, v7
	s_and_b32 s5, exec_lo, vcc_lo
	s_wait_alu 0xfffe
	s_or_b32 s8, s5, s8
	s_and_saveexec_b32 s5, s4
	s_cbranch_execz .LBB125_31
; %bb.39:                               ;   in Loop: Header=BB125_32 Depth=2
	v_and_b32_e32 v8, s4, v27
	s_delay_alu instid0(VALU_DEP_1) | instskip(NEXT) | instid1(VALU_DEP_1)
	v_bcnt_u32_b32 v8, v8, 0
	v_lshlrev_b32_e32 v8, 2, v8
	s_wait_dscnt 0x0
	s_delay_alu instid0(VALU_DEP_1)
	v_lshl_add_u32 v7, v7, 2, v8
	ds_store_b32 v7, v5
	s_branch .LBB125_31
.LBB125_40:                             ;   in Loop: Header=BB125_26 Depth=1
	s_mov_b32 s6, -1
	s_mov_b32 s4, 0
.LBB125_41:                             ;   in Loop: Header=BB125_26 Depth=1
	s_wait_alu 0xfffe
	s_and_b32 vcc_lo, exec_lo, s6
	s_wait_alu 0xfffe
	s_cbranch_vccz .LBB125_51
.LBB125_42:                             ;   in Loop: Header=BB125_26 Depth=1
	s_and_saveexec_b32 s4, s2
	s_cbranch_execz .LBB125_48
; %bb.43:                               ;   in Loop: Header=BB125_26 Depth=1
	global_load_u16 v2, v13, s[62:63]
	global_load_b32 v6, v[14:15], off
	s_mov_b32 s5, exec_lo
	s_wait_loadcnt 0x1
	v_dual_mov_b32 v2, v0 :: v_dual_and_b32 v7, 0xffff, v2
	s_delay_alu instid0(VALU_DEP_1) | instskip(NEXT) | instid1(VALU_DEP_1)
	v_add_nc_u32_e32 v12, v7, v0
	v_cmpx_gt_u64_e64 s[24:25], v[12:13]
	s_cbranch_execz .LBB125_47
; %bb.44:                               ;   in Loop: Header=BB125_26 Depth=1
	v_dual_mov_b32 v4, v12 :: v_dual_mov_b32 v5, v13
	v_dual_mov_b32 v3, v1 :: v_dual_mov_b32 v2, v0
	s_mov_b32 s6, 0
.LBB125_45:                             ;   Parent Loop BB125_26 Depth=1
                                        ; =>  This Inner Loop Header: Depth=2
	s_delay_alu instid0(VALU_DEP_2) | instskip(NEXT) | instid1(VALU_DEP_2)
	v_dual_mov_b32 v22, v5 :: v_dual_mov_b32 v21, v4
	v_lshlrev_b32_e32 v2, 2, v2
	s_delay_alu instid0(VALU_DEP_2) | instskip(NEXT) | instid1(VALU_DEP_3)
	v_mul_lo_u32 v5, v22, s40
	v_mul_lo_u32 v8, v21, s41
	v_mad_co_u64_u32 v[3:4], null, v21, s40, 0
	s_wait_loadcnt 0x0
	ds_store_b32 v2, v6
	v_add3_u32 v4, v4, v8, v5
	s_delay_alu instid0(VALU_DEP_1) | instskip(NEXT) | instid1(VALU_DEP_1)
	v_lshlrev_b64_e32 v[3:4], 2, v[3:4]
	v_add_co_u32 v3, vcc_lo, s48, v3
	s_wait_alu 0xfffd
	s_delay_alu instid0(VALU_DEP_2)
	v_add_co_ci_u32_e64 v4, null, s49, v4, vcc_lo
	global_load_b32 v8, v[3:4], off
	v_add_co_u32 v4, vcc_lo, v21, v7
	s_wait_alu 0xfffd
	v_add_co_ci_u32_e64 v5, null, 0, v22, vcc_lo
	v_dual_mov_b32 v2, v21 :: v_dual_mov_b32 v3, v22
	s_delay_alu instid0(VALU_DEP_2)
	v_cmp_le_u64_e32 vcc_lo, s[24:25], v[4:5]
	s_wait_alu 0xfffe
	s_or_b32 s6, vcc_lo, s6
	s_wait_loadcnt 0x0
	v_mov_b32_e32 v6, v8
	s_wait_alu 0xfffe
	s_and_not1_b32 exec_lo, exec_lo, s6
	s_cbranch_execnz .LBB125_45
; %bb.46:                               ;   in Loop: Header=BB125_26 Depth=1
	s_or_b32 exec_lo, exec_lo, s6
	v_sub_nc_u32_e32 v2, v4, v7
	v_mov_b32_e32 v6, v8
.LBB125_47:                             ;   in Loop: Header=BB125_26 Depth=1
	s_wait_alu 0xfffe
	s_or_b32 exec_lo, exec_lo, s5
	s_delay_alu instid0(VALU_DEP_2)
	v_lshlrev_b32_e32 v2, 2, v2
	s_wait_loadcnt 0x0
	ds_store_b32 v2, v6
.LBB125_48:                             ;   in Loop: Header=BB125_26 Depth=1
	s_wait_alu 0xfffe
	s_or_b32 exec_lo, exec_lo, s4
	s_wait_loadcnt_dscnt 0x0
	s_barrier_signal -1
	s_barrier_wait -1
	global_inv scope:SCOPE_SE
	s_and_saveexec_b32 s4, s3
; %bb.49:                               ;   in Loop: Header=BB125_26 Depth=1
	v_dual_mov_b32 v2, s24 :: v_dual_mov_b32 v3, s25
	ds_store_b64 v13, v[2:3] offset:5120
; %bb.50:                               ;   in Loop: Header=BB125_26 Depth=1
	s_wait_alu 0xfffe
	s_or_b32 exec_lo, exec_lo, s4
	s_mov_b32 s4, -1
	s_wait_loadcnt_dscnt 0x0
	s_barrier_signal -1
	s_barrier_wait -1
.LBB125_51:                             ;   in Loop: Header=BB125_26 Depth=1
	s_wait_alu 0xfffe
	s_and_b32 vcc_lo, exec_lo, s4
	s_mov_b64 s[64:65], 0
	s_wait_alu 0xfffe
	s_cbranch_vccz .LBB125_53
; %bb.52:                               ;   in Loop: Header=BB125_26 Depth=1
	s_wait_loadcnt 0x0
	global_inv scope:SCOPE_SE
	ds_load_b64 v[2:3], v13 offset:5120
	s_wait_dscnt 0x0
	v_readfirstlane_b32 s64, v2
.LBB125_53:                             ;   in Loop: Header=BB125_26 Depth=1
	s_delay_alu instid0(VALU_DEP_1)
	s_cmp_lt_i32 s64, 1
	s_mov_b32 s4, -1
                                        ; implicit-def: $vgpr2_vgpr3
                                        ; implicit-def: $vgpr6_vgpr7
	s_cbranch_scc1 .LBB125_63
; %bb.54:                               ;   in Loop: Header=BB125_26 Depth=1
	s_wait_alu 0xfffe
	s_and_b32 vcc_lo, exec_lo, s4
	s_wait_alu 0xfffe
	s_cbranch_vccnz .LBB125_77
.LBB125_55:                             ;   in Loop: Header=BB125_26 Depth=1
	s_lshl_b32 s4, s84, 7
	s_and_saveexec_b32 s5, s1
	s_cbranch_execz .LBB125_57
.LBB125_56:                             ;   in Loop: Header=BB125_26 Depth=1
	s_wait_alu 0xfffe
	v_lshl_add_u32 v12, s4, 3, v29
	ds_store_b128 v12, v[2:5]
	ds_store_b128 v12, v[6:9] offset:16
.LBB125_57:                             ;   in Loop: Header=BB125_26 Depth=1
	s_wait_alu 0xfffe
	s_or_b32 exec_lo, exec_lo, s5
	s_wait_loadcnt_dscnt 0x0
	s_barrier_signal -1
	s_barrier_wait -1
	global_inv scope:SCOPE_SE
	s_and_saveexec_b32 s5, s74
	s_cbranch_execz .LBB125_91
; %bb.58:                               ;   in Loop: Header=BB125_26 Depth=1
	v_mov_b32_e32 v2, 0
	v_mov_b32_e32 v3, 0
	s_and_not1_b32 vcc_lo, exec_lo, s75
	s_wait_alu 0xfffe
	s_cbranch_vccnz .LBB125_90
; %bb.59:                               ;   in Loop: Header=BB125_26 Depth=1
	v_mov_b32_e32 v2, 0
	v_mov_b32_e32 v3, 0
	s_and_not1_b32 vcc_lo, exec_lo, s77
	s_wait_alu 0xfffe
	s_cbranch_vccnz .LBB125_87
; %bb.60:                               ;   in Loop: Header=BB125_26 Depth=1
	v_lshl_add_u32 v4, s84, 10, v31
	s_mov_b32 s6, 0
.LBB125_61:                             ;   Parent Loop BB125_26 Depth=1
                                        ; =>  This Inner Loop Header: Depth=2
	ds_load_2addr_b64 v[5:8], v4 offset1:4
	ds_load_2addr_b64 v[21:24], v4 offset0:8 offset1:12
	ds_load_2addr_b64 v[33:36], v4 offset0:16 offset1:20
	s_wait_alu 0xfffe
	s_add_co_i32 s6, s6, 8
	s_wait_alu 0xfffe
	s_cmp_eq_u32 s78, s6
	s_wait_dscnt 0x2
	v_add_co_u32 v2, vcc_lo, v5, v2
	s_wait_alu 0xfffd
	v_add_co_ci_u32_e64 v3, null, v6, v3, vcc_lo
	s_delay_alu instid0(VALU_DEP_2) | instskip(SKIP_1) | instid1(VALU_DEP_2)
	v_add_co_u32 v2, vcc_lo, v7, v2
	s_wait_alu 0xfffd
	v_add_co_ci_u32_e64 v3, null, v8, v3, vcc_lo
	ds_load_2addr_b64 v[5:8], v4 offset0:24 offset1:28
	s_wait_dscnt 0x2
	v_add_co_u32 v2, vcc_lo, v21, v2
	s_wait_alu 0xfffd
	v_add_co_ci_u32_e64 v3, null, v22, v3, vcc_lo
	v_add_nc_u32_e32 v4, 0x100, v4
	s_delay_alu instid0(VALU_DEP_3) | instskip(SKIP_1) | instid1(VALU_DEP_3)
	v_add_co_u32 v2, vcc_lo, v23, v2
	s_wait_alu 0xfffd
	v_add_co_ci_u32_e64 v3, null, v24, v3, vcc_lo
	s_wait_dscnt 0x1
	s_delay_alu instid0(VALU_DEP_2) | instskip(SKIP_1) | instid1(VALU_DEP_2)
	v_add_co_u32 v2, vcc_lo, v33, v2
	s_wait_alu 0xfffd
	v_add_co_ci_u32_e64 v3, null, v34, v3, vcc_lo
	s_delay_alu instid0(VALU_DEP_2) | instskip(SKIP_1) | instid1(VALU_DEP_2)
	v_add_co_u32 v2, vcc_lo, v35, v2
	s_wait_alu 0xfffd
	v_add_co_ci_u32_e64 v3, null, v36, v3, vcc_lo
	s_wait_dscnt 0x0
	s_delay_alu instid0(VALU_DEP_2) | instskip(SKIP_1) | instid1(VALU_DEP_2)
	v_add_co_u32 v2, vcc_lo, v5, v2
	s_wait_alu 0xfffd
	v_add_co_ci_u32_e64 v3, null, v6, v3, vcc_lo
	s_delay_alu instid0(VALU_DEP_2) | instskip(SKIP_1) | instid1(VALU_DEP_2)
	v_add_co_u32 v2, vcc_lo, v7, v2
	s_wait_alu 0xfffd
	v_add_co_ci_u32_e64 v3, null, v8, v3, vcc_lo
	s_cbranch_scc0 .LBB125_61
; %bb.62:                               ;   in Loop: Header=BB125_26 Depth=1
	s_mov_b32 s6, s78
	s_and_not1_b32 vcc_lo, exec_lo, s79
	s_wait_alu 0xfffe
	s_cbranch_vccz .LBB125_88
	s_branch .LBB125_90
.LBB125_63:                             ;   in Loop: Header=BB125_26 Depth=1
	global_load_u16 v12, v13, s[62:63]
	s_mov_b32 s5, s25
	s_wait_loadcnt 0x0
	v_readfirstlane_b32 s4, v12
	s_wait_alu 0xfffe
	s_and_b32 s6, 0xffff, s4
	s_mov_b32 s4, s57
	s_wait_alu 0xfffe
	s_lshl_b32 s16, s6, 2
	s_cmp_lg_u64 s[4:5], 0
	s_cbranch_scc0 .LBB125_86
; %bb.64:                               ;   in Loop: Header=BB125_26 Depth=1
	s_wait_alu 0xfffe
	s_cvt_f32_u32 s4, s16
	s_mov_b32 s17, s57
	s_wait_alu 0xfffe
	s_sub_nc_u64 s[6:7], 0, s[16:17]
	s_fmamk_f32 s4, s83, 0x0, s4
	s_wait_alu 0xfffe
	s_delay_alu instid0(SALU_CYCLE_2) | instskip(NEXT) | instid1(TRANS32_DEP_1)
	v_s_rcp_f32 s4, s4
	s_mul_f32 s4, s4, 0x5f7ffffc
	s_wait_alu 0xfffe
	s_delay_alu instid0(SALU_CYCLE_2) | instskip(SKIP_1) | instid1(SALU_CYCLE_2)
	s_mul_f32 s5, s4, 0x2f800000
	s_wait_alu 0xfffe
	s_trunc_f32 s5, s5
	s_wait_alu 0xfffe
	s_delay_alu instid0(SALU_CYCLE_2) | instskip(SKIP_2) | instid1(SALU_CYCLE_1)
	s_fmamk_f32 s4, s5, 0xcf800000, s4
	s_cvt_u32_f32 s5, s5
	s_wait_alu 0xfffe
	s_cvt_u32_f32 s4, s4
	s_wait_alu 0xfffe
	s_delay_alu instid0(SALU_CYCLE_2)
	s_mul_u64 s[8:9], s[6:7], s[4:5]
	s_wait_alu 0xfffe
	s_mul_hi_u32 s11, s4, s9
	s_mul_i32 s10, s4, s9
	s_mul_hi_u32 s56, s4, s8
	s_mul_i32 s13, s5, s8
	s_wait_alu 0xfffe
	s_add_nc_u64 s[10:11], s[56:57], s[10:11]
	s_mul_hi_u32 s12, s5, s8
	s_mul_hi_u32 s14, s5, s9
	s_mul_i32 s8, s5, s9
	s_wait_alu 0xfffe
	s_add_co_u32 s9, s10, s13
	s_add_co_ci_u32 s56, s11, s12
	s_add_co_ci_u32 s9, s14, 0
	s_wait_alu 0xfffe
	s_add_nc_u64 s[8:9], s[56:57], s[8:9]
	s_wait_alu 0xfffe
	s_add_co_u32 s4, s4, s8
	s_cselect_b32 s8, -1, 0
	s_wait_alu 0xfffe
	s_cmp_lg_u32 s8, 0
	s_add_co_ci_u32 s5, s5, s9
	s_wait_alu 0xfffe
	s_mul_u64 s[6:7], s[6:7], s[4:5]
	s_wait_alu 0xfffe
	s_mul_hi_u32 s9, s4, s7
	s_mul_i32 s8, s4, s7
	s_mul_hi_u32 s56, s4, s6
	s_mul_i32 s11, s5, s6
	s_wait_alu 0xfffe
	s_add_nc_u64 s[8:9], s[56:57], s[8:9]
	s_mul_hi_u32 s10, s5, s6
	s_mul_hi_u32 s12, s5, s7
	s_mul_i32 s6, s5, s7
	s_wait_alu 0xfffe
	s_add_co_u32 s7, s8, s11
	s_add_co_ci_u32 s56, s9, s10
	s_add_co_ci_u32 s7, s12, 0
	s_wait_alu 0xfffe
	s_add_nc_u64 s[6:7], s[56:57], s[6:7]
	s_wait_alu 0xfffe
	s_add_co_u32 s4, s4, s6
	s_cselect_b32 s6, -1, 0
	s_wait_alu 0xfffe
	s_mul_hi_u32 s56, s24, s4
	s_cmp_lg_u32 s6, 0
	s_mul_hi_u32 s8, s25, s4
	s_add_co_ci_u32 s6, s5, s7
	s_mul_i32 s7, s25, s4
	s_wait_alu 0xfffe
	s_mul_hi_u32 s5, s24, s6
	s_mul_i32 s4, s24, s6
	s_mul_hi_u32 s9, s25, s6
	s_wait_alu 0xfffe
	s_add_nc_u64 s[4:5], s[56:57], s[4:5]
	s_mul_i32 s6, s25, s6
	s_wait_alu 0xfffe
	s_add_co_u32 s4, s4, s7
	s_add_co_ci_u32 s56, s5, s8
	s_add_co_ci_u32 s7, s9, 0
	s_wait_alu 0xfffe
	s_add_nc_u64 s[4:5], s[56:57], s[6:7]
	s_wait_alu 0xfffe
	s_mul_u64 s[4:5], s[16:17], s[4:5]
	s_wait_alu 0xfffe
	s_sub_co_u32 s4, s24, s4
	s_cselect_b32 s6, -1, 0
	s_wait_alu 0xfffe
	s_cmp_lg_u32 s6, 0
	s_sub_co_ci_u32 s5, s25, s5
	s_sub_co_u32 s6, s4, s16
	s_cselect_b32 s7, -1, 0
	s_wait_alu 0xfffe
	s_cmp_lg_u32 s7, 0
	s_sub_co_ci_u32 s7, s5, 0
	;; [unrolled: 5-line block ×3, first 2 shown]
	s_cmp_ge_u32 s6, s16
	s_cselect_b32 s10, -1, 0
	s_cmp_eq_u32 s7, 0
	s_wait_alu 0xfffe
	s_cselect_b32 s10, s10, -1
	s_wait_alu 0xfffe
	s_cmp_lg_u32 s10, 0
	s_cselect_b32 s7, s9, s7
	s_cselect_b32 s6, s8, s6
	s_cmp_ge_u32 s4, s16
	s_cselect_b32 s8, -1, 0
	s_cmp_eq_u32 s5, 0
	s_wait_alu 0xfffe
	s_cselect_b32 s8, s8, -1
	s_wait_alu 0xfffe
	s_cmp_lg_u32 s8, 0
	s_cselect_b32 s5, s7, s5
	s_cselect_b32 s4, s6, s4
	s_cbranch_execnz .LBB125_66
.LBB125_65:                             ;   in Loop: Header=BB125_26 Depth=1
	s_wait_alu 0xfffe
	v_cvt_f32_u32_e32 v2, s16
	s_sub_co_i32 s5, 0, s16
	s_delay_alu instid0(VALU_DEP_1) | instskip(NEXT) | instid1(TRANS32_DEP_1)
	v_rcp_iflag_f32_e32 v2, v2
	v_mul_f32_e32 v2, 0x4f7ffffe, v2
	s_delay_alu instid0(VALU_DEP_1) | instskip(NEXT) | instid1(VALU_DEP_1)
	v_cvt_u32_f32_e32 v2, v2
	v_readfirstlane_b32 s4, v2
	s_wait_alu 0xfffe
	s_mul_i32 s5, s5, s4
	s_wait_alu 0xfffe
	s_mul_hi_u32 s5, s4, s5
	s_wait_alu 0xfffe
	s_add_co_i32 s4, s4, s5
	s_wait_alu 0xfffe
	s_mul_hi_u32 s4, s24, s4
	s_wait_alu 0xfffe
	s_mul_i32 s4, s4, s16
	s_wait_alu 0xfffe
	s_sub_co_i32 s4, s24, s4
	s_wait_alu 0xfffe
	s_sub_co_i32 s5, s4, s16
	s_cmp_ge_u32 s4, s16
	s_wait_alu 0xfffe
	s_cselect_b32 s4, s5, s4
	s_wait_alu 0xfffe
	s_sub_co_i32 s5, s4, s16
	s_cmp_ge_u32 s4, s16
	s_wait_alu 0xfffe
	s_cselect_b32 s56, s5, s4
	s_wait_alu 0xfffe
	s_mov_b64 s[4:5], s[56:57]
.LBB125_66:                             ;   in Loop: Header=BB125_26 Depth=1
	v_mov_b32_e32 v2, 0
	v_dual_mov_b32 v6, 0 :: v_dual_mov_b32 v3, 0
	v_dual_mov_b32 v4, 0 :: v_dual_mov_b32 v7, 0
	v_dual_mov_b32 v8, 0 :: v_dual_mov_b32 v5, 0
	v_mov_b32_e32 v9, 0
	s_wait_alu 0xfffe
	s_sub_nc_u64 s[18:19], s[24:25], s[4:5]
	s_mov_b32 s15, exec_lo
	s_wait_alu 0xfffe
	v_cmpx_gt_u64_e64 s[18:19], v[10:11]
	s_cbranch_execz .LBB125_70
; %bb.67:                               ;   in Loop: Header=BB125_26 Depth=1
	v_dual_mov_b32 v22, v11 :: v_dual_mov_b32 v21, v10
	s_mov_b64 s[20:21], 0
	s_mov_b32 s17, 0
	s_mov_b64 s[22:23], 0
	s_mov_b64 s[66:67], 0
	;; [unrolled: 1-line block ×3, first 2 shown]
.LBB125_68:                             ;   Parent Loop BB125_26 Depth=1
                                        ; =>  This Inner Loop Header: Depth=2
	v_mul_lo_u32 v4, v22, s40
	v_mul_lo_u32 v5, v21, s41
	v_mad_co_u64_u32 v[2:3], null, v21, s40, 0
	s_lshl_b64 s[4:5], s[40:41], 2
	v_add3_u32 v3, v3, v5, v4
	s_delay_alu instid0(VALU_DEP_1) | instskip(NEXT) | instid1(VALU_DEP_1)
	v_lshlrev_b64_e32 v[2:3], 2, v[2:3]
	v_add_co_u32 v2, vcc_lo, s48, v2
	s_wait_alu 0xfffd
	s_delay_alu instid0(VALU_DEP_2) | instskip(SKIP_1) | instid1(VALU_DEP_2)
	v_add_co_ci_u32_e64 v3, null, s49, v3, vcc_lo
	s_wait_alu 0xfffe
	v_add_co_u32 v4, vcc_lo, v2, s4
	s_wait_alu 0xfffd
	s_delay_alu instid0(VALU_DEP_2)
	v_add_co_ci_u32_e64 v5, null, s5, v3, vcc_lo
	global_load_b32 v6, v[2:3], off
	v_add_co_u32 v2, vcc_lo, v4, s4
	s_wait_alu 0xfffd
	v_add_co_ci_u32_e64 v3, null, s5, v5, vcc_lo
	s_clause 0x1
	global_load_b32 v4, v[4:5], off
	global_load_b32 v5, v[2:3], off
	v_add_co_u32 v2, vcc_lo, v2, s4
	s_wait_alu 0xfffd
	v_add_co_ci_u32_e64 v3, null, s5, v3, vcc_lo
	v_add_co_u32 v21, vcc_lo, v21, s16
	s_wait_alu 0xfffd
	v_add_co_ci_u32_e64 v22, null, 0, v22, vcc_lo
	global_load_b32 v2, v[2:3], off
	v_cmp_le_u64_e32 vcc_lo, s[18:19], v[21:22]
	s_wait_loadcnt 0x3
	v_cmp_lt_i32_e64 s4, -1, v6
	s_wait_alu 0xf1ff
	s_delay_alu instid0(VALU_DEP_1)
	v_cndmask_b32_e64 v3, -1, 0x80000000, s4
	s_wait_loadcnt 0x2
	v_cmp_lt_i32_e64 s4, -1, v4
	s_wait_loadcnt 0x1
	v_cmp_lt_i32_e64 s5, -1, v5
	v_xor_b32_e32 v3, v3, v6
	s_wait_alu 0xf1ff
	v_cndmask_b32_e64 v7, -1, 0x80000000, s4
	v_cmp_o_f32_e64 s4, v6, v6
	s_wait_loadcnt 0x0
	v_cmp_o_f32_e64 s9, v2, v2
	s_delay_alu instid0(VALU_DEP_3) | instskip(SKIP_4) | instid1(VALU_DEP_3)
	v_xor_b32_e32 v6, v7, v4
	s_wait_alu 0xf1ff
	v_cndmask_b32_e64 v3, -1, v3, s4
	v_cmp_o_f32_e64 s4, v4, v4
	v_cndmask_b32_e64 v7, -1, 0x80000000, s5
	v_and_b32_e32 v8, v3, v32
	s_wait_alu 0xf1ff
	s_delay_alu instid0(VALU_DEP_3) | instskip(SKIP_4) | instid1(VALU_DEP_3)
	v_cndmask_b32_e64 v4, -1, v6, s4
	v_cmp_lt_i32_e64 s4, -1, v2
	v_xor_b32_e32 v6, v7, v5
	v_bfe_u32 v3, v3, s81, 2
	s_wait_alu 0xf1ff
	v_cndmask_b32_e64 v7, -1, 0x80000000, s4
	v_cmp_o_f32_e64 s4, v5, v5
	s_delay_alu instid0(VALU_DEP_3)
	v_cmp_eq_u32_e64 s5, 0, v3
	v_cmp_eq_u32_e64 s6, 1, v3
	;; [unrolled: 1-line block ×4, first 2 shown]
	s_wait_alu 0xf1ff
	v_cndmask_b32_e64 v5, -1, v6, s4
	v_xor_b32_e32 v6, v7, v2
	v_cmp_eq_u32_e64 s4, v8, v28
	v_and_b32_e32 v7, v4, v32
	v_bfe_u32 v4, v4, s81, 2
	v_and_b32_e32 v3, v5, v32
	v_cndmask_b32_e64 v2, -1, v6, s9
	v_bfe_u32 v5, v5, s81, 2
	v_cmp_eq_u32_e64 s9, v7, v28
	v_cmp_eq_u32_e64 s10, 0, v4
	s_and_b32 s5, s4, s5
	s_and_b32 s6, s4, s6
	s_and_b32 s7, s4, s7
	s_wait_alu 0xfffe
	v_cndmask_b32_e64 v6, 0, 1, s5
	v_cmp_eq_u32_e64 s5, 1, v4
	v_cndmask_b32_e64 v7, 0, 1, s6
	v_cmp_eq_u32_e64 s6, 2, v4
	;; [unrolled: 2-line block ×3, first 2 shown]
	s_and_b32 s4, s4, s8
	v_cmp_eq_u32_e64 s8, 0, v5
	s_wait_alu 0xfffe
	v_cndmask_b32_e64 v4, 0, 1, s4
	v_cmp_eq_u32_e64 s4, v3, v28
	v_and_b32_e32 v3, v2, v32
	v_bfe_u32 v2, v2, s81, 2
	s_and_b32 s10, s9, s10
	v_cmp_ne_u32_e64 s11, 0, v6
	s_wait_alu 0xfffe
	v_cndmask_b32_e64 v6, 0, 1, s10
	v_cmp_eq_u32_e64 s10, 1, v5
	s_and_b32 s5, s9, s5
	s_and_b32 s6, s9, s6
	;; [unrolled: 1-line block ×3, first 2 shown]
	v_cmp_ne_u32_e64 s12, 0, v7
	s_wait_alu 0xfffe
	v_cndmask_b32_e64 v7, 0, 1, s5
	v_cmp_eq_u32_e64 s5, 2, v5
	v_cmp_ne_u32_e64 s13, 0, v8
	v_cndmask_b32_e64 v8, 0, 1, s6
	v_cmp_eq_u32_e64 s6, 3, v5
	v_cmp_ne_u32_e64 s14, 0, v4
	v_cndmask_b32_e64 v4, 0, 1, s7
	v_cmp_eq_u32_e64 s7, v3, v28
	v_cmp_eq_u32_e64 s9, 0, v2
	s_and_b32 s8, s4, s8
	s_and_b32 s10, s4, s10
	s_wait_alu 0xfffe
	v_cndmask_b32_e64 v3, 0, 1, s8
	v_cmp_eq_u32_e64 s8, 1, v2
	v_cndmask_b32_e64 v5, 0, 1, s10
	v_cmp_eq_u32_e64 s10, 2, v2
	s_and_b32 s5, s4, s5
	s_and_b32 s4, s4, s6
	;; [unrolled: 1-line block ×3, first 2 shown]
	s_bcnt1_i32_b32 s56, s11
	v_cmp_ne_u32_e64 s11, 0, v6
	s_wait_alu 0xfffe
	v_cndmask_b32_e64 v6, 0, 1, s5
	v_cmp_eq_u32_e64 s5, 3, v2
	s_bcnt1_i32_b32 s71, s14
	v_cmp_ne_u32_e64 s14, 0, v4
	v_cndmask_b32_e64 v2, 0, 1, s4
	v_cmp_ne_u32_e64 s4, 0, v3
	v_cndmask_b32_e64 v3, 0, 1, s6
	s_and_b32 s8, s7, s8
	s_and_b32 s9, s7, s10
	s_wait_alu 0xfffe
	v_cndmask_b32_e64 v4, 0, 1, s8
	s_bcnt1_i32_b32 s65, s12
	v_cmp_ne_u32_e64 s12, 0, v7
	v_cmp_ne_u32_e64 s6, 0, v5
	v_cndmask_b32_e64 v5, 0, 1, s9
	s_and_b32 s5, s7, s5
	s_bcnt1_i32_b32 s70, s13
	v_cmp_ne_u32_e64 s13, 0, v8
	s_bcnt1_i32_b32 s10, s14
	s_bcnt1_i32_b32 s14, s4
	v_cmp_ne_u32_e64 s4, 0, v3
	s_bcnt1_i32_b32 s11, s11
	v_cmp_ne_u32_e64 s9, 0, v2
	s_wait_alu 0xfffe
	v_cndmask_b32_e64 v2, 0, 1, s5
	v_cmp_ne_u32_e64 s8, 0, v6
	v_cmp_ne_u32_e64 s5, 0, v4
	s_bcnt1_i32_b32 s12, s12
	s_add_co_i32 s11, s11, s56
	s_bcnt1_i32_b32 s56, s6
	v_cmp_ne_u32_e64 s6, 0, v5
	s_bcnt1_i32_b32 s13, s13
	s_wait_alu 0xfffe
	s_add_co_i32 s12, s12, s65
	s_add_co_i32 s11, s11, s14
	s_bcnt1_i32_b32 s4, s4
	v_cmp_ne_u32_e64 s7, 0, v2
	s_add_co_i32 s13, s13, s70
	s_bcnt1_i32_b32 s8, s8
	s_wait_alu 0xfffe
	s_add_co_i32 s12, s12, s56
	s_bcnt1_i32_b32 s5, s5
	s_add_co_i32 s56, s11, s4
	s_add_co_i32 s10, s10, s71
	s_bcnt1_i32_b32 s9, s9
	s_add_co_i32 s8, s13, s8
	s_bcnt1_i32_b32 s6, s6
	s_wait_alu 0xfffe
	s_add_nc_u64 s[68:69], s[68:69], s[56:57]
	s_add_co_i32 s56, s12, s5
	s_add_co_i32 s9, s10, s9
	s_bcnt1_i32_b32 s7, s7
	s_wait_alu 0xfffe
	s_add_nc_u64 s[66:67], s[66:67], s[56:57]
	s_add_co_i32 s56, s8, s6
	s_wait_alu 0xfffe
	v_mov_b32_e32 v4, s66
	s_add_nc_u64 s[22:23], s[22:23], s[56:57]
	s_add_co_i32 s56, s9, s7
	v_mov_b32_e32 v2, s68
	s_wait_alu 0xfffe
	s_add_nc_u64 s[20:21], s[20:21], s[56:57]
	s_wait_alu 0xfffe
	v_dual_mov_b32 v5, s67 :: v_dual_mov_b32 v8, s20
	v_dual_mov_b32 v6, s22 :: v_dual_mov_b32 v3, s69
	v_mov_b32_e32 v7, s23
	v_mov_b32_e32 v9, s21
	s_or_b32 s17, vcc_lo, s17
	s_wait_alu 0xfffe
	s_and_not1_b32 exec_lo, exec_lo, s17
	s_cbranch_execnz .LBB125_68
; %bb.69:                               ;   in Loop: Header=BB125_26 Depth=1
	s_or_b32 exec_lo, exec_lo, s17
.LBB125_70:                             ;   in Loop: Header=BB125_26 Depth=1
	s_delay_alu instid0(SALU_CYCLE_1)
	s_or_b32 exec_lo, exec_lo, s15
	v_add_co_u32 v21, s4, s18, v0
	v_and_b32_e32 v12, 0xffff, v12
	s_wait_alu 0xf1ff
	v_add_co_ci_u32_e64 v22, null, s19, 0, s4
	s_mov_b32 s8, exec_lo
	v_cmpx_gt_u64_e64 s[24:25], v[21:22]
	s_cbranch_execz .LBB125_76
; %bb.71:                               ;   in Loop: Header=BB125_26 Depth=1
	v_mul_lo_u32 v17, v22, s40
	v_mul_lo_u32 v33, v21, s41
	v_mad_co_u64_u32 v[23:24], null, v21, s40, 0
	s_mov_b32 s9, 0
	v_add3_u32 v24, v24, v33, v17
	s_delay_alu instid0(VALU_DEP_1) | instskip(NEXT) | instid1(VALU_DEP_1)
	v_lshlrev_b64_e32 v[23:24], 2, v[23:24]
	v_add_co_u32 v23, vcc_lo, s48, v23
	s_wait_alu 0xfffd
	s_delay_alu instid0(VALU_DEP_2)
	v_add_co_ci_u32_e64 v24, null, s49, v24, vcc_lo
	global_load_b32 v23, v[23:24], off
	s_branch .LBB125_73
.LBB125_72:                             ;   in Loop: Header=BB125_73 Depth=2
	s_wait_alu 0xfffe
	s_or_b32 exec_lo, exec_lo, s5
	s_wait_loadcnt 0x0
	v_cmp_lt_i32_e64 s4, -1, v23
	s_and_b32 s5, exec_lo, vcc_lo
	s_wait_alu 0xfffe
	s_or_b32 s9, s5, s9
	v_cndmask_b32_e64 v24, -1, 0x80000000, s4
	v_cmp_o_f32_e64 s4, v23, v23
	s_delay_alu instid0(VALU_DEP_2) | instskip(SKIP_1) | instid1(VALU_DEP_1)
	v_xor_b32_e32 v24, v24, v23
	s_wait_alu 0xf1ff
	v_cndmask_b32_e64 v23, -1, v24, s4
	s_delay_alu instid0(VALU_DEP_1) | instskip(SKIP_1) | instid1(VALU_DEP_2)
	v_and_b32_e32 v24, v23, v32
	v_bfe_u32 v23, v23, s81, 2
	v_cmp_eq_u32_e32 vcc_lo, v24, v28
	s_delay_alu instid0(VALU_DEP_2)
	v_cmp_eq_u32_e64 s4, 0, v23
	v_cmp_eq_u32_e64 s5, 1, v23
	;; [unrolled: 1-line block ×4, first 2 shown]
	s_and_b32 s4, vcc_lo, s4
	s_wait_alu 0xfffe
	v_cndmask_b32_e64 v23, 0, 1, s4
	s_and_b32 s4, vcc_lo, s5
	s_wait_alu 0xfffe
	v_cndmask_b32_e64 v24, 0, 1, s4
	;; [unrolled: 3-line block ×3, first 2 shown]
	s_and_b32 s4, vcc_lo, s7
	v_cmp_ne_u32_e32 vcc_lo, 0, v23
	s_wait_alu 0xfffe
	v_cndmask_b32_e64 v34, 0, 1, s4
	v_cmp_ne_u32_e64 s4, 0, v24
	v_cmp_ne_u32_e64 s5, 0, v33
	v_mov_b32_e32 v23, v17
	s_bcnt1_i32_b32 s7, vcc_lo
	v_cmp_ne_u32_e64 s6, 0, v34
	s_bcnt1_i32_b32 s4, s4
	s_wait_alu 0xfffe
	v_add_co_u32 v2, vcc_lo, v2, s7
	s_bcnt1_i32_b32 s5, s5
	s_wait_alu 0xfffd
	v_add_co_ci_u32_e64 v3, null, 0, v3, vcc_lo
	v_add_co_u32 v4, vcc_lo, v4, s4
	s_wait_alu 0xfffd
	v_add_co_ci_u32_e64 v5, null, 0, v5, vcc_lo
	s_wait_alu 0xfffe
	v_add_co_u32 v6, vcc_lo, v6, s5
	s_bcnt1_i32_b32 s4, s6
	s_wait_alu 0xfffd
	v_add_co_ci_u32_e64 v7, null, 0, v7, vcc_lo
	s_wait_alu 0xfffe
	v_add_co_u32 v8, vcc_lo, v8, s4
	s_wait_alu 0xfffd
	v_add_co_ci_u32_e64 v9, null, 0, v9, vcc_lo
	s_and_not1_b32 exec_lo, exec_lo, s9
	s_cbranch_execz .LBB125_75
.LBB125_73:                             ;   Parent Loop BB125_26 Depth=1
                                        ; =>  This Inner Loop Header: Depth=2
	v_add_co_u32 v21, vcc_lo, v21, v12
	s_wait_alu 0xfffd
	v_add_co_ci_u32_e64 v22, null, 0, v22, vcc_lo
	v_mov_b32_e32 v17, 0
	s_mov_b32 s5, exec_lo
	s_delay_alu instid0(VALU_DEP_2)
	v_cmp_le_u64_e32 vcc_lo, s[24:25], v[21:22]
	v_cmpx_gt_u64_e64 s[24:25], v[21:22]
	s_cbranch_execz .LBB125_72
; %bb.74:                               ;   in Loop: Header=BB125_73 Depth=2
	v_mul_lo_u32 v17, v22, s40
	v_mul_lo_u32 v24, v21, s41
	v_mad_co_u64_u32 v[33:34], null, v21, s40, 0
	s_delay_alu instid0(VALU_DEP_1) | instskip(NEXT) | instid1(VALU_DEP_1)
	v_add3_u32 v34, v34, v24, v17
	v_lshlrev_b64_e32 v[33:34], 2, v[33:34]
	s_delay_alu instid0(VALU_DEP_1) | instskip(SKIP_1) | instid1(VALU_DEP_2)
	v_add_co_u32 v33, s4, s48, v33
	s_wait_alu 0xf1ff
	v_add_co_ci_u32_e64 v34, null, s49, v34, s4
	global_load_b32 v17, v[33:34], off
	s_branch .LBB125_72
.LBB125_75:                             ;   in Loop: Header=BB125_26 Depth=1
	s_or_b32 exec_lo, exec_lo, s9
.LBB125_76:                             ;   in Loop: Header=BB125_26 Depth=1
	s_wait_alu 0xfffe
	s_or_b32 exec_lo, exec_lo, s8
	s_branch .LBB125_55
.LBB125_77:                             ;   in Loop: Header=BB125_26 Depth=1
	global_load_u16 v2, v13, s[62:63]
	v_mov_b32_e32 v4, 0
	v_mov_b32_e32 v6, 0
	v_dual_mov_b32 v8, 0 :: v_dual_mov_b32 v7, 0
	v_mov_b32_e32 v9, 0
	s_mov_b32 s93, exec_lo
	v_mov_b32_e32 v5, 0
	s_wait_loadcnt 0x0
	v_readfirstlane_b32 s4, v2
	v_and_b32_e32 v12, 0xffff, v2
	s_and_b32 s91, 0xffff, s4
	s_delay_alu instid0(SALU_CYCLE_1) | instskip(SKIP_4) | instid1(SALU_CYCLE_1)
	s_lshl_b32 s65, s91, 2
	s_wait_alu 0xfffe
	s_cvt_f32_u32 s4, s65
	s_sub_co_i32 s5, 0, s65
	s_wait_alu 0xfffe
	v_rcp_iflag_f32_e32 v3, s4
	s_delay_alu instid0(TRANS32_DEP_1) | instskip(SKIP_2) | instid1(SALU_CYCLE_2)
	v_readfirstlane_b32 s4, v3
	s_mul_f32 s4, s4, 0x4f7ffffe
	s_wait_alu 0xfffe
	s_cvt_u32_f32 s4, s4
	s_wait_alu 0xfffe
	s_delay_alu instid0(SALU_CYCLE_2)
	s_mul_i32 s5, s5, s4
	s_wait_alu 0xfffe
	s_mul_hi_u32 s5, s4, s5
	s_wait_alu 0xfffe
	s_add_co_i32 s4, s4, s5
	s_wait_alu 0xfffe
	s_mul_hi_u32 s4, s64, s4
	s_wait_alu 0xfffe
	s_mul_i32 s5, s4, s65
	s_add_co_i32 s6, s4, 1
	s_wait_alu 0xfffe
	s_sub_co_i32 s5, s64, s5
	s_wait_alu 0xfffe
	s_sub_co_i32 s7, s5, s65
	s_cmp_ge_u32 s5, s65
	s_cselect_b32 s4, s6, s4
	s_wait_alu 0xfffe
	s_cselect_b32 s5, s7, s5
	s_add_co_i32 s6, s4, 1
	s_wait_alu 0xfffe
	s_cmp_ge_u32 s5, s65
	s_cselect_b32 s92, s6, s4
	s_wait_alu 0xfffe
	v_mul_hi_u32 v3, s92, v12
	v_mul_lo_u32 v2, s92, v12
	s_delay_alu instid0(VALU_DEP_1) | instskip(SKIP_2) | instid1(VALU_DEP_3)
	v_lshlrev_b64_e32 v[21:22], 2, v[2:3]
	v_mov_b32_e32 v2, 0
	v_mov_b32_e32 v3, 0
	v_cmpx_gt_u64_e64 v[21:22], v[10:11]
	s_cbranch_execz .LBB125_81
; %bb.78:                               ;   in Loop: Header=BB125_26 Depth=1
	v_dual_mov_b32 v17, v30 :: v_dual_mov_b32 v24, v11
	v_mov_b32_e32 v23, v10
	s_lshl_b32 s94, s91, 4
	s_mov_b64 s[66:67], 0
	s_mov_b32 s95, 0
	s_mov_b64 s[68:69], 0
	s_mov_b64 s[70:71], 0
	;; [unrolled: 1-line block ×3, first 2 shown]
.LBB125_79:                             ;   Parent Loop BB125_26 Depth=1
                                        ; =>  This Inner Loop Header: Depth=2
	ds_load_b128 v[2:5], v17
	v_add_co_u32 v23, vcc_lo, v23, s65
	s_wait_alu 0xfffd
	v_add_co_ci_u32_e64 v24, null, 0, v24, vcc_lo
	s_delay_alu instid0(VALU_DEP_1)
	v_cmp_ge_u64_e32 vcc_lo, v[23:24], v[21:22]
	s_wait_dscnt 0x0
	v_cmp_lt_i32_e64 s4, -1, v2
	v_cmp_o_f32_e64 s7, v2, v2
	v_cmp_o_f32_e64 s5, v4, v4
	;; [unrolled: 1-line block ×3, first 2 shown]
	s_wait_alu 0xf1ff
	v_cndmask_b32_e64 v6, -1, 0x80000000, s4
	v_cmp_lt_i32_e64 s4, -1, v3
	s_delay_alu instid0(VALU_DEP_2) | instskip(SKIP_1) | instid1(VALU_DEP_2)
	v_xor_b32_e32 v6, v6, v2
	s_wait_alu 0xf1ff
	v_cndmask_b32_e64 v7, -1, 0x80000000, s4
	v_cmp_lt_i32_e64 s4, -1, v4
	s_delay_alu instid0(VALU_DEP_3) | instskip(NEXT) | instid1(VALU_DEP_3)
	v_cndmask_b32_e64 v2, -1, v6, s7
	v_xor_b32_e32 v7, v7, v3
	s_wait_alu 0xf1ff
	s_delay_alu instid0(VALU_DEP_3) | instskip(SKIP_4) | instid1(VALU_DEP_3)
	v_cndmask_b32_e64 v8, -1, 0x80000000, s4
	v_cmp_lt_i32_e64 s4, -1, v5
	v_and_b32_e32 v6, v2, v32
	v_bfe_u32 v2, v2, s81, 2
	s_wait_alu 0xf1ff
	v_cndmask_b32_e64 v9, -1, 0x80000000, s4
	v_cmp_o_f32_e64 s4, v3, v3
	v_xor_b32_e32 v3, v8, v4
	v_cmp_eq_u32_e64 s8, 0, v2
	v_cmp_eq_u32_e64 s12, 1, v2
	v_xor_b32_e32 v4, v9, v5
	s_wait_alu 0xf1ff
	v_cndmask_b32_e64 v5, -1, v7, s4
	v_cndmask_b32_e64 v3, -1, v3, s5
	v_cmp_eq_u32_e64 s4, v6, v28
	v_cmp_eq_u32_e64 s16, 2, v2
	v_cndmask_b32_e64 v4, -1, v4, s6
	v_and_b32_e32 v7, v5, v32
	v_bfe_u32 v5, v5, s81, 2
	v_and_b32_e32 v8, v3, v32
	v_bfe_u32 v3, v3, s81, 2
	;; [unrolled: 2-line block ×3, first 2 shown]
	v_cmp_eq_u32_e64 s5, v7, v28
	v_cmp_eq_u32_e64 s9, 0, v5
	;; [unrolled: 1-line block ×4, first 2 shown]
	s_and_b32 s8, s4, s8
	v_cmp_eq_u32_e64 s7, v9, v28
	v_cmp_eq_u32_e64 s11, 0, v4
	;; [unrolled: 1-line block ×3, first 2 shown]
	s_wait_alu 0xfffe
	v_cndmask_b32_e64 v2, 0, 1, s8
	s_and_b32 s8, s5, s9
	v_cmp_eq_u32_e64 s14, 1, v3
	v_cmp_eq_u32_e64 s18, 2, v3
	;; [unrolled: 1-line block ×3, first 2 shown]
	s_wait_alu 0xfffe
	v_cndmask_b32_e64 v3, 0, 1, s8
	s_and_b32 s8, s6, s10
	v_cmp_eq_u32_e64 s13, 1, v5
	v_cmp_eq_u32_e64 s15, 1, v4
	;; [unrolled: 1-line block ×4, first 2 shown]
	s_wait_alu 0xfffe
	v_cndmask_b32_e64 v4, 0, 1, s8
	s_and_b32 s8, s7, s11
	v_cmp_eq_u32_e64 s17, 2, v5
	v_cmp_eq_u32_e64 s21, 3, v5
	s_wait_alu 0xfffe
	v_cndmask_b32_e64 v5, 0, 1, s8
	s_and_b32 s8, s4, s12
	s_wait_alu 0xfffe
	v_cndmask_b32_e64 v6, 0, 1, s8
	s_and_b32 s8, s5, s13
	;; [unrolled: 3-line block ×4, first 2 shown]
	v_cmp_ne_u32_e64 s9, 0, v7
	s_wait_alu 0xfffe
	v_cndmask_b32_e64 v9, 0, 1, s8
	s_and_b32 s8, s4, s16
	s_and_b32 s4, s4, s20
	s_wait_alu 0xfffe
	v_cndmask_b32_e64 v33, 0, 1, s8
	v_cndmask_b32_e64 v37, 0, 1, s4
	s_and_b32 s4, s5, s21
	s_and_b32 s8, s5, s17
	s_wait_alu 0xfffe
	v_cndmask_b32_e64 v38, 0, 1, s4
	s_and_b32 s4, s6, s22
	v_cndmask_b32_e64 v34, 0, 1, s8
	s_and_b32 s8, s6, s18
	s_wait_alu 0xfffe
	v_cndmask_b32_e64 v39, 0, 1, s4
	s_and_b32 s4, s7, s23
	v_cndmask_b32_e64 v35, 0, 1, s8
	s_and_b32 s8, s7, s19
	s_wait_alu 0xfffe
	v_cndmask_b32_e64 v40, 0, 1, s4
	v_cmp_ne_u32_e64 s4, 0, v2
	v_cmp_ne_u32_e64 s5, 0, v3
	v_cndmask_b32_e64 v36, 0, 1, s8
	v_cmp_ne_u32_e64 s6, 0, v4
	v_cmp_ne_u32_e64 s8, 0, v6
	;; [unrolled: 1-line block ×6, first 2 shown]
	s_bcnt1_i32_b32 s4, s4
	s_bcnt1_i32_b32 s5, s5
	v_cmp_ne_u32_e64 s11, 0, v9
	v_cmp_ne_u32_e64 s14, 0, v35
	;; [unrolled: 1-line block ×4, first 2 shown]
	s_bcnt1_i32_b32 s6, s6
	s_bcnt1_i32_b32 s8, s8
	;; [unrolled: 1-line block ×3, first 2 shown]
	s_wait_alu 0xfffe
	s_add_co_i32 s4, s5, s4
	v_cmp_ne_u32_e64 s15, 0, v36
	v_cmp_ne_u32_e64 s18, 0, v39
	s_bcnt1_i32_b32 s7, s7
	s_bcnt1_i32_b32 s10, s10
	;; [unrolled: 1-line block ×4, first 2 shown]
	s_add_co_i32 s5, s9, s8
	s_wait_alu 0xfffe
	s_add_co_i32 s4, s4, s6
	v_cmp_ne_u32_e64 s19, 0, v40
	s_bcnt1_i32_b32 s11, s11
	s_bcnt1_i32_b32 s14, s14
	;; [unrolled: 1-line block ×4, first 2 shown]
	s_add_co_i32 s8, s13, s12
	s_add_co_i32 s5, s5, s10
	s_wait_alu 0xfffe
	s_add_co_i32 s56, s4, s7
	s_bcnt1_i32_b32 s15, s15
	s_bcnt1_i32_b32 s18, s18
	s_add_co_i32 s9, s17, s16
	s_add_co_i32 s6, s8, s14
	s_wait_alu 0xfffe
	s_add_nc_u64 s[72:73], s[72:73], s[56:57]
	s_add_co_i32 s56, s5, s11
	s_bcnt1_i32_b32 s19, s19
	s_add_co_i32 s8, s9, s18
	s_wait_alu 0xfffe
	s_add_nc_u64 s[70:71], s[70:71], s[56:57]
	s_add_co_i32 s56, s6, s15
	v_dual_mov_b32 v2, s72 :: v_dual_add_nc_u32 v17, s94, v17
	s_wait_alu 0xfffe
	s_add_nc_u64 s[68:69], s[68:69], s[56:57]
	s_add_co_i32 s56, s8, s19
	s_wait_alu 0xfffe
	v_mov_b32_e32 v6, s68
	s_add_nc_u64 s[66:67], s[66:67], s[56:57]
	v_dual_mov_b32 v4, s70 :: v_dual_mov_b32 v7, s69
	s_wait_alu 0xfffe
	v_dual_mov_b32 v8, s66 :: v_dual_mov_b32 v3, s73
	v_mov_b32_e32 v5, s71
	v_mov_b32_e32 v9, s67
	s_or_b32 s95, vcc_lo, s95
	s_wait_alu 0xfffe
	s_and_not1_b32 exec_lo, exec_lo, s95
	s_cbranch_execnz .LBB125_79
; %bb.80:                               ;   in Loop: Header=BB125_26 Depth=1
	s_or_b32 exec_lo, exec_lo, s95
.LBB125_81:                             ;   in Loop: Header=BB125_26 Depth=1
	s_delay_alu instid0(SALU_CYCLE_1)
	s_or_b32 exec_lo, exec_lo, s93
	v_add_co_u32 v21, vcc_lo, v21, v0
	s_wait_alu 0xfffd
	v_add_co_ci_u32_e64 v22, null, 0, v22, vcc_lo
	s_and_b32 s56, s64, 0x7fffffff
	s_mov_b32 s9, exec_lo
	s_wait_alu 0xfffe
	v_cmpx_gt_u64_e64 s[56:57], v[21:22]
	s_cbranch_execz .LBB125_85
; %bb.82:                               ;   in Loop: Header=BB125_26 Depth=1
	s_mul_i32 s92, s92, s91
	s_mov_b32 s10, 0
	s_wait_alu 0xfffe
	v_lshl_add_u32 v17, s92, 4, v10
.LBB125_83:                             ;   Parent Loop BB125_26 Depth=1
                                        ; =>  This Inner Loop Header: Depth=2
	ds_load_b32 v23, v17
	v_add_co_u32 v21, vcc_lo, v21, v12
	s_wait_alu 0xfffd
	v_add_co_ci_u32_e64 v22, null, 0, v22, vcc_lo
	v_add_nc_u32_e32 v17, s65, v17
	s_delay_alu instid0(VALU_DEP_2) | instskip(SKIP_3) | instid1(VALU_DEP_1)
	v_cmp_le_u64_e32 vcc_lo, s[56:57], v[21:22]
	s_wait_dscnt 0x0
	v_cmp_lt_i32_e64 s4, -1, v23
	s_wait_alu 0xf1ff
	v_cndmask_b32_e64 v24, -1, 0x80000000, s4
	v_cmp_o_f32_e64 s4, v23, v23
	s_delay_alu instid0(VALU_DEP_2) | instskip(SKIP_1) | instid1(VALU_DEP_1)
	v_xor_b32_e32 v24, v24, v23
	s_wait_alu 0xf1ff
	v_cndmask_b32_e64 v23, -1, v24, s4
	s_delay_alu instid0(VALU_DEP_1) | instskip(SKIP_1) | instid1(VALU_DEP_2)
	v_and_b32_e32 v24, v23, v32
	v_bfe_u32 v23, v23, s81, 2
	v_cmp_eq_u32_e64 s4, v24, v28
	s_delay_alu instid0(VALU_DEP_2)
	v_cmp_eq_u32_e64 s5, 0, v23
	v_cmp_eq_u32_e64 s6, 1, v23
	;; [unrolled: 1-line block ×4, first 2 shown]
	s_and_b32 s5, s4, s5
	s_wait_alu 0xfffe
	v_cndmask_b32_e64 v23, 0, 1, s5
	s_and_b32 s5, s4, s6
	s_wait_alu 0xfffe
	v_cndmask_b32_e64 v24, 0, 1, s5
	s_and_b32 s5, s4, s7
	s_and_b32 s4, s4, s8
	s_wait_alu 0xfffe
	v_cndmask_b32_e64 v33, 0, 1, s5
	v_cndmask_b32_e64 v34, 0, 1, s4
	v_cmp_ne_u32_e64 s4, 0, v23
	v_cmp_ne_u32_e64 s5, 0, v24
	s_delay_alu instid0(VALU_DEP_4) | instskip(NEXT) | instid1(VALU_DEP_4)
	v_cmp_ne_u32_e64 s6, 0, v33
	v_cmp_ne_u32_e64 s7, 0, v34
	s_bcnt1_i32_b32 s4, s4
	s_bcnt1_i32_b32 s5, s5
	s_wait_alu 0xfffe
	v_add_co_u32 v2, s4, v2, s4
	s_bcnt1_i32_b32 s6, s6
	v_add_co_ci_u32_e64 v3, null, 0, v3, s4
	v_add_co_u32 v4, s4, v4, s5
	s_bcnt1_i32_b32 s7, s7
	v_add_co_ci_u32_e64 v5, null, 0, v5, s4
	s_wait_alu 0xfffe
	v_add_co_u32 v6, s4, v6, s6
	s_wait_alu 0xf1ff
	v_add_co_ci_u32_e64 v7, null, 0, v7, s4
	v_add_co_u32 v8, s4, v8, s7
	s_wait_alu 0xf1ff
	v_add_co_ci_u32_e64 v9, null, 0, v9, s4
	s_or_b32 s10, vcc_lo, s10
	s_wait_alu 0xfffe
	s_and_not1_b32 exec_lo, exec_lo, s10
	s_cbranch_execnz .LBB125_83
; %bb.84:                               ;   in Loop: Header=BB125_26 Depth=1
	s_or_b32 exec_lo, exec_lo, s10
.LBB125_85:                             ;   in Loop: Header=BB125_26 Depth=1
	s_wait_alu 0xfffe
	s_or_b32 exec_lo, exec_lo, s9
	s_lshl_b32 s4, s84, 7
	s_and_saveexec_b32 s5, s1
	s_cbranch_execnz .LBB125_56
	s_branch .LBB125_57
.LBB125_86:                             ;   in Loop: Header=BB125_26 Depth=1
                                        ; implicit-def: $sgpr4_sgpr5
	s_branch .LBB125_65
.LBB125_87:                             ;   in Loop: Header=BB125_26 Depth=1
	s_mov_b32 s6, 0
	s_and_not1_b32 vcc_lo, exec_lo, s79
	s_wait_alu 0xfffe
	s_cbranch_vccnz .LBB125_90
.LBB125_88:                             ;   in Loop: Header=BB125_26 Depth=1
	s_lshl_b32 s7, s84, 10
	s_lshl_b32 s6, s6, 5
	s_wait_alu 0xfffe
	v_add3_u32 v4, s7, s6, v31
	s_mov_b32 s6, s76
.LBB125_89:                             ;   Parent Loop BB125_26 Depth=1
                                        ; =>  This Inner Loop Header: Depth=2
	ds_load_b64 v[5:6], v4
	v_add_nc_u32_e32 v4, 32, v4
	s_wait_alu 0xfffe
	s_add_co_i32 s6, s6, -1
	s_wait_alu 0xfffe
	s_cmp_lg_u32 s6, 0
	s_wait_dscnt 0x0
	v_add_co_u32 v2, vcc_lo, v5, v2
	s_wait_alu 0xfffd
	v_add_co_ci_u32_e64 v3, null, v6, v3, vcc_lo
	s_cbranch_scc1 .LBB125_89
.LBB125_90:                             ;   in Loop: Header=BB125_26 Depth=1
	v_add_lshl_u32 v4, s4, v25, 3
	ds_store_b64 v4, v[2:3] offset:3072
.LBB125_91:                             ;   in Loop: Header=BB125_26 Depth=1
	s_wait_alu 0xfffe
	s_or_b32 exec_lo, exec_lo, s5
	s_lshl_b32 s4, s4, 3
	s_wait_loadcnt_dscnt 0x0
	s_wait_alu 0xfffe
	v_mov_b32_e32 v6, s4
	s_barrier_signal -1
	s_barrier_wait -1
	global_inv scope:SCOPE_SE
	v_cmp_eq_u64_e32 vcc_lo, 1, v[19:20]
	ds_load_b128 v[2:5], v6 offset:3072
	ds_load_b128 v[6:9], v6 offset:3088
	s_lshl_b32 s14, 3, s81
	s_mov_b32 s16, -1
	s_wait_alu 0xfffe
	s_not_b32 s18, s14
                                        ; implicit-def: $sgpr20
                                        ; implicit-def: $sgpr19
	s_wait_dscnt 0x1
	v_cmp_eq_u64_e64 s4, 1, v[2:3]
	s_wait_dscnt 0x0
	v_readfirstlane_b32 s8, v6
	v_readfirstlane_b32 s9, v7
	;; [unrolled: 1-line block ×4, first 2 shown]
	s_and_b32 s17, s4, vcc_lo
	s_mov_b32 s4, -1
	s_wait_alu 0xfffe
	s_and_saveexec_b32 s15, s17
	s_cbranch_execz .LBB125_125
; %bb.92:                               ;   in Loop: Header=BB125_26 Depth=1
	ds_load_b64 v[6:7], v13 offset:5120
	s_wait_loadcnt_dscnt 0x0
	s_barrier_signal -1
	s_barrier_wait -1
	global_inv scope:SCOPE_SE
	v_readfirstlane_b32 s4, v6
	v_readfirstlane_b32 s5, v7
	s_and_saveexec_b32 s10, s0
; %bb.93:                               ;   in Loop: Header=BB125_26 Depth=1
	ds_store_b32 v26, v13
; %bb.94:                               ;   in Loop: Header=BB125_26 Depth=1
	s_wait_alu 0xfffe
	s_or_b32 exec_lo, exec_lo, s10
	v_and_b32_e32 v28, s18, v28
	v_or_b32_e32 v32, s14, v32
	s_mov_b32 s19, -1
	s_mov_b32 s20, 0
	s_cmp_eq_u64 s[4:5], 0
	s_mov_b32 s12, 0
	s_mov_b32 s13, -1
	s_wait_loadcnt_dscnt 0x0
	s_barrier_signal -1
	s_barrier_wait -1
	global_inv scope:SCOPE_SE
                                        ; implicit-def: $vgpr18
	s_cbranch_scc1 .LBB125_109
; %bb.95:                               ;   in Loop: Header=BB125_26 Depth=1
	s_add_nc_u64 s[10:11], s[4:5], s[58:59]
	s_mov_b32 s12, s57
	s_wait_alu 0xfffe
	s_mov_b32 s13, s11
	s_wait_alu 0xfffe
	s_cmp_lg_u64 s[12:13], 0
	s_cbranch_scc0 .LBB125_152
; %bb.96:                               ;   in Loop: Header=BB125_26 Depth=1
	s_cvt_f32_u32 s12, s54
	s_sub_nc_u64 s[22:23], 0, s[54:55]
	s_wait_alu 0xfffe
	s_delay_alu instid0(SALU_CYCLE_1) | instskip(SKIP_1) | instid1(SALU_CYCLE_2)
	s_fmamk_f32 s12, s83, 0x0, s12
	s_wait_alu 0xfffe
	v_s_rcp_f32 s12, s12
	s_delay_alu instid0(TRANS32_DEP_1) | instskip(SKIP_1) | instid1(SALU_CYCLE_2)
	s_mul_f32 s12, s12, 0x5f7ffffc
	s_wait_alu 0xfffe
	s_mul_f32 s13, s12, 0x2f800000
	s_wait_alu 0xfffe
	s_delay_alu instid0(SALU_CYCLE_2) | instskip(SKIP_1) | instid1(SALU_CYCLE_2)
	s_trunc_f32 s13, s13
	s_wait_alu 0xfffe
	s_fmamk_f32 s12, s13, 0xcf800000, s12
	s_cvt_u32_f32 s13, s13
	s_wait_alu 0xfffe
	s_delay_alu instid0(SALU_CYCLE_1) | instskip(SKIP_1) | instid1(SALU_CYCLE_2)
	s_cvt_u32_f32 s12, s12
	s_wait_alu 0xfffe
	s_mul_u64 s[64:65], s[22:23], s[12:13]
	s_wait_alu 0xfffe
	s_mul_hi_u32 s67, s12, s65
	s_mul_i32 s66, s12, s65
	s_mul_hi_u32 s56, s12, s64
	s_mul_i32 s68, s13, s64
	s_wait_alu 0xfffe
	s_add_nc_u64 s[66:67], s[56:57], s[66:67]
	s_mul_hi_u32 s21, s13, s64
	s_mul_hi_u32 s69, s13, s65
	s_wait_alu 0xfffe
	s_add_co_u32 s56, s66, s68
	s_add_co_ci_u32 s56, s67, s21
	s_mul_i32 s64, s13, s65
	s_add_co_ci_u32 s65, s69, 0
	s_wait_alu 0xfffe
	s_add_nc_u64 s[64:65], s[56:57], s[64:65]
	s_wait_alu 0xfffe
	s_add_co_u32 s12, s12, s64
	s_cselect_b32 s21, -1, 0
	s_wait_alu 0xfffe
	s_cmp_lg_u32 s21, 0
	s_add_co_ci_u32 s13, s13, s65
	s_wait_alu 0xfffe
	s_mul_u64 s[22:23], s[22:23], s[12:13]
	s_wait_alu 0xfffe
	s_mul_hi_u32 s65, s12, s23
	s_mul_i32 s64, s12, s23
	s_mul_hi_u32 s56, s12, s22
	s_mul_i32 s66, s13, s22
	s_wait_alu 0xfffe
	s_add_nc_u64 s[64:65], s[56:57], s[64:65]
	s_mul_hi_u32 s21, s13, s22
	s_mul_hi_u32 s67, s13, s23
	s_mul_i32 s22, s13, s23
	s_wait_alu 0xfffe
	s_add_co_u32 s23, s64, s66
	s_add_co_ci_u32 s56, s65, s21
	s_add_co_ci_u32 s23, s67, 0
	s_wait_alu 0xfffe
	s_add_nc_u64 s[22:23], s[56:57], s[22:23]
	s_wait_alu 0xfffe
	s_add_co_u32 s12, s12, s22
	s_cselect_b32 s21, -1, 0
	s_wait_alu 0xfffe
	s_mul_hi_u32 s56, s10, s12
	s_cmp_lg_u32 s21, 0
	s_mul_hi_u32 s21, s11, s12
	s_add_co_ci_u32 s22, s13, s23
	s_mul_i32 s23, s11, s12
	s_wait_alu 0xfffe
	s_mul_hi_u32 s13, s10, s22
	s_mul_i32 s12, s10, s22
	s_mul_hi_u32 s64, s11, s22
	s_wait_alu 0xfffe
	s_add_nc_u64 s[12:13], s[56:57], s[12:13]
	s_mul_i32 s22, s11, s22
	s_wait_alu 0xfffe
	s_add_co_u32 s12, s12, s23
	s_add_co_ci_u32 s56, s13, s21
	s_add_co_ci_u32 s23, s64, 0
	s_wait_alu 0xfffe
	s_add_nc_u64 s[12:13], s[56:57], s[22:23]
	s_wait_alu 0xfffe
	s_mul_u64 s[12:13], s[54:55], s[12:13]
	s_wait_alu 0xfffe
	s_sub_co_u32 s12, s10, s12
	s_cselect_b32 s21, -1, 0
	s_wait_alu 0xfffe
	s_cmp_lg_u32 s21, 0
	s_sub_co_ci_u32 s13, s11, s13
	s_sub_co_u32 s21, s12, s54
	s_cselect_b32 s22, -1, 0
	s_wait_alu 0xfffe
	s_cmp_lg_u32 s22, 0
	s_sub_co_ci_u32 s22, s13, 0
	s_sub_co_u32 s23, s21, s54
	s_cselect_b32 s56, -1, 0
	s_wait_alu 0xfffe
	s_cmp_lg_u32 s56, 0
	s_sub_co_ci_u32 s56, s22, 0
	s_cmp_ge_u32 s21, s54
	s_cselect_b32 s64, -1, 0
	s_cmp_eq_u32 s22, 0
	s_wait_alu 0xfffe
	s_cselect_b32 s64, s64, -1
	s_wait_alu 0xfffe
	s_cmp_lg_u32 s64, 0
	s_cselect_b32 s22, s56, s22
	s_cselect_b32 s21, s23, s21
	s_cmp_ge_u32 s12, s54
	s_cselect_b32 s23, -1, 0
	s_cmp_eq_u32 s13, 0
	s_wait_alu 0xfffe
	s_cselect_b32 s23, s23, -1
	s_wait_alu 0xfffe
	s_cmp_lg_u32 s23, 0
	s_cselect_b32 s13, s22, s13
	s_cselect_b32 s12, s21, s12
	s_cbranch_execnz .LBB125_98
.LBB125_97:                             ;   in Loop: Header=BB125_26 Depth=1
	v_cvt_f32_u32_e32 v6, s54
	s_sub_co_i32 s13, 0, s54
	s_delay_alu instid0(VALU_DEP_1) | instskip(NEXT) | instid1(TRANS32_DEP_1)
	v_rcp_iflag_f32_e32 v6, v6
	v_mul_f32_e32 v6, 0x4f7ffffe, v6
	s_delay_alu instid0(VALU_DEP_1) | instskip(NEXT) | instid1(VALU_DEP_1)
	v_cvt_u32_f32_e32 v6, v6
	v_readfirstlane_b32 s12, v6
	s_wait_alu 0xfffe
	s_mul_i32 s13, s13, s12
	s_wait_alu 0xfffe
	s_mul_hi_u32 s13, s12, s13
	s_wait_alu 0xfffe
	s_add_co_i32 s12, s12, s13
	s_wait_alu 0xfffe
	s_mul_hi_u32 s12, s10, s12
	s_wait_alu 0xfffe
	s_mul_i32 s12, s12, s54
	s_wait_alu 0xfffe
	s_sub_co_i32 s12, s10, s12
	s_wait_alu 0xfffe
	s_sub_co_i32 s13, s12, s54
	s_cmp_ge_u32 s12, s54
	s_wait_alu 0xfffe
	s_cselect_b32 s12, s13, s12
	s_wait_alu 0xfffe
	s_sub_co_i32 s13, s12, s54
	s_cmp_ge_u32 s12, s54
	s_wait_alu 0xfffe
	s_cselect_b32 s56, s13, s12
	s_wait_alu 0xfffe
	s_mov_b64 s[12:13], s[56:57]
.LBB125_98:                             ;   in Loop: Header=BB125_26 Depth=1
	s_wait_alu 0xfffe
	s_sub_nc_u64 s[10:11], s[10:11], s[12:13]
	s_mov_b32 s13, 0
	s_mov_b32 s12, 0
	s_mov_b32 s21, exec_lo
                                        ; implicit-def: $vgpr18
	s_wait_alu 0xfffe
	v_cmpx_gt_u64_e64 s[10:11], v[0:1]
	s_cbranch_execz .LBB125_108
; %bb.99:                               ;   in Loop: Header=BB125_26 Depth=1
	v_dual_mov_b32 v8, v10 :: v_dual_mov_b32 v7, v1
	v_mov_b32_e32 v6, v0
                                        ; implicit-def: $sgpr22
	s_branch .LBB125_103
.LBB125_100:                            ;   in Loop: Header=BB125_103 Depth=2
	s_wait_alu 0xfffe
	s_or_b32 exec_lo, exec_lo, s23
	s_wait_loadcnt_dscnt 0x0
	s_barrier_signal -1
	s_barrier_wait -1
	global_inv scope:SCOPE_SE
	ds_load_b64 v[17:18], v13 offset:3072
	s_wait_loadcnt_dscnt 0x0
	s_barrier_signal -1
	s_barrier_wait -1
	global_inv scope:SCOPE_SE
	v_cmp_neq_f32_e32 vcc_lo, 0, v17
	s_cbranch_vccnz .LBB125_106
; %bb.101:                              ;   in Loop: Header=BB125_103 Depth=2
	v_add_co_u32 v6, vcc_lo, v6, s54
	s_wait_alu 0xfffd
	v_add_co_ci_u32_e64 v7, null, 0, v7, vcc_lo
	v_add_nc_u32_e32 v8, s80, v8
	s_mov_b32 s23, 0
	s_delay_alu instid0(VALU_DEP_2)
	v_cmp_le_u64_e32 vcc_lo, s[10:11], v[6:7]
	s_or_not1_b32 s56, vcc_lo, exec_lo
.LBB125_102:                            ;   in Loop: Header=BB125_103 Depth=2
	s_wait_alu 0xfffe
	s_and_b32 s56, exec_lo, s56
	s_wait_alu 0xfffe
	s_or_b32 s12, s56, s12
	s_and_not1_b32 s22, s22, exec_lo
	s_and_b32 s23, s23, exec_lo
	s_wait_alu 0xfffe
	s_or_b32 s22, s22, s23
	s_and_not1_b32 exec_lo, exec_lo, s12
	s_cbranch_execz .LBB125_107
.LBB125_103:                            ;   Parent Loop BB125_26 Depth=1
                                        ; =>  This Inner Loop Header: Depth=2
	s_mov_b32 s23, exec_lo
	s_delay_alu instid0(VALU_DEP_1)
	v_cmpx_gt_u64_e64 s[4:5], v[6:7]
	s_cbranch_execz .LBB125_100
; %bb.104:                              ;   in Loop: Header=BB125_103 Depth=2
	ds_load_b32 v17, v8
	s_wait_dscnt 0x0
	v_cmp_lt_i32_e32 vcc_lo, -1, v17
	s_wait_alu 0xfffd
	v_cndmask_b32_e64 v9, -1, 0x80000000, vcc_lo
	v_cmp_o_f32_e32 vcc_lo, v17, v17
	s_delay_alu instid0(VALU_DEP_2) | instskip(SKIP_1) | instid1(VALU_DEP_1)
	v_xor_b32_e32 v9, v9, v17
	s_wait_alu 0xfffd
	v_cndmask_b32_e32 v9, -1, v9, vcc_lo
	s_delay_alu instid0(VALU_DEP_1) | instskip(NEXT) | instid1(VALU_DEP_1)
	v_and_b32_e32 v9, v9, v32
	v_cmp_eq_u32_e32 vcc_lo, v9, v28
	s_and_b32 exec_lo, exec_lo, vcc_lo
	s_cbranch_execz .LBB125_100
; %bb.105:                              ;   in Loop: Header=BB125_103 Depth=2
	ds_store_b64 v13, v[16:17] offset:3072
	s_branch .LBB125_100
.LBB125_106:                            ;   in Loop: Header=BB125_103 Depth=2
	s_mov_b32 s56, -1
	s_mov_b32 s23, -1
                                        ; implicit-def: $vgpr6_vgpr7
                                        ; implicit-def: $vgpr8
	s_branch .LBB125_102
.LBB125_107:                            ;   in Loop: Header=BB125_26 Depth=1
	s_or_b32 exec_lo, exec_lo, s12
	s_wait_alu 0xfffe
	s_and_b32 s12, s22, exec_lo
.LBB125_108:                            ;   in Loop: Header=BB125_26 Depth=1
	s_or_b32 exec_lo, exec_lo, s21
.LBB125_109:                            ;   in Loop: Header=BB125_26 Depth=1
	s_wait_alu 0xfffe
	s_and_b32 vcc_lo, exec_lo, s13
	s_wait_alu 0xfffe
	s_cbranch_vccz .LBB125_124
; %bb.110:                              ;   in Loop: Header=BB125_26 Depth=1
	s_mov_b32 s4, s57
	s_mov_b32 s5, s61
	s_wait_alu 0xfffe
	s_cmp_lg_u64 s[4:5], 0
	s_cbranch_scc0 .LBB125_156
; %bb.111:                              ;   in Loop: Header=BB125_26 Depth=1
	s_cvt_f32_u32 s4, s54
	s_sub_nc_u64 s[10:11], 0, s[54:55]
	s_wait_alu 0xfffe
	s_delay_alu instid0(SALU_CYCLE_1) | instskip(SKIP_1) | instid1(SALU_CYCLE_2)
	s_fmamk_f32 s4, s83, 0x0, s4
	s_wait_alu 0xfffe
	v_s_rcp_f32 s4, s4
	s_delay_alu instid0(TRANS32_DEP_1) | instskip(SKIP_1) | instid1(SALU_CYCLE_2)
	s_mul_f32 s4, s4, 0x5f7ffffc
	s_wait_alu 0xfffe
	s_mul_f32 s5, s4, 0x2f800000
	s_wait_alu 0xfffe
	s_delay_alu instid0(SALU_CYCLE_2) | instskip(SKIP_1) | instid1(SALU_CYCLE_2)
	s_trunc_f32 s5, s5
	s_wait_alu 0xfffe
	s_fmamk_f32 s4, s5, 0xcf800000, s4
	s_cvt_u32_f32 s5, s5
	s_wait_alu 0xfffe
	s_delay_alu instid0(SALU_CYCLE_1) | instskip(SKIP_1) | instid1(SALU_CYCLE_2)
	s_cvt_u32_f32 s4, s4
	s_wait_alu 0xfffe
	s_mul_u64 s[20:21], s[10:11], s[4:5]
	s_wait_alu 0xfffe
	s_mul_hi_u32 s23, s4, s21
	s_mul_i32 s22, s4, s21
	s_mul_hi_u32 s56, s4, s20
	s_mul_i32 s19, s5, s20
	s_wait_alu 0xfffe
	s_add_nc_u64 s[22:23], s[56:57], s[22:23]
	s_mul_hi_u32 s13, s5, s20
	s_mul_hi_u32 s64, s5, s21
	s_wait_alu 0xfffe
	s_add_co_u32 s19, s22, s19
	s_add_co_ci_u32 s56, s23, s13
	s_mul_i32 s20, s5, s21
	s_add_co_ci_u32 s21, s64, 0
	s_wait_alu 0xfffe
	s_add_nc_u64 s[20:21], s[56:57], s[20:21]
	s_wait_alu 0xfffe
	s_add_co_u32 s4, s4, s20
	s_cselect_b32 s13, -1, 0
	s_wait_alu 0xfffe
	s_cmp_lg_u32 s13, 0
	s_add_co_ci_u32 s5, s5, s21
	s_wait_alu 0xfffe
	s_mul_u64 s[10:11], s[10:11], s[4:5]
	s_wait_alu 0xfffe
	s_mul_hi_u32 s21, s4, s11
	s_mul_i32 s20, s4, s11
	s_mul_hi_u32 s56, s4, s10
	s_mul_i32 s19, s5, s10
	s_wait_alu 0xfffe
	s_add_nc_u64 s[20:21], s[56:57], s[20:21]
	s_mul_hi_u32 s13, s5, s10
	s_mul_hi_u32 s22, s5, s11
	s_mul_i32 s10, s5, s11
	s_wait_alu 0xfffe
	s_add_co_u32 s11, s20, s19
	s_add_co_ci_u32 s56, s21, s13
	s_add_co_ci_u32 s11, s22, 0
	s_wait_alu 0xfffe
	s_add_nc_u64 s[10:11], s[56:57], s[10:11]
	s_wait_alu 0xfffe
	s_add_co_u32 s4, s4, s10
	s_cselect_b32 s10, -1, 0
	s_wait_alu 0xfffe
	s_mul_hi_u32 s56, s60, s4
	s_cmp_lg_u32 s10, 0
	s_mul_hi_u32 s13, s61, s4
	s_add_co_ci_u32 s10, s5, s11
	s_mul_i32 s11, s61, s4
	s_wait_alu 0xfffe
	s_mul_hi_u32 s5, s60, s10
	s_mul_i32 s4, s60, s10
	s_mul_hi_u32 s19, s61, s10
	s_wait_alu 0xfffe
	s_add_nc_u64 s[4:5], s[56:57], s[4:5]
	s_mul_i32 s10, s61, s10
	s_wait_alu 0xfffe
	s_add_co_u32 s4, s4, s11
	s_add_co_ci_u32 s56, s5, s13
	s_add_co_ci_u32 s11, s19, 0
	s_wait_alu 0xfffe
	s_add_nc_u64 s[4:5], s[56:57], s[10:11]
	s_wait_alu 0xfffe
	s_mul_u64 s[4:5], s[54:55], s[4:5]
	s_wait_alu 0xfffe
	s_sub_co_u32 s4, s60, s4
	s_cselect_b32 s10, -1, 0
	s_wait_alu 0xfffe
	s_cmp_lg_u32 s10, 0
	s_sub_co_ci_u32 s5, s61, s5
	s_sub_co_u32 s10, s4, s54
	s_cselect_b32 s11, -1, 0
	s_wait_alu 0xfffe
	s_cmp_lg_u32 s11, 0
	s_sub_co_ci_u32 s11, s5, 0
	;; [unrolled: 5-line block ×3, first 2 shown]
	s_cmp_ge_u32 s10, s54
	s_cselect_b32 s20, -1, 0
	s_cmp_eq_u32 s11, 0
	s_wait_alu 0xfffe
	s_cselect_b32 s20, s20, -1
	s_wait_alu 0xfffe
	s_cmp_lg_u32 s20, 0
	s_cselect_b32 s11, s19, s11
	s_cselect_b32 s10, s13, s10
	s_cmp_ge_u32 s4, s54
	s_cselect_b32 s13, -1, 0
	s_cmp_eq_u32 s5, 0
	s_wait_alu 0xfffe
	s_cselect_b32 s13, s13, -1
	s_wait_alu 0xfffe
	s_cmp_lg_u32 s13, 0
	s_cselect_b32 s5, s11, s5
	s_cselect_b32 s4, s10, s4
	s_cbranch_execnz .LBB125_113
.LBB125_112:                            ;   in Loop: Header=BB125_26 Depth=1
	v_cvt_f32_u32_e32 v6, s54
	s_sub_co_i32 s5, 0, s54
	s_delay_alu instid0(VALU_DEP_1) | instskip(NEXT) | instid1(TRANS32_DEP_1)
	v_rcp_iflag_f32_e32 v6, v6
	v_mul_f32_e32 v6, 0x4f7ffffe, v6
	s_delay_alu instid0(VALU_DEP_1) | instskip(NEXT) | instid1(VALU_DEP_1)
	v_cvt_u32_f32_e32 v6, v6
	v_readfirstlane_b32 s4, v6
	s_wait_alu 0xfffe
	s_mul_i32 s5, s5, s4
	s_wait_alu 0xfffe
	s_mul_hi_u32 s5, s4, s5
	s_wait_alu 0xfffe
	s_add_co_i32 s4, s4, s5
	s_wait_alu 0xfffe
	s_mul_hi_u32 s4, s60, s4
	s_wait_alu 0xfffe
	s_mul_i32 s4, s4, s54
	s_wait_alu 0xfffe
	s_sub_co_i32 s4, s60, s4
	s_wait_alu 0xfffe
	s_sub_co_i32 s5, s4, s54
	s_cmp_ge_u32 s4, s54
	s_wait_alu 0xfffe
	s_cselect_b32 s4, s5, s4
	s_wait_alu 0xfffe
	s_sub_co_i32 s5, s4, s54
	s_cmp_ge_u32 s4, s54
	s_wait_alu 0xfffe
	s_cselect_b32 s56, s5, s4
	s_wait_alu 0xfffe
	s_mov_b64 s[4:5], s[56:57]
.LBB125_113:                            ;   in Loop: Header=BB125_26 Depth=1
	s_wait_alu 0xfffe
	s_sub_nc_u64 s[4:5], s[60:61], s[4:5]
	s_mov_b32 s10, exec_lo
                                        ; implicit-def: $vgpr18
	s_wait_alu 0xfffe
	v_cmpx_gt_u64_e64 s[4:5], v[0:1]
	s_cbranch_execz .LBB125_123
; %bb.114:                              ;   in Loop: Header=BB125_26 Depth=1
	v_dual_mov_b32 v7, v1 :: v_dual_mov_b32 v6, v0
	s_mov_b32 s11, 0
                                        ; implicit-def: $sgpr13
	s_branch .LBB125_118
.LBB125_115:                            ;   in Loop: Header=BB125_118 Depth=2
	s_wait_alu 0xfffe
	s_or_b32 exec_lo, exec_lo, s19
	s_wait_loadcnt_dscnt 0x0
	s_barrier_signal -1
	s_barrier_wait -1
	global_inv scope:SCOPE_SE
	ds_load_b64 v[17:18], v13 offset:3072
	s_wait_loadcnt_dscnt 0x0
	s_barrier_signal -1
	s_barrier_wait -1
	global_inv scope:SCOPE_SE
	v_cmp_neq_f32_e32 vcc_lo, 0, v17
	s_cbranch_vccnz .LBB125_121
; %bb.116:                              ;   in Loop: Header=BB125_118 Depth=2
	v_add_co_u32 v6, vcc_lo, v6, s54
	s_wait_alu 0xfffd
	v_add_co_ci_u32_e64 v7, null, 0, v7, vcc_lo
	s_mov_b32 s19, 0
	v_cmp_le_u64_e32 vcc_lo, s[4:5], v[6:7]
	s_or_not1_b32 s20, vcc_lo, exec_lo
.LBB125_117:                            ;   in Loop: Header=BB125_118 Depth=2
	s_wait_alu 0xfffe
	s_and_b32 s20, exec_lo, s20
	s_wait_alu 0xfffe
	s_or_b32 s11, s20, s11
	s_and_not1_b32 s13, s13, exec_lo
	s_and_b32 s19, s19, exec_lo
	s_wait_alu 0xfffe
	s_or_b32 s13, s13, s19
	s_and_not1_b32 exec_lo, exec_lo, s11
	s_cbranch_execz .LBB125_122
.LBB125_118:                            ;   Parent Loop BB125_26 Depth=1
                                        ; =>  This Inner Loop Header: Depth=2
	s_mov_b32 s19, exec_lo
	s_delay_alu instid0(VALU_DEP_1)
	v_cmpx_gt_u64_e64 s[24:25], v[6:7]
	s_cbranch_execz .LBB125_115
; %bb.119:                              ;   in Loop: Header=BB125_118 Depth=2
	v_mul_lo_u32 v12, v7, s40
	v_mul_lo_u32 v17, v6, s41
	v_mad_co_u64_u32 v[8:9], null, v6, s40, 0
	s_delay_alu instid0(VALU_DEP_1) | instskip(NEXT) | instid1(VALU_DEP_1)
	v_add3_u32 v9, v9, v17, v12
	v_lshlrev_b64_e32 v[8:9], 2, v[8:9]
	s_delay_alu instid0(VALU_DEP_1) | instskip(SKIP_1) | instid1(VALU_DEP_2)
	v_add_co_u32 v8, vcc_lo, s48, v8
	s_wait_alu 0xfffd
	v_add_co_ci_u32_e64 v9, null, s49, v9, vcc_lo
	global_load_b32 v17, v[8:9], off
	s_wait_loadcnt 0x0
	v_cmp_lt_i32_e32 vcc_lo, -1, v17
	s_wait_alu 0xfffd
	v_cndmask_b32_e64 v8, -1, 0x80000000, vcc_lo
	v_cmp_o_f32_e32 vcc_lo, v17, v17
	s_delay_alu instid0(VALU_DEP_2) | instskip(SKIP_1) | instid1(VALU_DEP_1)
	v_xor_b32_e32 v8, v8, v17
	s_wait_alu 0xfffd
	v_cndmask_b32_e32 v8, -1, v8, vcc_lo
	s_delay_alu instid0(VALU_DEP_1) | instskip(NEXT) | instid1(VALU_DEP_1)
	v_and_b32_e32 v8, v8, v32
	v_cmp_eq_u32_e32 vcc_lo, v8, v28
	s_and_b32 exec_lo, exec_lo, vcc_lo
	s_cbranch_execz .LBB125_115
; %bb.120:                              ;   in Loop: Header=BB125_118 Depth=2
	ds_store_b64 v13, v[16:17] offset:3072
	s_branch .LBB125_115
.LBB125_121:                            ;   in Loop: Header=BB125_118 Depth=2
	s_mov_b32 s20, -1
	s_mov_b32 s19, -1
                                        ; implicit-def: $vgpr6_vgpr7
	s_branch .LBB125_117
.LBB125_122:                            ;   in Loop: Header=BB125_26 Depth=1
	s_or_b32 exec_lo, exec_lo, s11
	s_delay_alu instid0(SALU_CYCLE_1)
	s_and_not1_b32 s4, s12, exec_lo
	s_wait_alu 0xfffe
	s_and_b32 s5, s13, exec_lo
	s_wait_alu 0xfffe
	s_or_b32 s12, s4, s5
.LBB125_123:                            ;   in Loop: Header=BB125_26 Depth=1
	s_or_b32 exec_lo, exec_lo, s10
	s_mov_b32 s19, 0
	s_mov_b32 s20, -1
.LBB125_124:                            ;   in Loop: Header=BB125_26 Depth=1
	s_wait_alu 0xfffe
	s_or_not1_b32 s4, s12, exec_lo
.LBB125_125:                            ;   in Loop: Header=BB125_26 Depth=1
	s_wait_alu 0xfffe
	s_or_b32 exec_lo, exec_lo, s15
	s_delay_alu instid0(SALU_CYCLE_1)
	s_and_not1_b32 s5, s89, exec_lo
	s_and_b32 s10, s20, exec_lo
	s_and_not1_b32 s11, s87, exec_lo
	s_and_b32 s12, s19, exec_lo
	s_and_not1_b32 s86, s86, exec_lo
	s_wait_alu 0xfffe
	s_or_b32 s89, s5, s10
	s_or_b32 s87, s11, s12
                                        ; implicit-def: $vgpr6_vgpr7
	s_and_saveexec_b32 s15, s4
	s_cbranch_execz .LBB125_25
; %bb.126:                              ;   in Loop: Header=BB125_26 Depth=1
	v_mov_b32_e32 v6, 1
	v_dual_mov_b32 v7, 0 :: v_dual_mov_b32 v8, 1
	s_xor_b32 s10, s17, -1
	s_mov_b32 s5, 0
	s_wait_alu 0xfffe
	s_and_saveexec_b32 s4, s10
	s_cbranch_execz .LBB125_135
; %bb.127:                              ;   in Loop: Header=BB125_26 Depth=1
	s_mov_b32 s5, exec_lo
	v_cmpx_le_u64_e64 v[19:20], v[2:3]
	s_wait_alu 0xfffe
	s_xor_b32 s5, exec_lo, s5
	s_cbranch_execz .LBB125_132
; %bb.128:                              ;   in Loop: Header=BB125_26 Depth=1
	ds_load_b64 v[6:7], v13 offset:5120
	v_and_b32_e32 v28, s18, v28
	v_or_b32_e32 v32, s14, v32
	s_wait_dscnt 0x0
	v_cmp_ne_u64_e32 vcc_lo, 0, v[6:7]
	s_cbranch_vccnz .LBB125_132
; %bb.129:                              ;   in Loop: Header=BB125_26 Depth=1
	s_and_saveexec_b32 s10, s3
; %bb.130:                              ;   in Loop: Header=BB125_26 Depth=1
	ds_store_b64 v13, v[2:3] offset:5128
; %bb.131:                              ;   in Loop: Header=BB125_26 Depth=1
	s_wait_alu 0xfffe
	s_or_b32 exec_lo, exec_lo, s10
	s_wait_loadcnt_dscnt 0x0
	s_barrier_signal -1
	s_barrier_wait -1
	global_inv scope:SCOPE_SE
.LBB125_132:                            ;   in Loop: Header=BB125_26 Depth=1
	s_wait_alu 0xfffe
	s_or_saveexec_b32 s5, s5
	v_mov_b32_e32 v8, 8
	s_mov_b32 s10, 0
	s_wait_alu 0xfffe
	s_xor_b32 exec_lo, exec_lo, s5
; %bb.133:                              ;   in Loop: Header=BB125_26 Depth=1
	v_sub_co_u32 v19, vcc_lo, v19, v2
	s_wait_alu 0xfffd
	v_sub_co_ci_u32_e64 v20, null, v20, v3, vcc_lo
	v_mov_b32_e32 v8, 0
	s_mov_b32 s10, exec_lo
; %bb.134:                              ;   in Loop: Header=BB125_26 Depth=1
	s_or_b32 exec_lo, exec_lo, s5
	s_delay_alu instid0(VALU_DEP_2)
	v_dual_mov_b32 v6, v19 :: v_dual_mov_b32 v7, v20
	s_wait_alu 0xfffe
	s_and_b32 s5, s10, exec_lo
.LBB125_135:                            ;   in Loop: Header=BB125_26 Depth=1
	s_wait_alu 0xfffe
	s_or_b32 exec_lo, exec_lo, s4
	s_mov_b32 s16, -1
	s_mov_b32 s4, -1
                                        ; implicit-def: $sgpr19
                                        ; implicit-def: $sgpr20
	s_and_saveexec_b32 s10, s5
	s_wait_alu 0xfffe
	s_xor_b32 s17, exec_lo, s10
	s_cbranch_execz .LBB125_286
; %bb.136:                              ;   in Loop: Header=BB125_26 Depth=1
	v_cmp_eq_u64_e32 vcc_lo, 1, v[4:5]
	v_cmp_eq_u64_e64 s4, 1, v[6:7]
                                        ; implicit-def: $sgpr20
                                        ; implicit-def: $sgpr19
	s_and_b32 s22, vcc_lo, s4
	s_mov_b32 s4, -1
	s_wait_alu 0xfffe
	s_and_saveexec_b32 s21, s22
	s_cbranch_execz .LBB125_175
; %bb.137:                              ;   in Loop: Header=BB125_26 Depth=1
	ds_load_b64 v[2:3], v13 offset:5120
	s_wait_loadcnt_dscnt 0x0
	s_barrier_signal -1
	s_barrier_wait -1
	global_inv scope:SCOPE_SE
	v_readfirstlane_b32 s4, v2
	v_readfirstlane_b32 s5, v3
	s_and_saveexec_b32 s10, s0
; %bb.138:                              ;   in Loop: Header=BB125_26 Depth=1
	ds_store_b32 v26, v13
; %bb.139:                              ;   in Loop: Header=BB125_26 Depth=1
	s_wait_alu 0xfffe
	s_or_b32 exec_lo, exec_lo, s10
	s_lshl_b32 s10, 1, s81
	v_or_b32_e32 v32, s14, v32
	s_wait_alu 0xfffe
	v_and_or_b32 v28, v28, s18, s10
	s_mov_b32 s19, -1
	s_mov_b32 s20, 0
	s_cmp_eq_u64 s[4:5], 0
	s_mov_b32 s12, 0
	s_mov_b32 s13, -1
	s_wait_loadcnt_dscnt 0x0
	s_barrier_signal -1
	s_barrier_wait -1
	global_inv scope:SCOPE_SE
                                        ; implicit-def: $vgpr18
	s_cbranch_scc1 .LBB125_159
; %bb.140:                              ;   in Loop: Header=BB125_26 Depth=1
	s_add_nc_u64 s[10:11], s[4:5], s[58:59]
	s_mov_b32 s12, s57
	s_wait_alu 0xfffe
	s_mov_b32 s13, s11
	s_wait_alu 0xfffe
	s_cmp_lg_u64 s[12:13], 0
	s_cbranch_scc0 .LBB125_203
; %bb.141:                              ;   in Loop: Header=BB125_26 Depth=1
	s_cvt_f32_u32 s12, s54
	s_sub_nc_u64 s[64:65], 0, s[54:55]
	s_wait_alu 0xfffe
	s_delay_alu instid0(SALU_CYCLE_1) | instskip(SKIP_1) | instid1(SALU_CYCLE_2)
	s_fmamk_f32 s12, s83, 0x0, s12
	s_wait_alu 0xfffe
	v_s_rcp_f32 s12, s12
	s_delay_alu instid0(TRANS32_DEP_1) | instskip(SKIP_1) | instid1(SALU_CYCLE_2)
	s_mul_f32 s12, s12, 0x5f7ffffc
	s_wait_alu 0xfffe
	s_mul_f32 s13, s12, 0x2f800000
	s_wait_alu 0xfffe
	s_delay_alu instid0(SALU_CYCLE_2) | instskip(SKIP_1) | instid1(SALU_CYCLE_2)
	s_trunc_f32 s13, s13
	s_wait_alu 0xfffe
	s_fmamk_f32 s12, s13, 0xcf800000, s12
	s_cvt_u32_f32 s13, s13
	s_wait_alu 0xfffe
	s_delay_alu instid0(SALU_CYCLE_1) | instskip(SKIP_1) | instid1(SALU_CYCLE_2)
	s_cvt_u32_f32 s12, s12
	s_wait_alu 0xfffe
	s_mul_u64 s[66:67], s[64:65], s[12:13]
	s_wait_alu 0xfffe
	s_mul_hi_u32 s69, s12, s67
	s_mul_i32 s68, s12, s67
	s_mul_hi_u32 s56, s12, s66
	s_mul_i32 s70, s13, s66
	s_wait_alu 0xfffe
	s_add_nc_u64 s[68:69], s[56:57], s[68:69]
	s_mul_hi_u32 s23, s13, s66
	s_mul_hi_u32 s71, s13, s67
	s_wait_alu 0xfffe
	s_add_co_u32 s56, s68, s70
	s_add_co_ci_u32 s56, s69, s23
	s_mul_i32 s66, s13, s67
	s_add_co_ci_u32 s67, s71, 0
	s_wait_alu 0xfffe
	s_add_nc_u64 s[66:67], s[56:57], s[66:67]
	s_wait_alu 0xfffe
	s_add_co_u32 s12, s12, s66
	s_cselect_b32 s23, -1, 0
	s_wait_alu 0xfffe
	s_cmp_lg_u32 s23, 0
	s_add_co_ci_u32 s13, s13, s67
	s_wait_alu 0xfffe
	s_mul_u64 s[64:65], s[64:65], s[12:13]
	s_wait_alu 0xfffe
	s_mul_hi_u32 s67, s12, s65
	s_mul_i32 s66, s12, s65
	s_mul_hi_u32 s56, s12, s64
	s_mul_i32 s68, s13, s64
	s_wait_alu 0xfffe
	s_add_nc_u64 s[66:67], s[56:57], s[66:67]
	s_mul_hi_u32 s23, s13, s64
	s_mul_hi_u32 s69, s13, s65
	s_wait_alu 0xfffe
	s_add_co_u32 s56, s66, s68
	s_add_co_ci_u32 s56, s67, s23
	s_mul_i32 s64, s13, s65
	s_add_co_ci_u32 s65, s69, 0
	s_wait_alu 0xfffe
	s_add_nc_u64 s[64:65], s[56:57], s[64:65]
	s_wait_alu 0xfffe
	s_add_co_u32 s12, s12, s64
	s_cselect_b32 s23, -1, 0
	s_wait_alu 0xfffe
	s_mul_hi_u32 s56, s10, s12
	s_cmp_lg_u32 s23, 0
	s_mul_hi_u32 s23, s11, s12
	s_add_co_ci_u32 s64, s13, s65
	s_mul_i32 s65, s11, s12
	s_wait_alu 0xfffe
	s_mul_hi_u32 s13, s10, s64
	s_mul_i32 s12, s10, s64
	s_mul_hi_u32 s66, s11, s64
	s_wait_alu 0xfffe
	s_add_nc_u64 s[12:13], s[56:57], s[12:13]
	s_mul_i32 s64, s11, s64
	s_wait_alu 0xfffe
	s_add_co_u32 s12, s12, s65
	s_add_co_ci_u32 s56, s13, s23
	s_add_co_ci_u32 s65, s66, 0
	s_wait_alu 0xfffe
	s_add_nc_u64 s[12:13], s[56:57], s[64:65]
	s_wait_alu 0xfffe
	s_mul_u64 s[12:13], s[54:55], s[12:13]
	s_wait_alu 0xfffe
	s_sub_co_u32 s12, s10, s12
	s_cselect_b32 s23, -1, 0
	s_wait_alu 0xfffe
	s_cmp_lg_u32 s23, 0
	s_sub_co_ci_u32 s13, s11, s13
	s_sub_co_u32 s23, s12, s54
	s_cselect_b32 s56, -1, 0
	s_wait_alu 0xfffe
	s_cmp_lg_u32 s56, 0
	s_sub_co_ci_u32 s56, s13, 0
	;; [unrolled: 5-line block ×3, first 2 shown]
	s_cmp_ge_u32 s23, s54
	s_cselect_b32 s66, -1, 0
	s_cmp_eq_u32 s56, 0
	s_wait_alu 0xfffe
	s_cselect_b32 s66, s66, -1
	s_wait_alu 0xfffe
	s_cmp_lg_u32 s66, 0
	s_cselect_b32 s56, s65, s56
	s_cselect_b32 s23, s64, s23
	s_cmp_ge_u32 s12, s54
	s_cselect_b32 s64, -1, 0
	s_cmp_eq_u32 s13, 0
	s_wait_alu 0xfffe
	s_cselect_b32 s64, s64, -1
	s_wait_alu 0xfffe
	s_cmp_lg_u32 s64, 0
	s_cselect_b32 s13, s56, s13
	s_cselect_b32 s12, s23, s12
	s_cbranch_execnz .LBB125_143
.LBB125_142:                            ;   in Loop: Header=BB125_26 Depth=1
	v_cvt_f32_u32_e32 v2, s54
	s_sub_co_i32 s13, 0, s54
	s_delay_alu instid0(VALU_DEP_1) | instskip(NEXT) | instid1(TRANS32_DEP_1)
	v_rcp_iflag_f32_e32 v2, v2
	v_mul_f32_e32 v2, 0x4f7ffffe, v2
	s_delay_alu instid0(VALU_DEP_1) | instskip(NEXT) | instid1(VALU_DEP_1)
	v_cvt_u32_f32_e32 v2, v2
	v_readfirstlane_b32 s12, v2
	s_wait_alu 0xfffe
	s_mul_i32 s13, s13, s12
	s_wait_alu 0xfffe
	s_mul_hi_u32 s13, s12, s13
	s_wait_alu 0xfffe
	s_add_co_i32 s12, s12, s13
	s_wait_alu 0xfffe
	s_mul_hi_u32 s12, s10, s12
	s_wait_alu 0xfffe
	s_mul_i32 s12, s12, s54
	s_wait_alu 0xfffe
	s_sub_co_i32 s12, s10, s12
	s_wait_alu 0xfffe
	s_sub_co_i32 s13, s12, s54
	s_cmp_ge_u32 s12, s54
	s_wait_alu 0xfffe
	s_cselect_b32 s12, s13, s12
	s_wait_alu 0xfffe
	s_sub_co_i32 s13, s12, s54
	s_cmp_ge_u32 s12, s54
	s_wait_alu 0xfffe
	s_cselect_b32 s56, s13, s12
	s_wait_alu 0xfffe
	s_mov_b64 s[12:13], s[56:57]
.LBB125_143:                            ;   in Loop: Header=BB125_26 Depth=1
	s_wait_alu 0xfffe
	s_sub_nc_u64 s[10:11], s[10:11], s[12:13]
	s_mov_b32 s13, 0
	s_mov_b32 s12, 0
	s_mov_b32 s23, exec_lo
                                        ; implicit-def: $vgpr18
	s_wait_alu 0xfffe
	v_cmpx_gt_u64_e64 s[10:11], v[0:1]
	s_cbranch_execz .LBB125_158
; %bb.144:                              ;   in Loop: Header=BB125_26 Depth=1
	v_mov_b32_e32 v3, v1
	v_dual_mov_b32 v9, v10 :: v_dual_mov_b32 v2, v0
                                        ; implicit-def: $sgpr56
	s_branch .LBB125_148
.LBB125_145:                            ;   in Loop: Header=BB125_148 Depth=2
	s_wait_alu 0xfffe
	s_or_b32 exec_lo, exec_lo, s64
	s_wait_loadcnt_dscnt 0x0
	s_barrier_signal -1
	s_barrier_wait -1
	global_inv scope:SCOPE_SE
	ds_load_b64 v[17:18], v13 offset:3072
	s_wait_loadcnt_dscnt 0x0
	s_barrier_signal -1
	s_barrier_wait -1
	global_inv scope:SCOPE_SE
	v_cmp_neq_f32_e32 vcc_lo, 0, v17
	s_cbranch_vccnz .LBB125_151
; %bb.146:                              ;   in Loop: Header=BB125_148 Depth=2
	v_add_co_u32 v2, vcc_lo, v2, s54
	s_wait_alu 0xfffd
	v_add_co_ci_u32_e64 v3, null, 0, v3, vcc_lo
	v_add_nc_u32_e32 v9, s80, v9
	s_mov_b32 s64, 0
	s_delay_alu instid0(VALU_DEP_2)
	v_cmp_le_u64_e32 vcc_lo, s[10:11], v[2:3]
	s_or_not1_b32 s65, vcc_lo, exec_lo
.LBB125_147:                            ;   in Loop: Header=BB125_148 Depth=2
	s_wait_alu 0xfffe
	s_and_b32 s65, exec_lo, s65
	s_wait_alu 0xfffe
	s_or_b32 s12, s65, s12
	s_and_not1_b32 s56, s56, exec_lo
	s_and_b32 s64, s64, exec_lo
	s_wait_alu 0xfffe
	s_or_b32 s56, s56, s64
	s_and_not1_b32 exec_lo, exec_lo, s12
	s_cbranch_execz .LBB125_157
.LBB125_148:                            ;   Parent Loop BB125_26 Depth=1
                                        ; =>  This Inner Loop Header: Depth=2
	s_mov_b32 s64, exec_lo
	s_delay_alu instid0(VALU_DEP_1)
	v_cmpx_gt_u64_e64 s[4:5], v[2:3]
	s_cbranch_execz .LBB125_145
; %bb.149:                              ;   in Loop: Header=BB125_148 Depth=2
	ds_load_b32 v17, v9
	s_wait_dscnt 0x0
	v_cmp_lt_i32_e32 vcc_lo, -1, v17
	s_wait_alu 0xfffd
	v_cndmask_b32_e64 v12, -1, 0x80000000, vcc_lo
	v_cmp_o_f32_e32 vcc_lo, v17, v17
	s_delay_alu instid0(VALU_DEP_2) | instskip(SKIP_1) | instid1(VALU_DEP_1)
	v_xor_b32_e32 v12, v12, v17
	s_wait_alu 0xfffd
	v_cndmask_b32_e32 v12, -1, v12, vcc_lo
	s_delay_alu instid0(VALU_DEP_1) | instskip(NEXT) | instid1(VALU_DEP_1)
	v_and_b32_e32 v12, v12, v32
	v_cmp_eq_u32_e32 vcc_lo, v12, v28
	s_and_b32 exec_lo, exec_lo, vcc_lo
	s_cbranch_execz .LBB125_145
; %bb.150:                              ;   in Loop: Header=BB125_148 Depth=2
	ds_store_b64 v13, v[16:17] offset:3072
	s_branch .LBB125_145
.LBB125_151:                            ;   in Loop: Header=BB125_148 Depth=2
	s_mov_b32 s65, -1
	s_mov_b32 s64, -1
                                        ; implicit-def: $vgpr2_vgpr3
                                        ; implicit-def: $vgpr9
	s_branch .LBB125_147
.LBB125_152:                            ;   in Loop: Header=BB125_26 Depth=1
                                        ; implicit-def: $sgpr12_sgpr13
	s_branch .LBB125_97
.LBB125_153:                            ;   in Loop: Header=BB125_26 Depth=1
	s_wait_alu 0xfffe
	s_or_b32 exec_lo, exec_lo, s7
	s_wait_loadcnt_dscnt 0x0
	s_barrier_signal -1
	s_barrier_wait -1
	global_inv scope:SCOPE_SE
	s_and_saveexec_b32 s4, s3
	s_cbranch_execz .LBB125_155
; %bb.154:                              ;   in Loop: Header=BB125_26 Depth=1
	ds_load_b32 v2, v13 offset:5144
	s_wait_dscnt 0x0
	v_ashrrev_i32_e32 v3, 31, v2
	ds_store_b64 v13, v[2:3] offset:5120
.LBB125_155:                            ;   in Loop: Header=BB125_26 Depth=1
	s_wait_alu 0xfffe
	s_or_b32 exec_lo, exec_lo, s4
	s_wait_loadcnt_dscnt 0x0
	s_barrier_signal -1
	s_mov_b32 s4, -1
	s_barrier_wait -1
	s_and_b32 vcc_lo, exec_lo, s6
	s_wait_alu 0xfffe
	s_cbranch_vccnz .LBB125_42
	s_branch .LBB125_51
.LBB125_156:                            ;   in Loop: Header=BB125_26 Depth=1
                                        ; implicit-def: $sgpr4_sgpr5
	s_branch .LBB125_112
.LBB125_157:                            ;   in Loop: Header=BB125_26 Depth=1
	s_or_b32 exec_lo, exec_lo, s12
	s_wait_alu 0xfffe
	s_and_b32 s12, s56, exec_lo
.LBB125_158:                            ;   in Loop: Header=BB125_26 Depth=1
	s_or_b32 exec_lo, exec_lo, s23
.LBB125_159:                            ;   in Loop: Header=BB125_26 Depth=1
	s_wait_alu 0xfffe
	s_and_b32 vcc_lo, exec_lo, s13
	s_wait_alu 0xfffe
	s_cbranch_vccz .LBB125_174
; %bb.160:                              ;   in Loop: Header=BB125_26 Depth=1
	s_mov_b32 s4, s57
	s_mov_b32 s5, s61
	s_wait_alu 0xfffe
	s_cmp_lg_u64 s[4:5], 0
	s_cbranch_scc0 .LBB125_204
; %bb.161:                              ;   in Loop: Header=BB125_26 Depth=1
	s_cvt_f32_u32 s4, s54
	s_sub_nc_u64 s[10:11], 0, s[54:55]
	s_wait_alu 0xfffe
	s_delay_alu instid0(SALU_CYCLE_1) | instskip(SKIP_1) | instid1(SALU_CYCLE_2)
	s_fmamk_f32 s4, s83, 0x0, s4
	s_wait_alu 0xfffe
	v_s_rcp_f32 s4, s4
	s_delay_alu instid0(TRANS32_DEP_1) | instskip(SKIP_1) | instid1(SALU_CYCLE_2)
	s_mul_f32 s4, s4, 0x5f7ffffc
	s_wait_alu 0xfffe
	s_mul_f32 s5, s4, 0x2f800000
	s_wait_alu 0xfffe
	s_delay_alu instid0(SALU_CYCLE_2) | instskip(SKIP_1) | instid1(SALU_CYCLE_2)
	s_trunc_f32 s5, s5
	s_wait_alu 0xfffe
	s_fmamk_f32 s4, s5, 0xcf800000, s4
	s_cvt_u32_f32 s5, s5
	s_wait_alu 0xfffe
	s_delay_alu instid0(SALU_CYCLE_1) | instskip(SKIP_1) | instid1(SALU_CYCLE_2)
	s_cvt_u32_f32 s4, s4
	s_wait_alu 0xfffe
	s_mul_u64 s[64:65], s[10:11], s[4:5]
	s_wait_alu 0xfffe
	s_mul_hi_u32 s67, s4, s65
	s_mul_i32 s66, s4, s65
	s_mul_hi_u32 s56, s4, s64
	s_mul_i32 s19, s5, s64
	s_wait_alu 0xfffe
	s_add_nc_u64 s[66:67], s[56:57], s[66:67]
	s_mul_hi_u32 s13, s5, s64
	s_mul_hi_u32 s20, s5, s65
	s_wait_alu 0xfffe
	s_add_co_u32 s19, s66, s19
	s_add_co_ci_u32 s56, s67, s13
	s_mul_i32 s64, s5, s65
	s_add_co_ci_u32 s65, s20, 0
	s_wait_alu 0xfffe
	s_add_nc_u64 s[64:65], s[56:57], s[64:65]
	s_wait_alu 0xfffe
	s_add_co_u32 s4, s4, s64
	s_cselect_b32 s13, -1, 0
	s_wait_alu 0xfffe
	s_cmp_lg_u32 s13, 0
	s_add_co_ci_u32 s5, s5, s65
	s_wait_alu 0xfffe
	s_mul_u64 s[10:11], s[10:11], s[4:5]
	s_wait_alu 0xfffe
	s_mul_hi_u32 s65, s4, s11
	s_mul_i32 s64, s4, s11
	s_mul_hi_u32 s56, s4, s10
	s_mul_i32 s19, s5, s10
	s_wait_alu 0xfffe
	s_add_nc_u64 s[64:65], s[56:57], s[64:65]
	s_mul_hi_u32 s13, s5, s10
	s_mul_hi_u32 s20, s5, s11
	s_mul_i32 s10, s5, s11
	s_wait_alu 0xfffe
	s_add_co_u32 s11, s64, s19
	s_add_co_ci_u32 s56, s65, s13
	s_add_co_ci_u32 s11, s20, 0
	s_wait_alu 0xfffe
	s_add_nc_u64 s[10:11], s[56:57], s[10:11]
	s_wait_alu 0xfffe
	s_add_co_u32 s4, s4, s10
	s_cselect_b32 s10, -1, 0
	s_wait_alu 0xfffe
	s_mul_hi_u32 s56, s60, s4
	s_cmp_lg_u32 s10, 0
	s_mul_hi_u32 s13, s61, s4
	s_add_co_ci_u32 s10, s5, s11
	s_mul_i32 s11, s61, s4
	s_wait_alu 0xfffe
	s_mul_hi_u32 s5, s60, s10
	s_mul_i32 s4, s60, s10
	s_mul_hi_u32 s19, s61, s10
	s_wait_alu 0xfffe
	s_add_nc_u64 s[4:5], s[56:57], s[4:5]
	s_mul_i32 s10, s61, s10
	s_wait_alu 0xfffe
	s_add_co_u32 s4, s4, s11
	s_add_co_ci_u32 s56, s5, s13
	s_add_co_ci_u32 s11, s19, 0
	s_wait_alu 0xfffe
	s_add_nc_u64 s[4:5], s[56:57], s[10:11]
	s_wait_alu 0xfffe
	s_mul_u64 s[4:5], s[54:55], s[4:5]
	s_wait_alu 0xfffe
	s_sub_co_u32 s4, s60, s4
	s_cselect_b32 s10, -1, 0
	s_wait_alu 0xfffe
	s_cmp_lg_u32 s10, 0
	s_sub_co_ci_u32 s5, s61, s5
	s_sub_co_u32 s10, s4, s54
	s_cselect_b32 s11, -1, 0
	s_wait_alu 0xfffe
	s_cmp_lg_u32 s11, 0
	s_sub_co_ci_u32 s11, s5, 0
	;; [unrolled: 5-line block ×3, first 2 shown]
	s_cmp_ge_u32 s10, s54
	s_cselect_b32 s20, -1, 0
	s_cmp_eq_u32 s11, 0
	s_wait_alu 0xfffe
	s_cselect_b32 s20, s20, -1
	s_wait_alu 0xfffe
	s_cmp_lg_u32 s20, 0
	s_cselect_b32 s11, s19, s11
	s_cselect_b32 s10, s13, s10
	s_cmp_ge_u32 s4, s54
	s_cselect_b32 s13, -1, 0
	s_cmp_eq_u32 s5, 0
	s_wait_alu 0xfffe
	s_cselect_b32 s13, s13, -1
	s_wait_alu 0xfffe
	s_cmp_lg_u32 s13, 0
	s_cselect_b32 s5, s11, s5
	s_cselect_b32 s4, s10, s4
	s_cbranch_execnz .LBB125_163
.LBB125_162:                            ;   in Loop: Header=BB125_26 Depth=1
	v_cvt_f32_u32_e32 v2, s54
	s_sub_co_i32 s5, 0, s54
	s_delay_alu instid0(VALU_DEP_1) | instskip(NEXT) | instid1(TRANS32_DEP_1)
	v_rcp_iflag_f32_e32 v2, v2
	v_mul_f32_e32 v2, 0x4f7ffffe, v2
	s_delay_alu instid0(VALU_DEP_1) | instskip(NEXT) | instid1(VALU_DEP_1)
	v_cvt_u32_f32_e32 v2, v2
	v_readfirstlane_b32 s4, v2
	s_wait_alu 0xfffe
	s_mul_i32 s5, s5, s4
	s_wait_alu 0xfffe
	s_mul_hi_u32 s5, s4, s5
	s_wait_alu 0xfffe
	s_add_co_i32 s4, s4, s5
	s_wait_alu 0xfffe
	s_mul_hi_u32 s4, s60, s4
	s_wait_alu 0xfffe
	s_mul_i32 s4, s4, s54
	s_wait_alu 0xfffe
	s_sub_co_i32 s4, s60, s4
	s_wait_alu 0xfffe
	s_sub_co_i32 s5, s4, s54
	s_cmp_ge_u32 s4, s54
	s_wait_alu 0xfffe
	s_cselect_b32 s4, s5, s4
	s_wait_alu 0xfffe
	s_sub_co_i32 s5, s4, s54
	s_cmp_ge_u32 s4, s54
	s_wait_alu 0xfffe
	s_cselect_b32 s56, s5, s4
	s_wait_alu 0xfffe
	s_mov_b64 s[4:5], s[56:57]
.LBB125_163:                            ;   in Loop: Header=BB125_26 Depth=1
	s_wait_alu 0xfffe
	s_sub_nc_u64 s[4:5], s[60:61], s[4:5]
	s_mov_b32 s10, exec_lo
                                        ; implicit-def: $vgpr18
	s_wait_alu 0xfffe
	v_cmpx_gt_u64_e64 s[4:5], v[0:1]
	s_cbranch_execz .LBB125_173
; %bb.164:                              ;   in Loop: Header=BB125_26 Depth=1
	v_dual_mov_b32 v3, v1 :: v_dual_mov_b32 v2, v0
	s_mov_b32 s11, 0
                                        ; implicit-def: $sgpr13
	s_branch .LBB125_168
.LBB125_165:                            ;   in Loop: Header=BB125_168 Depth=2
	s_wait_alu 0xfffe
	s_or_b32 exec_lo, exec_lo, s19
	s_wait_loadcnt_dscnt 0x0
	s_barrier_signal -1
	s_barrier_wait -1
	global_inv scope:SCOPE_SE
	ds_load_b64 v[17:18], v13 offset:3072
	s_wait_loadcnt_dscnt 0x0
	s_barrier_signal -1
	s_barrier_wait -1
	global_inv scope:SCOPE_SE
	v_cmp_eq_f32_e32 vcc_lo, 0, v17
	s_cbranch_vccz .LBB125_171
; %bb.166:                              ;   in Loop: Header=BB125_168 Depth=2
	v_add_co_u32 v2, vcc_lo, v2, s54
	s_wait_alu 0xfffd
	v_add_co_ci_u32_e64 v3, null, 0, v3, vcc_lo
	s_mov_b32 s19, 0
	v_cmp_le_u64_e32 vcc_lo, s[4:5], v[2:3]
	s_or_not1_b32 s20, vcc_lo, exec_lo
.LBB125_167:                            ;   in Loop: Header=BB125_168 Depth=2
	s_wait_alu 0xfffe
	s_and_b32 s20, exec_lo, s20
	s_wait_alu 0xfffe
	s_or_b32 s11, s20, s11
	s_and_not1_b32 s13, s13, exec_lo
	s_and_b32 s19, s19, exec_lo
	s_wait_alu 0xfffe
	s_or_b32 s13, s13, s19
	s_and_not1_b32 exec_lo, exec_lo, s11
	s_cbranch_execz .LBB125_172
.LBB125_168:                            ;   Parent Loop BB125_26 Depth=1
                                        ; =>  This Inner Loop Header: Depth=2
	s_mov_b32 s19, exec_lo
	s_delay_alu instid0(VALU_DEP_1)
	v_cmpx_gt_u64_e64 s[24:25], v[2:3]
	s_cbranch_execz .LBB125_165
; %bb.169:                              ;   in Loop: Header=BB125_168 Depth=2
	v_mul_lo_u32 v9, v3, s40
	v_mul_lo_u32 v12, v2, s41
	v_mad_co_u64_u32 v[17:18], null, v2, s40, 0
	s_delay_alu instid0(VALU_DEP_1) | instskip(NEXT) | instid1(VALU_DEP_1)
	v_add3_u32 v18, v18, v12, v9
	v_lshlrev_b64_e32 v[17:18], 2, v[17:18]
	s_delay_alu instid0(VALU_DEP_1) | instskip(SKIP_1) | instid1(VALU_DEP_2)
	v_add_co_u32 v17, vcc_lo, s48, v17
	s_wait_alu 0xfffd
	v_add_co_ci_u32_e64 v18, null, s49, v18, vcc_lo
	global_load_b32 v17, v[17:18], off
	s_wait_loadcnt 0x0
	v_cmp_lt_i32_e32 vcc_lo, -1, v17
	s_wait_alu 0xfffd
	v_cndmask_b32_e64 v9, -1, 0x80000000, vcc_lo
	v_cmp_o_f32_e32 vcc_lo, v17, v17
	s_delay_alu instid0(VALU_DEP_2) | instskip(SKIP_1) | instid1(VALU_DEP_1)
	v_xor_b32_e32 v9, v9, v17
	s_wait_alu 0xfffd
	v_cndmask_b32_e32 v9, -1, v9, vcc_lo
	s_delay_alu instid0(VALU_DEP_1) | instskip(NEXT) | instid1(VALU_DEP_1)
	v_and_b32_e32 v9, v9, v32
	v_cmp_eq_u32_e32 vcc_lo, v9, v28
	s_and_b32 exec_lo, exec_lo, vcc_lo
	s_cbranch_execz .LBB125_165
; %bb.170:                              ;   in Loop: Header=BB125_168 Depth=2
	ds_store_b64 v13, v[16:17] offset:3072
	s_branch .LBB125_165
.LBB125_171:                            ;   in Loop: Header=BB125_168 Depth=2
	s_mov_b32 s20, -1
	s_mov_b32 s19, -1
                                        ; implicit-def: $vgpr2_vgpr3
	s_branch .LBB125_167
.LBB125_172:                            ;   in Loop: Header=BB125_26 Depth=1
	s_or_b32 exec_lo, exec_lo, s11
	s_delay_alu instid0(SALU_CYCLE_1)
	s_and_not1_b32 s4, s12, exec_lo
	s_wait_alu 0xfffe
	s_and_b32 s5, s13, exec_lo
	s_wait_alu 0xfffe
	s_or_b32 s12, s4, s5
.LBB125_173:                            ;   in Loop: Header=BB125_26 Depth=1
	s_or_b32 exec_lo, exec_lo, s10
	s_mov_b32 s19, 0
	s_mov_b32 s20, -1
.LBB125_174:                            ;   in Loop: Header=BB125_26 Depth=1
	s_wait_alu 0xfffe
	s_or_not1_b32 s4, s12, exec_lo
.LBB125_175:                            ;   in Loop: Header=BB125_26 Depth=1
	s_wait_alu 0xfffe
	s_or_b32 exec_lo, exec_lo, s21
	s_mov_b32 s5, 0
	s_and_saveexec_b32 s21, s4
	s_cbranch_execz .LBB125_285
; %bb.176:                              ;   in Loop: Header=BB125_26 Depth=1
	v_mov_b32_e32 v2, 1
	v_dual_mov_b32 v3, 0 :: v_dual_mov_b32 v8, 1
	s_xor_b32 s10, s22, -1
	s_wait_alu 0xfffe
	s_and_saveexec_b32 s4, s10
	s_cbranch_execz .LBB125_186
; %bb.177:                              ;   in Loop: Header=BB125_26 Depth=1
	s_mov_b32 s5, exec_lo
	v_cmpx_le_u64_e64 v[6:7], v[4:5]
	s_wait_alu 0xfffe
	s_xor_b32 s5, exec_lo, s5
	s_cbranch_execz .LBB125_183
; %bb.178:                              ;   in Loop: Header=BB125_26 Depth=1
	ds_load_b64 v[2:3], v13 offset:5120
	s_lshl_b32 s10, 1, s81
	v_or_b32_e32 v32, s14, v32
	s_wait_alu 0xfffe
	v_and_or_b32 v28, v28, s18, s10
	s_wait_dscnt 0x0
	v_cmp_ne_u64_e32 vcc_lo, 0, v[2:3]
	s_cbranch_vccnz .LBB125_182
; %bb.179:                              ;   in Loop: Header=BB125_26 Depth=1
	s_and_saveexec_b32 s10, s3
; %bb.180:                              ;   in Loop: Header=BB125_26 Depth=1
	ds_store_b64 v13, v[4:5] offset:5128
; %bb.181:                              ;   in Loop: Header=BB125_26 Depth=1
	s_wait_alu 0xfffe
	s_or_b32 exec_lo, exec_lo, s10
	s_wait_loadcnt_dscnt 0x0
	s_barrier_signal -1
	s_barrier_wait -1
	global_inv scope:SCOPE_SE
.LBB125_182:                            ;   in Loop: Header=BB125_26 Depth=1
                                        ; implicit-def: $vgpr2_vgpr3_vgpr4_vgpr5
.LBB125_183:                            ;   in Loop: Header=BB125_26 Depth=1
	s_wait_alu 0xfffe
	s_or_saveexec_b32 s5, s5
	v_mov_b32_e32 v8, 8
	s_mov_b32 s10, 0
	s_wait_alu 0xfffe
	s_xor_b32 exec_lo, exec_lo, s5
; %bb.184:                              ;   in Loop: Header=BB125_26 Depth=1
	v_sub_co_u32 v6, vcc_lo, v6, v4
	s_wait_alu 0xfffd
	v_sub_co_ci_u32_e64 v7, null, v7, v5, vcc_lo
	v_mov_b32_e32 v8, 0
	s_mov_b32 s10, exec_lo
; %bb.185:                              ;   in Loop: Header=BB125_26 Depth=1
	s_or_b32 exec_lo, exec_lo, s5
	s_delay_alu instid0(VALU_DEP_2)
	v_dual_mov_b32 v2, v6 :: v_dual_mov_b32 v3, v7
	s_wait_alu 0xfffe
	s_and_b32 s5, s10, exec_lo
.LBB125_186:                            ;   in Loop: Header=BB125_26 Depth=1
	s_wait_alu 0xfffe
	s_or_b32 exec_lo, exec_lo, s4
	s_mov_b32 s4, -1
                                        ; implicit-def: $sgpr23
                                        ; implicit-def: $sgpr64
	s_and_saveexec_b32 s22, s5
	s_cbranch_execz .LBB125_284
; %bb.187:                              ;   in Loop: Header=BB125_26 Depth=1
	v_cmp_eq_u64_e32 vcc_lo, 1, v[2:3]
	s_cmp_eq_u64 s[8:9], 1
                                        ; implicit-def: $sgpr64
                                        ; implicit-def: $sgpr23
	s_cselect_b32 s4, -1, 0
	s_wait_alu 0xfffe
	s_and_b32 s65, s4, vcc_lo
	s_mov_b32 s4, -1
	s_wait_alu 0xfffe
	s_and_saveexec_b32 s66, s65
	s_cbranch_execz .LBB125_223
; %bb.188:                              ;   in Loop: Header=BB125_26 Depth=1
	ds_load_b64 v[4:5], v13 offset:5120
	s_wait_loadcnt_dscnt 0x0
	s_barrier_signal -1
	s_barrier_wait -1
	global_inv scope:SCOPE_SE
	v_readfirstlane_b32 s4, v4
	v_readfirstlane_b32 s5, v5
	s_and_saveexec_b32 s10, s0
; %bb.189:                              ;   in Loop: Header=BB125_26 Depth=1
	ds_store_b32 v26, v13
; %bb.190:                              ;   in Loop: Header=BB125_26 Depth=1
	s_wait_alu 0xfffe
	s_or_b32 exec_lo, exec_lo, s10
	s_lshl_b32 s10, 2, s81
	v_or_b32_e32 v32, s14, v32
	s_wait_alu 0xfffe
	v_and_or_b32 v28, v28, s18, s10
	s_mov_b32 s23, -1
	s_mov_b32 s64, 0
	s_cmp_eq_u64 s[4:5], 0
	s_mov_b32 s12, 0
	s_mov_b32 s13, -1
	s_wait_loadcnt_dscnt 0x0
	s_barrier_signal -1
	s_barrier_wait -1
	global_inv scope:SCOPE_SE
                                        ; implicit-def: $vgpr18
	s_cbranch_scc1 .LBB125_207
; %bb.191:                              ;   in Loop: Header=BB125_26 Depth=1
	s_add_nc_u64 s[10:11], s[4:5], s[58:59]
	s_mov_b32 s12, s57
	s_wait_alu 0xfffe
	s_mov_b32 s13, s11
	s_wait_alu 0xfffe
	s_cmp_lg_u64 s[12:13], 0
	s_cbranch_scc0 .LBB125_250
; %bb.192:                              ;   in Loop: Header=BB125_26 Depth=1
	s_cvt_f32_u32 s12, s54
	s_sub_nc_u64 s[68:69], 0, s[54:55]
	s_wait_alu 0xfffe
	s_delay_alu instid0(SALU_CYCLE_1) | instskip(SKIP_1) | instid1(SALU_CYCLE_2)
	s_fmamk_f32 s12, s83, 0x0, s12
	s_wait_alu 0xfffe
	v_s_rcp_f32 s12, s12
	s_delay_alu instid0(TRANS32_DEP_1) | instskip(SKIP_1) | instid1(SALU_CYCLE_2)
	s_mul_f32 s12, s12, 0x5f7ffffc
	s_wait_alu 0xfffe
	s_mul_f32 s13, s12, 0x2f800000
	s_wait_alu 0xfffe
	s_delay_alu instid0(SALU_CYCLE_2) | instskip(SKIP_1) | instid1(SALU_CYCLE_2)
	s_trunc_f32 s13, s13
	s_wait_alu 0xfffe
	s_fmamk_f32 s12, s13, 0xcf800000, s12
	s_cvt_u32_f32 s13, s13
	s_wait_alu 0xfffe
	s_delay_alu instid0(SALU_CYCLE_1) | instskip(SKIP_1) | instid1(SALU_CYCLE_2)
	s_cvt_u32_f32 s12, s12
	s_wait_alu 0xfffe
	s_mul_u64 s[70:71], s[68:69], s[12:13]
	s_wait_alu 0xfffe
	s_mul_hi_u32 s73, s12, s71
	s_mul_i32 s72, s12, s71
	s_mul_hi_u32 s56, s12, s70
	s_mul_i32 s91, s13, s70
	s_wait_alu 0xfffe
	s_add_nc_u64 s[72:73], s[56:57], s[72:73]
	s_mul_hi_u32 s67, s13, s70
	s_mul_hi_u32 s92, s13, s71
	s_wait_alu 0xfffe
	s_add_co_u32 s56, s72, s91
	s_add_co_ci_u32 s56, s73, s67
	s_mul_i32 s70, s13, s71
	s_add_co_ci_u32 s71, s92, 0
	s_wait_alu 0xfffe
	s_add_nc_u64 s[70:71], s[56:57], s[70:71]
	s_wait_alu 0xfffe
	s_add_co_u32 s12, s12, s70
	s_cselect_b32 s56, -1, 0
	s_wait_alu 0xfffe
	s_cmp_lg_u32 s56, 0
	s_add_co_ci_u32 s13, s13, s71
	s_wait_alu 0xfffe
	s_mul_u64 s[68:69], s[68:69], s[12:13]
	s_wait_alu 0xfffe
	s_mul_hi_u32 s71, s12, s69
	s_mul_i32 s70, s12, s69
	s_mul_hi_u32 s56, s12, s68
	s_mul_i32 s72, s13, s68
	s_wait_alu 0xfffe
	s_add_nc_u64 s[70:71], s[56:57], s[70:71]
	s_mul_hi_u32 s67, s13, s68
	s_mul_hi_u32 s73, s13, s69
	s_wait_alu 0xfffe
	s_add_co_u32 s56, s70, s72
	s_add_co_ci_u32 s56, s71, s67
	s_mul_i32 s68, s13, s69
	s_add_co_ci_u32 s69, s73, 0
	s_wait_alu 0xfffe
	s_add_nc_u64 s[68:69], s[56:57], s[68:69]
	s_wait_alu 0xfffe
	s_add_co_u32 s12, s12, s68
	s_cselect_b32 s67, -1, 0
	s_wait_alu 0xfffe
	s_mul_hi_u32 s56, s10, s12
	s_cmp_lg_u32 s67, 0
	s_mul_hi_u32 s67, s11, s12
	s_add_co_ci_u32 s68, s13, s69
	s_mul_i32 s69, s11, s12
	s_wait_alu 0xfffe
	s_mul_hi_u32 s13, s10, s68
	s_mul_i32 s12, s10, s68
	s_mul_hi_u32 s70, s11, s68
	s_wait_alu 0xfffe
	s_add_nc_u64 s[12:13], s[56:57], s[12:13]
	s_mul_i32 s68, s11, s68
	s_wait_alu 0xfffe
	s_add_co_u32 s12, s12, s69
	s_add_co_ci_u32 s56, s13, s67
	s_add_co_ci_u32 s69, s70, 0
	s_wait_alu 0xfffe
	s_add_nc_u64 s[12:13], s[56:57], s[68:69]
	s_wait_alu 0xfffe
	s_mul_u64 s[12:13], s[54:55], s[12:13]
	s_wait_alu 0xfffe
	s_sub_co_u32 s12, s10, s12
	s_cselect_b32 s56, -1, 0
	s_wait_alu 0xfffe
	s_cmp_lg_u32 s56, 0
	s_sub_co_ci_u32 s13, s11, s13
	s_sub_co_u32 s56, s12, s54
	s_cselect_b32 s67, -1, 0
	s_wait_alu 0xfffe
	s_cmp_lg_u32 s67, 0
	s_sub_co_ci_u32 s67, s13, 0
	;; [unrolled: 5-line block ×3, first 2 shown]
	s_cmp_ge_u32 s56, s54
	s_cselect_b32 s70, -1, 0
	s_cmp_eq_u32 s67, 0
	s_wait_alu 0xfffe
	s_cselect_b32 s70, s70, -1
	s_wait_alu 0xfffe
	s_cmp_lg_u32 s70, 0
	s_cselect_b32 s67, s69, s67
	s_cselect_b32 s56, s68, s56
	s_cmp_ge_u32 s12, s54
	s_cselect_b32 s68, -1, 0
	s_cmp_eq_u32 s13, 0
	s_wait_alu 0xfffe
	s_cselect_b32 s68, s68, -1
	s_wait_alu 0xfffe
	s_cmp_lg_u32 s68, 0
	s_cselect_b32 s13, s67, s13
	s_cselect_b32 s12, s56, s12
	s_cbranch_execnz .LBB125_194
.LBB125_193:                            ;   in Loop: Header=BB125_26 Depth=1
	v_cvt_f32_u32_e32 v4, s54
	s_sub_co_i32 s13, 0, s54
	s_delay_alu instid0(VALU_DEP_1) | instskip(NEXT) | instid1(TRANS32_DEP_1)
	v_rcp_iflag_f32_e32 v4, v4
	v_mul_f32_e32 v4, 0x4f7ffffe, v4
	s_delay_alu instid0(VALU_DEP_1) | instskip(NEXT) | instid1(VALU_DEP_1)
	v_cvt_u32_f32_e32 v4, v4
	v_readfirstlane_b32 s12, v4
	s_wait_alu 0xfffe
	s_mul_i32 s13, s13, s12
	s_wait_alu 0xfffe
	s_mul_hi_u32 s13, s12, s13
	s_wait_alu 0xfffe
	s_add_co_i32 s12, s12, s13
	s_wait_alu 0xfffe
	s_mul_hi_u32 s12, s10, s12
	s_wait_alu 0xfffe
	s_mul_i32 s12, s12, s54
	s_wait_alu 0xfffe
	s_sub_co_i32 s12, s10, s12
	s_wait_alu 0xfffe
	s_sub_co_i32 s13, s12, s54
	s_cmp_ge_u32 s12, s54
	s_wait_alu 0xfffe
	s_cselect_b32 s12, s13, s12
	s_wait_alu 0xfffe
	s_sub_co_i32 s13, s12, s54
	s_cmp_ge_u32 s12, s54
	s_wait_alu 0xfffe
	s_cselect_b32 s56, s13, s12
	s_wait_alu 0xfffe
	s_mov_b64 s[12:13], s[56:57]
.LBB125_194:                            ;   in Loop: Header=BB125_26 Depth=1
	s_wait_alu 0xfffe
	s_sub_nc_u64 s[10:11], s[10:11], s[12:13]
	s_mov_b32 s13, 0
	s_mov_b32 s12, 0
	s_mov_b32 s56, exec_lo
                                        ; implicit-def: $vgpr18
	s_wait_alu 0xfffe
	v_cmpx_gt_u64_e64 s[10:11], v[0:1]
	s_cbranch_execz .LBB125_206
; %bb.195:                              ;   in Loop: Header=BB125_26 Depth=1
	v_dual_mov_b32 v6, v10 :: v_dual_mov_b32 v5, v1
	v_mov_b32_e32 v4, v0
                                        ; implicit-def: $sgpr67
	s_branch .LBB125_199
.LBB125_196:                            ;   in Loop: Header=BB125_199 Depth=2
	s_wait_alu 0xfffe
	s_or_b32 exec_lo, exec_lo, s68
	s_wait_loadcnt_dscnt 0x0
	s_barrier_signal -1
	s_barrier_wait -1
	global_inv scope:SCOPE_SE
	ds_load_b64 v[17:18], v13 offset:3072
	s_wait_loadcnt_dscnt 0x0
	s_barrier_signal -1
	s_barrier_wait -1
	global_inv scope:SCOPE_SE
	v_cmp_neq_f32_e32 vcc_lo, 0, v17
	s_cbranch_vccnz .LBB125_202
; %bb.197:                              ;   in Loop: Header=BB125_199 Depth=2
	v_add_co_u32 v4, vcc_lo, v4, s54
	s_wait_alu 0xfffd
	v_add_co_ci_u32_e64 v5, null, 0, v5, vcc_lo
	v_add_nc_u32_e32 v6, s80, v6
	s_mov_b32 s68, 0
	s_delay_alu instid0(VALU_DEP_2)
	v_cmp_le_u64_e32 vcc_lo, s[10:11], v[4:5]
	s_or_not1_b32 s69, vcc_lo, exec_lo
.LBB125_198:                            ;   in Loop: Header=BB125_199 Depth=2
	s_wait_alu 0xfffe
	s_and_b32 s69, exec_lo, s69
	s_wait_alu 0xfffe
	s_or_b32 s12, s69, s12
	s_and_not1_b32 s67, s67, exec_lo
	s_and_b32 s68, s68, exec_lo
	s_wait_alu 0xfffe
	s_or_b32 s67, s67, s68
	s_and_not1_b32 exec_lo, exec_lo, s12
	s_cbranch_execz .LBB125_205
.LBB125_199:                            ;   Parent Loop BB125_26 Depth=1
                                        ; =>  This Inner Loop Header: Depth=2
	s_mov_b32 s68, exec_lo
	s_delay_alu instid0(VALU_DEP_1)
	v_cmpx_gt_u64_e64 s[4:5], v[4:5]
	s_cbranch_execz .LBB125_196
; %bb.200:                              ;   in Loop: Header=BB125_199 Depth=2
	ds_load_b32 v17, v6
	s_wait_dscnt 0x0
	v_cmp_lt_i32_e32 vcc_lo, -1, v17
	s_wait_alu 0xfffd
	v_cndmask_b32_e64 v7, -1, 0x80000000, vcc_lo
	v_cmp_o_f32_e32 vcc_lo, v17, v17
	s_delay_alu instid0(VALU_DEP_2) | instskip(SKIP_1) | instid1(VALU_DEP_1)
	v_xor_b32_e32 v7, v7, v17
	s_wait_alu 0xfffd
	v_cndmask_b32_e32 v7, -1, v7, vcc_lo
	s_delay_alu instid0(VALU_DEP_1) | instskip(NEXT) | instid1(VALU_DEP_1)
	v_and_b32_e32 v7, v7, v32
	v_cmp_eq_u32_e32 vcc_lo, v7, v28
	s_and_b32 exec_lo, exec_lo, vcc_lo
	s_cbranch_execz .LBB125_196
; %bb.201:                              ;   in Loop: Header=BB125_199 Depth=2
	ds_store_b64 v13, v[16:17] offset:3072
	s_branch .LBB125_196
.LBB125_202:                            ;   in Loop: Header=BB125_199 Depth=2
	s_mov_b32 s69, -1
	s_mov_b32 s68, -1
                                        ; implicit-def: $vgpr4_vgpr5
                                        ; implicit-def: $vgpr6
	s_branch .LBB125_198
.LBB125_203:                            ;   in Loop: Header=BB125_26 Depth=1
                                        ; implicit-def: $sgpr12_sgpr13
	s_branch .LBB125_142
.LBB125_204:                            ;   in Loop: Header=BB125_26 Depth=1
                                        ; implicit-def: $sgpr4_sgpr5
	s_branch .LBB125_162
.LBB125_205:                            ;   in Loop: Header=BB125_26 Depth=1
	s_or_b32 exec_lo, exec_lo, s12
	s_wait_alu 0xfffe
	s_and_b32 s12, s67, exec_lo
.LBB125_206:                            ;   in Loop: Header=BB125_26 Depth=1
	s_or_b32 exec_lo, exec_lo, s56
.LBB125_207:                            ;   in Loop: Header=BB125_26 Depth=1
	s_wait_alu 0xfffe
	s_and_b32 vcc_lo, exec_lo, s13
	s_wait_alu 0xfffe
	s_cbranch_vccz .LBB125_222
; %bb.208:                              ;   in Loop: Header=BB125_26 Depth=1
	s_mov_b32 s4, s57
	s_mov_b32 s5, s61
	s_wait_alu 0xfffe
	s_cmp_lg_u64 s[4:5], 0
	s_cbranch_scc0 .LBB125_251
; %bb.209:                              ;   in Loop: Header=BB125_26 Depth=1
	s_cvt_f32_u32 s4, s54
	s_sub_nc_u64 s[10:11], 0, s[54:55]
	s_wait_alu 0xfffe
	s_delay_alu instid0(SALU_CYCLE_1) | instskip(SKIP_1) | instid1(SALU_CYCLE_2)
	s_fmamk_f32 s4, s83, 0x0, s4
	s_wait_alu 0xfffe
	v_s_rcp_f32 s4, s4
	s_delay_alu instid0(TRANS32_DEP_1) | instskip(SKIP_1) | instid1(SALU_CYCLE_2)
	s_mul_f32 s4, s4, 0x5f7ffffc
	s_wait_alu 0xfffe
	s_mul_f32 s5, s4, 0x2f800000
	s_wait_alu 0xfffe
	s_delay_alu instid0(SALU_CYCLE_2) | instskip(SKIP_1) | instid1(SALU_CYCLE_2)
	s_trunc_f32 s5, s5
	s_wait_alu 0xfffe
	s_fmamk_f32 s4, s5, 0xcf800000, s4
	s_cvt_u32_f32 s5, s5
	s_wait_alu 0xfffe
	s_delay_alu instid0(SALU_CYCLE_1) | instskip(SKIP_1) | instid1(SALU_CYCLE_2)
	s_cvt_u32_f32 s4, s4
	s_wait_alu 0xfffe
	s_mul_u64 s[68:69], s[10:11], s[4:5]
	s_wait_alu 0xfffe
	s_mul_hi_u32 s71, s4, s69
	s_mul_i32 s70, s4, s69
	s_mul_hi_u32 s56, s4, s68
	s_mul_i32 s23, s5, s68
	s_wait_alu 0xfffe
	s_add_nc_u64 s[70:71], s[56:57], s[70:71]
	s_mul_hi_u32 s13, s5, s68
	s_mul_hi_u32 s64, s5, s69
	s_wait_alu 0xfffe
	s_add_co_u32 s23, s70, s23
	s_add_co_ci_u32 s56, s71, s13
	s_mul_i32 s68, s5, s69
	s_add_co_ci_u32 s69, s64, 0
	s_wait_alu 0xfffe
	s_add_nc_u64 s[68:69], s[56:57], s[68:69]
	s_wait_alu 0xfffe
	s_add_co_u32 s4, s4, s68
	s_cselect_b32 s13, -1, 0
	s_wait_alu 0xfffe
	s_cmp_lg_u32 s13, 0
	s_add_co_ci_u32 s5, s5, s69
	s_wait_alu 0xfffe
	s_mul_u64 s[10:11], s[10:11], s[4:5]
	s_wait_alu 0xfffe
	s_mul_hi_u32 s69, s4, s11
	s_mul_i32 s68, s4, s11
	s_mul_hi_u32 s56, s4, s10
	s_mul_i32 s23, s5, s10
	s_wait_alu 0xfffe
	s_add_nc_u64 s[68:69], s[56:57], s[68:69]
	s_mul_hi_u32 s13, s5, s10
	s_mul_hi_u32 s64, s5, s11
	s_mul_i32 s10, s5, s11
	s_wait_alu 0xfffe
	s_add_co_u32 s11, s68, s23
	s_add_co_ci_u32 s56, s69, s13
	s_add_co_ci_u32 s11, s64, 0
	s_wait_alu 0xfffe
	s_add_nc_u64 s[10:11], s[56:57], s[10:11]
	s_wait_alu 0xfffe
	s_add_co_u32 s4, s4, s10
	s_cselect_b32 s10, -1, 0
	s_wait_alu 0xfffe
	s_mul_hi_u32 s56, s60, s4
	s_cmp_lg_u32 s10, 0
	s_mul_hi_u32 s13, s61, s4
	s_add_co_ci_u32 s10, s5, s11
	s_mul_i32 s11, s61, s4
	s_wait_alu 0xfffe
	s_mul_hi_u32 s5, s60, s10
	s_mul_i32 s4, s60, s10
	s_mul_hi_u32 s23, s61, s10
	s_wait_alu 0xfffe
	s_add_nc_u64 s[4:5], s[56:57], s[4:5]
	s_mul_i32 s10, s61, s10
	s_wait_alu 0xfffe
	s_add_co_u32 s4, s4, s11
	s_add_co_ci_u32 s56, s5, s13
	s_add_co_ci_u32 s11, s23, 0
	s_wait_alu 0xfffe
	s_add_nc_u64 s[4:5], s[56:57], s[10:11]
	s_wait_alu 0xfffe
	s_mul_u64 s[4:5], s[54:55], s[4:5]
	s_wait_alu 0xfffe
	s_sub_co_u32 s4, s60, s4
	s_cselect_b32 s10, -1, 0
	s_wait_alu 0xfffe
	s_cmp_lg_u32 s10, 0
	s_sub_co_ci_u32 s5, s61, s5
	s_sub_co_u32 s10, s4, s54
	s_cselect_b32 s11, -1, 0
	s_wait_alu 0xfffe
	s_cmp_lg_u32 s11, 0
	s_sub_co_ci_u32 s11, s5, 0
	;; [unrolled: 5-line block ×3, first 2 shown]
	s_cmp_ge_u32 s10, s54
	s_cselect_b32 s56, -1, 0
	s_cmp_eq_u32 s11, 0
	s_wait_alu 0xfffe
	s_cselect_b32 s56, s56, -1
	s_wait_alu 0xfffe
	s_cmp_lg_u32 s56, 0
	s_cselect_b32 s11, s23, s11
	s_cselect_b32 s10, s13, s10
	s_cmp_ge_u32 s4, s54
	s_cselect_b32 s13, -1, 0
	s_cmp_eq_u32 s5, 0
	s_wait_alu 0xfffe
	s_cselect_b32 s13, s13, -1
	s_wait_alu 0xfffe
	s_cmp_lg_u32 s13, 0
	s_cselect_b32 s5, s11, s5
	s_cselect_b32 s4, s10, s4
	s_cbranch_execnz .LBB125_211
.LBB125_210:                            ;   in Loop: Header=BB125_26 Depth=1
	v_cvt_f32_u32_e32 v4, s54
	s_sub_co_i32 s5, 0, s54
	s_delay_alu instid0(VALU_DEP_1) | instskip(NEXT) | instid1(TRANS32_DEP_1)
	v_rcp_iflag_f32_e32 v4, v4
	v_mul_f32_e32 v4, 0x4f7ffffe, v4
	s_delay_alu instid0(VALU_DEP_1) | instskip(NEXT) | instid1(VALU_DEP_1)
	v_cvt_u32_f32_e32 v4, v4
	v_readfirstlane_b32 s4, v4
	s_wait_alu 0xfffe
	s_mul_i32 s5, s5, s4
	s_wait_alu 0xfffe
	s_mul_hi_u32 s5, s4, s5
	s_wait_alu 0xfffe
	s_add_co_i32 s4, s4, s5
	s_wait_alu 0xfffe
	s_mul_hi_u32 s4, s60, s4
	s_wait_alu 0xfffe
	s_mul_i32 s4, s4, s54
	s_wait_alu 0xfffe
	s_sub_co_i32 s4, s60, s4
	s_wait_alu 0xfffe
	s_sub_co_i32 s5, s4, s54
	s_cmp_ge_u32 s4, s54
	s_wait_alu 0xfffe
	s_cselect_b32 s4, s5, s4
	s_wait_alu 0xfffe
	s_sub_co_i32 s5, s4, s54
	s_cmp_ge_u32 s4, s54
	s_wait_alu 0xfffe
	s_cselect_b32 s56, s5, s4
	s_wait_alu 0xfffe
	s_mov_b64 s[4:5], s[56:57]
.LBB125_211:                            ;   in Loop: Header=BB125_26 Depth=1
	s_wait_alu 0xfffe
	s_sub_nc_u64 s[4:5], s[60:61], s[4:5]
	s_mov_b32 s10, exec_lo
                                        ; implicit-def: $vgpr18
	s_wait_alu 0xfffe
	v_cmpx_gt_u64_e64 s[4:5], v[0:1]
	s_cbranch_execz .LBB125_221
; %bb.212:                              ;   in Loop: Header=BB125_26 Depth=1
	v_dual_mov_b32 v5, v1 :: v_dual_mov_b32 v4, v0
	s_mov_b32 s11, 0
                                        ; implicit-def: $sgpr13
	s_branch .LBB125_216
.LBB125_213:                            ;   in Loop: Header=BB125_216 Depth=2
	s_wait_alu 0xfffe
	s_or_b32 exec_lo, exec_lo, s23
	s_wait_loadcnt_dscnt 0x0
	s_barrier_signal -1
	s_barrier_wait -1
	global_inv scope:SCOPE_SE
	ds_load_b64 v[17:18], v13 offset:3072
	s_wait_loadcnt_dscnt 0x0
	s_barrier_signal -1
	s_barrier_wait -1
	global_inv scope:SCOPE_SE
	v_cmp_eq_f32_e32 vcc_lo, 0, v17
	s_cbranch_vccz .LBB125_219
; %bb.214:                              ;   in Loop: Header=BB125_216 Depth=2
	v_add_co_u32 v4, vcc_lo, v4, s54
	s_wait_alu 0xfffd
	v_add_co_ci_u32_e64 v5, null, 0, v5, vcc_lo
	s_mov_b32 s23, 0
	v_cmp_le_u64_e32 vcc_lo, s[4:5], v[4:5]
	s_or_not1_b32 s56, vcc_lo, exec_lo
.LBB125_215:                            ;   in Loop: Header=BB125_216 Depth=2
	s_wait_alu 0xfffe
	s_and_b32 s56, exec_lo, s56
	s_wait_alu 0xfffe
	s_or_b32 s11, s56, s11
	s_and_not1_b32 s13, s13, exec_lo
	s_and_b32 s23, s23, exec_lo
	s_wait_alu 0xfffe
	s_or_b32 s13, s13, s23
	s_and_not1_b32 exec_lo, exec_lo, s11
	s_cbranch_execz .LBB125_220
.LBB125_216:                            ;   Parent Loop BB125_26 Depth=1
                                        ; =>  This Inner Loop Header: Depth=2
	s_mov_b32 s23, exec_lo
	s_delay_alu instid0(VALU_DEP_1)
	v_cmpx_gt_u64_e64 s[24:25], v[4:5]
	s_cbranch_execz .LBB125_213
; %bb.217:                              ;   in Loop: Header=BB125_216 Depth=2
	v_mul_lo_u32 v9, v5, s40
	v_mul_lo_u32 v12, v4, s41
	v_mad_co_u64_u32 v[6:7], null, v4, s40, 0
	s_delay_alu instid0(VALU_DEP_1) | instskip(NEXT) | instid1(VALU_DEP_1)
	v_add3_u32 v7, v7, v12, v9
	v_lshlrev_b64_e32 v[6:7], 2, v[6:7]
	s_delay_alu instid0(VALU_DEP_1) | instskip(SKIP_1) | instid1(VALU_DEP_2)
	v_add_co_u32 v6, vcc_lo, s48, v6
	s_wait_alu 0xfffd
	v_add_co_ci_u32_e64 v7, null, s49, v7, vcc_lo
	global_load_b32 v17, v[6:7], off
	s_wait_loadcnt 0x0
	v_cmp_lt_i32_e32 vcc_lo, -1, v17
	s_wait_alu 0xfffd
	v_cndmask_b32_e64 v6, -1, 0x80000000, vcc_lo
	v_cmp_o_f32_e32 vcc_lo, v17, v17
	s_delay_alu instid0(VALU_DEP_2) | instskip(SKIP_1) | instid1(VALU_DEP_1)
	v_xor_b32_e32 v6, v6, v17
	s_wait_alu 0xfffd
	v_cndmask_b32_e32 v6, -1, v6, vcc_lo
	s_delay_alu instid0(VALU_DEP_1) | instskip(NEXT) | instid1(VALU_DEP_1)
	v_and_b32_e32 v6, v6, v32
	v_cmp_eq_u32_e32 vcc_lo, v6, v28
	s_and_b32 exec_lo, exec_lo, vcc_lo
	s_cbranch_execz .LBB125_213
; %bb.218:                              ;   in Loop: Header=BB125_216 Depth=2
	ds_store_b64 v13, v[16:17] offset:3072
	s_branch .LBB125_213
.LBB125_219:                            ;   in Loop: Header=BB125_216 Depth=2
	s_mov_b32 s56, -1
	s_mov_b32 s23, -1
                                        ; implicit-def: $vgpr4_vgpr5
	s_branch .LBB125_215
.LBB125_220:                            ;   in Loop: Header=BB125_26 Depth=1
	s_or_b32 exec_lo, exec_lo, s11
	s_delay_alu instid0(SALU_CYCLE_1)
	s_and_not1_b32 s4, s12, exec_lo
	s_wait_alu 0xfffe
	s_and_b32 s5, s13, exec_lo
	s_wait_alu 0xfffe
	s_or_b32 s12, s4, s5
.LBB125_221:                            ;   in Loop: Header=BB125_26 Depth=1
	s_or_b32 exec_lo, exec_lo, s10
	s_mov_b32 s23, 0
	s_mov_b32 s64, -1
.LBB125_222:                            ;   in Loop: Header=BB125_26 Depth=1
	s_wait_alu 0xfffe
	s_or_not1_b32 s4, s12, exec_lo
.LBB125_223:                            ;   in Loop: Header=BB125_26 Depth=1
	s_wait_alu 0xfffe
	s_or_b32 exec_lo, exec_lo, s66
	s_mov_b32 s5, 0
	s_and_saveexec_b32 s12, s4
	s_cbranch_execz .LBB125_283
; %bb.224:                              ;   in Loop: Header=BB125_26 Depth=1
	v_mov_b32_e32 v4, 1
	v_dual_mov_b32 v5, 0 :: v_dual_mov_b32 v8, 1
	s_xor_b32 s10, s65, -1
	s_wait_alu 0xfffe
	s_and_saveexec_b32 s4, s10
	s_cbranch_execz .LBB125_233
; %bb.225:                              ;   in Loop: Header=BB125_26 Depth=1
	s_mov_b32 s5, exec_lo
	v_cmpx_ge_u64_e64 s[8:9], v[2:3]
	s_wait_alu 0xfffe
	s_xor_b32 s5, exec_lo, s5
	s_cbranch_execz .LBB125_230
; %bb.226:                              ;   in Loop: Header=BB125_26 Depth=1
	ds_load_b64 v[4:5], v13 offset:5120
	s_lshl_b32 s10, 2, s81
	v_or_b32_e32 v32, s14, v32
	s_wait_alu 0xfffe
	v_and_or_b32 v28, v28, s18, s10
	s_wait_dscnt 0x0
	v_cmp_ne_u64_e32 vcc_lo, 0, v[4:5]
	s_cbranch_vccnz .LBB125_230
; %bb.227:                              ;   in Loop: Header=BB125_26 Depth=1
	s_and_saveexec_b32 s10, s3
; %bb.228:                              ;   in Loop: Header=BB125_26 Depth=1
	v_dual_mov_b32 v4, s8 :: v_dual_mov_b32 v5, s9
	ds_store_b64 v13, v[4:5] offset:5128
; %bb.229:                              ;   in Loop: Header=BB125_26 Depth=1
	s_wait_alu 0xfffe
	s_or_b32 exec_lo, exec_lo, s10
	s_wait_loadcnt_dscnt 0x0
	s_barrier_signal -1
	s_barrier_wait -1
	global_inv scope:SCOPE_SE
.LBB125_230:                            ;   in Loop: Header=BB125_26 Depth=1
	s_wait_alu 0xfffe
	s_or_saveexec_b32 s5, s5
	v_mov_b32_e32 v8, 8
	s_mov_b32 s10, 0
	s_wait_alu 0xfffe
	s_xor_b32 exec_lo, exec_lo, s5
; %bb.231:                              ;   in Loop: Header=BB125_26 Depth=1
	v_sub_co_u32 v2, vcc_lo, v2, s8
	s_wait_alu 0xfffd
	v_subrev_co_ci_u32_e64 v3, null, s9, v3, vcc_lo
	v_mov_b32_e32 v8, 0
	s_mov_b32 s10, exec_lo
; %bb.232:                              ;   in Loop: Header=BB125_26 Depth=1
	s_or_b32 exec_lo, exec_lo, s5
	s_delay_alu instid0(VALU_DEP_2)
	v_dual_mov_b32 v5, v3 :: v_dual_mov_b32 v4, v2
	s_wait_alu 0xfffe
	s_and_b32 s5, s10, exec_lo
.LBB125_233:                            ;   in Loop: Header=BB125_26 Depth=1
	s_wait_alu 0xfffe
	s_or_b32 exec_lo, exec_lo, s4
	s_mov_b32 s4, -1
                                        ; implicit-def: $sgpr67
                                        ; implicit-def: $sgpr66
	s_and_saveexec_b32 s13, s5
	s_cbranch_execz .LBB125_282
; %bb.234:                              ;   in Loop: Header=BB125_26 Depth=1
	v_cmp_eq_u64_e32 vcc_lo, 1, v[4:5]
	s_cmp_eq_u64 s[6:7], 1
	s_mov_b32 s5, -1
	s_cselect_b32 s4, -1, 0
                                        ; implicit-def: $sgpr67
                                        ; implicit-def: $sgpr66
	s_wait_alu 0xfffe
	s_and_b32 s18, s4, vcc_lo
	s_wait_alu 0xfffe
	s_and_saveexec_b32 s65, s18
	s_cbranch_execz .LBB125_270
; %bb.235:                              ;   in Loop: Header=BB125_26 Depth=1
	ds_load_b64 v[2:3], v13 offset:5120
	s_wait_loadcnt_dscnt 0x0
	s_barrier_signal -1
	s_barrier_wait -1
	global_inv scope:SCOPE_SE
	v_readfirstlane_b32 s4, v2
	v_readfirstlane_b32 s5, v3
	s_and_saveexec_b32 s8, s0
; %bb.236:                              ;   in Loop: Header=BB125_26 Depth=1
	ds_store_b32 v26, v13
; %bb.237:                              ;   in Loop: Header=BB125_26 Depth=1
	s_wait_alu 0xfffe
	s_or_b32 exec_lo, exec_lo, s8
	v_or_b32_e32 v28, s14, v28
	v_or_b32_e32 v32, s14, v32
	s_mov_b32 s66, -1
	s_mov_b32 s67, 0
	s_cmp_eq_u64 s[4:5], 0
	s_mov_b32 s10, 0
	s_mov_b32 s11, -1
	s_wait_loadcnt_dscnt 0x0
	s_barrier_signal -1
	s_barrier_wait -1
	global_inv scope:SCOPE_SE
                                        ; implicit-def: $vgpr18
	s_cbranch_scc1 .LBB125_254
; %bb.238:                              ;   in Loop: Header=BB125_26 Depth=1
	s_add_nc_u64 s[8:9], s[4:5], s[58:59]
	s_mov_b32 s10, s57
	s_wait_alu 0xfffe
	s_mov_b32 s11, s9
	s_wait_alu 0xfffe
	s_cmp_lg_u64 s[10:11], 0
	s_cbranch_scc0 .LBB125_289
; %bb.239:                              ;   in Loop: Header=BB125_26 Depth=1
	s_cvt_f32_u32 s10, s54
	s_sub_nc_u64 s[68:69], 0, s[54:55]
	s_wait_alu 0xfffe
	s_delay_alu instid0(SALU_CYCLE_1) | instskip(SKIP_1) | instid1(SALU_CYCLE_2)
	s_fmamk_f32 s10, s83, 0x0, s10
	s_wait_alu 0xfffe
	v_s_rcp_f32 s10, s10
	s_delay_alu instid0(TRANS32_DEP_1) | instskip(SKIP_1) | instid1(SALU_CYCLE_2)
	s_mul_f32 s10, s10, 0x5f7ffffc
	s_wait_alu 0xfffe
	s_mul_f32 s11, s10, 0x2f800000
	s_wait_alu 0xfffe
	s_delay_alu instid0(SALU_CYCLE_2) | instskip(SKIP_1) | instid1(SALU_CYCLE_2)
	s_trunc_f32 s11, s11
	s_wait_alu 0xfffe
	s_fmamk_f32 s10, s11, 0xcf800000, s10
	s_cvt_u32_f32 s11, s11
	s_wait_alu 0xfffe
	s_delay_alu instid0(SALU_CYCLE_1) | instskip(SKIP_1) | instid1(SALU_CYCLE_2)
	s_cvt_u32_f32 s10, s10
	s_wait_alu 0xfffe
	s_mul_u64 s[70:71], s[68:69], s[10:11]
	s_wait_alu 0xfffe
	s_mul_hi_u32 s73, s10, s71
	s_mul_i32 s72, s10, s71
	s_mul_hi_u32 s56, s10, s70
	s_mul_i32 s92, s11, s70
	s_wait_alu 0xfffe
	s_add_nc_u64 s[72:73], s[56:57], s[72:73]
	s_mul_hi_u32 s91, s11, s70
	s_mul_hi_u32 s93, s11, s71
	s_wait_alu 0xfffe
	s_add_co_u32 s56, s72, s92
	s_add_co_ci_u32 s56, s73, s91
	s_mul_i32 s70, s11, s71
	s_add_co_ci_u32 s71, s93, 0
	s_wait_alu 0xfffe
	s_add_nc_u64 s[70:71], s[56:57], s[70:71]
	s_wait_alu 0xfffe
	s_add_co_u32 s10, s10, s70
	s_cselect_b32 s56, -1, 0
	s_wait_alu 0xfffe
	s_cmp_lg_u32 s56, 0
	s_add_co_ci_u32 s11, s11, s71
	s_wait_alu 0xfffe
	s_mul_u64 s[68:69], s[68:69], s[10:11]
	s_wait_alu 0xfffe
	s_mul_hi_u32 s71, s10, s69
	s_mul_i32 s70, s10, s69
	s_mul_hi_u32 s56, s10, s68
	s_mul_i32 s73, s11, s68
	s_wait_alu 0xfffe
	s_add_nc_u64 s[70:71], s[56:57], s[70:71]
	s_mul_hi_u32 s72, s11, s68
	s_mul_hi_u32 s91, s11, s69
	s_wait_alu 0xfffe
	s_add_co_u32 s56, s70, s73
	s_add_co_ci_u32 s56, s71, s72
	s_mul_i32 s68, s11, s69
	s_add_co_ci_u32 s69, s91, 0
	s_wait_alu 0xfffe
	s_add_nc_u64 s[68:69], s[56:57], s[68:69]
	s_wait_alu 0xfffe
	s_add_co_u32 s10, s10, s68
	s_cselect_b32 s68, -1, 0
	s_wait_alu 0xfffe
	s_mul_hi_u32 s56, s8, s10
	s_cmp_lg_u32 s68, 0
	s_mul_hi_u32 s70, s9, s10
	s_add_co_ci_u32 s68, s11, s69
	s_mul_i32 s69, s9, s10
	s_wait_alu 0xfffe
	s_mul_hi_u32 s11, s8, s68
	s_mul_i32 s10, s8, s68
	s_mul_hi_u32 s71, s9, s68
	s_wait_alu 0xfffe
	s_add_nc_u64 s[10:11], s[56:57], s[10:11]
	s_mul_i32 s68, s9, s68
	s_wait_alu 0xfffe
	s_add_co_u32 s10, s10, s69
	s_add_co_ci_u32 s56, s11, s70
	s_add_co_ci_u32 s69, s71, 0
	s_wait_alu 0xfffe
	s_add_nc_u64 s[10:11], s[56:57], s[68:69]
	s_wait_alu 0xfffe
	s_mul_u64 s[10:11], s[54:55], s[10:11]
	s_wait_alu 0xfffe
	s_sub_co_u32 s10, s8, s10
	s_cselect_b32 s56, -1, 0
	s_wait_alu 0xfffe
	s_cmp_lg_u32 s56, 0
	s_sub_co_ci_u32 s11, s9, s11
	s_sub_co_u32 s56, s10, s54
	s_cselect_b32 s68, -1, 0
	s_wait_alu 0xfffe
	s_cmp_lg_u32 s68, 0
	s_sub_co_ci_u32 s68, s11, 0
	;; [unrolled: 5-line block ×3, first 2 shown]
	s_cmp_ge_u32 s56, s54
	s_cselect_b32 s71, -1, 0
	s_cmp_eq_u32 s68, 0
	s_wait_alu 0xfffe
	s_cselect_b32 s71, s71, -1
	s_wait_alu 0xfffe
	s_cmp_lg_u32 s71, 0
	s_cselect_b32 s68, s70, s68
	s_cselect_b32 s56, s69, s56
	s_cmp_ge_u32 s10, s54
	s_cselect_b32 s69, -1, 0
	s_cmp_eq_u32 s11, 0
	s_wait_alu 0xfffe
	s_cselect_b32 s69, s69, -1
	s_wait_alu 0xfffe
	s_cmp_lg_u32 s69, 0
	s_cselect_b32 s11, s68, s11
	s_cselect_b32 s10, s56, s10
	s_cbranch_execnz .LBB125_241
.LBB125_240:                            ;   in Loop: Header=BB125_26 Depth=1
	v_cvt_f32_u32_e32 v2, s54
	s_sub_co_i32 s11, 0, s54
	s_delay_alu instid0(VALU_DEP_1) | instskip(NEXT) | instid1(TRANS32_DEP_1)
	v_rcp_iflag_f32_e32 v2, v2
	v_mul_f32_e32 v2, 0x4f7ffffe, v2
	s_delay_alu instid0(VALU_DEP_1) | instskip(NEXT) | instid1(VALU_DEP_1)
	v_cvt_u32_f32_e32 v2, v2
	v_readfirstlane_b32 s10, v2
	s_wait_alu 0xfffe
	s_mul_i32 s11, s11, s10
	s_wait_alu 0xfffe
	s_mul_hi_u32 s11, s10, s11
	s_wait_alu 0xfffe
	s_add_co_i32 s10, s10, s11
	s_wait_alu 0xfffe
	s_mul_hi_u32 s10, s8, s10
	s_wait_alu 0xfffe
	s_mul_i32 s10, s10, s54
	s_wait_alu 0xfffe
	s_sub_co_i32 s10, s8, s10
	s_wait_alu 0xfffe
	s_sub_co_i32 s11, s10, s54
	s_cmp_ge_u32 s10, s54
	s_wait_alu 0xfffe
	s_cselect_b32 s10, s11, s10
	s_wait_alu 0xfffe
	s_sub_co_i32 s11, s10, s54
	s_cmp_ge_u32 s10, s54
	s_wait_alu 0xfffe
	s_cselect_b32 s56, s11, s10
	s_wait_alu 0xfffe
	s_mov_b64 s[10:11], s[56:57]
.LBB125_241:                            ;   in Loop: Header=BB125_26 Depth=1
	s_wait_alu 0xfffe
	s_sub_nc_u64 s[8:9], s[8:9], s[10:11]
	s_mov_b32 s11, 0
	s_mov_b32 s10, 0
	s_mov_b32 s56, exec_lo
                                        ; implicit-def: $vgpr18
	s_wait_alu 0xfffe
	v_cmpx_gt_u64_e64 s[8:9], v[0:1]
	s_cbranch_execz .LBB125_253
; %bb.242:                              ;   in Loop: Header=BB125_26 Depth=1
	v_dual_mov_b32 v6, v10 :: v_dual_mov_b32 v3, v1
	v_mov_b32_e32 v2, v0
                                        ; implicit-def: $sgpr68
	s_branch .LBB125_246
.LBB125_243:                            ;   in Loop: Header=BB125_246 Depth=2
	s_wait_alu 0xfffe
	s_or_b32 exec_lo, exec_lo, s69
	s_wait_loadcnt_dscnt 0x0
	s_barrier_signal -1
	s_barrier_wait -1
	global_inv scope:SCOPE_SE
	ds_load_b64 v[17:18], v13 offset:3072
	s_wait_loadcnt_dscnt 0x0
	s_barrier_signal -1
	s_barrier_wait -1
	global_inv scope:SCOPE_SE
	v_cmp_neq_f32_e32 vcc_lo, 0, v17
	s_cbranch_vccnz .LBB125_249
; %bb.244:                              ;   in Loop: Header=BB125_246 Depth=2
	v_add_co_u32 v2, vcc_lo, v2, s54
	s_wait_alu 0xfffd
	v_add_co_ci_u32_e64 v3, null, 0, v3, vcc_lo
	v_add_nc_u32_e32 v6, s80, v6
	s_mov_b32 s69, 0
	s_delay_alu instid0(VALU_DEP_2)
	v_cmp_le_u64_e32 vcc_lo, s[8:9], v[2:3]
	s_or_not1_b32 s70, vcc_lo, exec_lo
.LBB125_245:                            ;   in Loop: Header=BB125_246 Depth=2
	s_wait_alu 0xfffe
	s_and_b32 s70, exec_lo, s70
	s_wait_alu 0xfffe
	s_or_b32 s10, s70, s10
	s_and_not1_b32 s68, s68, exec_lo
	s_and_b32 s69, s69, exec_lo
	s_wait_alu 0xfffe
	s_or_b32 s68, s68, s69
	s_and_not1_b32 exec_lo, exec_lo, s10
	s_cbranch_execz .LBB125_252
.LBB125_246:                            ;   Parent Loop BB125_26 Depth=1
                                        ; =>  This Inner Loop Header: Depth=2
	s_mov_b32 s69, exec_lo
	s_delay_alu instid0(VALU_DEP_1)
	v_cmpx_gt_u64_e64 s[4:5], v[2:3]
	s_cbranch_execz .LBB125_243
; %bb.247:                              ;   in Loop: Header=BB125_246 Depth=2
	ds_load_b32 v17, v6
	s_wait_dscnt 0x0
	v_cmp_lt_i32_e32 vcc_lo, -1, v17
	s_wait_alu 0xfffd
	v_cndmask_b32_e64 v7, -1, 0x80000000, vcc_lo
	v_cmp_o_f32_e32 vcc_lo, v17, v17
	s_delay_alu instid0(VALU_DEP_2) | instskip(SKIP_1) | instid1(VALU_DEP_1)
	v_xor_b32_e32 v7, v7, v17
	s_wait_alu 0xfffd
	v_cndmask_b32_e32 v7, -1, v7, vcc_lo
	s_delay_alu instid0(VALU_DEP_1) | instskip(NEXT) | instid1(VALU_DEP_1)
	v_and_b32_e32 v7, v7, v32
	v_cmp_eq_u32_e32 vcc_lo, v7, v28
	s_and_b32 exec_lo, exec_lo, vcc_lo
	s_cbranch_execz .LBB125_243
; %bb.248:                              ;   in Loop: Header=BB125_246 Depth=2
	ds_store_b64 v13, v[16:17] offset:3072
	s_branch .LBB125_243
.LBB125_249:                            ;   in Loop: Header=BB125_246 Depth=2
	s_mov_b32 s70, -1
	s_mov_b32 s69, -1
                                        ; implicit-def: $vgpr2_vgpr3
                                        ; implicit-def: $vgpr6
	s_branch .LBB125_245
.LBB125_250:                            ;   in Loop: Header=BB125_26 Depth=1
                                        ; implicit-def: $sgpr12_sgpr13
	s_branch .LBB125_193
.LBB125_251:                            ;   in Loop: Header=BB125_26 Depth=1
                                        ; implicit-def: $sgpr4_sgpr5
	s_branch .LBB125_210
.LBB125_252:                            ;   in Loop: Header=BB125_26 Depth=1
	s_or_b32 exec_lo, exec_lo, s10
	s_wait_alu 0xfffe
	s_and_b32 s10, s68, exec_lo
.LBB125_253:                            ;   in Loop: Header=BB125_26 Depth=1
	s_or_b32 exec_lo, exec_lo, s56
.LBB125_254:                            ;   in Loop: Header=BB125_26 Depth=1
	s_wait_alu 0xfffe
	s_and_b32 vcc_lo, exec_lo, s11
	s_wait_alu 0xfffe
	s_cbranch_vccz .LBB125_269
; %bb.255:                              ;   in Loop: Header=BB125_26 Depth=1
	s_mov_b32 s4, s57
	s_mov_b32 s5, s61
	s_wait_alu 0xfffe
	s_cmp_lg_u64 s[4:5], 0
	s_cbranch_scc0 .LBB125_290
; %bb.256:                              ;   in Loop: Header=BB125_26 Depth=1
	s_cvt_f32_u32 s4, s54
	s_sub_nc_u64 s[8:9], 0, s[54:55]
	s_wait_alu 0xfffe
	s_delay_alu instid0(SALU_CYCLE_1) | instskip(SKIP_1) | instid1(SALU_CYCLE_2)
	s_fmamk_f32 s4, s83, 0x0, s4
	s_wait_alu 0xfffe
	v_s_rcp_f32 s4, s4
	s_delay_alu instid0(TRANS32_DEP_1) | instskip(SKIP_1) | instid1(SALU_CYCLE_2)
	s_mul_f32 s4, s4, 0x5f7ffffc
	s_wait_alu 0xfffe
	s_mul_f32 s5, s4, 0x2f800000
	s_wait_alu 0xfffe
	s_delay_alu instid0(SALU_CYCLE_2) | instskip(SKIP_1) | instid1(SALU_CYCLE_2)
	s_trunc_f32 s5, s5
	s_wait_alu 0xfffe
	s_fmamk_f32 s4, s5, 0xcf800000, s4
	s_cvt_u32_f32 s5, s5
	s_wait_alu 0xfffe
	s_delay_alu instid0(SALU_CYCLE_1) | instskip(SKIP_1) | instid1(SALU_CYCLE_2)
	s_cvt_u32_f32 s4, s4
	s_wait_alu 0xfffe
	s_mul_u64 s[66:67], s[8:9], s[4:5]
	s_wait_alu 0xfffe
	s_mul_hi_u32 s69, s4, s67
	s_mul_i32 s68, s4, s67
	s_mul_hi_u32 s56, s4, s66
	s_mul_i32 s70, s5, s66
	s_wait_alu 0xfffe
	s_add_nc_u64 s[68:69], s[56:57], s[68:69]
	s_mul_hi_u32 s11, s5, s66
	s_mul_hi_u32 s71, s5, s67
	s_wait_alu 0xfffe
	s_add_co_u32 s56, s68, s70
	s_add_co_ci_u32 s56, s69, s11
	s_mul_i32 s66, s5, s67
	s_add_co_ci_u32 s67, s71, 0
	s_wait_alu 0xfffe
	s_add_nc_u64 s[66:67], s[56:57], s[66:67]
	s_wait_alu 0xfffe
	s_add_co_u32 s4, s4, s66
	s_cselect_b32 s11, -1, 0
	s_wait_alu 0xfffe
	s_cmp_lg_u32 s11, 0
	s_add_co_ci_u32 s5, s5, s67
	s_wait_alu 0xfffe
	s_mul_u64 s[8:9], s[8:9], s[4:5]
	s_wait_alu 0xfffe
	s_mul_hi_u32 s67, s4, s9
	s_mul_i32 s66, s4, s9
	s_mul_hi_u32 s56, s4, s8
	s_mul_i32 s68, s5, s8
	s_wait_alu 0xfffe
	s_add_nc_u64 s[66:67], s[56:57], s[66:67]
	s_mul_hi_u32 s11, s5, s8
	s_mul_hi_u32 s69, s5, s9
	s_mul_i32 s8, s5, s9
	s_wait_alu 0xfffe
	s_add_co_u32 s9, s66, s68
	s_add_co_ci_u32 s56, s67, s11
	s_add_co_ci_u32 s9, s69, 0
	s_wait_alu 0xfffe
	s_add_nc_u64 s[8:9], s[56:57], s[8:9]
	s_wait_alu 0xfffe
	s_add_co_u32 s4, s4, s8
	s_cselect_b32 s8, -1, 0
	s_wait_alu 0xfffe
	s_mul_hi_u32 s56, s60, s4
	s_cmp_lg_u32 s8, 0
	s_mul_hi_u32 s11, s61, s4
	s_add_co_ci_u32 s8, s5, s9
	s_mul_i32 s9, s61, s4
	s_wait_alu 0xfffe
	s_mul_hi_u32 s5, s60, s8
	s_mul_i32 s4, s60, s8
	s_mul_hi_u32 s66, s61, s8
	s_wait_alu 0xfffe
	s_add_nc_u64 s[4:5], s[56:57], s[4:5]
	s_mul_i32 s8, s61, s8
	s_wait_alu 0xfffe
	s_add_co_u32 s4, s4, s9
	s_add_co_ci_u32 s56, s5, s11
	s_add_co_ci_u32 s9, s66, 0
	s_wait_alu 0xfffe
	s_add_nc_u64 s[4:5], s[56:57], s[8:9]
	s_wait_alu 0xfffe
	s_mul_u64 s[4:5], s[54:55], s[4:5]
	s_wait_alu 0xfffe
	s_sub_co_u32 s4, s60, s4
	s_cselect_b32 s8, -1, 0
	s_wait_alu 0xfffe
	s_cmp_lg_u32 s8, 0
	s_sub_co_ci_u32 s5, s61, s5
	s_sub_co_u32 s8, s4, s54
	s_cselect_b32 s9, -1, 0
	s_wait_alu 0xfffe
	s_cmp_lg_u32 s9, 0
	s_sub_co_ci_u32 s9, s5, 0
	;; [unrolled: 5-line block ×3, first 2 shown]
	s_cmp_ge_u32 s8, s54
	s_cselect_b32 s66, -1, 0
	s_cmp_eq_u32 s9, 0
	s_wait_alu 0xfffe
	s_cselect_b32 s66, s66, -1
	s_wait_alu 0xfffe
	s_cmp_lg_u32 s66, 0
	s_cselect_b32 s9, s56, s9
	s_cselect_b32 s8, s11, s8
	s_cmp_ge_u32 s4, s54
	s_cselect_b32 s11, -1, 0
	s_cmp_eq_u32 s5, 0
	s_wait_alu 0xfffe
	s_cselect_b32 s11, s11, -1
	s_wait_alu 0xfffe
	s_cmp_lg_u32 s11, 0
	s_cselect_b32 s5, s9, s5
	s_cselect_b32 s4, s8, s4
	s_cbranch_execnz .LBB125_258
.LBB125_257:                            ;   in Loop: Header=BB125_26 Depth=1
	v_cvt_f32_u32_e32 v2, s54
	s_sub_co_i32 s5, 0, s54
	s_delay_alu instid0(VALU_DEP_1) | instskip(NEXT) | instid1(TRANS32_DEP_1)
	v_rcp_iflag_f32_e32 v2, v2
	v_mul_f32_e32 v2, 0x4f7ffffe, v2
	s_delay_alu instid0(VALU_DEP_1) | instskip(NEXT) | instid1(VALU_DEP_1)
	v_cvt_u32_f32_e32 v2, v2
	v_readfirstlane_b32 s4, v2
	s_wait_alu 0xfffe
	s_mul_i32 s5, s5, s4
	s_wait_alu 0xfffe
	s_mul_hi_u32 s5, s4, s5
	s_wait_alu 0xfffe
	s_add_co_i32 s4, s4, s5
	s_wait_alu 0xfffe
	s_mul_hi_u32 s4, s60, s4
	s_wait_alu 0xfffe
	s_mul_i32 s4, s4, s54
	s_wait_alu 0xfffe
	s_sub_co_i32 s4, s60, s4
	s_wait_alu 0xfffe
	s_sub_co_i32 s5, s4, s54
	s_cmp_ge_u32 s4, s54
	s_wait_alu 0xfffe
	s_cselect_b32 s4, s5, s4
	s_wait_alu 0xfffe
	s_sub_co_i32 s5, s4, s54
	s_cmp_ge_u32 s4, s54
	s_wait_alu 0xfffe
	s_cselect_b32 s56, s5, s4
	s_wait_alu 0xfffe
	s_mov_b64 s[4:5], s[56:57]
.LBB125_258:                            ;   in Loop: Header=BB125_26 Depth=1
	s_wait_alu 0xfffe
	s_sub_nc_u64 s[4:5], s[60:61], s[4:5]
	s_mov_b32 s8, exec_lo
                                        ; implicit-def: $vgpr18
	s_wait_alu 0xfffe
	v_cmpx_gt_u64_e64 s[4:5], v[0:1]
	s_cbranch_execz .LBB125_268
; %bb.259:                              ;   in Loop: Header=BB125_26 Depth=1
	v_dual_mov_b32 v3, v1 :: v_dual_mov_b32 v2, v0
	s_mov_b32 s9, 0
                                        ; implicit-def: $sgpr11
	s_branch .LBB125_263
.LBB125_260:                            ;   in Loop: Header=BB125_263 Depth=2
	s_wait_alu 0xfffe
	s_or_b32 exec_lo, exec_lo, s56
	s_wait_loadcnt_dscnt 0x0
	s_barrier_signal -1
	s_barrier_wait -1
	global_inv scope:SCOPE_SE
	ds_load_b64 v[17:18], v13 offset:3072
	s_wait_loadcnt_dscnt 0x0
	s_barrier_signal -1
	s_barrier_wait -1
	global_inv scope:SCOPE_SE
	v_cmp_eq_f32_e32 vcc_lo, 0, v17
	s_cbranch_vccz .LBB125_266
; %bb.261:                              ;   in Loop: Header=BB125_263 Depth=2
	v_add_co_u32 v2, vcc_lo, v2, s54
	s_wait_alu 0xfffd
	v_add_co_ci_u32_e64 v3, null, 0, v3, vcc_lo
	s_mov_b32 s56, 0
	v_cmp_le_u64_e32 vcc_lo, s[4:5], v[2:3]
	s_or_not1_b32 s66, vcc_lo, exec_lo
.LBB125_262:                            ;   in Loop: Header=BB125_263 Depth=2
	s_wait_alu 0xfffe
	s_and_b32 s66, exec_lo, s66
	s_wait_alu 0xfffe
	s_or_b32 s9, s66, s9
	s_and_not1_b32 s11, s11, exec_lo
	s_and_b32 s56, s56, exec_lo
	s_wait_alu 0xfffe
	s_or_b32 s11, s11, s56
	s_and_not1_b32 exec_lo, exec_lo, s9
	s_cbranch_execz .LBB125_267
.LBB125_263:                            ;   Parent Loop BB125_26 Depth=1
                                        ; =>  This Inner Loop Header: Depth=2
	s_mov_b32 s56, exec_lo
	s_delay_alu instid0(VALU_DEP_1)
	v_cmpx_gt_u64_e64 s[24:25], v[2:3]
	s_cbranch_execz .LBB125_260
; %bb.264:                              ;   in Loop: Header=BB125_263 Depth=2
	v_mul_lo_u32 v9, v3, s40
	v_mul_lo_u32 v12, v2, s41
	v_mad_co_u64_u32 v[6:7], null, v2, s40, 0
	s_delay_alu instid0(VALU_DEP_1) | instskip(NEXT) | instid1(VALU_DEP_1)
	v_add3_u32 v7, v7, v12, v9
	v_lshlrev_b64_e32 v[6:7], 2, v[6:7]
	s_delay_alu instid0(VALU_DEP_1) | instskip(SKIP_1) | instid1(VALU_DEP_2)
	v_add_co_u32 v6, vcc_lo, s48, v6
	s_wait_alu 0xfffd
	v_add_co_ci_u32_e64 v7, null, s49, v7, vcc_lo
	global_load_b32 v17, v[6:7], off
	s_wait_loadcnt 0x0
	v_cmp_lt_i32_e32 vcc_lo, -1, v17
	s_wait_alu 0xfffd
	v_cndmask_b32_e64 v6, -1, 0x80000000, vcc_lo
	v_cmp_o_f32_e32 vcc_lo, v17, v17
	s_delay_alu instid0(VALU_DEP_2) | instskip(SKIP_1) | instid1(VALU_DEP_1)
	v_xor_b32_e32 v6, v6, v17
	s_wait_alu 0xfffd
	v_cndmask_b32_e32 v6, -1, v6, vcc_lo
	s_delay_alu instid0(VALU_DEP_1) | instskip(NEXT) | instid1(VALU_DEP_1)
	v_and_b32_e32 v6, v6, v32
	v_cmp_eq_u32_e32 vcc_lo, v6, v28
	s_and_b32 exec_lo, exec_lo, vcc_lo
	s_cbranch_execz .LBB125_260
; %bb.265:                              ;   in Loop: Header=BB125_263 Depth=2
	ds_store_b64 v13, v[16:17] offset:3072
	s_branch .LBB125_260
.LBB125_266:                            ;   in Loop: Header=BB125_263 Depth=2
	s_mov_b32 s66, -1
	s_mov_b32 s56, -1
                                        ; implicit-def: $vgpr2_vgpr3
	s_branch .LBB125_262
.LBB125_267:                            ;   in Loop: Header=BB125_26 Depth=1
	s_or_b32 exec_lo, exec_lo, s9
	s_delay_alu instid0(SALU_CYCLE_1)
	s_and_not1_b32 s4, s10, exec_lo
	s_wait_alu 0xfffe
	s_and_b32 s5, s11, exec_lo
	s_wait_alu 0xfffe
	s_or_b32 s10, s4, s5
.LBB125_268:                            ;   in Loop: Header=BB125_26 Depth=1
	s_or_b32 exec_lo, exec_lo, s8
	s_mov_b32 s66, 0
	s_mov_b32 s67, -1
.LBB125_269:                            ;   in Loop: Header=BB125_26 Depth=1
	s_wait_alu 0xfffe
	s_or_not1_b32 s5, s10, exec_lo
.LBB125_270:                            ;   in Loop: Header=BB125_26 Depth=1
	s_wait_alu 0xfffe
	s_or_b32 exec_lo, exec_lo, s65
	s_mov_b32 s8, 0
	s_and_saveexec_b32 s4, s5
	s_cbranch_execz .LBB125_281
; %bb.271:                              ;   in Loop: Header=BB125_26 Depth=1
	v_mov_b32_e32 v2, 1
	v_dual_mov_b32 v3, 0 :: v_dual_mov_b32 v8, 1
	s_xor_b32 s8, s18, -1
	s_wait_alu 0xfffe
	s_and_saveexec_b32 s5, s8
	s_cbranch_execz .LBB125_280
; %bb.272:                              ;   in Loop: Header=BB125_26 Depth=1
	s_mov_b32 s8, exec_lo
	v_cmpx_ge_u64_e64 s[6:7], v[4:5]
	s_wait_alu 0xfffe
	s_xor_b32 s8, exec_lo, s8
	s_cbranch_execz .LBB125_277
; %bb.273:                              ;   in Loop: Header=BB125_26 Depth=1
	ds_load_b64 v[2:3], v13 offset:5120
	v_or_b32_e32 v28, s14, v28
	v_or_b32_e32 v32, s14, v32
	s_wait_dscnt 0x0
	v_cmp_ne_u64_e32 vcc_lo, 0, v[2:3]
	s_cbranch_vccnz .LBB125_277
; %bb.274:                              ;   in Loop: Header=BB125_26 Depth=1
	s_and_saveexec_b32 s9, s3
; %bb.275:                              ;   in Loop: Header=BB125_26 Depth=1
	v_dual_mov_b32 v2, s6 :: v_dual_mov_b32 v3, s7
	ds_store_b64 v13, v[2:3] offset:5128
; %bb.276:                              ;   in Loop: Header=BB125_26 Depth=1
	s_wait_alu 0xfffe
	s_or_b32 exec_lo, exec_lo, s9
	s_wait_loadcnt_dscnt 0x0
	s_barrier_signal -1
	s_barrier_wait -1
	global_inv scope:SCOPE_SE
.LBB125_277:                            ;   in Loop: Header=BB125_26 Depth=1
	s_wait_alu 0xfffe
	s_and_not1_saveexec_b32 s8, s8
; %bb.278:                              ;   in Loop: Header=BB125_26 Depth=1
	v_sub_co_u32 v4, vcc_lo, v4, s6
	s_wait_alu 0xfffd
	v_subrev_co_ci_u32_e64 v5, null, s7, v5, vcc_lo
; %bb.279:                              ;   in Loop: Header=BB125_26 Depth=1
	s_wait_alu 0xfffe
	s_or_b32 exec_lo, exec_lo, s8
	v_mov_b32_e32 v2, v4
	s_delay_alu instid0(VALU_DEP_2)
	v_dual_mov_b32 v8, 8 :: v_dual_mov_b32 v3, v5
.LBB125_280:                            ;   in Loop: Header=BB125_26 Depth=1
	s_wait_alu 0xfffe
	s_or_b32 exec_lo, exec_lo, s5
	s_delay_alu instid0(VALU_DEP_1)
	v_dual_mov_b32 v5, v3 :: v_dual_mov_b32 v4, v2
	s_mov_b32 s8, exec_lo
.LBB125_281:                            ;   in Loop: Header=BB125_26 Depth=1
	s_wait_alu 0xfffe
	s_or_b32 exec_lo, exec_lo, s4
	s_delay_alu instid0(SALU_CYCLE_1)
	s_or_not1_b32 s4, s8, exec_lo
.LBB125_282:                            ;   in Loop: Header=BB125_26 Depth=1
	s_wait_alu 0xfffe
	s_or_b32 exec_lo, exec_lo, s13
	v_dual_mov_b32 v2, v4 :: v_dual_mov_b32 v3, v5
	s_and_not1_b32 s5, s64, exec_lo
	s_and_b32 s6, s67, exec_lo
	s_and_not1_b32 s7, s23, exec_lo
	s_and_b32 s8, s66, exec_lo
	s_wait_alu 0xfffe
	s_or_b32 s64, s5, s6
	s_or_b32 s23, s7, s8
	s_and_b32 s5, s4, exec_lo
.LBB125_283:                            ;   in Loop: Header=BB125_26 Depth=1
	s_wait_alu 0xfffe
	s_or_b32 exec_lo, exec_lo, s12
	s_delay_alu instid0(SALU_CYCLE_1)
	s_or_not1_b32 s4, s5, exec_lo
.LBB125_284:                            ;   in Loop: Header=BB125_26 Depth=1
	s_wait_alu 0xfffe
	s_or_b32 exec_lo, exec_lo, s22
	v_dual_mov_b32 v7, v3 :: v_dual_mov_b32 v6, v2
	s_and_not1_b32 s5, s20, exec_lo
	s_and_b32 s6, s64, exec_lo
	s_and_not1_b32 s7, s19, exec_lo
	s_and_b32 s8, s23, exec_lo
	s_wait_alu 0xfffe
	s_or_b32 s20, s5, s6
	s_or_b32 s19, s7, s8
	s_and_b32 s5, s4, exec_lo
.LBB125_285:                            ;   in Loop: Header=BB125_26 Depth=1
	s_wait_alu 0xfffe
	s_or_b32 exec_lo, exec_lo, s21
	s_delay_alu instid0(SALU_CYCLE_1)
	s_or_not1_b32 s4, s5, exec_lo
.LBB125_286:                            ;   in Loop: Header=BB125_26 Depth=1
	s_wait_alu 0xfffe
	s_or_b32 exec_lo, exec_lo, s17
	s_mov_b32 s5, 0
	s_and_saveexec_b32 s6, s4
	s_wait_alu 0xfffe
	s_xor_b32 s4, exec_lo, s6
	s_cbranch_execz .LBB125_24
; %bb.287:                              ;   in Loop: Header=BB125_26 Depth=1
	v_and_b32_e32 v2, 7, v8
	s_mov_b32 s6, -1
	s_mov_b32 s5, -1
	s_mov_b32 s7, exec_lo
	s_delay_alu instid0(VALU_DEP_1)
	v_cmpx_eq_u32_e32 0, v2
	s_cbranch_execz .LBB125_23
; %bb.288:                              ;   in Loop: Header=BB125_26 Depth=1
	s_xor_b32 s84, s84, 1
	s_add_co_i32 s8, s81, -2
	s_cmp_eq_u32 s81, 0
	s_wait_alu 0xfffe
	s_mov_b32 s81, s8
	s_cselect_b32 s6, -1, 0
	s_xor_b32 s5, exec_lo, -1
	s_wait_alu 0xfffe
	s_or_not1_b32 s6, s6, exec_lo
	s_branch .LBB125_23
.LBB125_289:                            ;   in Loop: Header=BB125_26 Depth=1
                                        ; implicit-def: $sgpr10_sgpr11
	s_branch .LBB125_240
.LBB125_290:                            ;   in Loop: Header=BB125_26 Depth=1
                                        ; implicit-def: $sgpr4_sgpr5
	s_branch .LBB125_257
.LBB125_291:
	s_or_b32 exec_lo, exec_lo, s82
	s_xor_b32 s3, s90, -1
	s_xor_b32 s1, s88, -1
	;; [unrolled: 1-line block ×3, first 2 shown]
	s_mov_b32 s0, 0
	s_and_saveexec_b32 s5, s1
	s_wait_alu 0xfffe
	s_xor_b32 s1, exec_lo, s5
	s_cbranch_execnz .LBB125_296
; %bb.292:
	s_and_not1_saveexec_b32 s1, s1
	s_cbranch_execnz .LBB125_309
.LBB125_293:
	s_or_b32 exec_lo, exec_lo, s1
	s_and_saveexec_b32 s1, s0
.LBB125_294:
	; divergent unreachable
.LBB125_295:
	s_endpgm
.LBB125_296:
	s_and_saveexec_b32 s0, s3
	s_delay_alu instid0(SALU_CYCLE_1)
	s_xor_b32 s3, exec_lo, s0
	s_cbranch_execz .LBB125_307
; %bb.297:
	s_and_saveexec_b32 s0, s4
	s_delay_alu instid0(SALU_CYCLE_1)
	s_xor_b32 s0, exec_lo, s0
; %bb.298:
	v_cmp_lt_i32_e32 vcc_lo, -1, v28
	s_wait_alu 0xfffd
	v_cndmask_b32_e64 v2, 0x80000000, -1, vcc_lo
	s_delay_alu instid0(VALU_DEP_1)
	v_xor_b32_e32 v18, v2, v28
; %bb.299:
	s_or_b32 exec_lo, exec_lo, s0
	s_mul_u64 s[4:5], s[46:47], s[44:45]
	s_mul_u64 s[6:7], s[46:47], s[36:37]
	s_wait_alu 0xfffe
	s_sub_nc_u64 s[4:5], s[34:35], s[4:5]
	s_lshl_b64 s[6:7], s[6:7], 2
	s_wait_alu 0xfffe
	s_mul_u64 s[4:5], s[4:5], s[38:39]
	v_mov_b32_e32 v2, 0
	s_add_nc_u64 s[6:7], s[52:53], s[6:7]
	s_wait_alu 0xfffe
	s_lshl_b64 s[4:5], s[4:5], 2
	s_wait_alu 0xfffe
	s_add_nc_u64 s[4:5], s[6:7], s[4:5]
	global_store_b32 v2, v18, s[4:5]
	s_and_saveexec_b32 s4, s2
	s_cbranch_execz .LBB125_306
; %bb.300:
	v_cmp_u_f32_e32 vcc_lo, v18, v18
	s_mov_b32 s2, 0
                                        ; implicit-def: $sgpr5
                                        ; implicit-def: $sgpr8
                                        ; implicit-def: $sgpr7
	s_xor_b32 s6, vcc_lo, -1
	s_branch .LBB125_302
.LBB125_301:                            ;   in Loop: Header=BB125_302 Depth=1
	s_or_b32 exec_lo, exec_lo, s0
	s_wait_alu 0xfffe
	s_and_b32 s0, exec_lo, s8
	s_delay_alu instid0(SALU_CYCLE_1)
	s_or_b32 s2, s0, s2
	s_and_not1_b32 s0, s5, exec_lo
	s_and_b32 s5, s7, exec_lo
	s_wait_alu 0xfffe
	s_or_b32 s5, s0, s5
	s_and_not1_b32 exec_lo, exec_lo, s2
	s_cbranch_execz .LBB125_304
.LBB125_302:                            ; =>This Inner Loop Header: Depth=1
	v_dual_mov_b32 v3, v1 :: v_dual_mov_b32 v2, v0
	s_or_b32 s7, s7, exec_lo
	s_or_b32 s8, s8, exec_lo
	s_delay_alu instid0(VALU_DEP_1) | instskip(NEXT) | instid1(VALU_DEP_2)
	v_mul_lo_u32 v4, v3, s40
	v_mul_lo_u32 v5, v2, s41
	v_mad_co_u64_u32 v[0:1], null, v2, s40, 0
	s_delay_alu instid0(VALU_DEP_1) | instskip(NEXT) | instid1(VALU_DEP_1)
	v_add3_u32 v1, v1, v5, v4
	v_lshlrev_b64_e32 v[0:1], 2, v[0:1]
	s_delay_alu instid0(VALU_DEP_1) | instskip(SKIP_1) | instid1(VALU_DEP_2)
	v_add_co_u32 v0, vcc_lo, s48, v0
	s_wait_alu 0xfffd
	v_add_co_ci_u32_e64 v1, null, s49, v1, vcc_lo
	global_load_b32 v0, v[0:1], off
	s_wait_loadcnt 0x0
	v_cmp_o_f32_e32 vcc_lo, v0, v0
	v_cmp_neq_f32_e64 s0, v0, v18
                                        ; implicit-def: $vgpr0_vgpr1
	s_wait_alu 0xfffe
	s_or_b32 s9, vcc_lo, s6
	s_wait_alu 0xfffe
	s_and_b32 s9, s0, s9
	s_wait_alu 0xfffe
	s_and_saveexec_b32 s0, s9
	s_cbranch_execz .LBB125_301
; %bb.303:                              ;   in Loop: Header=BB125_302 Depth=1
	v_add_co_u32 v0, vcc_lo, v2, s54
	s_wait_alu 0xfffd
	v_add_co_ci_u32_e64 v1, null, 0, v3, vcc_lo
	s_and_not1_b32 s8, s8, exec_lo
	s_and_not1_b32 s7, s7, exec_lo
	v_cmp_le_u64_e32 vcc_lo, s[24:25], v[0:1]
	s_and_b32 s9, vcc_lo, exec_lo
	s_wait_alu 0xfffe
	s_or_b32 s8, s8, s9
	s_branch .LBB125_301
.LBB125_304:
	s_or_b32 exec_lo, exec_lo, s2
	s_wait_alu 0xfffe
	s_and_saveexec_b32 s0, s5
	s_delay_alu instid0(SALU_CYCLE_1)
	s_xor_b32 s0, exec_lo, s0
	s_cbranch_execz .LBB125_306
; %bb.305:
	s_mul_u64 s[6:7], s[42:43], s[26:27]
	s_mul_u64 s[8:9], s[42:43], s[28:29]
	s_wait_alu 0xfffe
	s_sub_nc_u64 s[6:7], s[34:35], s[6:7]
	s_lshl_b64 s[8:9], s[8:9], 3
	s_wait_alu 0xfffe
	s_mul_u64 s[6:7], s[6:7], s[30:31]
	v_mov_b32_e32 v0, 0
	s_add_nc_u64 s[8:9], s[50:51], s[8:9]
	s_wait_alu 0xfffe
	s_lshl_b64 s[6:7], s[6:7], 3
	s_wait_alu 0xfffe
	s_add_nc_u64 s[6:7], s[8:9], s[6:7]
	global_store_b64 v0, v[2:3], s[6:7]
.LBB125_306:
	s_wait_alu 0xfffe
	s_or_b32 exec_lo, exec_lo, s4
.LBB125_307:
	s_wait_alu 0xfffe
	s_or_saveexec_b32 s0, s3
	s_mov_b32 s2, 0
	s_xor_b32 exec_lo, exec_lo, s0
	s_cbranch_execnz .LBB125_310
.LBB125_308:
	s_or_b32 exec_lo, exec_lo, s0
	s_wait_alu 0xfffe
	s_and_b32 s0, s2, exec_lo
	s_and_not1_saveexec_b32 s1, s1
	s_cbranch_execz .LBB125_293
.LBB125_309:
	s_or_b32 s0, s0, exec_lo
	s_trap 2
	s_or_b32 exec_lo, exec_lo, s1
	s_and_saveexec_b32 s1, s0
	s_cbranch_execnz .LBB125_294
	s_branch .LBB125_295
.LBB125_310:
	s_mov_b32 s2, exec_lo
	s_trap 2
	s_branch .LBB125_308
	.section	.rodata,"a",@progbits
	.p2align	6, 0x0
	.amdhsa_kernel _ZN2at6native12_GLOBAL__N_112gatherMedianIfmLi2EEEvNS_4cuda6detail10TensorInfoIT_T0_EENS5_IlS7_EENS5_IKS6_S7_EES7_S7_S7_b
		.amdhsa_group_segment_fixed_size 5152
		.amdhsa_private_segment_fixed_size 0
		.amdhsa_kernarg_size 1536
		.amdhsa_user_sgpr_count 2
		.amdhsa_user_sgpr_dispatch_ptr 0
		.amdhsa_user_sgpr_queue_ptr 0
		.amdhsa_user_sgpr_kernarg_segment_ptr 1
		.amdhsa_user_sgpr_dispatch_id 0
		.amdhsa_user_sgpr_private_segment_size 0
		.amdhsa_wavefront_size32 1
		.amdhsa_uses_dynamic_stack 0
		.amdhsa_enable_private_segment 0
		.amdhsa_system_sgpr_workgroup_id_x 1
		.amdhsa_system_sgpr_workgroup_id_y 1
		.amdhsa_system_sgpr_workgroup_id_z 1
		.amdhsa_system_sgpr_workgroup_info 0
		.amdhsa_system_vgpr_workitem_id 0
		.amdhsa_next_free_vgpr 41
		.amdhsa_next_free_sgpr 96
		.amdhsa_reserve_vcc 1
		.amdhsa_float_round_mode_32 0
		.amdhsa_float_round_mode_16_64 0
		.amdhsa_float_denorm_mode_32 3
		.amdhsa_float_denorm_mode_16_64 3
		.amdhsa_fp16_overflow 0
		.amdhsa_workgroup_processor_mode 1
		.amdhsa_memory_ordered 1
		.amdhsa_forward_progress 1
		.amdhsa_inst_pref_size 148
		.amdhsa_round_robin_scheduling 0
		.amdhsa_exception_fp_ieee_invalid_op 0
		.amdhsa_exception_fp_denorm_src 0
		.amdhsa_exception_fp_ieee_div_zero 0
		.amdhsa_exception_fp_ieee_overflow 0
		.amdhsa_exception_fp_ieee_underflow 0
		.amdhsa_exception_fp_ieee_inexact 0
		.amdhsa_exception_int_div_zero 0
	.end_amdhsa_kernel
	.section	.text._ZN2at6native12_GLOBAL__N_112gatherMedianIfmLi2EEEvNS_4cuda6detail10TensorInfoIT_T0_EENS5_IlS7_EENS5_IKS6_S7_EES7_S7_S7_b,"axG",@progbits,_ZN2at6native12_GLOBAL__N_112gatherMedianIfmLi2EEEvNS_4cuda6detail10TensorInfoIT_T0_EENS5_IlS7_EENS5_IKS6_S7_EES7_S7_S7_b,comdat
.Lfunc_end125:
	.size	_ZN2at6native12_GLOBAL__N_112gatherMedianIfmLi2EEEvNS_4cuda6detail10TensorInfoIT_T0_EENS5_IlS7_EENS5_IKS6_S7_EES7_S7_S7_b, .Lfunc_end125-_ZN2at6native12_GLOBAL__N_112gatherMedianIfmLi2EEEvNS_4cuda6detail10TensorInfoIT_T0_EENS5_IlS7_EENS5_IKS6_S7_EES7_S7_S7_b
                                        ; -- End function
	.set _ZN2at6native12_GLOBAL__N_112gatherMedianIfmLi2EEEvNS_4cuda6detail10TensorInfoIT_T0_EENS5_IlS7_EENS5_IKS6_S7_EES7_S7_S7_b.num_vgpr, 41
	.set _ZN2at6native12_GLOBAL__N_112gatherMedianIfmLi2EEEvNS_4cuda6detail10TensorInfoIT_T0_EENS5_IlS7_EENS5_IKS6_S7_EES7_S7_S7_b.num_agpr, 0
	.set _ZN2at6native12_GLOBAL__N_112gatherMedianIfmLi2EEEvNS_4cuda6detail10TensorInfoIT_T0_EENS5_IlS7_EENS5_IKS6_S7_EES7_S7_S7_b.numbered_sgpr, 96
	.set _ZN2at6native12_GLOBAL__N_112gatherMedianIfmLi2EEEvNS_4cuda6detail10TensorInfoIT_T0_EENS5_IlS7_EENS5_IKS6_S7_EES7_S7_S7_b.num_named_barrier, 0
	.set _ZN2at6native12_GLOBAL__N_112gatherMedianIfmLi2EEEvNS_4cuda6detail10TensorInfoIT_T0_EENS5_IlS7_EENS5_IKS6_S7_EES7_S7_S7_b.private_seg_size, 0
	.set _ZN2at6native12_GLOBAL__N_112gatherMedianIfmLi2EEEvNS_4cuda6detail10TensorInfoIT_T0_EENS5_IlS7_EENS5_IKS6_S7_EES7_S7_S7_b.uses_vcc, 1
	.set _ZN2at6native12_GLOBAL__N_112gatherMedianIfmLi2EEEvNS_4cuda6detail10TensorInfoIT_T0_EENS5_IlS7_EENS5_IKS6_S7_EES7_S7_S7_b.uses_flat_scratch, 0
	.set _ZN2at6native12_GLOBAL__N_112gatherMedianIfmLi2EEEvNS_4cuda6detail10TensorInfoIT_T0_EENS5_IlS7_EENS5_IKS6_S7_EES7_S7_S7_b.has_dyn_sized_stack, 0
	.set _ZN2at6native12_GLOBAL__N_112gatherMedianIfmLi2EEEvNS_4cuda6detail10TensorInfoIT_T0_EENS5_IlS7_EENS5_IKS6_S7_EES7_S7_S7_b.has_recursion, 0
	.set _ZN2at6native12_GLOBAL__N_112gatherMedianIfmLi2EEEvNS_4cuda6detail10TensorInfoIT_T0_EENS5_IlS7_EENS5_IKS6_S7_EES7_S7_S7_b.has_indirect_call, 0
	.section	.AMDGPU.csdata,"",@progbits
; Kernel info:
; codeLenInByte = 18848
; TotalNumSgprs: 98
; NumVgprs: 41
; ScratchSize: 0
; MemoryBound: 0
; FloatMode: 240
; IeeeMode: 1
; LDSByteSize: 5152 bytes/workgroup (compile time only)
; SGPRBlocks: 0
; VGPRBlocks: 5
; NumSGPRsForWavesPerEU: 98
; NumVGPRsForWavesPerEU: 41
; Occupancy: 16
; WaveLimiterHint : 1
; COMPUTE_PGM_RSRC2:SCRATCH_EN: 0
; COMPUTE_PGM_RSRC2:USER_SGPR: 2
; COMPUTE_PGM_RSRC2:TRAP_HANDLER: 0
; COMPUTE_PGM_RSRC2:TGID_X_EN: 1
; COMPUTE_PGM_RSRC2:TGID_Y_EN: 1
; COMPUTE_PGM_RSRC2:TGID_Z_EN: 1
; COMPUTE_PGM_RSRC2:TIDIG_COMP_CNT: 0
	.section	.text._ZN2at6native12_GLOBAL__N_112gatherMedianIfmLi3EEEvNS_4cuda6detail10TensorInfoIT_T0_EENS5_IlS7_EENS5_IKS6_S7_EES7_S7_S7_b,"axG",@progbits,_ZN2at6native12_GLOBAL__N_112gatherMedianIfmLi3EEEvNS_4cuda6detail10TensorInfoIT_T0_EENS5_IlS7_EENS5_IKS6_S7_EES7_S7_S7_b,comdat
	.globl	_ZN2at6native12_GLOBAL__N_112gatherMedianIfmLi3EEEvNS_4cuda6detail10TensorInfoIT_T0_EENS5_IlS7_EENS5_IKS6_S7_EES7_S7_S7_b ; -- Begin function _ZN2at6native12_GLOBAL__N_112gatherMedianIfmLi3EEEvNS_4cuda6detail10TensorInfoIT_T0_EENS5_IlS7_EENS5_IKS6_S7_EES7_S7_S7_b
	.p2align	8
	.type	_ZN2at6native12_GLOBAL__N_112gatherMedianIfmLi3EEEvNS_4cuda6detail10TensorInfoIT_T0_EENS5_IlS7_EENS5_IKS6_S7_EES7_S7_S7_b,@function
_ZN2at6native12_GLOBAL__N_112gatherMedianIfmLi3EEEvNS_4cuda6detail10TensorInfoIT_T0_EENS5_IlS7_EENS5_IKS6_S7_EES7_S7_S7_b: ; @_ZN2at6native12_GLOBAL__N_112gatherMedianIfmLi3EEEvNS_4cuda6detail10TensorInfoIT_T0_EENS5_IlS7_EENS5_IKS6_S7_EES7_S7_S7_b
; %bb.0:
	s_clause 0x1
	s_load_b64 s[12:13], s[0:1], 0x500
	s_load_b128 s[24:27], s[0:1], 0x4e0
	s_lshr_b32 s2, ttmp7, 16
	s_and_b32 s3, ttmp7, 0xffff
	s_mov_b32 s35, 0
	s_wait_kmcnt 0x0
	s_mul_i32 s2, s13, s2
	s_delay_alu instid0(SALU_CYCLE_1) | instskip(NEXT) | instid1(SALU_CYCLE_1)
	s_add_co_i32 s2, s2, s3
	s_mul_i32 s2, s2, s12
	s_delay_alu instid0(SALU_CYCLE_1) | instskip(NEXT) | instid1(SALU_CYCLE_1)
	s_add_co_i32 s34, s2, ttmp9
	v_cmp_le_u64_e64 s2, s[26:27], s[34:35]
	s_and_b32 vcc_lo, exec_lo, s2
	s_cbranch_vccnz .LBB126_301
; %bb.1:
	s_load_b128 s[36:39], s[0:1], 0x10
	s_mov_b64 s[54:55], 0
	s_mov_b64 s[52:53], 0
	s_wait_kmcnt 0x0
	v_cmp_lt_u64_e64 s2, s[34:35], s[38:39]
	s_and_b32 vcc_lo, exec_lo, s2
	s_cbranch_vccnz .LBB126_3
; %bb.2:
	v_cvt_f32_u32_e32 v1, s38
	s_sub_co_i32 s3, 0, s38
	s_mov_b32 s53, 0
	s_delay_alu instid0(VALU_DEP_1) | instskip(NEXT) | instid1(TRANS32_DEP_1)
	v_rcp_iflag_f32_e32 v1, v1
	v_mul_f32_e32 v1, 0x4f7ffffe, v1
	s_delay_alu instid0(VALU_DEP_1) | instskip(NEXT) | instid1(VALU_DEP_1)
	v_cvt_u32_f32_e32 v1, v1
	v_readfirstlane_b32 s2, v1
	s_mul_i32 s3, s3, s2
	s_delay_alu instid0(SALU_CYCLE_1) | instskip(NEXT) | instid1(SALU_CYCLE_1)
	s_mul_hi_u32 s3, s2, s3
	s_add_co_i32 s2, s2, s3
	s_delay_alu instid0(SALU_CYCLE_1) | instskip(NEXT) | instid1(SALU_CYCLE_1)
	s_mul_hi_u32 s2, s34, s2
	s_mul_i32 s3, s2, s38
	s_add_co_i32 s4, s2, 1
	s_sub_co_i32 s3, s34, s3
	s_delay_alu instid0(SALU_CYCLE_1)
	s_sub_co_i32 s5, s3, s38
	s_cmp_ge_u32 s3, s38
	s_cselect_b32 s2, s4, s2
	s_cselect_b32 s3, s5, s3
	s_add_co_i32 s4, s2, 1
	s_cmp_ge_u32 s3, s38
	s_cselect_b32 s52, s4, s2
.LBB126_3:
	s_load_b128 s[28:31], s[0:1], 0x1b0
	v_cmp_lt_u64_e64 s2, s[52:53], s[36:37]
	s_and_b32 vcc_lo, exec_lo, s2
	s_cbranch_vccnz .LBB126_5
; %bb.4:
	v_cvt_f32_u32_e32 v1, s36
	s_sub_co_i32 s3, 0, s36
	s_mov_b32 s55, 0
	s_delay_alu instid0(VALU_DEP_1) | instskip(NEXT) | instid1(TRANS32_DEP_1)
	v_rcp_iflag_f32_e32 v1, v1
	v_mul_f32_e32 v1, 0x4f7ffffe, v1
	s_delay_alu instid0(VALU_DEP_1) | instskip(NEXT) | instid1(VALU_DEP_1)
	v_cvt_u32_f32_e32 v1, v1
	v_readfirstlane_b32 s2, v1
	s_mul_i32 s3, s3, s2
	s_delay_alu instid0(SALU_CYCLE_1) | instskip(NEXT) | instid1(SALU_CYCLE_1)
	s_mul_hi_u32 s3, s2, s3
	s_add_co_i32 s2, s2, s3
	s_delay_alu instid0(SALU_CYCLE_1) | instskip(NEXT) | instid1(SALU_CYCLE_1)
	s_mul_hi_u32 s2, s52, s2
	s_mul_i32 s3, s2, s36
	s_add_co_i32 s4, s2, 1
	s_sub_co_i32 s3, s52, s3
	s_delay_alu instid0(SALU_CYCLE_1)
	s_sub_co_i32 s5, s3, s36
	s_cmp_ge_u32 s3, s36
	s_cselect_b32 s2, s4, s2
	s_cselect_b32 s3, s5, s3
	s_add_co_i32 s4, s2, 1
	s_cmp_ge_u32 s3, s36
	s_cselect_b32 s54, s4, s2
.LBB126_5:
	s_wait_kmcnt 0x0
	v_cmp_lt_u64_e64 s2, s[34:35], s[30:31]
	s_mov_b64 s[48:49], 0
	s_mov_b64 s[26:27], 0
	s_and_b32 vcc_lo, exec_lo, s2
	s_cbranch_vccnz .LBB126_7
; %bb.6:
	v_cvt_f32_u32_e32 v1, s30
	s_sub_co_i32 s3, 0, s30
	s_mov_b32 s27, 0
	s_delay_alu instid0(VALU_DEP_1) | instskip(NEXT) | instid1(TRANS32_DEP_1)
	v_rcp_iflag_f32_e32 v1, v1
	v_mul_f32_e32 v1, 0x4f7ffffe, v1
	s_delay_alu instid0(VALU_DEP_1) | instskip(NEXT) | instid1(VALU_DEP_1)
	v_cvt_u32_f32_e32 v1, v1
	v_readfirstlane_b32 s2, v1
	s_mul_i32 s3, s3, s2
	s_delay_alu instid0(SALU_CYCLE_1) | instskip(NEXT) | instid1(SALU_CYCLE_1)
	s_mul_hi_u32 s3, s2, s3
	s_add_co_i32 s2, s2, s3
	s_delay_alu instid0(SALU_CYCLE_1) | instskip(NEXT) | instid1(SALU_CYCLE_1)
	s_mul_hi_u32 s2, s34, s2
	s_mul_i32 s3, s2, s30
	s_add_co_i32 s4, s2, 1
	s_sub_co_i32 s3, s34, s3
	s_delay_alu instid0(SALU_CYCLE_1)
	s_sub_co_i32 s5, s3, s30
	s_cmp_ge_u32 s3, s30
	s_cselect_b32 s2, s4, s2
	s_cselect_b32 s3, s5, s3
	s_add_co_i32 s4, s2, 1
	s_cmp_ge_u32 s3, s30
	s_cselect_b32 s26, s4, s2
.LBB126_7:
	s_clause 0x3
	s_load_b64 s[50:51], s[0:1], 0x4f0
	s_load_b64 s[2:3], s[0:1], 0x420
	s_load_b128 s[4:7], s[0:1], 0x410
	s_load_b128 s[8:11], s[0:1], 0x350
	v_cmp_lt_u64_e64 s13, s[26:27], s[28:29]
	s_and_b32 vcc_lo, exec_lo, s13
	s_cbranch_vccnz .LBB126_9
; %bb.8:
	v_cvt_f32_u32_e32 v1, s28
	s_sub_co_i32 s14, 0, s28
	s_mov_b32 s49, 0
	s_delay_alu instid0(VALU_DEP_1) | instskip(NEXT) | instid1(TRANS32_DEP_1)
	v_rcp_iflag_f32_e32 v1, v1
	v_mul_f32_e32 v1, 0x4f7ffffe, v1
	s_delay_alu instid0(VALU_DEP_1) | instskip(NEXT) | instid1(VALU_DEP_1)
	v_cvt_u32_f32_e32 v1, v1
	v_readfirstlane_b32 s13, v1
	s_mul_i32 s14, s14, s13
	s_delay_alu instid0(SALU_CYCLE_1) | instskip(NEXT) | instid1(SALU_CYCLE_1)
	s_mul_hi_u32 s14, s13, s14
	s_add_co_i32 s13, s13, s14
	s_delay_alu instid0(SALU_CYCLE_1) | instskip(NEXT) | instid1(SALU_CYCLE_1)
	s_mul_hi_u32 s13, s26, s13
	s_mul_i32 s14, s13, s28
	s_add_co_i32 s15, s13, 1
	s_sub_co_i32 s14, s26, s14
	s_delay_alu instid0(SALU_CYCLE_1)
	s_sub_co_i32 s16, s14, s28
	s_cmp_ge_u32 s14, s28
	s_cselect_b32 s13, s15, s13
	s_cselect_b32 s14, s16, s14
	s_add_co_i32 s15, s13, 1
	s_cmp_ge_u32 s14, s28
	s_cselect_b32 s48, s15, s13
.LBB126_9:
	s_wait_kmcnt 0x0
	v_cmp_lt_u64_e64 s13, s[34:35], s[10:11]
	s_mov_b64 s[14:15], 0
	s_mov_b64 s[16:17], 0
	s_and_b32 vcc_lo, exec_lo, s13
	s_cbranch_vccnz .LBB126_11
; %bb.10:
	v_cvt_f32_u32_e32 v1, s10
	s_sub_co_i32 s16, 0, s10
	s_delay_alu instid0(VALU_DEP_1) | instskip(NEXT) | instid1(TRANS32_DEP_1)
	v_rcp_iflag_f32_e32 v1, v1
	v_mul_f32_e32 v1, 0x4f7ffffe, v1
	s_delay_alu instid0(VALU_DEP_1) | instskip(NEXT) | instid1(VALU_DEP_1)
	v_cvt_u32_f32_e32 v1, v1
	v_readfirstlane_b32 s13, v1
	s_mul_i32 s16, s16, s13
	s_delay_alu instid0(SALU_CYCLE_1) | instskip(NEXT) | instid1(SALU_CYCLE_1)
	s_mul_hi_u32 s16, s13, s16
	s_add_co_i32 s13, s13, s16
	s_delay_alu instid0(SALU_CYCLE_1) | instskip(NEXT) | instid1(SALU_CYCLE_1)
	s_mul_hi_u32 s13, s34, s13
	s_mul_i32 s16, s13, s10
	s_add_co_i32 s17, s13, 1
	s_sub_co_i32 s16, s34, s16
	s_delay_alu instid0(SALU_CYCLE_1)
	s_sub_co_i32 s18, s16, s10
	s_cmp_ge_u32 s16, s10
	s_cselect_b32 s13, s17, s13
	s_cselect_b32 s16, s18, s16
	s_add_co_i32 s18, s13, 1
	s_cmp_ge_u32 s16, s10
	s_mov_b32 s17, 0
	s_cselect_b32 s16, s18, s13
.LBB126_11:
	s_load_b64 s[18:19], s[0:1], 0x280
                                        ; implicit-def: $vgpr37 : SGPR spill to VGPR lane
	v_cmp_lt_u64_e64 s13, s[16:17], s[8:9]
	s_and_b32 vcc_lo, exec_lo, s13
	s_wait_kmcnt 0x0
	v_writelane_b32 v37, s18, 0
	v_writelane_b32 v37, s19, 1
	s_clause 0x3
	s_load_b128 s[40:43], s[0:1], 0x270
	s_load_b64 s[60:61], s[0:1], 0xe0
	s_load_b128 s[44:47], s[0:1], 0xd0
	s_load_b64 s[18:19], s[0:1], 0x340
	s_cbranch_vccnz .LBB126_13
; %bb.12:
	v_cvt_f32_u32_e32 v1, s8
	s_sub_co_i32 s14, 0, s8
	s_delay_alu instid0(VALU_DEP_1) | instskip(NEXT) | instid1(TRANS32_DEP_1)
	v_rcp_iflag_f32_e32 v1, v1
	v_mul_f32_e32 v1, 0x4f7ffffe, v1
	s_delay_alu instid0(VALU_DEP_1) | instskip(NEXT) | instid1(VALU_DEP_1)
	v_cvt_u32_f32_e32 v1, v1
	v_readfirstlane_b32 s13, v1
	s_mul_i32 s14, s14, s13
	s_delay_alu instid0(SALU_CYCLE_1) | instskip(NEXT) | instid1(SALU_CYCLE_1)
	s_mul_hi_u32 s14, s13, s14
	s_add_co_i32 s13, s13, s14
	s_delay_alu instid0(SALU_CYCLE_1) | instskip(NEXT) | instid1(SALU_CYCLE_1)
	s_mul_hi_u32 s13, s16, s13
	s_mul_i32 s14, s13, s8
	s_add_co_i32 s15, s13, 1
	s_sub_co_i32 s14, s16, s14
	s_delay_alu instid0(SALU_CYCLE_1)
	s_sub_co_i32 s20, s14, s8
	s_cmp_ge_u32 s14, s8
	s_cselect_b32 s13, s15, s13
	s_cselect_b32 s14, s20, s14
	s_add_co_i32 s20, s13, 1
	s_cmp_ge_u32 s14, s8
	s_mov_b32 s15, 0
	s_cselect_b32 s14, s20, s13
.LBB126_13:
	s_mul_u64 s[10:11], s[16:17], s[10:11]
	s_mul_u64 s[8:9], s[14:15], s[8:9]
	s_wait_alu 0xfffe
	s_sub_nc_u64 s[10:11], s[34:35], s[10:11]
	v_dual_mov_b32 v1, 0 :: v_dual_mov_b32 v2, 0
	s_sub_nc_u64 s[8:9], s[16:17], s[8:9]
	s_wait_alu 0xfffe
	s_mul_u64 s[10:11], s[10:11], s[2:3]
	s_mul_u64 s[2:3], s[14:15], s[4:5]
	;; [unrolled: 1-line block ×3, first 2 shown]
	s_lshl_b64 s[2:3], s[2:3], 2
	s_lshl_b64 s[4:5], s[4:5], 2
	s_wait_kmcnt 0x0
	s_add_nc_u64 s[6:7], s[18:19], s[2:3]
	v_cmp_gt_u64_e64 s2, s[24:25], v[0:1]
	v_mov_b32_e32 v3, 0
	s_add_nc_u64 s[4:5], s[6:7], s[4:5]
	s_wait_alu 0xfffe
	s_lshl_b64 s[8:9], s[10:11], 2
	s_add_nc_u64 s[6:7], s[0:1], 0x500
	s_wait_alu 0xfffe
	s_add_nc_u64 s[58:59], s[4:5], s[8:9]
	s_and_saveexec_b32 s4, s2
	s_cbranch_execz .LBB126_17
; %bb.14:
	s_load_b32 s3, s[6:7], 0xc
	v_dual_mov_b32 v2, 0 :: v_dual_mov_b32 v5, v1
	v_dual_mov_b32 v3, 0 :: v_dual_mov_b32 v4, v0
	s_mov_b32 s5, 0
	s_wait_kmcnt 0x0
	s_and_b32 s8, s3, 0xffff
.LBB126_15:                             ; =>This Inner Loop Header: Depth=1
	v_mul_lo_u32 v8, v5, s50
	v_mul_lo_u32 v9, v4, s51
	v_mad_co_u64_u32 v[6:7], null, v4, s50, 0
	s_delay_alu instid0(VALU_DEP_1) | instskip(NEXT) | instid1(VALU_DEP_1)
	v_add3_u32 v7, v7, v9, v8
	v_lshlrev_b64_e32 v[6:7], 2, v[6:7]
	s_delay_alu instid0(VALU_DEP_1) | instskip(SKIP_1) | instid1(VALU_DEP_2)
	v_add_co_u32 v6, vcc_lo, s58, v6
	s_wait_alu 0xfffd
	v_add_co_ci_u32_e64 v7, null, s59, v7, vcc_lo
	s_wait_alu 0xfffe
	v_add_co_u32 v4, vcc_lo, v4, s8
	s_wait_alu 0xfffd
	v_add_co_ci_u32_e64 v5, null, 0, v5, vcc_lo
	global_load_b32 v6, v[6:7], off
	s_wait_loadcnt 0x0
	v_cmp_u_f32_e32 vcc_lo, v6, v6
	s_wait_alu 0xfffd
	v_cndmask_b32_e64 v6, 0, 1, vcc_lo
	v_cmp_le_u64_e32 vcc_lo, s[24:25], v[4:5]
	s_delay_alu instid0(VALU_DEP_2) | instskip(SKIP_3) | instid1(SALU_CYCLE_1)
	v_add_co_u32 v2, s3, v2, v6
	s_wait_alu 0xf1ff
	v_add_co_ci_u32_e64 v3, null, 0, v3, s3
	s_or_b32 s5, vcc_lo, s5
	s_and_not1_b32 exec_lo, exec_lo, s5
	s_cbranch_execnz .LBB126_15
; %bb.16:
	s_or_b32 exec_lo, exec_lo, s5
.LBB126_17:
	s_delay_alu instid0(SALU_CYCLE_1)
	s_or_b32 exec_lo, exec_lo, s4
	s_clause 0x1
	s_load_b64 s[62:63], s[0:1], 0x1a0
	s_load_b64 s[64:65], s[0:1], 0x0
	v_cmp_eq_u32_e64 s3, 0, v0
	s_and_saveexec_b32 s4, s3
; %bb.18:
	v_mov_b32_e32 v4, 0
	s_delay_alu instid0(VALU_DEP_1)
	v_mov_b32_e32 v5, v4
	ds_store_b64 v4, v[4:5] offset:5136
; %bb.19:
	s_or_b32 exec_lo, exec_lo, s4
	s_mov_b64 s[4:5], 0
	s_mov_b32 s8, exec_lo
	s_wait_dscnt 0x0
	s_barrier_signal -1
	s_barrier_wait -1
	global_inv scope:SCOPE_SE
	v_cmpx_ne_u64_e32 0, v[2:3]
	s_cbranch_execz .LBB126_24
; %bb.20:
	s_mov_b32 s9, exec_lo
.LBB126_21:                             ; =>This Inner Loop Header: Depth=1
	s_wait_alu 0xfffe
	s_ctz_i32_b32 s13, s9
	s_wait_alu 0xfffe
	v_readlane_b32 s11, v3, s13
	v_readlane_b32 s10, v2, s13
	s_lshl_b32 s13, 1, s13
	s_wait_alu 0xfffe
	s_and_not1_b32 s9, s9, s13
	s_wait_alu 0xfffe
	s_cmp_lg_u32 s9, 0
	s_add_nc_u64 s[4:5], s[4:5], s[10:11]
	s_cbranch_scc1 .LBB126_21
; %bb.22:
	v_mbcnt_lo_u32_b32 v2, exec_lo, 0
	s_mov_b32 s9, exec_lo
	s_delay_alu instid0(VALU_DEP_1)
	v_cmpx_eq_u32_e32 0, v2
	s_wait_alu 0xfffe
	s_xor_b32 s9, exec_lo, s9
; %bb.23:
	v_mov_b32_e32 v2, s4
	v_dual_mov_b32 v4, 0 :: v_dual_mov_b32 v3, s5
	ds_add_u64 v4, v[2:3] offset:5136
.LBB126_24:
	s_wait_alu 0xfffe
	s_or_b32 exec_lo, exec_lo, s8
	v_dual_mov_b32 v2, 0 :: v_dual_mov_b32 v19, s24
	s_wait_loadcnt_dscnt 0x0
	s_barrier_signal -1
	s_barrier_wait -1
	global_inv scope:SCOPE_SE
	ds_load_b64 v[2:3], v2 offset:5136
	s_load_b32 s0, s[0:1], 0x4f8
	v_mov_b32_e32 v20, s25
	s_wait_dscnt 0x0
	v_cmp_gt_i64_e32 vcc_lo, 1, v[2:3]
	s_wait_kmcnt 0x0
	s_bitcmp1_b32 s0, 0
	s_cselect_b32 s0, -1, 0
	s_delay_alu instid0(SALU_CYCLE_1) | instskip(NEXT) | instid1(SALU_CYCLE_1)
	s_or_b32 s0, s0, vcc_lo
	s_and_not1_b32 vcc_lo, exec_lo, s0
	s_wait_alu 0xfffe
	s_cbranch_vccnz .LBB126_26
; %bb.25:
	v_not_b32_e32 v2, v2
	v_not_b32_e32 v3, v3
	s_delay_alu instid0(VALU_DEP_2) | instskip(SKIP_1) | instid1(VALU_DEP_2)
	v_add_co_u32 v2, vcc_lo, s24, v2
	s_wait_alu 0xfffd
	v_add_co_ci_u32_e64 v3, null, s25, v3, vcc_lo
	s_delay_alu instid0(VALU_DEP_1) | instskip(NEXT) | instid1(VALU_DEP_1)
	v_lshrrev_b64 v[2:3], 1, v[2:3]
	v_add_co_u32 v19, vcc_lo, v2, 1
	s_wait_alu 0xfffd
	s_delay_alu instid0(VALU_DEP_2)
	v_add_co_ci_u32_e64 v20, null, 0, v3, vcc_lo
.LBB126_26:
	s_and_saveexec_b32 s0, s3
	s_cbranch_execz .LBB126_28
; %bb.27:
	v_dual_mov_b32 v2, 0 :: v_dual_mov_b32 v5, s25
	s_delay_alu instid0(VALU_DEP_1)
	v_dual_mov_b32 v4, s24 :: v_dual_mov_b32 v3, v2
	ds_store_b32 v2, v2 offset:5144
	ds_store_b128 v2, v[2:5] offset:5120
.LBB126_28:
	s_or_b32 exec_lo, exec_lo, s0
	s_wait_loadcnt_dscnt 0x0
	s_barrier_signal -1
	s_barrier_wait -1
	global_inv scope:SCOPE_SE
	s_load_b32 s5, s[6:7], 0xc
	v_mad_co_u64_u32 v[2:3], null, s50, v0, 0
	v_mbcnt_lo_u32_b32 v25, -1, 0
	v_cmp_gt_u32_e32 vcc_lo, 32, v0
	v_dual_mov_b32 v13, 0 :: v_dual_lshlrev_b32 v10, 2, v0
	s_mov_b32 s69, 0
	s_delay_alu instid0(VALU_DEP_3)
	v_cmp_gt_i32_e64 s4, 4, v25
	v_mad_co_u64_u32 v[3:4], null, s51, v0, v[3:4]
	v_lshlrev_b64_e64 v[4:5], v25, -1
	v_cmp_lt_u64_e64 s33, 0x300, s[24:25]
	s_and_b32 s86, vcc_lo, s4
	s_mov_b32 s67, s69
	v_cmp_gt_u32_e64 s0, 2, v0
	v_cmp_eq_u32_e64 s1, 0, v25
	v_lshlrev_b64_e32 v[2:3], 2, v[2:3]
	v_dual_mov_b32 v11, v13 :: v_dual_add_nc_u32 v26, 0xc00, v10
	s_wait_kmcnt 0x0
	s_and_b32 s66, s5, 0xffff
	s_bfe_u32 s4, s5, 0xb0005
	s_cmp_gt_u32 s66, 31
	v_add_co_u32 v14, vcc_lo, s58, v2
	s_cselect_b32 s87, -1, 0
	s_cmp_lt_u32 ttmp9, s12
	v_not_b32_e32 v27, v4
	s_cselect_b32 s68, 12, 18
	s_wait_alu 0xfffe
	s_add_co_i32 s5, s4, -1
	s_bfe_u32 s88, s66, 0x30005
	s_wait_alu 0xfffe
	s_and_b32 s5, s5, 0xffff
	s_wait_alu 0xfffd
	v_add_co_ci_u32_e64 v15, null, s59, v3, vcc_lo
	s_wait_alu 0xfffe
	s_cmp_gt_u32 s5, 6
	s_movk_i32 s5, 0x3e0
	s_cselect_b32 s89, -1, 0
	s_and_b32 s90, s4, 0x7f8
	s_wait_alu 0xfffe
	v_and_or_b32 v29, v0, s5, 0xc00
	v_lshlrev_b32_e32 v30, 4, v0
	v_lshl_or_b32 v31, v25, 3, 0xc00
	v_mov_b32_e32 v16, 1.0
	v_mov_b32_e32 v18, 0
	v_mov_b32_e32 v28, 0
	;; [unrolled: 1-line block ×3, first 2 shown]
	s_add_nc_u64 s[70:71], s[66:67], -1
	s_cmp_lg_u32 s88, 0
	s_add_nc_u64 s[72:73], s[70:71], s[24:25]
	s_cselect_b32 s91, -1, 0
	s_lshl_b32 s92, s66, 2
	s_mov_b32 s93, 30
	s_add_nc_u64 s[74:75], s[6:7], s[68:69]
	s_mov_b32 s95, 0x4f800000
	s_mov_b32 s94, 0
	;; [unrolled: 1-line block ×3, first 2 shown]
                                        ; implicit-def: $sgpr100
                                        ; implicit-def: $sgpr102
                                        ; implicit-def: $sgpr97
                                        ; implicit-def: $sgpr99
                                        ; implicit-def: $sgpr101
                                        ; implicit-def: $sgpr98
	s_branch .LBB126_32
.LBB126_29:                             ;   in Loop: Header=BB126_32 Depth=1
	s_wait_alu 0xfffe
	s_or_b32 exec_lo, exec_lo, s7
	s_delay_alu instid0(SALU_CYCLE_1)
	s_and_b32 s5, s5, exec_lo
	s_and_not1_b32 s20, s20, exec_lo
	s_and_not1_b32 s19, s19, exec_lo
	s_or_not1_b32 s16, s6, exec_lo
.LBB126_30:                             ;   in Loop: Header=BB126_32 Depth=1
	s_wait_alu 0xfffe
	s_or_b32 exec_lo, exec_lo, s4
	s_delay_alu instid0(SALU_CYCLE_1)
	s_and_not1_b32 s4, s98, exec_lo
	s_and_b32 s5, s5, exec_lo
	s_and_not1_b32 s6, s99, exec_lo
	s_wait_alu 0xfffe
	s_or_b32 s98, s4, s5
	s_and_not1_b32 s4, s101, exec_lo
	s_and_b32 s5, s20, exec_lo
	s_and_b32 s7, s19, exec_lo
	s_wait_alu 0xfffe
	s_or_b32 s101, s4, s5
	s_or_b32 s99, s6, s7
	s_or_not1_b32 s16, s16, exec_lo
.LBB126_31:                             ;   in Loop: Header=BB126_32 Depth=1
	s_wait_alu 0xfffe
	s_or_b32 exec_lo, exec_lo, s15
	s_delay_alu instid0(SALU_CYCLE_1)
	s_and_b32 s4, exec_lo, s16
	v_dual_mov_b32 v20, v7 :: v_dual_mov_b32 v19, v6
	s_wait_alu 0xfffe
	s_or_b32 s94, s4, s94
	s_and_not1_b32 s4, s97, exec_lo
	s_and_b32 s5, s98, exec_lo
	s_and_not1_b32 s6, s102, exec_lo
	s_wait_alu 0xfffe
	s_or_b32 s97, s4, s5
	s_and_b32 s4, s101, exec_lo
	s_and_not1_b32 s5, s100, exec_lo
	s_and_b32 s7, s99, exec_lo
	s_wait_alu 0xfffe
	s_or_b32 s102, s6, s4
	s_or_b32 s100, s5, s7
	s_and_not1_b32 exec_lo, exec_lo, s94
	s_cbranch_execz .LBB126_297
.LBB126_32:                             ; =>This Loop Header: Depth=1
                                        ;     Child Loop BB126_38 Depth 2
                                        ;     Child Loop BB126_51 Depth 2
	;; [unrolled: 1-line block ×16, first 2 shown]
	ds_load_b128 v[2:5], v13 offset:5120
	s_wait_dscnt 0x0
	v_readfirstlane_b32 s77, v3
	v_readfirstlane_b32 s76, v2
	s_cmp_lg_u64 s[76:77], 0
	s_cbranch_scc1 .LBB126_59
; %bb.33:                               ;   in Loop: Header=BB126_32 Depth=1
	s_and_b32 vcc_lo, exec_lo, s33
	s_wait_alu 0xfffe
	s_cbranch_vccz .LBB126_46
; %bb.34:                               ;   in Loop: Header=BB126_32 Depth=1
	v_cmp_gt_u64_e32 vcc_lo, 0x301, v[4:5]
	s_mov_b32 s6, 0
	s_mov_b32 s4, 0
	s_cbranch_vccz .LBB126_47
; %bb.35:                               ;   in Loop: Header=BB126_32 Depth=1
	s_and_saveexec_b32 s7, s2
	s_cbranch_execz .LBB126_159
; %bb.36:                               ;   in Loop: Header=BB126_32 Depth=1
	global_load_u16 v2, v13, s[74:75]
	global_load_b32 v5, v[14:15], off
	s_mov_b32 s8, 0
	s_wait_loadcnt 0x1
	v_dual_mov_b32 v3, v1 :: v_dual_and_b32 v4, 0xffff, v2
	v_mov_b32_e32 v2, v0
	s_branch .LBB126_38
.LBB126_37:                             ;   in Loop: Header=BB126_38 Depth=2
	s_wait_alu 0xfffe
	s_or_b32 exec_lo, exec_lo, s5
	v_mov_b32_e32 v5, v6
	s_and_not1_b32 exec_lo, exec_lo, s8
	s_cbranch_execz .LBB126_159
.LBB126_38:                             ;   Parent Loop BB126_32 Depth=1
                                        ; =>  This Inner Loop Header: Depth=2
	s_delay_alu instid0(VALU_DEP_1)
	v_add_co_u32 v2, vcc_lo, v2, v4
	s_wait_alu 0xfffd
	v_add_co_ci_u32_e64 v3, null, 0, v3, vcc_lo
	s_wait_dscnt 0x0
	v_dual_mov_b32 v7, 0 :: v_dual_mov_b32 v6, 0
	s_mov_b32 s5, exec_lo
	s_delay_alu instid0(VALU_DEP_2)
	v_cmp_le_u64_e32 vcc_lo, s[24:25], v[2:3]
	v_cmpx_gt_u64_e64 s[24:25], v[2:3]
	s_cbranch_execz .LBB126_40
; %bb.39:                               ;   in Loop: Header=BB126_38 Depth=2
	v_mul_lo_u32 v6, v3, s50
	v_mul_lo_u32 v12, v2, s51
	v_mad_co_u64_u32 v[8:9], null, v2, s50, 0
	s_delay_alu instid0(VALU_DEP_1) | instskip(NEXT) | instid1(VALU_DEP_1)
	v_add3_u32 v9, v9, v12, v6
	v_lshlrev_b64_e32 v[8:9], 2, v[8:9]
	s_delay_alu instid0(VALU_DEP_1) | instskip(SKIP_1) | instid1(VALU_DEP_2)
	v_add_co_u32 v8, s4, s58, v8
	s_wait_alu 0xf1fe
	v_add_co_ci_u32_e64 v9, null, s59, v9, s4
	global_load_b32 v6, v[8:9], off
.LBB126_40:                             ;   in Loop: Header=BB126_38 Depth=2
	s_wait_alu 0xfffe
	s_or_b32 exec_lo, exec_lo, s5
	s_wait_loadcnt 0x0
	v_cmp_lt_i32_e64 s4, -1, v5
	s_wait_alu 0xf1ff
	s_delay_alu instid0(VALU_DEP_1) | instskip(SKIP_1) | instid1(VALU_DEP_2)
	v_cndmask_b32_e64 v8, -1, 0x80000000, s4
	v_cmp_o_f32_e64 s4, v5, v5
	v_xor_b32_e32 v8, v8, v5
	s_wait_alu 0xf1ff
	s_delay_alu instid0(VALU_DEP_1) | instskip(NEXT) | instid1(VALU_DEP_1)
	v_cndmask_b32_e64 v8, -1, v8, s4
	v_and_b32_e32 v8, v8, v32
	s_delay_alu instid0(VALU_DEP_1)
	v_cmp_eq_u32_e64 s4, v8, v28
	s_cmp_lg_u32 s4, 0
	s_cselect_b32 s5, -1, 0
	s_wait_alu 0xfffe
	s_and_b32 s5, s1, s5
	s_wait_alu 0xfffe
	s_and_saveexec_b32 s9, s5
	s_cbranch_execz .LBB126_44
; %bb.41:                               ;   in Loop: Header=BB126_38 Depth=2
	s_mov_b32 s12, exec_lo
	s_bcnt1_i32_b32 s10, s4
	s_wait_alu 0xfffe
	v_mbcnt_lo_u32_b32 v7, s12, 0
	s_mov_b32 s11, exec_lo
                                        ; implicit-def: $vgpr8
	s_delay_alu instid0(VALU_DEP_1)
	v_cmpx_eq_u32_e32 0, v7
; %bb.42:                               ;   in Loop: Header=BB126_38 Depth=2
	s_bcnt1_i32_b32 s5, s12
	s_wait_alu 0xfffe
	s_mul_i32 s5, s10, s5
	s_wait_alu 0xfffe
	v_mov_b32_e32 v8, s5
	ds_add_rtn_u32 v8, v13, v8 offset:5144
; %bb.43:                               ;   in Loop: Header=BB126_38 Depth=2
	s_or_b32 exec_lo, exec_lo, s11
	s_wait_dscnt 0x0
	v_readfirstlane_b32 s5, v8
	s_wait_alu 0xf1ff
	s_delay_alu instid0(VALU_DEP_1)
	v_mad_u32_u24 v7, s10, v7, s5
.LBB126_44:                             ;   in Loop: Header=BB126_38 Depth=2
	s_wait_alu 0xfffe
	s_or_b32 exec_lo, exec_lo, s9
	ds_bpermute_b32 v7, v13, v7
	s_and_b32 s5, exec_lo, vcc_lo
	s_wait_alu 0xfffe
	s_or_b32 s8, s5, s8
	s_and_saveexec_b32 s5, s4
	s_cbranch_execz .LBB126_37
; %bb.45:                               ;   in Loop: Header=BB126_38 Depth=2
	v_and_b32_e32 v8, s4, v27
	s_delay_alu instid0(VALU_DEP_1) | instskip(NEXT) | instid1(VALU_DEP_1)
	v_bcnt_u32_b32 v8, v8, 0
	v_lshlrev_b32_e32 v8, 2, v8
	s_wait_dscnt 0x0
	s_delay_alu instid0(VALU_DEP_1)
	v_lshl_add_u32 v7, v7, 2, v8
	ds_store_b32 v7, v5
	s_branch .LBB126_37
.LBB126_46:                             ;   in Loop: Header=BB126_32 Depth=1
	s_mov_b32 s6, -1
	s_mov_b32 s4, 0
.LBB126_47:                             ;   in Loop: Header=BB126_32 Depth=1
	s_wait_alu 0xfffe
	s_and_b32 vcc_lo, exec_lo, s6
	s_wait_alu 0xfffe
	s_cbranch_vccz .LBB126_57
.LBB126_48:                             ;   in Loop: Header=BB126_32 Depth=1
	s_and_saveexec_b32 s4, s2
	s_cbranch_execz .LBB126_54
; %bb.49:                               ;   in Loop: Header=BB126_32 Depth=1
	global_load_u16 v2, v13, s[74:75]
	global_load_b32 v6, v[14:15], off
	s_mov_b32 s5, exec_lo
	s_wait_loadcnt 0x1
	v_dual_mov_b32 v2, v0 :: v_dual_and_b32 v7, 0xffff, v2
	s_delay_alu instid0(VALU_DEP_1) | instskip(NEXT) | instid1(VALU_DEP_1)
	v_add_nc_u32_e32 v12, v7, v0
	v_cmpx_gt_u64_e64 s[24:25], v[12:13]
	s_cbranch_execz .LBB126_53
; %bb.50:                               ;   in Loop: Header=BB126_32 Depth=1
	v_dual_mov_b32 v4, v12 :: v_dual_mov_b32 v5, v13
	v_dual_mov_b32 v3, v1 :: v_dual_mov_b32 v2, v0
	s_mov_b32 s6, 0
.LBB126_51:                             ;   Parent Loop BB126_32 Depth=1
                                        ; =>  This Inner Loop Header: Depth=2
	s_delay_alu instid0(VALU_DEP_2) | instskip(NEXT) | instid1(VALU_DEP_2)
	v_dual_mov_b32 v22, v5 :: v_dual_mov_b32 v21, v4
	v_lshlrev_b32_e32 v2, 2, v2
	s_delay_alu instid0(VALU_DEP_2) | instskip(NEXT) | instid1(VALU_DEP_3)
	v_mul_lo_u32 v5, v22, s50
	v_mul_lo_u32 v8, v21, s51
	v_mad_co_u64_u32 v[3:4], null, v21, s50, 0
	s_wait_loadcnt 0x0
	ds_store_b32 v2, v6
	v_add3_u32 v4, v4, v8, v5
	s_delay_alu instid0(VALU_DEP_1) | instskip(NEXT) | instid1(VALU_DEP_1)
	v_lshlrev_b64_e32 v[3:4], 2, v[3:4]
	v_add_co_u32 v3, vcc_lo, s58, v3
	s_wait_alu 0xfffd
	s_delay_alu instid0(VALU_DEP_2)
	v_add_co_ci_u32_e64 v4, null, s59, v4, vcc_lo
	global_load_b32 v8, v[3:4], off
	v_add_co_u32 v4, vcc_lo, v21, v7
	s_wait_alu 0xfffd
	v_add_co_ci_u32_e64 v5, null, 0, v22, vcc_lo
	v_dual_mov_b32 v2, v21 :: v_dual_mov_b32 v3, v22
	s_delay_alu instid0(VALU_DEP_2)
	v_cmp_le_u64_e32 vcc_lo, s[24:25], v[4:5]
	s_wait_alu 0xfffe
	s_or_b32 s6, vcc_lo, s6
	s_wait_loadcnt 0x0
	v_mov_b32_e32 v6, v8
	s_wait_alu 0xfffe
	s_and_not1_b32 exec_lo, exec_lo, s6
	s_cbranch_execnz .LBB126_51
; %bb.52:                               ;   in Loop: Header=BB126_32 Depth=1
	s_or_b32 exec_lo, exec_lo, s6
	v_sub_nc_u32_e32 v2, v4, v7
	v_mov_b32_e32 v6, v8
.LBB126_53:                             ;   in Loop: Header=BB126_32 Depth=1
	s_wait_alu 0xfffe
	s_or_b32 exec_lo, exec_lo, s5
	s_delay_alu instid0(VALU_DEP_2)
	v_lshlrev_b32_e32 v2, 2, v2
	s_wait_loadcnt 0x0
	ds_store_b32 v2, v6
.LBB126_54:                             ;   in Loop: Header=BB126_32 Depth=1
	s_wait_alu 0xfffe
	s_or_b32 exec_lo, exec_lo, s4
	s_wait_loadcnt_dscnt 0x0
	s_barrier_signal -1
	s_barrier_wait -1
	global_inv scope:SCOPE_SE
	s_and_saveexec_b32 s4, s3
; %bb.55:                               ;   in Loop: Header=BB126_32 Depth=1
	v_dual_mov_b32 v2, s24 :: v_dual_mov_b32 v3, s25
	ds_store_b64 v13, v[2:3] offset:5120
; %bb.56:                               ;   in Loop: Header=BB126_32 Depth=1
	s_wait_alu 0xfffe
	s_or_b32 exec_lo, exec_lo, s4
	s_mov_b32 s4, -1
	s_wait_loadcnt_dscnt 0x0
	s_barrier_signal -1
	s_barrier_wait -1
.LBB126_57:                             ;   in Loop: Header=BB126_32 Depth=1
	s_wait_alu 0xfffe
	s_and_b32 vcc_lo, exec_lo, s4
	s_mov_b64 s[76:77], 0
	s_wait_alu 0xfffe
	s_cbranch_vccz .LBB126_59
; %bb.58:                               ;   in Loop: Header=BB126_32 Depth=1
	s_wait_loadcnt 0x0
	global_inv scope:SCOPE_SE
	ds_load_b64 v[2:3], v13 offset:5120
	s_wait_dscnt 0x0
	v_readfirstlane_b32 s76, v2
.LBB126_59:                             ;   in Loop: Header=BB126_32 Depth=1
	s_delay_alu instid0(VALU_DEP_1)
	s_cmp_lt_i32 s76, 1
	s_mov_b32 s4, -1
                                        ; implicit-def: $vgpr2_vgpr3
                                        ; implicit-def: $vgpr6_vgpr7
	s_cbranch_scc1 .LBB126_69
; %bb.60:                               ;   in Loop: Header=BB126_32 Depth=1
	s_wait_alu 0xfffe
	s_and_b32 vcc_lo, exec_lo, s4
	s_wait_alu 0xfffe
	s_cbranch_vccnz .LBB126_83
.LBB126_61:                             ;   in Loop: Header=BB126_32 Depth=1
	s_lshl_b32 s4, s96, 7
	s_and_saveexec_b32 s5, s1
	s_cbranch_execz .LBB126_63
.LBB126_62:                             ;   in Loop: Header=BB126_32 Depth=1
	s_wait_alu 0xfffe
	v_lshl_add_u32 v12, s4, 3, v29
	ds_store_b128 v12, v[2:5]
	ds_store_b128 v12, v[6:9] offset:16
.LBB126_63:                             ;   in Loop: Header=BB126_32 Depth=1
	s_wait_alu 0xfffe
	s_or_b32 exec_lo, exec_lo, s5
	s_wait_loadcnt_dscnt 0x0
	s_barrier_signal -1
	s_barrier_wait -1
	global_inv scope:SCOPE_SE
	s_and_saveexec_b32 s5, s86
	s_cbranch_execz .LBB126_97
; %bb.64:                               ;   in Loop: Header=BB126_32 Depth=1
	v_mov_b32_e32 v2, 0
	v_mov_b32_e32 v3, 0
	s_and_not1_b32 vcc_lo, exec_lo, s87
	s_wait_alu 0xfffe
	s_cbranch_vccnz .LBB126_96
; %bb.65:                               ;   in Loop: Header=BB126_32 Depth=1
	v_mov_b32_e32 v2, 0
	v_mov_b32_e32 v3, 0
	s_and_not1_b32 vcc_lo, exec_lo, s89
	s_wait_alu 0xfffe
	s_cbranch_vccnz .LBB126_93
; %bb.66:                               ;   in Loop: Header=BB126_32 Depth=1
	v_lshl_add_u32 v4, s96, 10, v31
	s_mov_b32 s6, 0
.LBB126_67:                             ;   Parent Loop BB126_32 Depth=1
                                        ; =>  This Inner Loop Header: Depth=2
	ds_load_2addr_b64 v[5:8], v4 offset1:4
	ds_load_2addr_b64 v[21:24], v4 offset0:8 offset1:12
	ds_load_2addr_b64 v[33:36], v4 offset0:16 offset1:20
	s_wait_alu 0xfffe
	s_add_co_i32 s6, s6, 8
	s_wait_alu 0xfffe
	s_cmp_eq_u32 s90, s6
	s_wait_dscnt 0x2
	v_add_co_u32 v2, vcc_lo, v5, v2
	s_wait_alu 0xfffd
	v_add_co_ci_u32_e64 v3, null, v6, v3, vcc_lo
	s_delay_alu instid0(VALU_DEP_2) | instskip(SKIP_1) | instid1(VALU_DEP_2)
	v_add_co_u32 v2, vcc_lo, v7, v2
	s_wait_alu 0xfffd
	v_add_co_ci_u32_e64 v3, null, v8, v3, vcc_lo
	ds_load_2addr_b64 v[5:8], v4 offset0:24 offset1:28
	s_wait_dscnt 0x2
	v_add_co_u32 v2, vcc_lo, v21, v2
	s_wait_alu 0xfffd
	v_add_co_ci_u32_e64 v3, null, v22, v3, vcc_lo
	v_add_nc_u32_e32 v4, 0x100, v4
	s_delay_alu instid0(VALU_DEP_3) | instskip(SKIP_1) | instid1(VALU_DEP_3)
	v_add_co_u32 v2, vcc_lo, v23, v2
	s_wait_alu 0xfffd
	v_add_co_ci_u32_e64 v3, null, v24, v3, vcc_lo
	s_wait_dscnt 0x1
	s_delay_alu instid0(VALU_DEP_2) | instskip(SKIP_1) | instid1(VALU_DEP_2)
	v_add_co_u32 v2, vcc_lo, v33, v2
	s_wait_alu 0xfffd
	v_add_co_ci_u32_e64 v3, null, v34, v3, vcc_lo
	s_delay_alu instid0(VALU_DEP_2) | instskip(SKIP_1) | instid1(VALU_DEP_2)
	v_add_co_u32 v2, vcc_lo, v35, v2
	s_wait_alu 0xfffd
	v_add_co_ci_u32_e64 v3, null, v36, v3, vcc_lo
	s_wait_dscnt 0x0
	s_delay_alu instid0(VALU_DEP_2) | instskip(SKIP_1) | instid1(VALU_DEP_2)
	v_add_co_u32 v2, vcc_lo, v5, v2
	s_wait_alu 0xfffd
	v_add_co_ci_u32_e64 v3, null, v6, v3, vcc_lo
	s_delay_alu instid0(VALU_DEP_2) | instskip(SKIP_1) | instid1(VALU_DEP_2)
	v_add_co_u32 v2, vcc_lo, v7, v2
	s_wait_alu 0xfffd
	v_add_co_ci_u32_e64 v3, null, v8, v3, vcc_lo
	s_cbranch_scc0 .LBB126_67
; %bb.68:                               ;   in Loop: Header=BB126_32 Depth=1
	s_mov_b32 s6, s90
	s_and_not1_b32 vcc_lo, exec_lo, s91
	s_wait_alu 0xfffe
	s_cbranch_vccz .LBB126_94
	s_branch .LBB126_96
.LBB126_69:                             ;   in Loop: Header=BB126_32 Depth=1
	global_load_u16 v12, v13, s[74:75]
	s_mov_b32 s5, s25
	s_wait_loadcnt 0x0
	v_readfirstlane_b32 s4, v12
	s_wait_alu 0xfffe
	s_and_b32 s6, 0xffff, s4
	s_mov_b32 s4, s69
	s_wait_alu 0xfffe
	s_lshl_b32 s16, s6, 2
	s_cmp_lg_u64 s[4:5], 0
	s_cbranch_scc0 .LBB126_92
; %bb.70:                               ;   in Loop: Header=BB126_32 Depth=1
	s_wait_alu 0xfffe
	s_cvt_f32_u32 s4, s16
	s_mov_b32 s17, s69
	s_wait_alu 0xfffe
	s_sub_nc_u64 s[6:7], 0, s[16:17]
	s_fmamk_f32 s4, s95, 0x0, s4
	s_wait_alu 0xfffe
	s_delay_alu instid0(SALU_CYCLE_2) | instskip(NEXT) | instid1(TRANS32_DEP_1)
	v_s_rcp_f32 s4, s4
	s_mul_f32 s4, s4, 0x5f7ffffc
	s_wait_alu 0xfffe
	s_delay_alu instid0(SALU_CYCLE_2) | instskip(SKIP_1) | instid1(SALU_CYCLE_2)
	s_mul_f32 s5, s4, 0x2f800000
	s_wait_alu 0xfffe
	s_trunc_f32 s5, s5
	s_wait_alu 0xfffe
	s_delay_alu instid0(SALU_CYCLE_2) | instskip(SKIP_2) | instid1(SALU_CYCLE_1)
	s_fmamk_f32 s4, s5, 0xcf800000, s4
	s_cvt_u32_f32 s5, s5
	s_wait_alu 0xfffe
	s_cvt_u32_f32 s4, s4
	s_wait_alu 0xfffe
	s_delay_alu instid0(SALU_CYCLE_2)
	s_mul_u64 s[8:9], s[6:7], s[4:5]
	s_wait_alu 0xfffe
	s_mul_hi_u32 s11, s4, s9
	s_mul_i32 s10, s4, s9
	s_mul_hi_u32 s68, s4, s8
	s_mul_i32 s13, s5, s8
	s_wait_alu 0xfffe
	s_add_nc_u64 s[10:11], s[68:69], s[10:11]
	s_mul_hi_u32 s12, s5, s8
	s_mul_hi_u32 s14, s5, s9
	s_mul_i32 s8, s5, s9
	s_wait_alu 0xfffe
	s_add_co_u32 s9, s10, s13
	s_add_co_ci_u32 s68, s11, s12
	s_add_co_ci_u32 s9, s14, 0
	s_wait_alu 0xfffe
	s_add_nc_u64 s[8:9], s[68:69], s[8:9]
	s_wait_alu 0xfffe
	s_add_co_u32 s4, s4, s8
	s_cselect_b32 s8, -1, 0
	s_wait_alu 0xfffe
	s_cmp_lg_u32 s8, 0
	s_add_co_ci_u32 s5, s5, s9
	s_wait_alu 0xfffe
	s_mul_u64 s[6:7], s[6:7], s[4:5]
	s_wait_alu 0xfffe
	s_mul_hi_u32 s9, s4, s7
	s_mul_i32 s8, s4, s7
	s_mul_hi_u32 s68, s4, s6
	s_mul_i32 s11, s5, s6
	s_wait_alu 0xfffe
	s_add_nc_u64 s[8:9], s[68:69], s[8:9]
	s_mul_hi_u32 s10, s5, s6
	s_mul_hi_u32 s12, s5, s7
	s_mul_i32 s6, s5, s7
	s_wait_alu 0xfffe
	s_add_co_u32 s7, s8, s11
	s_add_co_ci_u32 s68, s9, s10
	s_add_co_ci_u32 s7, s12, 0
	s_wait_alu 0xfffe
	s_add_nc_u64 s[6:7], s[68:69], s[6:7]
	s_wait_alu 0xfffe
	s_add_co_u32 s4, s4, s6
	s_cselect_b32 s6, -1, 0
	s_wait_alu 0xfffe
	s_mul_hi_u32 s68, s24, s4
	s_cmp_lg_u32 s6, 0
	s_mul_hi_u32 s8, s25, s4
	s_add_co_ci_u32 s6, s5, s7
	s_mul_i32 s7, s25, s4
	s_wait_alu 0xfffe
	s_mul_hi_u32 s5, s24, s6
	s_mul_i32 s4, s24, s6
	s_mul_hi_u32 s9, s25, s6
	s_wait_alu 0xfffe
	s_add_nc_u64 s[4:5], s[68:69], s[4:5]
	s_mul_i32 s6, s25, s6
	s_wait_alu 0xfffe
	s_add_co_u32 s4, s4, s7
	s_add_co_ci_u32 s68, s5, s8
	s_add_co_ci_u32 s7, s9, 0
	s_wait_alu 0xfffe
	s_add_nc_u64 s[4:5], s[68:69], s[6:7]
	s_wait_alu 0xfffe
	s_mul_u64 s[4:5], s[16:17], s[4:5]
	s_wait_alu 0xfffe
	s_sub_co_u32 s4, s24, s4
	s_cselect_b32 s6, -1, 0
	s_wait_alu 0xfffe
	s_cmp_lg_u32 s6, 0
	s_sub_co_ci_u32 s5, s25, s5
	s_sub_co_u32 s6, s4, s16
	s_cselect_b32 s7, -1, 0
	s_wait_alu 0xfffe
	s_cmp_lg_u32 s7, 0
	s_sub_co_ci_u32 s7, s5, 0
	;; [unrolled: 5-line block ×3, first 2 shown]
	s_cmp_ge_u32 s6, s16
	s_cselect_b32 s10, -1, 0
	s_cmp_eq_u32 s7, 0
	s_wait_alu 0xfffe
	s_cselect_b32 s10, s10, -1
	s_wait_alu 0xfffe
	s_cmp_lg_u32 s10, 0
	s_cselect_b32 s7, s9, s7
	s_cselect_b32 s6, s8, s6
	s_cmp_ge_u32 s4, s16
	s_cselect_b32 s8, -1, 0
	s_cmp_eq_u32 s5, 0
	s_wait_alu 0xfffe
	s_cselect_b32 s8, s8, -1
	s_wait_alu 0xfffe
	s_cmp_lg_u32 s8, 0
	s_cselect_b32 s5, s7, s5
	s_cselect_b32 s4, s6, s4
	s_cbranch_execnz .LBB126_72
.LBB126_71:                             ;   in Loop: Header=BB126_32 Depth=1
	s_wait_alu 0xfffe
	v_cvt_f32_u32_e32 v2, s16
	s_sub_co_i32 s5, 0, s16
	s_delay_alu instid0(VALU_DEP_1) | instskip(NEXT) | instid1(TRANS32_DEP_1)
	v_rcp_iflag_f32_e32 v2, v2
	v_mul_f32_e32 v2, 0x4f7ffffe, v2
	s_delay_alu instid0(VALU_DEP_1) | instskip(NEXT) | instid1(VALU_DEP_1)
	v_cvt_u32_f32_e32 v2, v2
	v_readfirstlane_b32 s4, v2
	s_wait_alu 0xfffe
	s_mul_i32 s5, s5, s4
	s_wait_alu 0xfffe
	s_mul_hi_u32 s5, s4, s5
	s_wait_alu 0xfffe
	s_add_co_i32 s4, s4, s5
	s_wait_alu 0xfffe
	s_mul_hi_u32 s4, s24, s4
	s_wait_alu 0xfffe
	s_mul_i32 s4, s4, s16
	s_wait_alu 0xfffe
	s_sub_co_i32 s4, s24, s4
	s_wait_alu 0xfffe
	s_sub_co_i32 s5, s4, s16
	s_cmp_ge_u32 s4, s16
	s_wait_alu 0xfffe
	s_cselect_b32 s4, s5, s4
	s_wait_alu 0xfffe
	s_sub_co_i32 s5, s4, s16
	s_cmp_ge_u32 s4, s16
	s_wait_alu 0xfffe
	s_cselect_b32 s68, s5, s4
	s_wait_alu 0xfffe
	s_mov_b64 s[4:5], s[68:69]
.LBB126_72:                             ;   in Loop: Header=BB126_32 Depth=1
	v_mov_b32_e32 v2, 0
	v_dual_mov_b32 v6, 0 :: v_dual_mov_b32 v3, 0
	v_dual_mov_b32 v4, 0 :: v_dual_mov_b32 v7, 0
	;; [unrolled: 1-line block ×3, first 2 shown]
	v_mov_b32_e32 v9, 0
	s_wait_alu 0xfffe
	s_sub_nc_u64 s[18:19], s[24:25], s[4:5]
	s_mov_b32 s15, exec_lo
	s_wait_alu 0xfffe
	v_cmpx_gt_u64_e64 s[18:19], v[10:11]
	s_cbranch_execz .LBB126_76
; %bb.73:                               ;   in Loop: Header=BB126_32 Depth=1
	v_dual_mov_b32 v22, v11 :: v_dual_mov_b32 v21, v10
	s_mov_b64 s[20:21], 0
	s_mov_b32 s17, 0
	s_mov_b64 s[22:23], 0
	s_mov_b64 s[78:79], 0
	;; [unrolled: 1-line block ×3, first 2 shown]
.LBB126_74:                             ;   Parent Loop BB126_32 Depth=1
                                        ; =>  This Inner Loop Header: Depth=2
	v_mul_lo_u32 v4, v22, s50
	v_mul_lo_u32 v5, v21, s51
	v_mad_co_u64_u32 v[2:3], null, v21, s50, 0
	s_lshl_b64 s[4:5], s[50:51], 2
	v_add3_u32 v3, v3, v5, v4
	s_delay_alu instid0(VALU_DEP_1) | instskip(NEXT) | instid1(VALU_DEP_1)
	v_lshlrev_b64_e32 v[2:3], 2, v[2:3]
	v_add_co_u32 v2, vcc_lo, s58, v2
	s_wait_alu 0xfffd
	s_delay_alu instid0(VALU_DEP_2) | instskip(SKIP_1) | instid1(VALU_DEP_2)
	v_add_co_ci_u32_e64 v3, null, s59, v3, vcc_lo
	s_wait_alu 0xfffe
	v_add_co_u32 v4, vcc_lo, v2, s4
	s_wait_alu 0xfffd
	s_delay_alu instid0(VALU_DEP_2)
	v_add_co_ci_u32_e64 v5, null, s5, v3, vcc_lo
	global_load_b32 v6, v[2:3], off
	v_add_co_u32 v2, vcc_lo, v4, s4
	s_wait_alu 0xfffd
	v_add_co_ci_u32_e64 v3, null, s5, v5, vcc_lo
	s_clause 0x1
	global_load_b32 v4, v[4:5], off
	global_load_b32 v5, v[2:3], off
	v_add_co_u32 v2, vcc_lo, v2, s4
	s_wait_alu 0xfffd
	v_add_co_ci_u32_e64 v3, null, s5, v3, vcc_lo
	v_add_co_u32 v21, vcc_lo, v21, s16
	s_wait_alu 0xfffd
	v_add_co_ci_u32_e64 v22, null, 0, v22, vcc_lo
	global_load_b32 v2, v[2:3], off
	v_cmp_le_u64_e32 vcc_lo, s[18:19], v[21:22]
	s_wait_loadcnt 0x3
	v_cmp_lt_i32_e64 s4, -1, v6
	s_wait_alu 0xf1ff
	s_delay_alu instid0(VALU_DEP_1)
	v_cndmask_b32_e64 v3, -1, 0x80000000, s4
	s_wait_loadcnt 0x2
	v_cmp_lt_i32_e64 s4, -1, v4
	s_wait_loadcnt 0x1
	v_cmp_lt_i32_e64 s5, -1, v5
	v_xor_b32_e32 v3, v3, v6
	s_wait_alu 0xf1ff
	v_cndmask_b32_e64 v7, -1, 0x80000000, s4
	v_cmp_o_f32_e64 s4, v6, v6
	s_wait_loadcnt 0x0
	v_cmp_o_f32_e64 s9, v2, v2
	s_delay_alu instid0(VALU_DEP_3) | instskip(SKIP_4) | instid1(VALU_DEP_3)
	v_xor_b32_e32 v6, v7, v4
	s_wait_alu 0xf1ff
	v_cndmask_b32_e64 v3, -1, v3, s4
	v_cmp_o_f32_e64 s4, v4, v4
	v_cndmask_b32_e64 v7, -1, 0x80000000, s5
	v_and_b32_e32 v8, v3, v32
	s_wait_alu 0xf1ff
	s_delay_alu instid0(VALU_DEP_3) | instskip(SKIP_4) | instid1(VALU_DEP_3)
	v_cndmask_b32_e64 v4, -1, v6, s4
	v_cmp_lt_i32_e64 s4, -1, v2
	v_xor_b32_e32 v6, v7, v5
	v_bfe_u32 v3, v3, s93, 2
	s_wait_alu 0xf1ff
	v_cndmask_b32_e64 v7, -1, 0x80000000, s4
	v_cmp_o_f32_e64 s4, v5, v5
	s_delay_alu instid0(VALU_DEP_3)
	v_cmp_eq_u32_e64 s5, 0, v3
	v_cmp_eq_u32_e64 s6, 1, v3
	;; [unrolled: 1-line block ×4, first 2 shown]
	s_wait_alu 0xf1ff
	v_cndmask_b32_e64 v5, -1, v6, s4
	v_xor_b32_e32 v6, v7, v2
	v_cmp_eq_u32_e64 s4, v8, v28
	v_and_b32_e32 v7, v4, v32
	v_bfe_u32 v4, v4, s93, 2
	v_and_b32_e32 v3, v5, v32
	v_cndmask_b32_e64 v2, -1, v6, s9
	v_bfe_u32 v5, v5, s93, 2
	v_cmp_eq_u32_e64 s9, v7, v28
	v_cmp_eq_u32_e64 s10, 0, v4
	s_and_b32 s5, s4, s5
	s_and_b32 s6, s4, s6
	;; [unrolled: 1-line block ×3, first 2 shown]
	s_wait_alu 0xfffe
	v_cndmask_b32_e64 v6, 0, 1, s5
	v_cmp_eq_u32_e64 s5, 1, v4
	v_cndmask_b32_e64 v7, 0, 1, s6
	v_cmp_eq_u32_e64 s6, 2, v4
	;; [unrolled: 2-line block ×3, first 2 shown]
	s_and_b32 s4, s4, s8
	v_cmp_eq_u32_e64 s8, 0, v5
	s_wait_alu 0xfffe
	v_cndmask_b32_e64 v4, 0, 1, s4
	v_cmp_eq_u32_e64 s4, v3, v28
	v_and_b32_e32 v3, v2, v32
	v_bfe_u32 v2, v2, s93, 2
	s_and_b32 s10, s9, s10
	v_cmp_ne_u32_e64 s11, 0, v6
	s_wait_alu 0xfffe
	v_cndmask_b32_e64 v6, 0, 1, s10
	v_cmp_eq_u32_e64 s10, 1, v5
	s_and_b32 s5, s9, s5
	s_and_b32 s6, s9, s6
	;; [unrolled: 1-line block ×3, first 2 shown]
	v_cmp_ne_u32_e64 s12, 0, v7
	s_wait_alu 0xfffe
	v_cndmask_b32_e64 v7, 0, 1, s5
	v_cmp_eq_u32_e64 s5, 2, v5
	v_cmp_ne_u32_e64 s13, 0, v8
	v_cndmask_b32_e64 v8, 0, 1, s6
	v_cmp_eq_u32_e64 s6, 3, v5
	v_cmp_ne_u32_e64 s14, 0, v4
	v_cndmask_b32_e64 v4, 0, 1, s7
	v_cmp_eq_u32_e64 s7, v3, v28
	v_cmp_eq_u32_e64 s9, 0, v2
	s_and_b32 s8, s4, s8
	s_and_b32 s10, s4, s10
	s_wait_alu 0xfffe
	v_cndmask_b32_e64 v3, 0, 1, s8
	v_cmp_eq_u32_e64 s8, 1, v2
	v_cndmask_b32_e64 v5, 0, 1, s10
	v_cmp_eq_u32_e64 s10, 2, v2
	s_and_b32 s5, s4, s5
	s_and_b32 s4, s4, s6
	;; [unrolled: 1-line block ×3, first 2 shown]
	s_bcnt1_i32_b32 s56, s11
	v_cmp_ne_u32_e64 s11, 0, v6
	s_wait_alu 0xfffe
	v_cndmask_b32_e64 v6, 0, 1, s5
	v_cmp_eq_u32_e64 s5, 3, v2
	s_bcnt1_i32_b32 s77, s14
	v_cmp_ne_u32_e64 s14, 0, v4
	v_cndmask_b32_e64 v2, 0, 1, s4
	v_cmp_ne_u32_e64 s4, 0, v3
	v_cndmask_b32_e64 v3, 0, 1, s6
	s_and_b32 s8, s7, s8
	s_and_b32 s9, s7, s10
	s_wait_alu 0xfffe
	v_cndmask_b32_e64 v4, 0, 1, s8
	s_bcnt1_i32_b32 s57, s12
	v_cmp_ne_u32_e64 s12, 0, v7
	v_cmp_ne_u32_e64 s6, 0, v5
	v_cndmask_b32_e64 v5, 0, 1, s9
	s_and_b32 s5, s7, s5
	s_bcnt1_i32_b32 s68, s13
	v_cmp_ne_u32_e64 s13, 0, v8
	s_bcnt1_i32_b32 s10, s14
	s_bcnt1_i32_b32 s14, s4
	v_cmp_ne_u32_e64 s4, 0, v3
	s_bcnt1_i32_b32 s11, s11
	v_cmp_ne_u32_e64 s9, 0, v2
	s_wait_alu 0xfffe
	v_cndmask_b32_e64 v2, 0, 1, s5
	v_cmp_ne_u32_e64 s8, 0, v6
	v_cmp_ne_u32_e64 s5, 0, v4
	s_bcnt1_i32_b32 s12, s12
	s_add_co_i32 s11, s11, s56
	s_bcnt1_i32_b32 s56, s6
	v_cmp_ne_u32_e64 s6, 0, v5
	s_bcnt1_i32_b32 s13, s13
	s_wait_alu 0xfffe
	s_add_co_i32 s12, s12, s57
	s_add_co_i32 s11, s11, s14
	s_bcnt1_i32_b32 s4, s4
	v_cmp_ne_u32_e64 s7, 0, v2
	s_add_co_i32 s13, s13, s68
	s_bcnt1_i32_b32 s8, s8
	s_wait_alu 0xfffe
	s_add_co_i32 s12, s12, s56
	s_bcnt1_i32_b32 s5, s5
	s_add_co_i32 s68, s11, s4
	s_add_co_i32 s10, s10, s77
	s_bcnt1_i32_b32 s9, s9
	s_add_co_i32 s8, s13, s8
	s_bcnt1_i32_b32 s6, s6
	s_wait_alu 0xfffe
	s_add_nc_u64 s[80:81], s[80:81], s[68:69]
	s_add_co_i32 s68, s12, s5
	s_add_co_i32 s9, s10, s9
	s_bcnt1_i32_b32 s7, s7
	s_wait_alu 0xfffe
	s_add_nc_u64 s[78:79], s[78:79], s[68:69]
	s_add_co_i32 s68, s8, s6
	s_wait_alu 0xfffe
	v_mov_b32_e32 v4, s78
	s_add_nc_u64 s[22:23], s[22:23], s[68:69]
	s_add_co_i32 s68, s9, s7
	v_mov_b32_e32 v2, s80
	s_wait_alu 0xfffe
	s_add_nc_u64 s[20:21], s[20:21], s[68:69]
	s_wait_alu 0xfffe
	v_dual_mov_b32 v5, s79 :: v_dual_mov_b32 v8, s20
	v_dual_mov_b32 v6, s22 :: v_dual_mov_b32 v3, s81
	v_mov_b32_e32 v7, s23
	v_mov_b32_e32 v9, s21
	s_or_b32 s17, vcc_lo, s17
	s_wait_alu 0xfffe
	s_and_not1_b32 exec_lo, exec_lo, s17
	s_cbranch_execnz .LBB126_74
; %bb.75:                               ;   in Loop: Header=BB126_32 Depth=1
	s_or_b32 exec_lo, exec_lo, s17
.LBB126_76:                             ;   in Loop: Header=BB126_32 Depth=1
	s_delay_alu instid0(SALU_CYCLE_1)
	s_or_b32 exec_lo, exec_lo, s15
	v_add_co_u32 v21, s4, s18, v0
	v_and_b32_e32 v12, 0xffff, v12
	s_wait_alu 0xf1ff
	v_add_co_ci_u32_e64 v22, null, s19, 0, s4
	s_mov_b32 s8, exec_lo
	v_cmpx_gt_u64_e64 s[24:25], v[21:22]
	s_cbranch_execz .LBB126_82
; %bb.77:                               ;   in Loop: Header=BB126_32 Depth=1
	v_mul_lo_u32 v17, v22, s50
	v_mul_lo_u32 v33, v21, s51
	v_mad_co_u64_u32 v[23:24], null, v21, s50, 0
	s_mov_b32 s9, 0
	v_add3_u32 v24, v24, v33, v17
	s_delay_alu instid0(VALU_DEP_1) | instskip(NEXT) | instid1(VALU_DEP_1)
	v_lshlrev_b64_e32 v[23:24], 2, v[23:24]
	v_add_co_u32 v23, vcc_lo, s58, v23
	s_wait_alu 0xfffd
	s_delay_alu instid0(VALU_DEP_2)
	v_add_co_ci_u32_e64 v24, null, s59, v24, vcc_lo
	global_load_b32 v23, v[23:24], off
	s_branch .LBB126_79
.LBB126_78:                             ;   in Loop: Header=BB126_79 Depth=2
	s_wait_alu 0xfffe
	s_or_b32 exec_lo, exec_lo, s5
	s_wait_loadcnt 0x0
	v_cmp_lt_i32_e64 s4, -1, v23
	s_and_b32 s5, exec_lo, vcc_lo
	s_wait_alu 0xfffe
	s_or_b32 s9, s5, s9
	v_cndmask_b32_e64 v24, -1, 0x80000000, s4
	v_cmp_o_f32_e64 s4, v23, v23
	s_delay_alu instid0(VALU_DEP_2) | instskip(SKIP_1) | instid1(VALU_DEP_1)
	v_xor_b32_e32 v24, v24, v23
	s_wait_alu 0xf1ff
	v_cndmask_b32_e64 v23, -1, v24, s4
	s_delay_alu instid0(VALU_DEP_1) | instskip(SKIP_1) | instid1(VALU_DEP_2)
	v_and_b32_e32 v24, v23, v32
	v_bfe_u32 v23, v23, s93, 2
	v_cmp_eq_u32_e32 vcc_lo, v24, v28
	s_delay_alu instid0(VALU_DEP_2)
	v_cmp_eq_u32_e64 s4, 0, v23
	v_cmp_eq_u32_e64 s5, 1, v23
	;; [unrolled: 1-line block ×4, first 2 shown]
	s_and_b32 s4, vcc_lo, s4
	s_wait_alu 0xfffe
	v_cndmask_b32_e64 v23, 0, 1, s4
	s_and_b32 s4, vcc_lo, s5
	s_wait_alu 0xfffe
	v_cndmask_b32_e64 v24, 0, 1, s4
	;; [unrolled: 3-line block ×3, first 2 shown]
	s_and_b32 s4, vcc_lo, s7
	v_cmp_ne_u32_e32 vcc_lo, 0, v23
	s_wait_alu 0xfffe
	v_cndmask_b32_e64 v34, 0, 1, s4
	v_cmp_ne_u32_e64 s4, 0, v24
	v_cmp_ne_u32_e64 s5, 0, v33
	v_mov_b32_e32 v23, v17
	s_bcnt1_i32_b32 s7, vcc_lo
	v_cmp_ne_u32_e64 s6, 0, v34
	s_bcnt1_i32_b32 s4, s4
	s_wait_alu 0xfffe
	v_add_co_u32 v2, vcc_lo, v2, s7
	s_bcnt1_i32_b32 s5, s5
	s_wait_alu 0xfffd
	v_add_co_ci_u32_e64 v3, null, 0, v3, vcc_lo
	v_add_co_u32 v4, vcc_lo, v4, s4
	s_wait_alu 0xfffd
	v_add_co_ci_u32_e64 v5, null, 0, v5, vcc_lo
	s_wait_alu 0xfffe
	v_add_co_u32 v6, vcc_lo, v6, s5
	s_bcnt1_i32_b32 s4, s6
	s_wait_alu 0xfffd
	v_add_co_ci_u32_e64 v7, null, 0, v7, vcc_lo
	s_wait_alu 0xfffe
	v_add_co_u32 v8, vcc_lo, v8, s4
	s_wait_alu 0xfffd
	v_add_co_ci_u32_e64 v9, null, 0, v9, vcc_lo
	s_and_not1_b32 exec_lo, exec_lo, s9
	s_cbranch_execz .LBB126_81
.LBB126_79:                             ;   Parent Loop BB126_32 Depth=1
                                        ; =>  This Inner Loop Header: Depth=2
	v_add_co_u32 v21, vcc_lo, v21, v12
	s_wait_alu 0xfffd
	v_add_co_ci_u32_e64 v22, null, 0, v22, vcc_lo
	v_mov_b32_e32 v17, 0
	s_mov_b32 s5, exec_lo
	s_delay_alu instid0(VALU_DEP_2)
	v_cmp_le_u64_e32 vcc_lo, s[24:25], v[21:22]
	v_cmpx_gt_u64_e64 s[24:25], v[21:22]
	s_cbranch_execz .LBB126_78
; %bb.80:                               ;   in Loop: Header=BB126_79 Depth=2
	v_mul_lo_u32 v17, v22, s50
	v_mul_lo_u32 v24, v21, s51
	v_mad_co_u64_u32 v[33:34], null, v21, s50, 0
	s_delay_alu instid0(VALU_DEP_1) | instskip(NEXT) | instid1(VALU_DEP_1)
	v_add3_u32 v34, v34, v24, v17
	v_lshlrev_b64_e32 v[33:34], 2, v[33:34]
	s_delay_alu instid0(VALU_DEP_1) | instskip(SKIP_1) | instid1(VALU_DEP_2)
	v_add_co_u32 v33, s4, s58, v33
	s_wait_alu 0xf1ff
	v_add_co_ci_u32_e64 v34, null, s59, v34, s4
	global_load_b32 v17, v[33:34], off
	s_branch .LBB126_78
.LBB126_81:                             ;   in Loop: Header=BB126_32 Depth=1
	s_or_b32 exec_lo, exec_lo, s9
.LBB126_82:                             ;   in Loop: Header=BB126_32 Depth=1
	s_wait_alu 0xfffe
	s_or_b32 exec_lo, exec_lo, s8
	s_branch .LBB126_61
.LBB126_83:                             ;   in Loop: Header=BB126_32 Depth=1
	global_load_u16 v2, v13, s[74:75]
	v_mov_b32_e32 v4, 0
	v_mov_b32_e32 v6, 0
	v_dual_mov_b32 v8, 0 :: v_dual_mov_b32 v7, 0
	v_mov_b32_e32 v9, 0
	s_mov_b32 vcc_hi, exec_lo
	v_mov_b32_e32 v5, 0
	s_wait_loadcnt 0x0
	v_readfirstlane_b32 s4, v2
	v_and_b32_e32 v12, 0xffff, v2
	s_and_b32 s103, 0xffff, s4
	s_delay_alu instid0(SALU_CYCLE_1) | instskip(SKIP_4) | instid1(SALU_CYCLE_1)
	s_lshl_b32 s77, s103, 2
	s_wait_alu 0xfffe
	s_cvt_f32_u32 s4, s77
	s_sub_co_i32 s5, 0, s77
	s_wait_alu 0xfffe
	v_rcp_iflag_f32_e32 v3, s4
	s_delay_alu instid0(TRANS32_DEP_1) | instskip(SKIP_2) | instid1(SALU_CYCLE_2)
	v_readfirstlane_b32 s4, v3
	s_mul_f32 s4, s4, 0x4f7ffffe
	s_wait_alu 0xfffe
	s_cvt_u32_f32 s4, s4
	s_wait_alu 0xfffe
	s_delay_alu instid0(SALU_CYCLE_2)
	s_mul_i32 s5, s5, s4
	s_wait_alu 0xfffe
	s_mul_hi_u32 s5, s4, s5
	s_wait_alu 0xfffe
	s_add_co_i32 s4, s4, s5
	s_wait_alu 0xfffe
	s_mul_hi_u32 s4, s76, s4
	s_wait_alu 0xfffe
	s_mul_i32 s5, s4, s77
	s_add_co_i32 s6, s4, 1
	s_wait_alu 0xfffe
	s_sub_co_i32 s5, s76, s5
	s_wait_alu 0xfffe
	s_sub_co_i32 s7, s5, s77
	s_cmp_ge_u32 s5, s77
	s_cselect_b32 s4, s6, s4
	s_wait_alu 0xfffe
	s_cselect_b32 s5, s7, s5
	s_add_co_i32 s6, s4, 1
	s_wait_alu 0xfffe
	s_cmp_ge_u32 s5, s77
	s_cselect_b32 s104, s6, s4
	s_wait_alu 0xfffe
	v_mul_hi_u32 v3, s104, v12
	v_mul_lo_u32 v2, s104, v12
	s_delay_alu instid0(VALU_DEP_1) | instskip(SKIP_2) | instid1(VALU_DEP_3)
	v_lshlrev_b64_e32 v[21:22], 2, v[2:3]
	v_mov_b32_e32 v2, 0
	v_mov_b32_e32 v3, 0
	v_cmpx_gt_u64_e64 v[21:22], v[10:11]
	s_cbranch_execz .LBB126_87
; %bb.84:                               ;   in Loop: Header=BB126_32 Depth=1
	v_dual_mov_b32 v17, v30 :: v_dual_mov_b32 v24, v11
	v_mov_b32_e32 v23, v10
	s_lshl_b32 s56, s103, 4
	s_mov_b64 s[78:79], 0
	s_mov_b32 s57, 0
	s_mov_b64 s[80:81], 0
	s_mov_b64 s[82:83], 0
	;; [unrolled: 1-line block ×3, first 2 shown]
.LBB126_85:                             ;   Parent Loop BB126_32 Depth=1
                                        ; =>  This Inner Loop Header: Depth=2
	ds_load_b128 v[2:5], v17
	s_wait_dscnt 0x0
	v_cmp_lt_i32_e32 vcc_lo, -1, v2
	v_cmp_lt_i32_e64 s4, -1, v3
	v_cmp_lt_i32_e64 s5, -1, v4
	;; [unrolled: 1-line block ×3, first 2 shown]
	v_cmp_o_f32_e64 s10, v2, v2
	s_wait_alu 0xfffd
	v_cndmask_b32_e64 v6, -1, 0x80000000, vcc_lo
	s_wait_alu 0xf1ff
	v_cndmask_b32_e64 v7, -1, 0x80000000, s4
	v_cmp_o_f32_e64 s7, v3, v3
	v_cmp_o_f32_e64 s8, v4, v4
	;; [unrolled: 1-line block ×3, first 2 shown]
	v_xor_b32_e32 v2, v6, v2
	v_cndmask_b32_e64 v6, -1, 0x80000000, s5
	v_xor_b32_e32 v3, v7, v3
	v_add_co_u32 v23, vcc_lo, v23, s77
	s_delay_alu instid0(VALU_DEP_4) | instskip(NEXT) | instid1(VALU_DEP_4)
	v_cndmask_b32_e64 v2, -1, v2, s10
	v_xor_b32_e32 v4, v6, v4
	v_cndmask_b32_e64 v6, -1, 0x80000000, s6
	s_wait_alu 0xf1ff
	v_cndmask_b32_e64 v3, -1, v3, s7
	s_wait_alu 0xfffd
	v_add_co_ci_u32_e64 v24, null, 0, v24, vcc_lo
	v_cndmask_b32_e64 v4, -1, v4, s8
	v_xor_b32_e32 v5, v6, v5
	v_and_b32_e32 v6, v2, v32
	v_and_b32_e32 v7, v3, v32
	v_bfe_u32 v2, v2, s93, 2
	v_bfe_u32 v3, v3, s93, 2
	v_cndmask_b32_e64 v5, -1, v5, s9
	v_cmp_eq_u32_e64 s4, v6, v28
	v_and_b32_e32 v6, v4, v32
	v_bfe_u32 v4, v4, s93, 2
	v_cmp_eq_u32_e64 s5, v7, v28
	v_and_b32_e32 v7, v5, v32
	v_bfe_u32 v5, v5, s93, 2
	v_cmp_eq_u32_e64 s8, 0, v2
	v_cmp_eq_u32_e64 s9, 0, v3
	;; [unrolled: 1-line block ×9, first 2 shown]
	s_and_b32 s8, s4, s8
	s_and_b32 s9, s5, s9
	v_cmp_eq_u32_e64 s13, 1, v3
	v_cmp_eq_u32_e64 s16, 2, v2
	;; [unrolled: 1-line block ×5, first 2 shown]
	s_and_b32 s10, s6, s10
	s_wait_alu 0xfffe
	v_cndmask_b32_e64 v2, 0, 1, s8
	v_cndmask_b32_e64 v3, 0, 1, s9
	s_and_b32 s11, s7, s11
	v_cmp_eq_u32_e64 s18, 2, v4
	v_cmp_eq_u32_e64 s22, 3, v4
	v_cndmask_b32_e64 v4, 0, 1, s10
	v_cmp_eq_u32_e64 s19, 2, v5
	v_cmp_eq_u32_e64 s23, 3, v5
	s_and_b32 s12, s4, s12
	s_and_b32 s14, s6, s14
	;; [unrolled: 1-line block ×3, first 2 shown]
	s_wait_alu 0xfffe
	v_cndmask_b32_e64 v5, 0, 1, s11
	s_and_b32 s13, s5, s13
	s_and_b32 s16, s4, s16
	;; [unrolled: 1-line block ×5, first 2 shown]
	v_cndmask_b32_e64 v6, 0, 1, s12
	v_cmp_ne_u32_e64 s4, 0, v2
	v_cndmask_b32_e64 v2, 0, 1, s14
	v_cmp_ne_u32_e64 s5, 0, v3
	v_cndmask_b32_e64 v3, 0, 1, s15
	s_wait_alu 0xfffe
	v_cndmask_b32_e64 v7, 0, 1, s13
	s_and_b32 s18, s6, s18
	s_and_b32 s22, s6, s22
	v_cmp_ne_u32_e64 s6, 0, v4
	v_cndmask_b32_e64 v4, 0, 1, s16
	s_and_b32 s19, s7, s19
	s_and_b32 s23, s7, s23
	v_cmp_ne_u32_e64 s7, 0, v5
	v_cndmask_b32_e64 v5, 0, 1, s17
	v_cmp_ne_u32_e64 s8, 0, v6
	s_wait_alu 0xfffe
	v_cndmask_b32_e64 v6, 0, 1, s18
	v_cmp_ne_u32_e64 s10, 0, v2
	v_cndmask_b32_e64 v2, 0, 1, s20
	v_cmp_ne_u32_e64 s11, 0, v3
	;; [unrolled: 2-line block ×5, first 2 shown]
	v_cndmask_b32_e64 v5, 0, 1, s23
	s_bcnt1_i32_b32 s4, s4
	s_bcnt1_i32_b32 s5, s5
	v_cmp_ne_u32_e64 s14, 0, v6
	v_cmp_ne_u32_e64 s16, 0, v2
	;; [unrolled: 1-line block ×3, first 2 shown]
	s_bcnt1_i32_b32 s6, s6
	s_bcnt1_i32_b32 s8, s8
	;; [unrolled: 1-line block ×3, first 2 shown]
	s_wait_alu 0xfffe
	s_add_co_i32 s4, s5, s4
	v_cmp_ne_u32_e64 s15, 0, v7
	v_cmp_ne_u32_e64 s18, 0, v4
	s_bcnt1_i32_b32 s7, s7
	s_bcnt1_i32_b32 s10, s10
	;; [unrolled: 1-line block ×4, first 2 shown]
	s_add_co_i32 s5, s9, s8
	s_wait_alu 0xfffe
	s_add_co_i32 s4, s4, s6
	v_cmp_ne_u32_e64 s19, 0, v5
	s_bcnt1_i32_b32 s11, s11
	s_bcnt1_i32_b32 s14, s14
	;; [unrolled: 1-line block ×4, first 2 shown]
	s_add_co_i32 s8, s13, s12
	s_add_co_i32 s5, s5, s10
	s_wait_alu 0xfffe
	s_add_co_i32 s68, s4, s7
	s_bcnt1_i32_b32 s15, s15
	s_bcnt1_i32_b32 s18, s18
	s_add_co_i32 s9, s17, s16
	s_add_co_i32 s6, s8, s14
	s_wait_alu 0xfffe
	s_add_nc_u64 s[84:85], s[84:85], s[68:69]
	s_add_co_i32 s68, s5, s11
	s_bcnt1_i32_b32 s19, s19
	s_add_co_i32 s8, s9, s18
	s_wait_alu 0xfffe
	s_add_nc_u64 s[82:83], s[82:83], s[68:69]
	s_add_co_i32 s68, s6, s15
	v_cmp_ge_u64_e32 vcc_lo, v[23:24], v[21:22]
	s_wait_alu 0xfffe
	s_add_nc_u64 s[80:81], s[80:81], s[68:69]
	s_add_co_i32 s68, s8, s19
	v_dual_mov_b32 v2, s84 :: v_dual_add_nc_u32 v17, s56, v17
	s_wait_alu 0xfffe
	s_add_nc_u64 s[78:79], s[78:79], s[68:69]
	v_mov_b32_e32 v4, s82
	s_wait_alu 0xfffe
	v_dual_mov_b32 v8, s78 :: v_dual_mov_b32 v3, s85
	v_dual_mov_b32 v5, s83 :: v_dual_mov_b32 v6, s80
	v_mov_b32_e32 v7, s81
	v_mov_b32_e32 v9, s79
	s_or_b32 s57, vcc_lo, s57
	s_wait_alu 0xfffe
	s_and_not1_b32 exec_lo, exec_lo, s57
	s_cbranch_execnz .LBB126_85
; %bb.86:                               ;   in Loop: Header=BB126_32 Depth=1
	s_or_b32 exec_lo, exec_lo, s57
.LBB126_87:                             ;   in Loop: Header=BB126_32 Depth=1
	s_delay_alu instid0(SALU_CYCLE_1)
	s_or_b32 exec_lo, exec_lo, vcc_hi
	v_add_co_u32 v21, vcc_lo, v21, v0
	s_wait_alu 0xfffd
	v_add_co_ci_u32_e64 v22, null, 0, v22, vcc_lo
	s_and_b32 s68, s76, 0x7fffffff
	s_mov_b32 s9, exec_lo
	s_wait_alu 0xfffe
	v_cmpx_gt_u64_e64 s[68:69], v[21:22]
	s_cbranch_execz .LBB126_91
; %bb.88:                               ;   in Loop: Header=BB126_32 Depth=1
	s_mul_i32 s104, s104, s103
	s_mov_b32 s10, 0
	s_wait_alu 0xfffe
	v_lshl_add_u32 v17, s104, 4, v10
.LBB126_89:                             ;   Parent Loop BB126_32 Depth=1
                                        ; =>  This Inner Loop Header: Depth=2
	ds_load_b32 v23, v17
	v_add_co_u32 v21, vcc_lo, v21, v12
	s_wait_alu 0xfffd
	v_add_co_ci_u32_e64 v22, null, 0, v22, vcc_lo
	v_add_nc_u32_e32 v17, s77, v17
	s_delay_alu instid0(VALU_DEP_2) | instskip(SKIP_3) | instid1(VALU_DEP_1)
	v_cmp_le_u64_e32 vcc_lo, s[68:69], v[21:22]
	s_wait_dscnt 0x0
	v_cmp_lt_i32_e64 s4, -1, v23
	s_wait_alu 0xf1ff
	v_cndmask_b32_e64 v24, -1, 0x80000000, s4
	v_cmp_o_f32_e64 s4, v23, v23
	s_delay_alu instid0(VALU_DEP_2) | instskip(SKIP_1) | instid1(VALU_DEP_1)
	v_xor_b32_e32 v24, v24, v23
	s_wait_alu 0xf1ff
	v_cndmask_b32_e64 v23, -1, v24, s4
	s_delay_alu instid0(VALU_DEP_1) | instskip(SKIP_1) | instid1(VALU_DEP_2)
	v_and_b32_e32 v24, v23, v32
	v_bfe_u32 v23, v23, s93, 2
	v_cmp_eq_u32_e64 s4, v24, v28
	s_delay_alu instid0(VALU_DEP_2)
	v_cmp_eq_u32_e64 s5, 0, v23
	v_cmp_eq_u32_e64 s6, 1, v23
	v_cmp_eq_u32_e64 s7, 2, v23
	v_cmp_eq_u32_e64 s8, 3, v23
	s_and_b32 s5, s4, s5
	s_wait_alu 0xfffe
	v_cndmask_b32_e64 v23, 0, 1, s5
	s_and_b32 s5, s4, s6
	s_wait_alu 0xfffe
	v_cndmask_b32_e64 v24, 0, 1, s5
	s_and_b32 s5, s4, s7
	s_and_b32 s4, s4, s8
	s_wait_alu 0xfffe
	v_cndmask_b32_e64 v33, 0, 1, s5
	v_cndmask_b32_e64 v34, 0, 1, s4
	v_cmp_ne_u32_e64 s4, 0, v23
	v_cmp_ne_u32_e64 s5, 0, v24
	s_delay_alu instid0(VALU_DEP_4) | instskip(NEXT) | instid1(VALU_DEP_4)
	v_cmp_ne_u32_e64 s6, 0, v33
	v_cmp_ne_u32_e64 s7, 0, v34
	s_bcnt1_i32_b32 s4, s4
	s_bcnt1_i32_b32 s5, s5
	s_wait_alu 0xfffe
	v_add_co_u32 v2, s4, v2, s4
	s_bcnt1_i32_b32 s6, s6
	v_add_co_ci_u32_e64 v3, null, 0, v3, s4
	v_add_co_u32 v4, s4, v4, s5
	s_bcnt1_i32_b32 s7, s7
	v_add_co_ci_u32_e64 v5, null, 0, v5, s4
	s_wait_alu 0xfffe
	v_add_co_u32 v6, s4, v6, s6
	s_wait_alu 0xf1ff
	v_add_co_ci_u32_e64 v7, null, 0, v7, s4
	v_add_co_u32 v8, s4, v8, s7
	s_wait_alu 0xf1ff
	v_add_co_ci_u32_e64 v9, null, 0, v9, s4
	s_or_b32 s10, vcc_lo, s10
	s_wait_alu 0xfffe
	s_and_not1_b32 exec_lo, exec_lo, s10
	s_cbranch_execnz .LBB126_89
; %bb.90:                               ;   in Loop: Header=BB126_32 Depth=1
	s_or_b32 exec_lo, exec_lo, s10
.LBB126_91:                             ;   in Loop: Header=BB126_32 Depth=1
	s_wait_alu 0xfffe
	s_or_b32 exec_lo, exec_lo, s9
	s_lshl_b32 s4, s96, 7
	s_and_saveexec_b32 s5, s1
	s_cbranch_execnz .LBB126_62
	s_branch .LBB126_63
.LBB126_92:                             ;   in Loop: Header=BB126_32 Depth=1
                                        ; implicit-def: $sgpr4_sgpr5
	s_branch .LBB126_71
.LBB126_93:                             ;   in Loop: Header=BB126_32 Depth=1
	s_mov_b32 s6, 0
	s_and_not1_b32 vcc_lo, exec_lo, s91
	s_wait_alu 0xfffe
	s_cbranch_vccnz .LBB126_96
.LBB126_94:                             ;   in Loop: Header=BB126_32 Depth=1
	s_lshl_b32 s7, s96, 10
	s_lshl_b32 s6, s6, 5
	s_wait_alu 0xfffe
	v_add3_u32 v4, s7, s6, v31
	s_mov_b32 s6, s88
.LBB126_95:                             ;   Parent Loop BB126_32 Depth=1
                                        ; =>  This Inner Loop Header: Depth=2
	ds_load_b64 v[5:6], v4
	v_add_nc_u32_e32 v4, 32, v4
	s_wait_alu 0xfffe
	s_add_co_i32 s6, s6, -1
	s_wait_alu 0xfffe
	s_cmp_lg_u32 s6, 0
	s_wait_dscnt 0x0
	v_add_co_u32 v2, vcc_lo, v5, v2
	s_wait_alu 0xfffd
	v_add_co_ci_u32_e64 v3, null, v6, v3, vcc_lo
	s_cbranch_scc1 .LBB126_95
.LBB126_96:                             ;   in Loop: Header=BB126_32 Depth=1
	v_add_lshl_u32 v4, s4, v25, 3
	ds_store_b64 v4, v[2:3] offset:3072
.LBB126_97:                             ;   in Loop: Header=BB126_32 Depth=1
	s_wait_alu 0xfffe
	s_or_b32 exec_lo, exec_lo, s5
	s_lshl_b32 s4, s4, 3
	s_wait_loadcnt_dscnt 0x0
	s_wait_alu 0xfffe
	v_mov_b32_e32 v6, s4
	s_barrier_signal -1
	s_barrier_wait -1
	global_inv scope:SCOPE_SE
	v_cmp_eq_u64_e32 vcc_lo, 1, v[19:20]
	ds_load_b128 v[2:5], v6 offset:3072
	ds_load_b128 v[6:9], v6 offset:3088
	s_lshl_b32 s14, 3, s93
	s_mov_b32 s16, -1
	s_wait_alu 0xfffe
	s_not_b32 s18, s14
                                        ; implicit-def: $sgpr20
                                        ; implicit-def: $sgpr19
	s_wait_dscnt 0x1
	v_cmp_eq_u64_e64 s4, 1, v[2:3]
	s_wait_dscnt 0x0
	v_readfirstlane_b32 s8, v6
	v_readfirstlane_b32 s9, v7
	;; [unrolled: 1-line block ×4, first 2 shown]
	s_and_b32 s17, s4, vcc_lo
	s_mov_b32 s4, -1
	s_wait_alu 0xfffe
	s_and_saveexec_b32 s15, s17
	s_cbranch_execz .LBB126_131
; %bb.98:                               ;   in Loop: Header=BB126_32 Depth=1
	ds_load_b64 v[6:7], v13 offset:5120
	s_wait_loadcnt_dscnt 0x0
	s_barrier_signal -1
	s_barrier_wait -1
	global_inv scope:SCOPE_SE
	v_readfirstlane_b32 s4, v6
	v_readfirstlane_b32 s5, v7
	s_and_saveexec_b32 s10, s0
; %bb.99:                               ;   in Loop: Header=BB126_32 Depth=1
	ds_store_b32 v26, v13
; %bb.100:                              ;   in Loop: Header=BB126_32 Depth=1
	s_wait_alu 0xfffe
	s_or_b32 exec_lo, exec_lo, s10
	v_and_b32_e32 v28, s18, v28
	v_or_b32_e32 v32, s14, v32
	s_mov_b32 s19, -1
	s_mov_b32 s20, 0
	s_cmp_eq_u64 s[4:5], 0
	s_mov_b32 s12, 0
	s_mov_b32 s13, -1
	s_wait_loadcnt_dscnt 0x0
	s_barrier_signal -1
	s_barrier_wait -1
	global_inv scope:SCOPE_SE
                                        ; implicit-def: $vgpr18
	s_cbranch_scc1 .LBB126_115
; %bb.101:                              ;   in Loop: Header=BB126_32 Depth=1
	s_add_nc_u64 s[10:11], s[4:5], s[70:71]
	s_mov_b32 s12, s69
	s_wait_alu 0xfffe
	s_mov_b32 s13, s11
	s_wait_alu 0xfffe
	s_cmp_lg_u64 s[12:13], 0
	s_cbranch_scc0 .LBB126_158
; %bb.102:                              ;   in Loop: Header=BB126_32 Depth=1
	s_cvt_f32_u32 s12, s66
	s_sub_nc_u64 s[22:23], 0, s[66:67]
	s_wait_alu 0xfffe
	s_delay_alu instid0(SALU_CYCLE_1) | instskip(SKIP_1) | instid1(SALU_CYCLE_2)
	s_fmamk_f32 s12, s95, 0x0, s12
	s_wait_alu 0xfffe
	v_s_rcp_f32 s12, s12
	s_delay_alu instid0(TRANS32_DEP_1) | instskip(SKIP_1) | instid1(SALU_CYCLE_2)
	s_mul_f32 s12, s12, 0x5f7ffffc
	s_wait_alu 0xfffe
	s_mul_f32 s13, s12, 0x2f800000
	s_wait_alu 0xfffe
	s_delay_alu instid0(SALU_CYCLE_2) | instskip(SKIP_1) | instid1(SALU_CYCLE_2)
	s_trunc_f32 s13, s13
	s_wait_alu 0xfffe
	s_fmamk_f32 s12, s13, 0xcf800000, s12
	s_cvt_u32_f32 s13, s13
	s_wait_alu 0xfffe
	s_delay_alu instid0(SALU_CYCLE_1) | instskip(SKIP_1) | instid1(SALU_CYCLE_2)
	s_cvt_u32_f32 s12, s12
	s_wait_alu 0xfffe
	s_mul_u64 s[56:57], s[22:23], s[12:13]
	s_wait_alu 0xfffe
	s_mul_hi_u32 s77, s12, s57
	s_mul_i32 s76, s12, s57
	s_mul_hi_u32 s68, s12, s56
	s_mul_i32 s78, s13, s56
	s_wait_alu 0xfffe
	s_add_nc_u64 s[76:77], s[68:69], s[76:77]
	s_mul_hi_u32 s21, s13, s56
	s_mul_hi_u32 s79, s13, s57
	s_mul_i32 s56, s13, s57
	s_wait_alu 0xfffe
	s_add_co_u32 s57, s76, s78
	s_add_co_ci_u32 s68, s77, s21
	s_add_co_ci_u32 s57, s79, 0
	s_wait_alu 0xfffe
	s_add_nc_u64 s[56:57], s[68:69], s[56:57]
	s_wait_alu 0xfffe
	s_add_co_u32 s12, s12, s56
	s_cselect_b32 s21, -1, 0
	s_wait_alu 0xfffe
	s_cmp_lg_u32 s21, 0
	s_add_co_ci_u32 s13, s13, s57
	s_wait_alu 0xfffe
	s_mul_u64 s[22:23], s[22:23], s[12:13]
	s_wait_alu 0xfffe
	s_mul_hi_u32 s57, s12, s23
	s_mul_i32 s56, s12, s23
	s_mul_hi_u32 s68, s12, s22
	s_mul_i32 s76, s13, s22
	s_wait_alu 0xfffe
	s_add_nc_u64 s[56:57], s[68:69], s[56:57]
	s_mul_hi_u32 s21, s13, s22
	s_mul_hi_u32 s77, s13, s23
	s_mul_i32 s22, s13, s23
	s_wait_alu 0xfffe
	s_add_co_u32 s23, s56, s76
	s_add_co_ci_u32 s68, s57, s21
	s_add_co_ci_u32 s23, s77, 0
	s_wait_alu 0xfffe
	s_add_nc_u64 s[22:23], s[68:69], s[22:23]
	s_wait_alu 0xfffe
	s_add_co_u32 s12, s12, s22
	s_cselect_b32 s21, -1, 0
	s_wait_alu 0xfffe
	s_mul_hi_u32 s68, s10, s12
	s_cmp_lg_u32 s21, 0
	s_mul_hi_u32 s21, s11, s12
	s_add_co_ci_u32 s22, s13, s23
	s_mul_i32 s23, s11, s12
	s_wait_alu 0xfffe
	s_mul_hi_u32 s13, s10, s22
	s_mul_i32 s12, s10, s22
	s_mul_hi_u32 s56, s11, s22
	s_wait_alu 0xfffe
	s_add_nc_u64 s[12:13], s[68:69], s[12:13]
	s_mul_i32 s22, s11, s22
	s_wait_alu 0xfffe
	s_add_co_u32 s12, s12, s23
	s_add_co_ci_u32 s68, s13, s21
	s_add_co_ci_u32 s23, s56, 0
	s_wait_alu 0xfffe
	s_add_nc_u64 s[12:13], s[68:69], s[22:23]
	s_wait_alu 0xfffe
	s_mul_u64 s[12:13], s[66:67], s[12:13]
	s_wait_alu 0xfffe
	s_sub_co_u32 s12, s10, s12
	s_cselect_b32 s21, -1, 0
	s_wait_alu 0xfffe
	s_cmp_lg_u32 s21, 0
	s_sub_co_ci_u32 s13, s11, s13
	s_sub_co_u32 s21, s12, s66
	s_cselect_b32 s22, -1, 0
	s_wait_alu 0xfffe
	s_cmp_lg_u32 s22, 0
	s_sub_co_ci_u32 s22, s13, 0
	;; [unrolled: 5-line block ×3, first 2 shown]
	s_cmp_ge_u32 s21, s66
	s_cselect_b32 s57, -1, 0
	s_cmp_eq_u32 s22, 0
	s_wait_alu 0xfffe
	s_cselect_b32 s57, s57, -1
	s_wait_alu 0xfffe
	s_cmp_lg_u32 s57, 0
	s_cselect_b32 s22, s56, s22
	s_cselect_b32 s21, s23, s21
	s_cmp_ge_u32 s12, s66
	s_cselect_b32 s23, -1, 0
	s_cmp_eq_u32 s13, 0
	s_wait_alu 0xfffe
	s_cselect_b32 s23, s23, -1
	s_wait_alu 0xfffe
	s_cmp_lg_u32 s23, 0
	s_cselect_b32 s13, s22, s13
	s_cselect_b32 s12, s21, s12
	s_cbranch_execnz .LBB126_104
.LBB126_103:                            ;   in Loop: Header=BB126_32 Depth=1
	v_cvt_f32_u32_e32 v6, s66
	s_sub_co_i32 s13, 0, s66
	s_delay_alu instid0(VALU_DEP_1) | instskip(NEXT) | instid1(TRANS32_DEP_1)
	v_rcp_iflag_f32_e32 v6, v6
	v_mul_f32_e32 v6, 0x4f7ffffe, v6
	s_delay_alu instid0(VALU_DEP_1) | instskip(NEXT) | instid1(VALU_DEP_1)
	v_cvt_u32_f32_e32 v6, v6
	v_readfirstlane_b32 s12, v6
	s_wait_alu 0xfffe
	s_mul_i32 s13, s13, s12
	s_wait_alu 0xfffe
	s_mul_hi_u32 s13, s12, s13
	s_wait_alu 0xfffe
	s_add_co_i32 s12, s12, s13
	s_wait_alu 0xfffe
	s_mul_hi_u32 s12, s10, s12
	s_wait_alu 0xfffe
	s_mul_i32 s12, s12, s66
	s_wait_alu 0xfffe
	s_sub_co_i32 s12, s10, s12
	s_wait_alu 0xfffe
	s_sub_co_i32 s13, s12, s66
	s_cmp_ge_u32 s12, s66
	s_wait_alu 0xfffe
	s_cselect_b32 s12, s13, s12
	s_wait_alu 0xfffe
	s_sub_co_i32 s13, s12, s66
	s_cmp_ge_u32 s12, s66
	s_wait_alu 0xfffe
	s_cselect_b32 s68, s13, s12
	s_wait_alu 0xfffe
	s_mov_b64 s[12:13], s[68:69]
.LBB126_104:                            ;   in Loop: Header=BB126_32 Depth=1
	s_wait_alu 0xfffe
	s_sub_nc_u64 s[10:11], s[10:11], s[12:13]
	s_mov_b32 s13, 0
	s_mov_b32 s12, 0
	s_mov_b32 s21, exec_lo
                                        ; implicit-def: $vgpr18
	s_wait_alu 0xfffe
	v_cmpx_gt_u64_e64 s[10:11], v[0:1]
	s_cbranch_execz .LBB126_114
; %bb.105:                              ;   in Loop: Header=BB126_32 Depth=1
	v_dual_mov_b32 v8, v10 :: v_dual_mov_b32 v7, v1
	v_mov_b32_e32 v6, v0
                                        ; implicit-def: $sgpr22
	s_branch .LBB126_109
.LBB126_106:                            ;   in Loop: Header=BB126_109 Depth=2
	s_wait_alu 0xfffe
	s_or_b32 exec_lo, exec_lo, s23
	s_wait_loadcnt_dscnt 0x0
	s_barrier_signal -1
	s_barrier_wait -1
	global_inv scope:SCOPE_SE
	ds_load_b64 v[17:18], v13 offset:3072
	s_wait_loadcnt_dscnt 0x0
	s_barrier_signal -1
	s_barrier_wait -1
	global_inv scope:SCOPE_SE
	v_cmp_neq_f32_e32 vcc_lo, 0, v17
	s_cbranch_vccnz .LBB126_112
; %bb.107:                              ;   in Loop: Header=BB126_109 Depth=2
	v_add_co_u32 v6, vcc_lo, v6, s66
	s_wait_alu 0xfffd
	v_add_co_ci_u32_e64 v7, null, 0, v7, vcc_lo
	v_add_nc_u32_e32 v8, s92, v8
	s_mov_b32 s23, 0
	s_delay_alu instid0(VALU_DEP_2)
	v_cmp_le_u64_e32 vcc_lo, s[10:11], v[6:7]
	s_or_not1_b32 s56, vcc_lo, exec_lo
.LBB126_108:                            ;   in Loop: Header=BB126_109 Depth=2
	s_wait_alu 0xfffe
	s_and_b32 s56, exec_lo, s56
	s_wait_alu 0xfffe
	s_or_b32 s12, s56, s12
	s_and_not1_b32 s22, s22, exec_lo
	s_and_b32 s23, s23, exec_lo
	s_wait_alu 0xfffe
	s_or_b32 s22, s22, s23
	s_and_not1_b32 exec_lo, exec_lo, s12
	s_cbranch_execz .LBB126_113
.LBB126_109:                            ;   Parent Loop BB126_32 Depth=1
                                        ; =>  This Inner Loop Header: Depth=2
	s_mov_b32 s23, exec_lo
	s_delay_alu instid0(VALU_DEP_1)
	v_cmpx_gt_u64_e64 s[4:5], v[6:7]
	s_cbranch_execz .LBB126_106
; %bb.110:                              ;   in Loop: Header=BB126_109 Depth=2
	ds_load_b32 v17, v8
	s_wait_dscnt 0x0
	v_cmp_lt_i32_e32 vcc_lo, -1, v17
	s_wait_alu 0xfffd
	v_cndmask_b32_e64 v9, -1, 0x80000000, vcc_lo
	v_cmp_o_f32_e32 vcc_lo, v17, v17
	s_delay_alu instid0(VALU_DEP_2) | instskip(SKIP_1) | instid1(VALU_DEP_1)
	v_xor_b32_e32 v9, v9, v17
	s_wait_alu 0xfffd
	v_cndmask_b32_e32 v9, -1, v9, vcc_lo
	s_delay_alu instid0(VALU_DEP_1) | instskip(NEXT) | instid1(VALU_DEP_1)
	v_and_b32_e32 v9, v9, v32
	v_cmp_eq_u32_e32 vcc_lo, v9, v28
	s_and_b32 exec_lo, exec_lo, vcc_lo
	s_cbranch_execz .LBB126_106
; %bb.111:                              ;   in Loop: Header=BB126_109 Depth=2
	ds_store_b64 v13, v[16:17] offset:3072
	s_branch .LBB126_106
.LBB126_112:                            ;   in Loop: Header=BB126_109 Depth=2
	s_mov_b32 s56, -1
	s_mov_b32 s23, -1
                                        ; implicit-def: $vgpr6_vgpr7
                                        ; implicit-def: $vgpr8
	s_branch .LBB126_108
.LBB126_113:                            ;   in Loop: Header=BB126_32 Depth=1
	s_or_b32 exec_lo, exec_lo, s12
	s_wait_alu 0xfffe
	s_and_b32 s12, s22, exec_lo
.LBB126_114:                            ;   in Loop: Header=BB126_32 Depth=1
	s_or_b32 exec_lo, exec_lo, s21
.LBB126_115:                            ;   in Loop: Header=BB126_32 Depth=1
	s_wait_alu 0xfffe
	s_and_b32 vcc_lo, exec_lo, s13
	s_wait_alu 0xfffe
	s_cbranch_vccz .LBB126_130
; %bb.116:                              ;   in Loop: Header=BB126_32 Depth=1
	s_mov_b32 s4, s69
	s_mov_b32 s5, s73
	s_wait_alu 0xfffe
	s_cmp_lg_u64 s[4:5], 0
	s_cbranch_scc0 .LBB126_162
; %bb.117:                              ;   in Loop: Header=BB126_32 Depth=1
	s_cvt_f32_u32 s4, s66
	s_sub_nc_u64 s[10:11], 0, s[66:67]
	s_wait_alu 0xfffe
	s_delay_alu instid0(SALU_CYCLE_1) | instskip(SKIP_1) | instid1(SALU_CYCLE_2)
	s_fmamk_f32 s4, s95, 0x0, s4
	s_wait_alu 0xfffe
	v_s_rcp_f32 s4, s4
	s_delay_alu instid0(TRANS32_DEP_1) | instskip(SKIP_1) | instid1(SALU_CYCLE_2)
	s_mul_f32 s4, s4, 0x5f7ffffc
	s_wait_alu 0xfffe
	s_mul_f32 s5, s4, 0x2f800000
	s_wait_alu 0xfffe
	s_delay_alu instid0(SALU_CYCLE_2) | instskip(SKIP_1) | instid1(SALU_CYCLE_2)
	s_trunc_f32 s5, s5
	s_wait_alu 0xfffe
	s_fmamk_f32 s4, s5, 0xcf800000, s4
	s_cvt_u32_f32 s5, s5
	s_wait_alu 0xfffe
	s_delay_alu instid0(SALU_CYCLE_1) | instskip(SKIP_1) | instid1(SALU_CYCLE_2)
	s_cvt_u32_f32 s4, s4
	s_wait_alu 0xfffe
	s_mul_u64 s[20:21], s[10:11], s[4:5]
	s_wait_alu 0xfffe
	s_mul_hi_u32 s23, s4, s21
	s_mul_i32 s22, s4, s21
	s_mul_hi_u32 s68, s4, s20
	s_mul_i32 s19, s5, s20
	s_wait_alu 0xfffe
	s_add_nc_u64 s[22:23], s[68:69], s[22:23]
	s_mul_hi_u32 s13, s5, s20
	s_mul_hi_u32 s56, s5, s21
	s_wait_alu 0xfffe
	s_add_co_u32 s19, s22, s19
	s_add_co_ci_u32 s68, s23, s13
	s_mul_i32 s20, s5, s21
	s_add_co_ci_u32 s21, s56, 0
	s_wait_alu 0xfffe
	s_add_nc_u64 s[20:21], s[68:69], s[20:21]
	s_wait_alu 0xfffe
	s_add_co_u32 s4, s4, s20
	s_cselect_b32 s13, -1, 0
	s_wait_alu 0xfffe
	s_cmp_lg_u32 s13, 0
	s_add_co_ci_u32 s5, s5, s21
	s_wait_alu 0xfffe
	s_mul_u64 s[10:11], s[10:11], s[4:5]
	s_wait_alu 0xfffe
	s_mul_hi_u32 s21, s4, s11
	s_mul_i32 s20, s4, s11
	s_mul_hi_u32 s68, s4, s10
	s_mul_i32 s19, s5, s10
	s_wait_alu 0xfffe
	s_add_nc_u64 s[20:21], s[68:69], s[20:21]
	s_mul_hi_u32 s13, s5, s10
	s_mul_hi_u32 s22, s5, s11
	s_mul_i32 s10, s5, s11
	s_wait_alu 0xfffe
	s_add_co_u32 s11, s20, s19
	s_add_co_ci_u32 s68, s21, s13
	s_add_co_ci_u32 s11, s22, 0
	s_wait_alu 0xfffe
	s_add_nc_u64 s[10:11], s[68:69], s[10:11]
	s_wait_alu 0xfffe
	s_add_co_u32 s4, s4, s10
	s_cselect_b32 s10, -1, 0
	s_wait_alu 0xfffe
	s_mul_hi_u32 s68, s72, s4
	s_cmp_lg_u32 s10, 0
	s_mul_hi_u32 s13, s73, s4
	s_add_co_ci_u32 s10, s5, s11
	s_mul_i32 s11, s73, s4
	s_wait_alu 0xfffe
	s_mul_hi_u32 s5, s72, s10
	s_mul_i32 s4, s72, s10
	s_mul_hi_u32 s19, s73, s10
	s_wait_alu 0xfffe
	s_add_nc_u64 s[4:5], s[68:69], s[4:5]
	s_mul_i32 s10, s73, s10
	s_wait_alu 0xfffe
	s_add_co_u32 s4, s4, s11
	s_add_co_ci_u32 s68, s5, s13
	s_add_co_ci_u32 s11, s19, 0
	s_wait_alu 0xfffe
	s_add_nc_u64 s[4:5], s[68:69], s[10:11]
	s_wait_alu 0xfffe
	s_mul_u64 s[4:5], s[66:67], s[4:5]
	s_wait_alu 0xfffe
	s_sub_co_u32 s4, s72, s4
	s_cselect_b32 s10, -1, 0
	s_wait_alu 0xfffe
	s_cmp_lg_u32 s10, 0
	s_sub_co_ci_u32 s5, s73, s5
	s_sub_co_u32 s10, s4, s66
	s_cselect_b32 s11, -1, 0
	s_wait_alu 0xfffe
	s_cmp_lg_u32 s11, 0
	s_sub_co_ci_u32 s11, s5, 0
	;; [unrolled: 5-line block ×3, first 2 shown]
	s_cmp_ge_u32 s10, s66
	s_cselect_b32 s20, -1, 0
	s_cmp_eq_u32 s11, 0
	s_wait_alu 0xfffe
	s_cselect_b32 s20, s20, -1
	s_wait_alu 0xfffe
	s_cmp_lg_u32 s20, 0
	s_cselect_b32 s11, s19, s11
	s_cselect_b32 s10, s13, s10
	s_cmp_ge_u32 s4, s66
	s_cselect_b32 s13, -1, 0
	s_cmp_eq_u32 s5, 0
	s_wait_alu 0xfffe
	s_cselect_b32 s13, s13, -1
	s_wait_alu 0xfffe
	s_cmp_lg_u32 s13, 0
	s_cselect_b32 s5, s11, s5
	s_cselect_b32 s4, s10, s4
	s_cbranch_execnz .LBB126_119
.LBB126_118:                            ;   in Loop: Header=BB126_32 Depth=1
	v_cvt_f32_u32_e32 v6, s66
	s_sub_co_i32 s5, 0, s66
	s_delay_alu instid0(VALU_DEP_1) | instskip(NEXT) | instid1(TRANS32_DEP_1)
	v_rcp_iflag_f32_e32 v6, v6
	v_mul_f32_e32 v6, 0x4f7ffffe, v6
	s_delay_alu instid0(VALU_DEP_1) | instskip(NEXT) | instid1(VALU_DEP_1)
	v_cvt_u32_f32_e32 v6, v6
	v_readfirstlane_b32 s4, v6
	s_wait_alu 0xfffe
	s_mul_i32 s5, s5, s4
	s_wait_alu 0xfffe
	s_mul_hi_u32 s5, s4, s5
	s_wait_alu 0xfffe
	s_add_co_i32 s4, s4, s5
	s_wait_alu 0xfffe
	s_mul_hi_u32 s4, s72, s4
	s_wait_alu 0xfffe
	s_mul_i32 s4, s4, s66
	s_wait_alu 0xfffe
	s_sub_co_i32 s4, s72, s4
	s_wait_alu 0xfffe
	s_sub_co_i32 s5, s4, s66
	s_cmp_ge_u32 s4, s66
	s_wait_alu 0xfffe
	s_cselect_b32 s4, s5, s4
	s_wait_alu 0xfffe
	s_sub_co_i32 s5, s4, s66
	s_cmp_ge_u32 s4, s66
	s_wait_alu 0xfffe
	s_cselect_b32 s68, s5, s4
	s_wait_alu 0xfffe
	s_mov_b64 s[4:5], s[68:69]
.LBB126_119:                            ;   in Loop: Header=BB126_32 Depth=1
	s_wait_alu 0xfffe
	s_sub_nc_u64 s[4:5], s[72:73], s[4:5]
	s_mov_b32 s10, exec_lo
                                        ; implicit-def: $vgpr18
	s_wait_alu 0xfffe
	v_cmpx_gt_u64_e64 s[4:5], v[0:1]
	s_cbranch_execz .LBB126_129
; %bb.120:                              ;   in Loop: Header=BB126_32 Depth=1
	v_dual_mov_b32 v7, v1 :: v_dual_mov_b32 v6, v0
	s_mov_b32 s11, 0
                                        ; implicit-def: $sgpr13
	s_branch .LBB126_124
.LBB126_121:                            ;   in Loop: Header=BB126_124 Depth=2
	s_wait_alu 0xfffe
	s_or_b32 exec_lo, exec_lo, s19
	s_wait_loadcnt_dscnt 0x0
	s_barrier_signal -1
	s_barrier_wait -1
	global_inv scope:SCOPE_SE
	ds_load_b64 v[17:18], v13 offset:3072
	s_wait_loadcnt_dscnt 0x0
	s_barrier_signal -1
	s_barrier_wait -1
	global_inv scope:SCOPE_SE
	v_cmp_neq_f32_e32 vcc_lo, 0, v17
	s_cbranch_vccnz .LBB126_127
; %bb.122:                              ;   in Loop: Header=BB126_124 Depth=2
	v_add_co_u32 v6, vcc_lo, v6, s66
	s_wait_alu 0xfffd
	v_add_co_ci_u32_e64 v7, null, 0, v7, vcc_lo
	s_mov_b32 s19, 0
	v_cmp_le_u64_e32 vcc_lo, s[4:5], v[6:7]
	s_or_not1_b32 s20, vcc_lo, exec_lo
.LBB126_123:                            ;   in Loop: Header=BB126_124 Depth=2
	s_wait_alu 0xfffe
	s_and_b32 s20, exec_lo, s20
	s_wait_alu 0xfffe
	s_or_b32 s11, s20, s11
	s_and_not1_b32 s13, s13, exec_lo
	s_and_b32 s19, s19, exec_lo
	s_wait_alu 0xfffe
	s_or_b32 s13, s13, s19
	s_and_not1_b32 exec_lo, exec_lo, s11
	s_cbranch_execz .LBB126_128
.LBB126_124:                            ;   Parent Loop BB126_32 Depth=1
                                        ; =>  This Inner Loop Header: Depth=2
	s_mov_b32 s19, exec_lo
	s_delay_alu instid0(VALU_DEP_1)
	v_cmpx_gt_u64_e64 s[24:25], v[6:7]
	s_cbranch_execz .LBB126_121
; %bb.125:                              ;   in Loop: Header=BB126_124 Depth=2
	v_mul_lo_u32 v12, v7, s50
	v_mul_lo_u32 v17, v6, s51
	v_mad_co_u64_u32 v[8:9], null, v6, s50, 0
	s_delay_alu instid0(VALU_DEP_1) | instskip(NEXT) | instid1(VALU_DEP_1)
	v_add3_u32 v9, v9, v17, v12
	v_lshlrev_b64_e32 v[8:9], 2, v[8:9]
	s_delay_alu instid0(VALU_DEP_1) | instskip(SKIP_1) | instid1(VALU_DEP_2)
	v_add_co_u32 v8, vcc_lo, s58, v8
	s_wait_alu 0xfffd
	v_add_co_ci_u32_e64 v9, null, s59, v9, vcc_lo
	global_load_b32 v17, v[8:9], off
	s_wait_loadcnt 0x0
	v_cmp_lt_i32_e32 vcc_lo, -1, v17
	s_wait_alu 0xfffd
	v_cndmask_b32_e64 v8, -1, 0x80000000, vcc_lo
	v_cmp_o_f32_e32 vcc_lo, v17, v17
	s_delay_alu instid0(VALU_DEP_2) | instskip(SKIP_1) | instid1(VALU_DEP_1)
	v_xor_b32_e32 v8, v8, v17
	s_wait_alu 0xfffd
	v_cndmask_b32_e32 v8, -1, v8, vcc_lo
	s_delay_alu instid0(VALU_DEP_1) | instskip(NEXT) | instid1(VALU_DEP_1)
	v_and_b32_e32 v8, v8, v32
	v_cmp_eq_u32_e32 vcc_lo, v8, v28
	s_and_b32 exec_lo, exec_lo, vcc_lo
	s_cbranch_execz .LBB126_121
; %bb.126:                              ;   in Loop: Header=BB126_124 Depth=2
	ds_store_b64 v13, v[16:17] offset:3072
	s_branch .LBB126_121
.LBB126_127:                            ;   in Loop: Header=BB126_124 Depth=2
	s_mov_b32 s20, -1
	s_mov_b32 s19, -1
                                        ; implicit-def: $vgpr6_vgpr7
	s_branch .LBB126_123
.LBB126_128:                            ;   in Loop: Header=BB126_32 Depth=1
	s_or_b32 exec_lo, exec_lo, s11
	s_delay_alu instid0(SALU_CYCLE_1)
	s_and_not1_b32 s4, s12, exec_lo
	s_wait_alu 0xfffe
	s_and_b32 s5, s13, exec_lo
	s_wait_alu 0xfffe
	s_or_b32 s12, s4, s5
.LBB126_129:                            ;   in Loop: Header=BB126_32 Depth=1
	s_or_b32 exec_lo, exec_lo, s10
	s_mov_b32 s19, 0
	s_mov_b32 s20, -1
.LBB126_130:                            ;   in Loop: Header=BB126_32 Depth=1
	s_wait_alu 0xfffe
	s_or_not1_b32 s4, s12, exec_lo
.LBB126_131:                            ;   in Loop: Header=BB126_32 Depth=1
	s_wait_alu 0xfffe
	s_or_b32 exec_lo, exec_lo, s15
	s_delay_alu instid0(SALU_CYCLE_1)
	s_and_not1_b32 s5, s101, exec_lo
	s_and_b32 s10, s20, exec_lo
	s_and_not1_b32 s11, s99, exec_lo
	s_and_b32 s12, s19, exec_lo
	s_and_not1_b32 s98, s98, exec_lo
	s_wait_alu 0xfffe
	s_or_b32 s101, s5, s10
	s_or_b32 s99, s11, s12
                                        ; implicit-def: $vgpr6_vgpr7
	s_and_saveexec_b32 s15, s4
	s_cbranch_execz .LBB126_31
; %bb.132:                              ;   in Loop: Header=BB126_32 Depth=1
	v_mov_b32_e32 v6, 1
	v_dual_mov_b32 v7, 0 :: v_dual_mov_b32 v8, 1
	s_xor_b32 s10, s17, -1
	s_mov_b32 s5, 0
	s_wait_alu 0xfffe
	s_and_saveexec_b32 s4, s10
	s_cbranch_execz .LBB126_141
; %bb.133:                              ;   in Loop: Header=BB126_32 Depth=1
	s_mov_b32 s5, exec_lo
	v_cmpx_le_u64_e64 v[19:20], v[2:3]
	s_wait_alu 0xfffe
	s_xor_b32 s5, exec_lo, s5
	s_cbranch_execz .LBB126_138
; %bb.134:                              ;   in Loop: Header=BB126_32 Depth=1
	ds_load_b64 v[6:7], v13 offset:5120
	v_and_b32_e32 v28, s18, v28
	v_or_b32_e32 v32, s14, v32
	s_wait_dscnt 0x0
	v_cmp_ne_u64_e32 vcc_lo, 0, v[6:7]
	s_cbranch_vccnz .LBB126_138
; %bb.135:                              ;   in Loop: Header=BB126_32 Depth=1
	s_and_saveexec_b32 s10, s3
; %bb.136:                              ;   in Loop: Header=BB126_32 Depth=1
	ds_store_b64 v13, v[2:3] offset:5128
; %bb.137:                              ;   in Loop: Header=BB126_32 Depth=1
	s_wait_alu 0xfffe
	s_or_b32 exec_lo, exec_lo, s10
	s_wait_loadcnt_dscnt 0x0
	s_barrier_signal -1
	s_barrier_wait -1
	global_inv scope:SCOPE_SE
.LBB126_138:                            ;   in Loop: Header=BB126_32 Depth=1
	s_wait_alu 0xfffe
	s_or_saveexec_b32 s5, s5
	v_mov_b32_e32 v8, 8
	s_mov_b32 s10, 0
	s_wait_alu 0xfffe
	s_xor_b32 exec_lo, exec_lo, s5
; %bb.139:                              ;   in Loop: Header=BB126_32 Depth=1
	v_sub_co_u32 v19, vcc_lo, v19, v2
	s_wait_alu 0xfffd
	v_sub_co_ci_u32_e64 v20, null, v20, v3, vcc_lo
	v_mov_b32_e32 v8, 0
	s_mov_b32 s10, exec_lo
; %bb.140:                              ;   in Loop: Header=BB126_32 Depth=1
	s_or_b32 exec_lo, exec_lo, s5
	s_delay_alu instid0(VALU_DEP_2)
	v_dual_mov_b32 v6, v19 :: v_dual_mov_b32 v7, v20
	s_wait_alu 0xfffe
	s_and_b32 s5, s10, exec_lo
.LBB126_141:                            ;   in Loop: Header=BB126_32 Depth=1
	s_wait_alu 0xfffe
	s_or_b32 exec_lo, exec_lo, s4
	s_mov_b32 s16, -1
	s_mov_b32 s4, -1
                                        ; implicit-def: $sgpr19
                                        ; implicit-def: $sgpr20
	s_and_saveexec_b32 s10, s5
	s_wait_alu 0xfffe
	s_xor_b32 s17, exec_lo, s10
	s_cbranch_execz .LBB126_292
; %bb.142:                              ;   in Loop: Header=BB126_32 Depth=1
	v_cmp_eq_u64_e32 vcc_lo, 1, v[4:5]
	v_cmp_eq_u64_e64 s4, 1, v[6:7]
                                        ; implicit-def: $sgpr20
                                        ; implicit-def: $sgpr19
	s_and_b32 s22, vcc_lo, s4
	s_mov_b32 s4, -1
	s_wait_alu 0xfffe
	s_and_saveexec_b32 s21, s22
	s_cbranch_execz .LBB126_181
; %bb.143:                              ;   in Loop: Header=BB126_32 Depth=1
	ds_load_b64 v[2:3], v13 offset:5120
	s_wait_loadcnt_dscnt 0x0
	s_barrier_signal -1
	s_barrier_wait -1
	global_inv scope:SCOPE_SE
	v_readfirstlane_b32 s4, v2
	v_readfirstlane_b32 s5, v3
	s_and_saveexec_b32 s10, s0
; %bb.144:                              ;   in Loop: Header=BB126_32 Depth=1
	ds_store_b32 v26, v13
; %bb.145:                              ;   in Loop: Header=BB126_32 Depth=1
	s_wait_alu 0xfffe
	s_or_b32 exec_lo, exec_lo, s10
	s_lshl_b32 s10, 1, s93
	v_or_b32_e32 v32, s14, v32
	s_wait_alu 0xfffe
	v_and_or_b32 v28, v28, s18, s10
	s_mov_b32 s19, -1
	s_mov_b32 s20, 0
	s_cmp_eq_u64 s[4:5], 0
	s_mov_b32 s12, 0
	s_mov_b32 s13, -1
	s_wait_loadcnt_dscnt 0x0
	s_barrier_signal -1
	s_barrier_wait -1
	global_inv scope:SCOPE_SE
                                        ; implicit-def: $vgpr18
	s_cbranch_scc1 .LBB126_165
; %bb.146:                              ;   in Loop: Header=BB126_32 Depth=1
	s_add_nc_u64 s[10:11], s[4:5], s[70:71]
	s_mov_b32 s12, s69
	s_wait_alu 0xfffe
	s_mov_b32 s13, s11
	s_wait_alu 0xfffe
	s_cmp_lg_u64 s[12:13], 0
	s_cbranch_scc0 .LBB126_209
; %bb.147:                              ;   in Loop: Header=BB126_32 Depth=1
	s_cvt_f32_u32 s12, s66
	s_sub_nc_u64 s[56:57], 0, s[66:67]
	s_wait_alu 0xfffe
	s_delay_alu instid0(SALU_CYCLE_1) | instskip(SKIP_1) | instid1(SALU_CYCLE_2)
	s_fmamk_f32 s12, s95, 0x0, s12
	s_wait_alu 0xfffe
	v_s_rcp_f32 s12, s12
	s_delay_alu instid0(TRANS32_DEP_1) | instskip(SKIP_1) | instid1(SALU_CYCLE_2)
	s_mul_f32 s12, s12, 0x5f7ffffc
	s_wait_alu 0xfffe
	s_mul_f32 s13, s12, 0x2f800000
	s_wait_alu 0xfffe
	s_delay_alu instid0(SALU_CYCLE_2) | instskip(SKIP_1) | instid1(SALU_CYCLE_2)
	s_trunc_f32 s13, s13
	s_wait_alu 0xfffe
	s_fmamk_f32 s12, s13, 0xcf800000, s12
	s_cvt_u32_f32 s13, s13
	s_wait_alu 0xfffe
	s_delay_alu instid0(SALU_CYCLE_1) | instskip(SKIP_1) | instid1(SALU_CYCLE_2)
	s_cvt_u32_f32 s12, s12
	s_wait_alu 0xfffe
	s_mul_u64 s[76:77], s[56:57], s[12:13]
	s_wait_alu 0xfffe
	s_mul_hi_u32 s79, s12, s77
	s_mul_i32 s78, s12, s77
	s_mul_hi_u32 s68, s12, s76
	s_mul_i32 s80, s13, s76
	s_wait_alu 0xfffe
	s_add_nc_u64 s[78:79], s[68:69], s[78:79]
	s_mul_hi_u32 s23, s13, s76
	s_mul_hi_u32 s81, s13, s77
	s_wait_alu 0xfffe
	s_add_co_u32 s68, s78, s80
	s_add_co_ci_u32 s68, s79, s23
	s_mul_i32 s76, s13, s77
	s_add_co_ci_u32 s77, s81, 0
	s_wait_alu 0xfffe
	s_add_nc_u64 s[76:77], s[68:69], s[76:77]
	s_wait_alu 0xfffe
	s_add_co_u32 s12, s12, s76
	s_cselect_b32 s23, -1, 0
	s_wait_alu 0xfffe
	s_cmp_lg_u32 s23, 0
	s_add_co_ci_u32 s13, s13, s77
	s_wait_alu 0xfffe
	s_mul_u64 s[56:57], s[56:57], s[12:13]
	s_wait_alu 0xfffe
	s_mul_hi_u32 s77, s12, s57
	s_mul_i32 s76, s12, s57
	s_mul_hi_u32 s68, s12, s56
	s_mul_i32 s78, s13, s56
	s_wait_alu 0xfffe
	s_add_nc_u64 s[76:77], s[68:69], s[76:77]
	s_mul_hi_u32 s23, s13, s56
	s_mul_hi_u32 s79, s13, s57
	s_mul_i32 s56, s13, s57
	s_wait_alu 0xfffe
	s_add_co_u32 s57, s76, s78
	s_add_co_ci_u32 s68, s77, s23
	s_add_co_ci_u32 s57, s79, 0
	s_wait_alu 0xfffe
	s_add_nc_u64 s[56:57], s[68:69], s[56:57]
	s_wait_alu 0xfffe
	s_add_co_u32 s12, s12, s56
	s_cselect_b32 s23, -1, 0
	s_wait_alu 0xfffe
	s_mul_hi_u32 s68, s10, s12
	s_cmp_lg_u32 s23, 0
	s_mul_hi_u32 s23, s11, s12
	s_add_co_ci_u32 s56, s13, s57
	s_mul_i32 s57, s11, s12
	s_wait_alu 0xfffe
	s_mul_hi_u32 s13, s10, s56
	s_mul_i32 s12, s10, s56
	s_mul_hi_u32 s76, s11, s56
	s_wait_alu 0xfffe
	s_add_nc_u64 s[12:13], s[68:69], s[12:13]
	s_mul_i32 s56, s11, s56
	s_wait_alu 0xfffe
	s_add_co_u32 s12, s12, s57
	s_add_co_ci_u32 s68, s13, s23
	s_add_co_ci_u32 s57, s76, 0
	s_wait_alu 0xfffe
	s_add_nc_u64 s[12:13], s[68:69], s[56:57]
	s_wait_alu 0xfffe
	s_mul_u64 s[12:13], s[66:67], s[12:13]
	s_wait_alu 0xfffe
	s_sub_co_u32 s12, s10, s12
	s_cselect_b32 s23, -1, 0
	s_wait_alu 0xfffe
	s_cmp_lg_u32 s23, 0
	s_sub_co_ci_u32 s13, s11, s13
	s_sub_co_u32 s23, s12, s66
	s_cselect_b32 s56, -1, 0
	s_wait_alu 0xfffe
	s_cmp_lg_u32 s56, 0
	s_sub_co_ci_u32 s56, s13, 0
	;; [unrolled: 5-line block ×3, first 2 shown]
	s_cmp_ge_u32 s23, s66
	s_cselect_b32 s76, -1, 0
	s_cmp_eq_u32 s56, 0
	s_wait_alu 0xfffe
	s_cselect_b32 s76, s76, -1
	s_wait_alu 0xfffe
	s_cmp_lg_u32 s76, 0
	s_cselect_b32 s56, s68, s56
	s_cselect_b32 s23, s57, s23
	s_cmp_ge_u32 s12, s66
	s_cselect_b32 s57, -1, 0
	s_cmp_eq_u32 s13, 0
	s_wait_alu 0xfffe
	s_cselect_b32 s57, s57, -1
	s_wait_alu 0xfffe
	s_cmp_lg_u32 s57, 0
	s_cselect_b32 s13, s56, s13
	s_cselect_b32 s12, s23, s12
	s_cbranch_execnz .LBB126_149
.LBB126_148:                            ;   in Loop: Header=BB126_32 Depth=1
	v_cvt_f32_u32_e32 v2, s66
	s_sub_co_i32 s13, 0, s66
	s_delay_alu instid0(VALU_DEP_1) | instskip(NEXT) | instid1(TRANS32_DEP_1)
	v_rcp_iflag_f32_e32 v2, v2
	v_mul_f32_e32 v2, 0x4f7ffffe, v2
	s_delay_alu instid0(VALU_DEP_1) | instskip(NEXT) | instid1(VALU_DEP_1)
	v_cvt_u32_f32_e32 v2, v2
	v_readfirstlane_b32 s12, v2
	s_wait_alu 0xfffe
	s_mul_i32 s13, s13, s12
	s_wait_alu 0xfffe
	s_mul_hi_u32 s13, s12, s13
	s_wait_alu 0xfffe
	s_add_co_i32 s12, s12, s13
	s_wait_alu 0xfffe
	s_mul_hi_u32 s12, s10, s12
	s_wait_alu 0xfffe
	s_mul_i32 s12, s12, s66
	s_wait_alu 0xfffe
	s_sub_co_i32 s12, s10, s12
	s_wait_alu 0xfffe
	s_sub_co_i32 s13, s12, s66
	s_cmp_ge_u32 s12, s66
	s_wait_alu 0xfffe
	s_cselect_b32 s12, s13, s12
	s_wait_alu 0xfffe
	s_sub_co_i32 s13, s12, s66
	s_cmp_ge_u32 s12, s66
	s_wait_alu 0xfffe
	s_cselect_b32 s68, s13, s12
	s_wait_alu 0xfffe
	s_mov_b64 s[12:13], s[68:69]
.LBB126_149:                            ;   in Loop: Header=BB126_32 Depth=1
	s_wait_alu 0xfffe
	s_sub_nc_u64 s[10:11], s[10:11], s[12:13]
	s_mov_b32 s13, 0
	s_mov_b32 s12, 0
	s_mov_b32 s23, exec_lo
                                        ; implicit-def: $vgpr18
	s_wait_alu 0xfffe
	v_cmpx_gt_u64_e64 s[10:11], v[0:1]
	s_cbranch_execz .LBB126_164
; %bb.150:                              ;   in Loop: Header=BB126_32 Depth=1
	v_mov_b32_e32 v3, v1
	v_dual_mov_b32 v9, v10 :: v_dual_mov_b32 v2, v0
                                        ; implicit-def: $sgpr56
	s_branch .LBB126_154
.LBB126_151:                            ;   in Loop: Header=BB126_154 Depth=2
	s_wait_alu 0xfffe
	s_or_b32 exec_lo, exec_lo, s57
	s_wait_loadcnt_dscnt 0x0
	s_barrier_signal -1
	s_barrier_wait -1
	global_inv scope:SCOPE_SE
	ds_load_b64 v[17:18], v13 offset:3072
	s_wait_loadcnt_dscnt 0x0
	s_barrier_signal -1
	s_barrier_wait -1
	global_inv scope:SCOPE_SE
	v_cmp_neq_f32_e32 vcc_lo, 0, v17
	s_cbranch_vccnz .LBB126_157
; %bb.152:                              ;   in Loop: Header=BB126_154 Depth=2
	v_add_co_u32 v2, vcc_lo, v2, s66
	s_wait_alu 0xfffd
	v_add_co_ci_u32_e64 v3, null, 0, v3, vcc_lo
	v_add_nc_u32_e32 v9, s92, v9
	s_mov_b32 s57, 0
	s_delay_alu instid0(VALU_DEP_2)
	v_cmp_le_u64_e32 vcc_lo, s[10:11], v[2:3]
	s_or_not1_b32 s68, vcc_lo, exec_lo
.LBB126_153:                            ;   in Loop: Header=BB126_154 Depth=2
	s_wait_alu 0xfffe
	s_and_b32 s68, exec_lo, s68
	s_wait_alu 0xfffe
	s_or_b32 s12, s68, s12
	s_and_not1_b32 s56, s56, exec_lo
	s_and_b32 s57, s57, exec_lo
	s_wait_alu 0xfffe
	s_or_b32 s56, s56, s57
	s_and_not1_b32 exec_lo, exec_lo, s12
	s_cbranch_execz .LBB126_163
.LBB126_154:                            ;   Parent Loop BB126_32 Depth=1
                                        ; =>  This Inner Loop Header: Depth=2
	s_mov_b32 s57, exec_lo
	s_delay_alu instid0(VALU_DEP_1)
	v_cmpx_gt_u64_e64 s[4:5], v[2:3]
	s_cbranch_execz .LBB126_151
; %bb.155:                              ;   in Loop: Header=BB126_154 Depth=2
	ds_load_b32 v17, v9
	s_wait_dscnt 0x0
	v_cmp_lt_i32_e32 vcc_lo, -1, v17
	s_wait_alu 0xfffd
	v_cndmask_b32_e64 v12, -1, 0x80000000, vcc_lo
	v_cmp_o_f32_e32 vcc_lo, v17, v17
	s_delay_alu instid0(VALU_DEP_2) | instskip(SKIP_1) | instid1(VALU_DEP_1)
	v_xor_b32_e32 v12, v12, v17
	s_wait_alu 0xfffd
	v_cndmask_b32_e32 v12, -1, v12, vcc_lo
	s_delay_alu instid0(VALU_DEP_1) | instskip(NEXT) | instid1(VALU_DEP_1)
	v_and_b32_e32 v12, v12, v32
	v_cmp_eq_u32_e32 vcc_lo, v12, v28
	s_and_b32 exec_lo, exec_lo, vcc_lo
	s_cbranch_execz .LBB126_151
; %bb.156:                              ;   in Loop: Header=BB126_154 Depth=2
	ds_store_b64 v13, v[16:17] offset:3072
	s_branch .LBB126_151
.LBB126_157:                            ;   in Loop: Header=BB126_154 Depth=2
	s_mov_b32 s68, -1
	s_mov_b32 s57, -1
                                        ; implicit-def: $vgpr2_vgpr3
                                        ; implicit-def: $vgpr9
	s_branch .LBB126_153
.LBB126_158:                            ;   in Loop: Header=BB126_32 Depth=1
                                        ; implicit-def: $sgpr12_sgpr13
	s_branch .LBB126_103
.LBB126_159:                            ;   in Loop: Header=BB126_32 Depth=1
	s_wait_alu 0xfffe
	s_or_b32 exec_lo, exec_lo, s7
	s_wait_loadcnt_dscnt 0x0
	s_barrier_signal -1
	s_barrier_wait -1
	global_inv scope:SCOPE_SE
	s_and_saveexec_b32 s4, s3
	s_cbranch_execz .LBB126_161
; %bb.160:                              ;   in Loop: Header=BB126_32 Depth=1
	ds_load_b32 v2, v13 offset:5144
	s_wait_dscnt 0x0
	v_ashrrev_i32_e32 v3, 31, v2
	ds_store_b64 v13, v[2:3] offset:5120
.LBB126_161:                            ;   in Loop: Header=BB126_32 Depth=1
	s_wait_alu 0xfffe
	s_or_b32 exec_lo, exec_lo, s4
	s_wait_loadcnt_dscnt 0x0
	s_barrier_signal -1
	s_mov_b32 s4, -1
	s_barrier_wait -1
	s_and_b32 vcc_lo, exec_lo, s6
	s_wait_alu 0xfffe
	s_cbranch_vccnz .LBB126_48
	s_branch .LBB126_57
.LBB126_162:                            ;   in Loop: Header=BB126_32 Depth=1
                                        ; implicit-def: $sgpr4_sgpr5
	s_branch .LBB126_118
.LBB126_163:                            ;   in Loop: Header=BB126_32 Depth=1
	s_or_b32 exec_lo, exec_lo, s12
	s_wait_alu 0xfffe
	s_and_b32 s12, s56, exec_lo
.LBB126_164:                            ;   in Loop: Header=BB126_32 Depth=1
	s_or_b32 exec_lo, exec_lo, s23
.LBB126_165:                            ;   in Loop: Header=BB126_32 Depth=1
	s_wait_alu 0xfffe
	s_and_b32 vcc_lo, exec_lo, s13
	s_wait_alu 0xfffe
	s_cbranch_vccz .LBB126_180
; %bb.166:                              ;   in Loop: Header=BB126_32 Depth=1
	s_mov_b32 s4, s69
	s_mov_b32 s5, s73
	s_wait_alu 0xfffe
	s_cmp_lg_u64 s[4:5], 0
	s_cbranch_scc0 .LBB126_210
; %bb.167:                              ;   in Loop: Header=BB126_32 Depth=1
	s_cvt_f32_u32 s4, s66
	s_sub_nc_u64 s[10:11], 0, s[66:67]
	s_wait_alu 0xfffe
	s_delay_alu instid0(SALU_CYCLE_1) | instskip(SKIP_1) | instid1(SALU_CYCLE_2)
	s_fmamk_f32 s4, s95, 0x0, s4
	s_wait_alu 0xfffe
	v_s_rcp_f32 s4, s4
	s_delay_alu instid0(TRANS32_DEP_1) | instskip(SKIP_1) | instid1(SALU_CYCLE_2)
	s_mul_f32 s4, s4, 0x5f7ffffc
	s_wait_alu 0xfffe
	s_mul_f32 s5, s4, 0x2f800000
	s_wait_alu 0xfffe
	s_delay_alu instid0(SALU_CYCLE_2) | instskip(SKIP_1) | instid1(SALU_CYCLE_2)
	s_trunc_f32 s5, s5
	s_wait_alu 0xfffe
	s_fmamk_f32 s4, s5, 0xcf800000, s4
	s_cvt_u32_f32 s5, s5
	s_wait_alu 0xfffe
	s_delay_alu instid0(SALU_CYCLE_1) | instskip(SKIP_1) | instid1(SALU_CYCLE_2)
	s_cvt_u32_f32 s4, s4
	s_wait_alu 0xfffe
	s_mul_u64 s[56:57], s[10:11], s[4:5]
	s_wait_alu 0xfffe
	s_mul_hi_u32 s77, s4, s57
	s_mul_i32 s76, s4, s57
	s_mul_hi_u32 s68, s4, s56
	s_mul_i32 s19, s5, s56
	s_wait_alu 0xfffe
	s_add_nc_u64 s[76:77], s[68:69], s[76:77]
	s_mul_hi_u32 s13, s5, s56
	s_mul_hi_u32 s20, s5, s57
	s_wait_alu 0xfffe
	s_add_co_u32 s19, s76, s19
	s_add_co_ci_u32 s68, s77, s13
	s_mul_i32 s56, s5, s57
	s_add_co_ci_u32 s57, s20, 0
	s_wait_alu 0xfffe
	s_add_nc_u64 s[56:57], s[68:69], s[56:57]
	s_wait_alu 0xfffe
	s_add_co_u32 s4, s4, s56
	s_cselect_b32 s13, -1, 0
	s_wait_alu 0xfffe
	s_cmp_lg_u32 s13, 0
	s_add_co_ci_u32 s5, s5, s57
	s_wait_alu 0xfffe
	s_mul_u64 s[10:11], s[10:11], s[4:5]
	s_wait_alu 0xfffe
	s_mul_hi_u32 s57, s4, s11
	s_mul_i32 s56, s4, s11
	s_mul_hi_u32 s68, s4, s10
	s_mul_i32 s19, s5, s10
	s_wait_alu 0xfffe
	s_add_nc_u64 s[56:57], s[68:69], s[56:57]
	s_mul_hi_u32 s13, s5, s10
	s_mul_hi_u32 s20, s5, s11
	s_mul_i32 s10, s5, s11
	s_wait_alu 0xfffe
	s_add_co_u32 s11, s56, s19
	s_add_co_ci_u32 s68, s57, s13
	s_add_co_ci_u32 s11, s20, 0
	s_wait_alu 0xfffe
	s_add_nc_u64 s[10:11], s[68:69], s[10:11]
	s_wait_alu 0xfffe
	s_add_co_u32 s4, s4, s10
	s_cselect_b32 s10, -1, 0
	s_wait_alu 0xfffe
	s_mul_hi_u32 s68, s72, s4
	s_cmp_lg_u32 s10, 0
	s_mul_hi_u32 s13, s73, s4
	s_add_co_ci_u32 s10, s5, s11
	s_mul_i32 s11, s73, s4
	s_wait_alu 0xfffe
	s_mul_hi_u32 s5, s72, s10
	s_mul_i32 s4, s72, s10
	s_mul_hi_u32 s19, s73, s10
	s_wait_alu 0xfffe
	s_add_nc_u64 s[4:5], s[68:69], s[4:5]
	s_mul_i32 s10, s73, s10
	s_wait_alu 0xfffe
	s_add_co_u32 s4, s4, s11
	s_add_co_ci_u32 s68, s5, s13
	s_add_co_ci_u32 s11, s19, 0
	s_wait_alu 0xfffe
	s_add_nc_u64 s[4:5], s[68:69], s[10:11]
	s_wait_alu 0xfffe
	s_mul_u64 s[4:5], s[66:67], s[4:5]
	s_wait_alu 0xfffe
	s_sub_co_u32 s4, s72, s4
	s_cselect_b32 s10, -1, 0
	s_wait_alu 0xfffe
	s_cmp_lg_u32 s10, 0
	s_sub_co_ci_u32 s5, s73, s5
	s_sub_co_u32 s10, s4, s66
	s_cselect_b32 s11, -1, 0
	s_wait_alu 0xfffe
	s_cmp_lg_u32 s11, 0
	s_sub_co_ci_u32 s11, s5, 0
	;; [unrolled: 5-line block ×3, first 2 shown]
	s_cmp_ge_u32 s10, s66
	s_cselect_b32 s20, -1, 0
	s_cmp_eq_u32 s11, 0
	s_wait_alu 0xfffe
	s_cselect_b32 s20, s20, -1
	s_wait_alu 0xfffe
	s_cmp_lg_u32 s20, 0
	s_cselect_b32 s11, s19, s11
	s_cselect_b32 s10, s13, s10
	s_cmp_ge_u32 s4, s66
	s_cselect_b32 s13, -1, 0
	s_cmp_eq_u32 s5, 0
	s_wait_alu 0xfffe
	s_cselect_b32 s13, s13, -1
	s_wait_alu 0xfffe
	s_cmp_lg_u32 s13, 0
	s_cselect_b32 s5, s11, s5
	s_cselect_b32 s4, s10, s4
	s_cbranch_execnz .LBB126_169
.LBB126_168:                            ;   in Loop: Header=BB126_32 Depth=1
	v_cvt_f32_u32_e32 v2, s66
	s_sub_co_i32 s5, 0, s66
	s_delay_alu instid0(VALU_DEP_1) | instskip(NEXT) | instid1(TRANS32_DEP_1)
	v_rcp_iflag_f32_e32 v2, v2
	v_mul_f32_e32 v2, 0x4f7ffffe, v2
	s_delay_alu instid0(VALU_DEP_1) | instskip(NEXT) | instid1(VALU_DEP_1)
	v_cvt_u32_f32_e32 v2, v2
	v_readfirstlane_b32 s4, v2
	s_wait_alu 0xfffe
	s_mul_i32 s5, s5, s4
	s_wait_alu 0xfffe
	s_mul_hi_u32 s5, s4, s5
	s_wait_alu 0xfffe
	s_add_co_i32 s4, s4, s5
	s_wait_alu 0xfffe
	s_mul_hi_u32 s4, s72, s4
	s_wait_alu 0xfffe
	s_mul_i32 s4, s4, s66
	s_wait_alu 0xfffe
	s_sub_co_i32 s4, s72, s4
	s_wait_alu 0xfffe
	s_sub_co_i32 s5, s4, s66
	s_cmp_ge_u32 s4, s66
	s_wait_alu 0xfffe
	s_cselect_b32 s4, s5, s4
	s_wait_alu 0xfffe
	s_sub_co_i32 s5, s4, s66
	s_cmp_ge_u32 s4, s66
	s_wait_alu 0xfffe
	s_cselect_b32 s68, s5, s4
	s_wait_alu 0xfffe
	s_mov_b64 s[4:5], s[68:69]
.LBB126_169:                            ;   in Loop: Header=BB126_32 Depth=1
	s_wait_alu 0xfffe
	s_sub_nc_u64 s[4:5], s[72:73], s[4:5]
	s_mov_b32 s10, exec_lo
                                        ; implicit-def: $vgpr18
	s_wait_alu 0xfffe
	v_cmpx_gt_u64_e64 s[4:5], v[0:1]
	s_cbranch_execz .LBB126_179
; %bb.170:                              ;   in Loop: Header=BB126_32 Depth=1
	v_dual_mov_b32 v3, v1 :: v_dual_mov_b32 v2, v0
	s_mov_b32 s11, 0
                                        ; implicit-def: $sgpr13
	s_branch .LBB126_174
.LBB126_171:                            ;   in Loop: Header=BB126_174 Depth=2
	s_wait_alu 0xfffe
	s_or_b32 exec_lo, exec_lo, s19
	s_wait_loadcnt_dscnt 0x0
	s_barrier_signal -1
	s_barrier_wait -1
	global_inv scope:SCOPE_SE
	ds_load_b64 v[17:18], v13 offset:3072
	s_wait_loadcnt_dscnt 0x0
	s_barrier_signal -1
	s_barrier_wait -1
	global_inv scope:SCOPE_SE
	v_cmp_eq_f32_e32 vcc_lo, 0, v17
	s_cbranch_vccz .LBB126_177
; %bb.172:                              ;   in Loop: Header=BB126_174 Depth=2
	v_add_co_u32 v2, vcc_lo, v2, s66
	s_wait_alu 0xfffd
	v_add_co_ci_u32_e64 v3, null, 0, v3, vcc_lo
	s_mov_b32 s19, 0
	v_cmp_le_u64_e32 vcc_lo, s[4:5], v[2:3]
	s_or_not1_b32 s20, vcc_lo, exec_lo
.LBB126_173:                            ;   in Loop: Header=BB126_174 Depth=2
	s_wait_alu 0xfffe
	s_and_b32 s20, exec_lo, s20
	s_wait_alu 0xfffe
	s_or_b32 s11, s20, s11
	s_and_not1_b32 s13, s13, exec_lo
	s_and_b32 s19, s19, exec_lo
	s_wait_alu 0xfffe
	s_or_b32 s13, s13, s19
	s_and_not1_b32 exec_lo, exec_lo, s11
	s_cbranch_execz .LBB126_178
.LBB126_174:                            ;   Parent Loop BB126_32 Depth=1
                                        ; =>  This Inner Loop Header: Depth=2
	s_mov_b32 s19, exec_lo
	s_delay_alu instid0(VALU_DEP_1)
	v_cmpx_gt_u64_e64 s[24:25], v[2:3]
	s_cbranch_execz .LBB126_171
; %bb.175:                              ;   in Loop: Header=BB126_174 Depth=2
	v_mul_lo_u32 v9, v3, s50
	v_mul_lo_u32 v12, v2, s51
	v_mad_co_u64_u32 v[17:18], null, v2, s50, 0
	s_delay_alu instid0(VALU_DEP_1) | instskip(NEXT) | instid1(VALU_DEP_1)
	v_add3_u32 v18, v18, v12, v9
	v_lshlrev_b64_e32 v[17:18], 2, v[17:18]
	s_delay_alu instid0(VALU_DEP_1) | instskip(SKIP_1) | instid1(VALU_DEP_2)
	v_add_co_u32 v17, vcc_lo, s58, v17
	s_wait_alu 0xfffd
	v_add_co_ci_u32_e64 v18, null, s59, v18, vcc_lo
	global_load_b32 v17, v[17:18], off
	s_wait_loadcnt 0x0
	v_cmp_lt_i32_e32 vcc_lo, -1, v17
	s_wait_alu 0xfffd
	v_cndmask_b32_e64 v9, -1, 0x80000000, vcc_lo
	v_cmp_o_f32_e32 vcc_lo, v17, v17
	s_delay_alu instid0(VALU_DEP_2) | instskip(SKIP_1) | instid1(VALU_DEP_1)
	v_xor_b32_e32 v9, v9, v17
	s_wait_alu 0xfffd
	v_cndmask_b32_e32 v9, -1, v9, vcc_lo
	s_delay_alu instid0(VALU_DEP_1) | instskip(NEXT) | instid1(VALU_DEP_1)
	v_and_b32_e32 v9, v9, v32
	v_cmp_eq_u32_e32 vcc_lo, v9, v28
	s_and_b32 exec_lo, exec_lo, vcc_lo
	s_cbranch_execz .LBB126_171
; %bb.176:                              ;   in Loop: Header=BB126_174 Depth=2
	ds_store_b64 v13, v[16:17] offset:3072
	s_branch .LBB126_171
.LBB126_177:                            ;   in Loop: Header=BB126_174 Depth=2
	s_mov_b32 s20, -1
	s_mov_b32 s19, -1
                                        ; implicit-def: $vgpr2_vgpr3
	s_branch .LBB126_173
.LBB126_178:                            ;   in Loop: Header=BB126_32 Depth=1
	s_or_b32 exec_lo, exec_lo, s11
	s_delay_alu instid0(SALU_CYCLE_1)
	s_and_not1_b32 s4, s12, exec_lo
	s_wait_alu 0xfffe
	s_and_b32 s5, s13, exec_lo
	s_wait_alu 0xfffe
	s_or_b32 s12, s4, s5
.LBB126_179:                            ;   in Loop: Header=BB126_32 Depth=1
	s_or_b32 exec_lo, exec_lo, s10
	s_mov_b32 s19, 0
	s_mov_b32 s20, -1
.LBB126_180:                            ;   in Loop: Header=BB126_32 Depth=1
	s_wait_alu 0xfffe
	s_or_not1_b32 s4, s12, exec_lo
.LBB126_181:                            ;   in Loop: Header=BB126_32 Depth=1
	s_wait_alu 0xfffe
	s_or_b32 exec_lo, exec_lo, s21
	s_mov_b32 s5, 0
	s_and_saveexec_b32 s21, s4
	s_cbranch_execz .LBB126_291
; %bb.182:                              ;   in Loop: Header=BB126_32 Depth=1
	v_mov_b32_e32 v2, 1
	v_dual_mov_b32 v3, 0 :: v_dual_mov_b32 v8, 1
	s_xor_b32 s10, s22, -1
	s_wait_alu 0xfffe
	s_and_saveexec_b32 s4, s10
	s_cbranch_execz .LBB126_192
; %bb.183:                              ;   in Loop: Header=BB126_32 Depth=1
	s_mov_b32 s5, exec_lo
	v_cmpx_le_u64_e64 v[6:7], v[4:5]
	s_wait_alu 0xfffe
	s_xor_b32 s5, exec_lo, s5
	s_cbranch_execz .LBB126_189
; %bb.184:                              ;   in Loop: Header=BB126_32 Depth=1
	ds_load_b64 v[2:3], v13 offset:5120
	s_lshl_b32 s10, 1, s93
	v_or_b32_e32 v32, s14, v32
	s_wait_alu 0xfffe
	v_and_or_b32 v28, v28, s18, s10
	s_wait_dscnt 0x0
	v_cmp_ne_u64_e32 vcc_lo, 0, v[2:3]
	s_cbranch_vccnz .LBB126_188
; %bb.185:                              ;   in Loop: Header=BB126_32 Depth=1
	s_and_saveexec_b32 s10, s3
; %bb.186:                              ;   in Loop: Header=BB126_32 Depth=1
	ds_store_b64 v13, v[4:5] offset:5128
; %bb.187:                              ;   in Loop: Header=BB126_32 Depth=1
	s_wait_alu 0xfffe
	s_or_b32 exec_lo, exec_lo, s10
	s_wait_loadcnt_dscnt 0x0
	s_barrier_signal -1
	s_barrier_wait -1
	global_inv scope:SCOPE_SE
.LBB126_188:                            ;   in Loop: Header=BB126_32 Depth=1
                                        ; implicit-def: $vgpr2_vgpr3_vgpr4_vgpr5
.LBB126_189:                            ;   in Loop: Header=BB126_32 Depth=1
	s_wait_alu 0xfffe
	s_or_saveexec_b32 s5, s5
	v_mov_b32_e32 v8, 8
	s_mov_b32 s10, 0
	s_wait_alu 0xfffe
	s_xor_b32 exec_lo, exec_lo, s5
; %bb.190:                              ;   in Loop: Header=BB126_32 Depth=1
	v_sub_co_u32 v6, vcc_lo, v6, v4
	s_wait_alu 0xfffd
	v_sub_co_ci_u32_e64 v7, null, v7, v5, vcc_lo
	v_mov_b32_e32 v8, 0
	s_mov_b32 s10, exec_lo
; %bb.191:                              ;   in Loop: Header=BB126_32 Depth=1
	s_or_b32 exec_lo, exec_lo, s5
	s_delay_alu instid0(VALU_DEP_2)
	v_dual_mov_b32 v2, v6 :: v_dual_mov_b32 v3, v7
	s_wait_alu 0xfffe
	s_and_b32 s5, s10, exec_lo
.LBB126_192:                            ;   in Loop: Header=BB126_32 Depth=1
	s_wait_alu 0xfffe
	s_or_b32 exec_lo, exec_lo, s4
	s_mov_b32 s4, -1
                                        ; implicit-def: $sgpr23
                                        ; implicit-def: $sgpr76
	s_and_saveexec_b32 s22, s5
	s_cbranch_execz .LBB126_290
; %bb.193:                              ;   in Loop: Header=BB126_32 Depth=1
	v_cmp_eq_u64_e32 vcc_lo, 1, v[2:3]
	s_cmp_eq_u64 s[8:9], 1
                                        ; implicit-def: $sgpr76
                                        ; implicit-def: $sgpr23
	s_cselect_b32 s4, -1, 0
	s_wait_alu 0xfffe
	s_and_b32 s77, s4, vcc_lo
	s_mov_b32 s4, -1
	s_wait_alu 0xfffe
	s_and_saveexec_b32 s78, s77
	s_cbranch_execz .LBB126_229
; %bb.194:                              ;   in Loop: Header=BB126_32 Depth=1
	ds_load_b64 v[4:5], v13 offset:5120
	s_wait_loadcnt_dscnt 0x0
	s_barrier_signal -1
	s_barrier_wait -1
	global_inv scope:SCOPE_SE
	v_readfirstlane_b32 s4, v4
	v_readfirstlane_b32 s5, v5
	s_and_saveexec_b32 s10, s0
; %bb.195:                              ;   in Loop: Header=BB126_32 Depth=1
	ds_store_b32 v26, v13
; %bb.196:                              ;   in Loop: Header=BB126_32 Depth=1
	s_wait_alu 0xfffe
	s_or_b32 exec_lo, exec_lo, s10
	s_lshl_b32 s10, 2, s93
	v_or_b32_e32 v32, s14, v32
	s_wait_alu 0xfffe
	v_and_or_b32 v28, v28, s18, s10
	s_mov_b32 s23, -1
	s_mov_b32 s76, 0
	s_cmp_eq_u64 s[4:5], 0
	s_mov_b32 s12, 0
	s_mov_b32 s13, -1
	s_wait_loadcnt_dscnt 0x0
	s_barrier_signal -1
	s_barrier_wait -1
	global_inv scope:SCOPE_SE
                                        ; implicit-def: $vgpr18
	s_cbranch_scc1 .LBB126_213
; %bb.197:                              ;   in Loop: Header=BB126_32 Depth=1
	s_add_nc_u64 s[10:11], s[4:5], s[70:71]
	s_mov_b32 s12, s69
	s_wait_alu 0xfffe
	s_mov_b32 s13, s11
	s_wait_alu 0xfffe
	s_cmp_lg_u64 s[12:13], 0
	s_cbranch_scc0 .LBB126_256
; %bb.198:                              ;   in Loop: Header=BB126_32 Depth=1
	s_cvt_f32_u32 s12, s66
	s_sub_nc_u64 s[56:57], 0, s[66:67]
	s_wait_alu 0xfffe
	s_delay_alu instid0(SALU_CYCLE_1) | instskip(SKIP_1) | instid1(SALU_CYCLE_2)
	s_fmamk_f32 s12, s95, 0x0, s12
	s_wait_alu 0xfffe
	v_s_rcp_f32 s12, s12
	s_delay_alu instid0(TRANS32_DEP_1) | instskip(SKIP_1) | instid1(SALU_CYCLE_2)
	s_mul_f32 s12, s12, 0x5f7ffffc
	s_wait_alu 0xfffe
	s_mul_f32 s13, s12, 0x2f800000
	s_wait_alu 0xfffe
	s_delay_alu instid0(SALU_CYCLE_2) | instskip(SKIP_1) | instid1(SALU_CYCLE_2)
	s_trunc_f32 s13, s13
	s_wait_alu 0xfffe
	s_fmamk_f32 s12, s13, 0xcf800000, s12
	s_cvt_u32_f32 s13, s13
	s_wait_alu 0xfffe
	s_delay_alu instid0(SALU_CYCLE_1) | instskip(SKIP_1) | instid1(SALU_CYCLE_2)
	s_cvt_u32_f32 s12, s12
	s_wait_alu 0xfffe
	s_mul_u64 s[80:81], s[56:57], s[12:13]
	s_wait_alu 0xfffe
	s_mul_hi_u32 s83, s12, s81
	s_mul_i32 s82, s12, s81
	s_mul_hi_u32 s68, s12, s80
	s_mul_i32 s84, s13, s80
	s_wait_alu 0xfffe
	s_add_nc_u64 s[82:83], s[68:69], s[82:83]
	s_mul_hi_u32 s79, s13, s80
	s_mul_hi_u32 s85, s13, s81
	s_wait_alu 0xfffe
	s_add_co_u32 s68, s82, s84
	s_add_co_ci_u32 s68, s83, s79
	s_mul_i32 s80, s13, s81
	s_add_co_ci_u32 s81, s85, 0
	s_wait_alu 0xfffe
	s_add_nc_u64 s[80:81], s[68:69], s[80:81]
	s_wait_alu 0xfffe
	s_add_co_u32 s12, s12, s80
	s_cselect_b32 s68, -1, 0
	s_wait_alu 0xfffe
	s_cmp_lg_u32 s68, 0
	s_add_co_ci_u32 s13, s13, s81
	s_wait_alu 0xfffe
	s_mul_u64 s[56:57], s[56:57], s[12:13]
	s_wait_alu 0xfffe
	s_mul_hi_u32 s81, s12, s57
	s_mul_i32 s80, s12, s57
	s_mul_hi_u32 s68, s12, s56
	s_mul_i32 s82, s13, s56
	s_wait_alu 0xfffe
	s_add_nc_u64 s[80:81], s[68:69], s[80:81]
	s_mul_hi_u32 s79, s13, s56
	s_mul_hi_u32 s83, s13, s57
	s_mul_i32 s56, s13, s57
	s_wait_alu 0xfffe
	s_add_co_u32 s57, s80, s82
	s_add_co_ci_u32 s68, s81, s79
	s_add_co_ci_u32 s57, s83, 0
	s_wait_alu 0xfffe
	s_add_nc_u64 s[56:57], s[68:69], s[56:57]
	s_wait_alu 0xfffe
	s_add_co_u32 s12, s12, s56
	s_cselect_b32 s56, -1, 0
	s_wait_alu 0xfffe
	s_mul_hi_u32 s68, s10, s12
	s_cmp_lg_u32 s56, 0
	s_mul_hi_u32 s79, s11, s12
	s_add_co_ci_u32 s56, s13, s57
	s_mul_i32 s57, s11, s12
	s_wait_alu 0xfffe
	s_mul_hi_u32 s13, s10, s56
	s_mul_i32 s12, s10, s56
	s_mul_hi_u32 s80, s11, s56
	s_wait_alu 0xfffe
	s_add_nc_u64 s[12:13], s[68:69], s[12:13]
	s_mul_i32 s56, s11, s56
	s_wait_alu 0xfffe
	s_add_co_u32 s12, s12, s57
	s_add_co_ci_u32 s68, s13, s79
	s_add_co_ci_u32 s57, s80, 0
	s_wait_alu 0xfffe
	s_add_nc_u64 s[12:13], s[68:69], s[56:57]
	s_wait_alu 0xfffe
	s_mul_u64 s[12:13], s[66:67], s[12:13]
	s_wait_alu 0xfffe
	s_sub_co_u32 s12, s10, s12
	s_cselect_b32 s56, -1, 0
	s_wait_alu 0xfffe
	s_cmp_lg_u32 s56, 0
	s_sub_co_ci_u32 s13, s11, s13
	s_sub_co_u32 s56, s12, s66
	s_cselect_b32 s57, -1, 0
	s_wait_alu 0xfffe
	s_cmp_lg_u32 s57, 0
	s_sub_co_ci_u32 s57, s13, 0
	;; [unrolled: 5-line block ×3, first 2 shown]
	s_cmp_ge_u32 s56, s66
	s_cselect_b32 s80, -1, 0
	s_cmp_eq_u32 s57, 0
	s_wait_alu 0xfffe
	s_cselect_b32 s80, s80, -1
	s_wait_alu 0xfffe
	s_cmp_lg_u32 s80, 0
	s_cselect_b32 s57, s79, s57
	s_cselect_b32 s56, s68, s56
	s_cmp_ge_u32 s12, s66
	s_cselect_b32 s68, -1, 0
	s_cmp_eq_u32 s13, 0
	s_wait_alu 0xfffe
	s_cselect_b32 s68, s68, -1
	s_wait_alu 0xfffe
	s_cmp_lg_u32 s68, 0
	s_cselect_b32 s13, s57, s13
	s_cselect_b32 s12, s56, s12
	s_cbranch_execnz .LBB126_200
.LBB126_199:                            ;   in Loop: Header=BB126_32 Depth=1
	v_cvt_f32_u32_e32 v4, s66
	s_sub_co_i32 s13, 0, s66
	s_delay_alu instid0(VALU_DEP_1) | instskip(NEXT) | instid1(TRANS32_DEP_1)
	v_rcp_iflag_f32_e32 v4, v4
	v_mul_f32_e32 v4, 0x4f7ffffe, v4
	s_delay_alu instid0(VALU_DEP_1) | instskip(NEXT) | instid1(VALU_DEP_1)
	v_cvt_u32_f32_e32 v4, v4
	v_readfirstlane_b32 s12, v4
	s_wait_alu 0xfffe
	s_mul_i32 s13, s13, s12
	s_wait_alu 0xfffe
	s_mul_hi_u32 s13, s12, s13
	s_wait_alu 0xfffe
	s_add_co_i32 s12, s12, s13
	s_wait_alu 0xfffe
	s_mul_hi_u32 s12, s10, s12
	s_wait_alu 0xfffe
	s_mul_i32 s12, s12, s66
	s_wait_alu 0xfffe
	s_sub_co_i32 s12, s10, s12
	s_wait_alu 0xfffe
	s_sub_co_i32 s13, s12, s66
	s_cmp_ge_u32 s12, s66
	s_wait_alu 0xfffe
	s_cselect_b32 s12, s13, s12
	s_wait_alu 0xfffe
	s_sub_co_i32 s13, s12, s66
	s_cmp_ge_u32 s12, s66
	s_wait_alu 0xfffe
	s_cselect_b32 s68, s13, s12
	s_wait_alu 0xfffe
	s_mov_b64 s[12:13], s[68:69]
.LBB126_200:                            ;   in Loop: Header=BB126_32 Depth=1
	s_wait_alu 0xfffe
	s_sub_nc_u64 s[10:11], s[10:11], s[12:13]
	s_mov_b32 s13, 0
	s_mov_b32 s12, 0
	s_mov_b32 s56, exec_lo
                                        ; implicit-def: $vgpr18
	s_wait_alu 0xfffe
	v_cmpx_gt_u64_e64 s[10:11], v[0:1]
	s_cbranch_execz .LBB126_212
; %bb.201:                              ;   in Loop: Header=BB126_32 Depth=1
	v_dual_mov_b32 v6, v10 :: v_dual_mov_b32 v5, v1
	v_mov_b32_e32 v4, v0
                                        ; implicit-def: $sgpr57
	s_branch .LBB126_205
.LBB126_202:                            ;   in Loop: Header=BB126_205 Depth=2
	s_wait_alu 0xfffe
	s_or_b32 exec_lo, exec_lo, s68
	s_wait_loadcnt_dscnt 0x0
	s_barrier_signal -1
	s_barrier_wait -1
	global_inv scope:SCOPE_SE
	ds_load_b64 v[17:18], v13 offset:3072
	s_wait_loadcnt_dscnt 0x0
	s_barrier_signal -1
	s_barrier_wait -1
	global_inv scope:SCOPE_SE
	v_cmp_neq_f32_e32 vcc_lo, 0, v17
	s_cbranch_vccnz .LBB126_208
; %bb.203:                              ;   in Loop: Header=BB126_205 Depth=2
	v_add_co_u32 v4, vcc_lo, v4, s66
	s_wait_alu 0xfffd
	v_add_co_ci_u32_e64 v5, null, 0, v5, vcc_lo
	v_add_nc_u32_e32 v6, s92, v6
	s_mov_b32 s68, 0
	s_delay_alu instid0(VALU_DEP_2)
	v_cmp_le_u64_e32 vcc_lo, s[10:11], v[4:5]
	s_or_not1_b32 s79, vcc_lo, exec_lo
.LBB126_204:                            ;   in Loop: Header=BB126_205 Depth=2
	s_wait_alu 0xfffe
	s_and_b32 s79, exec_lo, s79
	s_wait_alu 0xfffe
	s_or_b32 s12, s79, s12
	s_and_not1_b32 s57, s57, exec_lo
	s_and_b32 s68, s68, exec_lo
	s_wait_alu 0xfffe
	s_or_b32 s57, s57, s68
	s_and_not1_b32 exec_lo, exec_lo, s12
	s_cbranch_execz .LBB126_211
.LBB126_205:                            ;   Parent Loop BB126_32 Depth=1
                                        ; =>  This Inner Loop Header: Depth=2
	s_mov_b32 s68, exec_lo
	s_delay_alu instid0(VALU_DEP_1)
	v_cmpx_gt_u64_e64 s[4:5], v[4:5]
	s_cbranch_execz .LBB126_202
; %bb.206:                              ;   in Loop: Header=BB126_205 Depth=2
	ds_load_b32 v17, v6
	s_wait_dscnt 0x0
	v_cmp_lt_i32_e32 vcc_lo, -1, v17
	s_wait_alu 0xfffd
	v_cndmask_b32_e64 v7, -1, 0x80000000, vcc_lo
	v_cmp_o_f32_e32 vcc_lo, v17, v17
	s_delay_alu instid0(VALU_DEP_2) | instskip(SKIP_1) | instid1(VALU_DEP_1)
	v_xor_b32_e32 v7, v7, v17
	s_wait_alu 0xfffd
	v_cndmask_b32_e32 v7, -1, v7, vcc_lo
	s_delay_alu instid0(VALU_DEP_1) | instskip(NEXT) | instid1(VALU_DEP_1)
	v_and_b32_e32 v7, v7, v32
	v_cmp_eq_u32_e32 vcc_lo, v7, v28
	s_and_b32 exec_lo, exec_lo, vcc_lo
	s_cbranch_execz .LBB126_202
; %bb.207:                              ;   in Loop: Header=BB126_205 Depth=2
	ds_store_b64 v13, v[16:17] offset:3072
	s_branch .LBB126_202
.LBB126_208:                            ;   in Loop: Header=BB126_205 Depth=2
	s_mov_b32 s79, -1
	s_mov_b32 s68, -1
                                        ; implicit-def: $vgpr4_vgpr5
                                        ; implicit-def: $vgpr6
	s_branch .LBB126_204
.LBB126_209:                            ;   in Loop: Header=BB126_32 Depth=1
                                        ; implicit-def: $sgpr12_sgpr13
	s_branch .LBB126_148
.LBB126_210:                            ;   in Loop: Header=BB126_32 Depth=1
                                        ; implicit-def: $sgpr4_sgpr5
	s_branch .LBB126_168
.LBB126_211:                            ;   in Loop: Header=BB126_32 Depth=1
	s_or_b32 exec_lo, exec_lo, s12
	s_wait_alu 0xfffe
	s_and_b32 s12, s57, exec_lo
.LBB126_212:                            ;   in Loop: Header=BB126_32 Depth=1
	s_or_b32 exec_lo, exec_lo, s56
.LBB126_213:                            ;   in Loop: Header=BB126_32 Depth=1
	s_wait_alu 0xfffe
	s_and_b32 vcc_lo, exec_lo, s13
	s_wait_alu 0xfffe
	s_cbranch_vccz .LBB126_228
; %bb.214:                              ;   in Loop: Header=BB126_32 Depth=1
	s_mov_b32 s4, s69
	s_mov_b32 s5, s73
	s_wait_alu 0xfffe
	s_cmp_lg_u64 s[4:5], 0
	s_cbranch_scc0 .LBB126_257
; %bb.215:                              ;   in Loop: Header=BB126_32 Depth=1
	s_cvt_f32_u32 s4, s66
	s_sub_nc_u64 s[10:11], 0, s[66:67]
	s_wait_alu 0xfffe
	s_delay_alu instid0(SALU_CYCLE_1) | instskip(SKIP_1) | instid1(SALU_CYCLE_2)
	s_fmamk_f32 s4, s95, 0x0, s4
	s_wait_alu 0xfffe
	v_s_rcp_f32 s4, s4
	s_delay_alu instid0(TRANS32_DEP_1) | instskip(SKIP_1) | instid1(SALU_CYCLE_2)
	s_mul_f32 s4, s4, 0x5f7ffffc
	s_wait_alu 0xfffe
	s_mul_f32 s5, s4, 0x2f800000
	s_wait_alu 0xfffe
	s_delay_alu instid0(SALU_CYCLE_2) | instskip(SKIP_1) | instid1(SALU_CYCLE_2)
	s_trunc_f32 s5, s5
	s_wait_alu 0xfffe
	s_fmamk_f32 s4, s5, 0xcf800000, s4
	s_cvt_u32_f32 s5, s5
	s_wait_alu 0xfffe
	s_delay_alu instid0(SALU_CYCLE_1) | instskip(SKIP_1) | instid1(SALU_CYCLE_2)
	s_cvt_u32_f32 s4, s4
	s_wait_alu 0xfffe
	s_mul_u64 s[56:57], s[10:11], s[4:5]
	s_wait_alu 0xfffe
	s_mul_hi_u32 s81, s4, s57
	s_mul_i32 s80, s4, s57
	s_mul_hi_u32 s68, s4, s56
	s_mul_i32 s23, s5, s56
	s_wait_alu 0xfffe
	s_add_nc_u64 s[80:81], s[68:69], s[80:81]
	s_mul_hi_u32 s13, s5, s56
	s_mul_hi_u32 s76, s5, s57
	s_wait_alu 0xfffe
	s_add_co_u32 s23, s80, s23
	s_add_co_ci_u32 s68, s81, s13
	s_mul_i32 s56, s5, s57
	s_add_co_ci_u32 s57, s76, 0
	s_wait_alu 0xfffe
	s_add_nc_u64 s[56:57], s[68:69], s[56:57]
	s_wait_alu 0xfffe
	s_add_co_u32 s4, s4, s56
	s_cselect_b32 s13, -1, 0
	s_wait_alu 0xfffe
	s_cmp_lg_u32 s13, 0
	s_add_co_ci_u32 s5, s5, s57
	s_wait_alu 0xfffe
	s_mul_u64 s[10:11], s[10:11], s[4:5]
	s_wait_alu 0xfffe
	s_mul_hi_u32 s57, s4, s11
	s_mul_i32 s56, s4, s11
	s_mul_hi_u32 s68, s4, s10
	s_mul_i32 s23, s5, s10
	s_wait_alu 0xfffe
	s_add_nc_u64 s[56:57], s[68:69], s[56:57]
	s_mul_hi_u32 s13, s5, s10
	s_mul_hi_u32 s76, s5, s11
	s_mul_i32 s10, s5, s11
	s_wait_alu 0xfffe
	s_add_co_u32 s11, s56, s23
	s_add_co_ci_u32 s68, s57, s13
	s_add_co_ci_u32 s11, s76, 0
	s_wait_alu 0xfffe
	s_add_nc_u64 s[10:11], s[68:69], s[10:11]
	s_wait_alu 0xfffe
	s_add_co_u32 s4, s4, s10
	s_cselect_b32 s10, -1, 0
	s_wait_alu 0xfffe
	s_mul_hi_u32 s68, s72, s4
	s_cmp_lg_u32 s10, 0
	s_mul_hi_u32 s13, s73, s4
	s_add_co_ci_u32 s10, s5, s11
	s_mul_i32 s11, s73, s4
	s_wait_alu 0xfffe
	s_mul_hi_u32 s5, s72, s10
	s_mul_i32 s4, s72, s10
	s_mul_hi_u32 s23, s73, s10
	s_wait_alu 0xfffe
	s_add_nc_u64 s[4:5], s[68:69], s[4:5]
	s_mul_i32 s10, s73, s10
	s_wait_alu 0xfffe
	s_add_co_u32 s4, s4, s11
	s_add_co_ci_u32 s68, s5, s13
	s_add_co_ci_u32 s11, s23, 0
	s_wait_alu 0xfffe
	s_add_nc_u64 s[4:5], s[68:69], s[10:11]
	s_wait_alu 0xfffe
	s_mul_u64 s[4:5], s[66:67], s[4:5]
	s_wait_alu 0xfffe
	s_sub_co_u32 s4, s72, s4
	s_cselect_b32 s10, -1, 0
	s_wait_alu 0xfffe
	s_cmp_lg_u32 s10, 0
	s_sub_co_ci_u32 s5, s73, s5
	s_sub_co_u32 s10, s4, s66
	s_cselect_b32 s11, -1, 0
	s_wait_alu 0xfffe
	s_cmp_lg_u32 s11, 0
	s_sub_co_ci_u32 s11, s5, 0
	;; [unrolled: 5-line block ×3, first 2 shown]
	s_cmp_ge_u32 s10, s66
	s_cselect_b32 s56, -1, 0
	s_cmp_eq_u32 s11, 0
	s_wait_alu 0xfffe
	s_cselect_b32 s56, s56, -1
	s_wait_alu 0xfffe
	s_cmp_lg_u32 s56, 0
	s_cselect_b32 s11, s23, s11
	s_cselect_b32 s10, s13, s10
	s_cmp_ge_u32 s4, s66
	s_cselect_b32 s13, -1, 0
	s_cmp_eq_u32 s5, 0
	s_wait_alu 0xfffe
	s_cselect_b32 s13, s13, -1
	s_wait_alu 0xfffe
	s_cmp_lg_u32 s13, 0
	s_cselect_b32 s5, s11, s5
	s_cselect_b32 s4, s10, s4
	s_cbranch_execnz .LBB126_217
.LBB126_216:                            ;   in Loop: Header=BB126_32 Depth=1
	v_cvt_f32_u32_e32 v4, s66
	s_sub_co_i32 s5, 0, s66
	s_delay_alu instid0(VALU_DEP_1) | instskip(NEXT) | instid1(TRANS32_DEP_1)
	v_rcp_iflag_f32_e32 v4, v4
	v_mul_f32_e32 v4, 0x4f7ffffe, v4
	s_delay_alu instid0(VALU_DEP_1) | instskip(NEXT) | instid1(VALU_DEP_1)
	v_cvt_u32_f32_e32 v4, v4
	v_readfirstlane_b32 s4, v4
	s_wait_alu 0xfffe
	s_mul_i32 s5, s5, s4
	s_wait_alu 0xfffe
	s_mul_hi_u32 s5, s4, s5
	s_wait_alu 0xfffe
	s_add_co_i32 s4, s4, s5
	s_wait_alu 0xfffe
	s_mul_hi_u32 s4, s72, s4
	s_wait_alu 0xfffe
	s_mul_i32 s4, s4, s66
	s_wait_alu 0xfffe
	s_sub_co_i32 s4, s72, s4
	s_wait_alu 0xfffe
	s_sub_co_i32 s5, s4, s66
	s_cmp_ge_u32 s4, s66
	s_wait_alu 0xfffe
	s_cselect_b32 s4, s5, s4
	s_wait_alu 0xfffe
	s_sub_co_i32 s5, s4, s66
	s_cmp_ge_u32 s4, s66
	s_wait_alu 0xfffe
	s_cselect_b32 s68, s5, s4
	s_wait_alu 0xfffe
	s_mov_b64 s[4:5], s[68:69]
.LBB126_217:                            ;   in Loop: Header=BB126_32 Depth=1
	s_wait_alu 0xfffe
	s_sub_nc_u64 s[4:5], s[72:73], s[4:5]
	s_mov_b32 s10, exec_lo
                                        ; implicit-def: $vgpr18
	s_wait_alu 0xfffe
	v_cmpx_gt_u64_e64 s[4:5], v[0:1]
	s_cbranch_execz .LBB126_227
; %bb.218:                              ;   in Loop: Header=BB126_32 Depth=1
	v_dual_mov_b32 v5, v1 :: v_dual_mov_b32 v4, v0
	s_mov_b32 s11, 0
                                        ; implicit-def: $sgpr13
	s_branch .LBB126_222
.LBB126_219:                            ;   in Loop: Header=BB126_222 Depth=2
	s_wait_alu 0xfffe
	s_or_b32 exec_lo, exec_lo, s23
	s_wait_loadcnt_dscnt 0x0
	s_barrier_signal -1
	s_barrier_wait -1
	global_inv scope:SCOPE_SE
	ds_load_b64 v[17:18], v13 offset:3072
	s_wait_loadcnt_dscnt 0x0
	s_barrier_signal -1
	s_barrier_wait -1
	global_inv scope:SCOPE_SE
	v_cmp_eq_f32_e32 vcc_lo, 0, v17
	s_cbranch_vccz .LBB126_225
; %bb.220:                              ;   in Loop: Header=BB126_222 Depth=2
	v_add_co_u32 v4, vcc_lo, v4, s66
	s_wait_alu 0xfffd
	v_add_co_ci_u32_e64 v5, null, 0, v5, vcc_lo
	s_mov_b32 s23, 0
	v_cmp_le_u64_e32 vcc_lo, s[4:5], v[4:5]
	s_or_not1_b32 s56, vcc_lo, exec_lo
.LBB126_221:                            ;   in Loop: Header=BB126_222 Depth=2
	s_wait_alu 0xfffe
	s_and_b32 s56, exec_lo, s56
	s_wait_alu 0xfffe
	s_or_b32 s11, s56, s11
	s_and_not1_b32 s13, s13, exec_lo
	s_and_b32 s23, s23, exec_lo
	s_wait_alu 0xfffe
	s_or_b32 s13, s13, s23
	s_and_not1_b32 exec_lo, exec_lo, s11
	s_cbranch_execz .LBB126_226
.LBB126_222:                            ;   Parent Loop BB126_32 Depth=1
                                        ; =>  This Inner Loop Header: Depth=2
	s_mov_b32 s23, exec_lo
	s_delay_alu instid0(VALU_DEP_1)
	v_cmpx_gt_u64_e64 s[24:25], v[4:5]
	s_cbranch_execz .LBB126_219
; %bb.223:                              ;   in Loop: Header=BB126_222 Depth=2
	v_mul_lo_u32 v9, v5, s50
	v_mul_lo_u32 v12, v4, s51
	v_mad_co_u64_u32 v[6:7], null, v4, s50, 0
	s_delay_alu instid0(VALU_DEP_1) | instskip(NEXT) | instid1(VALU_DEP_1)
	v_add3_u32 v7, v7, v12, v9
	v_lshlrev_b64_e32 v[6:7], 2, v[6:7]
	s_delay_alu instid0(VALU_DEP_1) | instskip(SKIP_1) | instid1(VALU_DEP_2)
	v_add_co_u32 v6, vcc_lo, s58, v6
	s_wait_alu 0xfffd
	v_add_co_ci_u32_e64 v7, null, s59, v7, vcc_lo
	global_load_b32 v17, v[6:7], off
	s_wait_loadcnt 0x0
	v_cmp_lt_i32_e32 vcc_lo, -1, v17
	s_wait_alu 0xfffd
	v_cndmask_b32_e64 v6, -1, 0x80000000, vcc_lo
	v_cmp_o_f32_e32 vcc_lo, v17, v17
	s_delay_alu instid0(VALU_DEP_2) | instskip(SKIP_1) | instid1(VALU_DEP_1)
	v_xor_b32_e32 v6, v6, v17
	s_wait_alu 0xfffd
	v_cndmask_b32_e32 v6, -1, v6, vcc_lo
	s_delay_alu instid0(VALU_DEP_1) | instskip(NEXT) | instid1(VALU_DEP_1)
	v_and_b32_e32 v6, v6, v32
	v_cmp_eq_u32_e32 vcc_lo, v6, v28
	s_and_b32 exec_lo, exec_lo, vcc_lo
	s_cbranch_execz .LBB126_219
; %bb.224:                              ;   in Loop: Header=BB126_222 Depth=2
	ds_store_b64 v13, v[16:17] offset:3072
	s_branch .LBB126_219
.LBB126_225:                            ;   in Loop: Header=BB126_222 Depth=2
	s_mov_b32 s56, -1
	s_mov_b32 s23, -1
                                        ; implicit-def: $vgpr4_vgpr5
	s_branch .LBB126_221
.LBB126_226:                            ;   in Loop: Header=BB126_32 Depth=1
	s_or_b32 exec_lo, exec_lo, s11
	s_delay_alu instid0(SALU_CYCLE_1)
	s_and_not1_b32 s4, s12, exec_lo
	s_wait_alu 0xfffe
	s_and_b32 s5, s13, exec_lo
	s_wait_alu 0xfffe
	s_or_b32 s12, s4, s5
.LBB126_227:                            ;   in Loop: Header=BB126_32 Depth=1
	s_or_b32 exec_lo, exec_lo, s10
	s_mov_b32 s23, 0
	s_mov_b32 s76, -1
.LBB126_228:                            ;   in Loop: Header=BB126_32 Depth=1
	s_wait_alu 0xfffe
	s_or_not1_b32 s4, s12, exec_lo
.LBB126_229:                            ;   in Loop: Header=BB126_32 Depth=1
	s_wait_alu 0xfffe
	s_or_b32 exec_lo, exec_lo, s78
	s_mov_b32 s5, 0
	s_and_saveexec_b32 s12, s4
	s_cbranch_execz .LBB126_289
; %bb.230:                              ;   in Loop: Header=BB126_32 Depth=1
	v_mov_b32_e32 v4, 1
	v_dual_mov_b32 v5, 0 :: v_dual_mov_b32 v8, 1
	s_xor_b32 s10, s77, -1
	s_wait_alu 0xfffe
	s_and_saveexec_b32 s4, s10
	s_cbranch_execz .LBB126_239
; %bb.231:                              ;   in Loop: Header=BB126_32 Depth=1
	s_mov_b32 s5, exec_lo
	v_cmpx_ge_u64_e64 s[8:9], v[2:3]
	s_wait_alu 0xfffe
	s_xor_b32 s5, exec_lo, s5
	s_cbranch_execz .LBB126_236
; %bb.232:                              ;   in Loop: Header=BB126_32 Depth=1
	ds_load_b64 v[4:5], v13 offset:5120
	s_lshl_b32 s10, 2, s93
	v_or_b32_e32 v32, s14, v32
	s_wait_alu 0xfffe
	v_and_or_b32 v28, v28, s18, s10
	s_wait_dscnt 0x0
	v_cmp_ne_u64_e32 vcc_lo, 0, v[4:5]
	s_cbranch_vccnz .LBB126_236
; %bb.233:                              ;   in Loop: Header=BB126_32 Depth=1
	s_and_saveexec_b32 s10, s3
; %bb.234:                              ;   in Loop: Header=BB126_32 Depth=1
	v_dual_mov_b32 v4, s8 :: v_dual_mov_b32 v5, s9
	ds_store_b64 v13, v[4:5] offset:5128
; %bb.235:                              ;   in Loop: Header=BB126_32 Depth=1
	s_wait_alu 0xfffe
	s_or_b32 exec_lo, exec_lo, s10
	s_wait_loadcnt_dscnt 0x0
	s_barrier_signal -1
	s_barrier_wait -1
	global_inv scope:SCOPE_SE
.LBB126_236:                            ;   in Loop: Header=BB126_32 Depth=1
	s_wait_alu 0xfffe
	s_or_saveexec_b32 s5, s5
	v_mov_b32_e32 v8, 8
	s_mov_b32 s10, 0
	s_wait_alu 0xfffe
	s_xor_b32 exec_lo, exec_lo, s5
; %bb.237:                              ;   in Loop: Header=BB126_32 Depth=1
	v_sub_co_u32 v2, vcc_lo, v2, s8
	s_wait_alu 0xfffd
	v_subrev_co_ci_u32_e64 v3, null, s9, v3, vcc_lo
	v_mov_b32_e32 v8, 0
	s_mov_b32 s10, exec_lo
; %bb.238:                              ;   in Loop: Header=BB126_32 Depth=1
	s_or_b32 exec_lo, exec_lo, s5
	s_delay_alu instid0(VALU_DEP_2)
	v_dual_mov_b32 v5, v3 :: v_dual_mov_b32 v4, v2
	s_wait_alu 0xfffe
	s_and_b32 s5, s10, exec_lo
.LBB126_239:                            ;   in Loop: Header=BB126_32 Depth=1
	s_wait_alu 0xfffe
	s_or_b32 exec_lo, exec_lo, s4
	s_mov_b32 s4, -1
                                        ; implicit-def: $sgpr79
                                        ; implicit-def: $sgpr78
	s_and_saveexec_b32 s13, s5
	s_cbranch_execz .LBB126_288
; %bb.240:                              ;   in Loop: Header=BB126_32 Depth=1
	v_cmp_eq_u64_e32 vcc_lo, 1, v[4:5]
	s_cmp_eq_u64 s[6:7], 1
	s_mov_b32 s5, -1
	s_cselect_b32 s4, -1, 0
                                        ; implicit-def: $sgpr79
                                        ; implicit-def: $sgpr78
	s_wait_alu 0xfffe
	s_and_b32 s18, s4, vcc_lo
	s_wait_alu 0xfffe
	s_and_saveexec_b32 s77, s18
	s_cbranch_execz .LBB126_276
; %bb.241:                              ;   in Loop: Header=BB126_32 Depth=1
	ds_load_b64 v[2:3], v13 offset:5120
	s_wait_loadcnt_dscnt 0x0
	s_barrier_signal -1
	s_barrier_wait -1
	global_inv scope:SCOPE_SE
	v_readfirstlane_b32 s4, v2
	v_readfirstlane_b32 s5, v3
	s_and_saveexec_b32 s8, s0
; %bb.242:                              ;   in Loop: Header=BB126_32 Depth=1
	ds_store_b32 v26, v13
; %bb.243:                              ;   in Loop: Header=BB126_32 Depth=1
	s_wait_alu 0xfffe
	s_or_b32 exec_lo, exec_lo, s8
	v_or_b32_e32 v28, s14, v28
	v_or_b32_e32 v32, s14, v32
	s_mov_b32 s78, -1
	s_mov_b32 s79, 0
	s_cmp_eq_u64 s[4:5], 0
	s_mov_b32 s10, 0
	s_mov_b32 s11, -1
	s_wait_loadcnt_dscnt 0x0
	s_barrier_signal -1
	s_barrier_wait -1
	global_inv scope:SCOPE_SE
                                        ; implicit-def: $vgpr18
	s_cbranch_scc1 .LBB126_260
; %bb.244:                              ;   in Loop: Header=BB126_32 Depth=1
	s_add_nc_u64 s[8:9], s[4:5], s[70:71]
	s_mov_b32 s10, s69
	s_wait_alu 0xfffe
	s_mov_b32 s11, s9
	s_wait_alu 0xfffe
	s_cmp_lg_u64 s[10:11], 0
	s_cbranch_scc0 .LBB126_295
; %bb.245:                              ;   in Loop: Header=BB126_32 Depth=1
	s_cvt_f32_u32 s10, s66
	s_sub_nc_u64 s[56:57], 0, s[66:67]
	s_wait_alu 0xfffe
	s_delay_alu instid0(SALU_CYCLE_1) | instskip(SKIP_1) | instid1(SALU_CYCLE_2)
	s_fmamk_f32 s10, s95, 0x0, s10
	s_wait_alu 0xfffe
	v_s_rcp_f32 s10, s10
	s_delay_alu instid0(TRANS32_DEP_1) | instskip(SKIP_1) | instid1(SALU_CYCLE_2)
	s_mul_f32 s10, s10, 0x5f7ffffc
	s_wait_alu 0xfffe
	s_mul_f32 s11, s10, 0x2f800000
	s_wait_alu 0xfffe
	s_delay_alu instid0(SALU_CYCLE_2) | instskip(SKIP_1) | instid1(SALU_CYCLE_2)
	s_trunc_f32 s11, s11
	s_wait_alu 0xfffe
	s_fmamk_f32 s10, s11, 0xcf800000, s10
	s_cvt_u32_f32 s11, s11
	s_wait_alu 0xfffe
	s_delay_alu instid0(SALU_CYCLE_1) | instskip(SKIP_1) | instid1(SALU_CYCLE_2)
	s_cvt_u32_f32 s10, s10
	s_wait_alu 0xfffe
	s_mul_u64 s[80:81], s[56:57], s[10:11]
	s_wait_alu 0xfffe
	s_mul_hi_u32 s83, s10, s81
	s_mul_i32 s82, s10, s81
	s_mul_hi_u32 s68, s10, s80
	s_mul_i32 s85, s11, s80
	s_wait_alu 0xfffe
	s_add_nc_u64 s[82:83], s[68:69], s[82:83]
	s_mul_hi_u32 s84, s11, s80
	s_mul_hi_u32 s103, s11, s81
	s_wait_alu 0xfffe
	s_add_co_u32 s68, s82, s85
	s_add_co_ci_u32 s68, s83, s84
	s_mul_i32 s80, s11, s81
	s_add_co_ci_u32 s81, s103, 0
	s_wait_alu 0xfffe
	s_add_nc_u64 s[80:81], s[68:69], s[80:81]
	s_wait_alu 0xfffe
	s_add_co_u32 s10, s10, s80
	s_cselect_b32 s68, -1, 0
	s_wait_alu 0xfffe
	s_cmp_lg_u32 s68, 0
	s_add_co_ci_u32 s11, s11, s81
	s_wait_alu 0xfffe
	s_mul_u64 s[56:57], s[56:57], s[10:11]
	s_wait_alu 0xfffe
	s_mul_hi_u32 s81, s10, s57
	s_mul_i32 s80, s10, s57
	s_mul_hi_u32 s68, s10, s56
	s_mul_i32 s83, s11, s56
	s_wait_alu 0xfffe
	s_add_nc_u64 s[80:81], s[68:69], s[80:81]
	s_mul_hi_u32 s82, s11, s56
	s_mul_hi_u32 s84, s11, s57
	s_mul_i32 s56, s11, s57
	s_wait_alu 0xfffe
	s_add_co_u32 s57, s80, s83
	s_add_co_ci_u32 s68, s81, s82
	s_add_co_ci_u32 s57, s84, 0
	s_wait_alu 0xfffe
	s_add_nc_u64 s[56:57], s[68:69], s[56:57]
	s_wait_alu 0xfffe
	s_add_co_u32 s10, s10, s56
	s_cselect_b32 s56, -1, 0
	s_wait_alu 0xfffe
	s_mul_hi_u32 s68, s8, s10
	s_cmp_lg_u32 s56, 0
	s_mul_hi_u32 s80, s9, s10
	s_add_co_ci_u32 s56, s11, s57
	s_mul_i32 s57, s9, s10
	s_wait_alu 0xfffe
	s_mul_hi_u32 s11, s8, s56
	s_mul_i32 s10, s8, s56
	s_mul_hi_u32 s81, s9, s56
	s_wait_alu 0xfffe
	s_add_nc_u64 s[10:11], s[68:69], s[10:11]
	s_mul_i32 s56, s9, s56
	s_wait_alu 0xfffe
	s_add_co_u32 s10, s10, s57
	s_add_co_ci_u32 s68, s11, s80
	s_add_co_ci_u32 s57, s81, 0
	s_wait_alu 0xfffe
	s_add_nc_u64 s[10:11], s[68:69], s[56:57]
	s_wait_alu 0xfffe
	s_mul_u64 s[10:11], s[66:67], s[10:11]
	s_wait_alu 0xfffe
	s_sub_co_u32 s10, s8, s10
	s_cselect_b32 s56, -1, 0
	s_wait_alu 0xfffe
	s_cmp_lg_u32 s56, 0
	s_sub_co_ci_u32 s11, s9, s11
	s_sub_co_u32 s56, s10, s66
	s_cselect_b32 s57, -1, 0
	s_wait_alu 0xfffe
	s_cmp_lg_u32 s57, 0
	s_sub_co_ci_u32 s57, s11, 0
	;; [unrolled: 5-line block ×3, first 2 shown]
	s_cmp_ge_u32 s56, s66
	s_cselect_b32 s81, -1, 0
	s_cmp_eq_u32 s57, 0
	s_wait_alu 0xfffe
	s_cselect_b32 s81, s81, -1
	s_wait_alu 0xfffe
	s_cmp_lg_u32 s81, 0
	s_cselect_b32 s57, s80, s57
	s_cselect_b32 s56, s68, s56
	s_cmp_ge_u32 s10, s66
	s_cselect_b32 s68, -1, 0
	s_cmp_eq_u32 s11, 0
	s_wait_alu 0xfffe
	s_cselect_b32 s68, s68, -1
	s_wait_alu 0xfffe
	s_cmp_lg_u32 s68, 0
	s_cselect_b32 s11, s57, s11
	s_cselect_b32 s10, s56, s10
	s_cbranch_execnz .LBB126_247
.LBB126_246:                            ;   in Loop: Header=BB126_32 Depth=1
	v_cvt_f32_u32_e32 v2, s66
	s_sub_co_i32 s11, 0, s66
	s_delay_alu instid0(VALU_DEP_1) | instskip(NEXT) | instid1(TRANS32_DEP_1)
	v_rcp_iflag_f32_e32 v2, v2
	v_mul_f32_e32 v2, 0x4f7ffffe, v2
	s_delay_alu instid0(VALU_DEP_1) | instskip(NEXT) | instid1(VALU_DEP_1)
	v_cvt_u32_f32_e32 v2, v2
	v_readfirstlane_b32 s10, v2
	s_wait_alu 0xfffe
	s_mul_i32 s11, s11, s10
	s_wait_alu 0xfffe
	s_mul_hi_u32 s11, s10, s11
	s_wait_alu 0xfffe
	s_add_co_i32 s10, s10, s11
	s_wait_alu 0xfffe
	s_mul_hi_u32 s10, s8, s10
	s_wait_alu 0xfffe
	s_mul_i32 s10, s10, s66
	s_wait_alu 0xfffe
	s_sub_co_i32 s10, s8, s10
	s_wait_alu 0xfffe
	s_sub_co_i32 s11, s10, s66
	s_cmp_ge_u32 s10, s66
	s_wait_alu 0xfffe
	s_cselect_b32 s10, s11, s10
	s_wait_alu 0xfffe
	s_sub_co_i32 s11, s10, s66
	s_cmp_ge_u32 s10, s66
	s_wait_alu 0xfffe
	s_cselect_b32 s68, s11, s10
	s_wait_alu 0xfffe
	s_mov_b64 s[10:11], s[68:69]
.LBB126_247:                            ;   in Loop: Header=BB126_32 Depth=1
	s_wait_alu 0xfffe
	s_sub_nc_u64 s[8:9], s[8:9], s[10:11]
	s_mov_b32 s11, 0
	s_mov_b32 s10, 0
	s_mov_b32 s56, exec_lo
                                        ; implicit-def: $vgpr18
	s_wait_alu 0xfffe
	v_cmpx_gt_u64_e64 s[8:9], v[0:1]
	s_cbranch_execz .LBB126_259
; %bb.248:                              ;   in Loop: Header=BB126_32 Depth=1
	v_dual_mov_b32 v6, v10 :: v_dual_mov_b32 v3, v1
	v_mov_b32_e32 v2, v0
                                        ; implicit-def: $sgpr57
	s_branch .LBB126_252
.LBB126_249:                            ;   in Loop: Header=BB126_252 Depth=2
	s_wait_alu 0xfffe
	s_or_b32 exec_lo, exec_lo, s68
	s_wait_loadcnt_dscnt 0x0
	s_barrier_signal -1
	s_barrier_wait -1
	global_inv scope:SCOPE_SE
	ds_load_b64 v[17:18], v13 offset:3072
	s_wait_loadcnt_dscnt 0x0
	s_barrier_signal -1
	s_barrier_wait -1
	global_inv scope:SCOPE_SE
	v_cmp_neq_f32_e32 vcc_lo, 0, v17
	s_cbranch_vccnz .LBB126_255
; %bb.250:                              ;   in Loop: Header=BB126_252 Depth=2
	v_add_co_u32 v2, vcc_lo, v2, s66
	s_wait_alu 0xfffd
	v_add_co_ci_u32_e64 v3, null, 0, v3, vcc_lo
	v_add_nc_u32_e32 v6, s92, v6
	s_mov_b32 s68, 0
	s_delay_alu instid0(VALU_DEP_2)
	v_cmp_le_u64_e32 vcc_lo, s[8:9], v[2:3]
	s_or_not1_b32 s80, vcc_lo, exec_lo
.LBB126_251:                            ;   in Loop: Header=BB126_252 Depth=2
	s_wait_alu 0xfffe
	s_and_b32 s80, exec_lo, s80
	s_wait_alu 0xfffe
	s_or_b32 s10, s80, s10
	s_and_not1_b32 s57, s57, exec_lo
	s_and_b32 s68, s68, exec_lo
	s_wait_alu 0xfffe
	s_or_b32 s57, s57, s68
	s_and_not1_b32 exec_lo, exec_lo, s10
	s_cbranch_execz .LBB126_258
.LBB126_252:                            ;   Parent Loop BB126_32 Depth=1
                                        ; =>  This Inner Loop Header: Depth=2
	s_mov_b32 s68, exec_lo
	s_delay_alu instid0(VALU_DEP_1)
	v_cmpx_gt_u64_e64 s[4:5], v[2:3]
	s_cbranch_execz .LBB126_249
; %bb.253:                              ;   in Loop: Header=BB126_252 Depth=2
	ds_load_b32 v17, v6
	s_wait_dscnt 0x0
	v_cmp_lt_i32_e32 vcc_lo, -1, v17
	s_wait_alu 0xfffd
	v_cndmask_b32_e64 v7, -1, 0x80000000, vcc_lo
	v_cmp_o_f32_e32 vcc_lo, v17, v17
	s_delay_alu instid0(VALU_DEP_2) | instskip(SKIP_1) | instid1(VALU_DEP_1)
	v_xor_b32_e32 v7, v7, v17
	s_wait_alu 0xfffd
	v_cndmask_b32_e32 v7, -1, v7, vcc_lo
	s_delay_alu instid0(VALU_DEP_1) | instskip(NEXT) | instid1(VALU_DEP_1)
	v_and_b32_e32 v7, v7, v32
	v_cmp_eq_u32_e32 vcc_lo, v7, v28
	s_and_b32 exec_lo, exec_lo, vcc_lo
	s_cbranch_execz .LBB126_249
; %bb.254:                              ;   in Loop: Header=BB126_252 Depth=2
	ds_store_b64 v13, v[16:17] offset:3072
	s_branch .LBB126_249
.LBB126_255:                            ;   in Loop: Header=BB126_252 Depth=2
	s_mov_b32 s80, -1
	s_mov_b32 s68, -1
                                        ; implicit-def: $vgpr2_vgpr3
                                        ; implicit-def: $vgpr6
	s_branch .LBB126_251
.LBB126_256:                            ;   in Loop: Header=BB126_32 Depth=1
                                        ; implicit-def: $sgpr12_sgpr13
	s_branch .LBB126_199
.LBB126_257:                            ;   in Loop: Header=BB126_32 Depth=1
                                        ; implicit-def: $sgpr4_sgpr5
	s_branch .LBB126_216
.LBB126_258:                            ;   in Loop: Header=BB126_32 Depth=1
	s_or_b32 exec_lo, exec_lo, s10
	s_wait_alu 0xfffe
	s_and_b32 s10, s57, exec_lo
.LBB126_259:                            ;   in Loop: Header=BB126_32 Depth=1
	s_or_b32 exec_lo, exec_lo, s56
.LBB126_260:                            ;   in Loop: Header=BB126_32 Depth=1
	s_wait_alu 0xfffe
	s_and_b32 vcc_lo, exec_lo, s11
	s_wait_alu 0xfffe
	s_cbranch_vccz .LBB126_275
; %bb.261:                              ;   in Loop: Header=BB126_32 Depth=1
	s_mov_b32 s4, s69
	s_mov_b32 s5, s73
	s_wait_alu 0xfffe
	s_cmp_lg_u64 s[4:5], 0
	s_cbranch_scc0 .LBB126_296
; %bb.262:                              ;   in Loop: Header=BB126_32 Depth=1
	s_cvt_f32_u32 s4, s66
	s_sub_nc_u64 s[8:9], 0, s[66:67]
	s_wait_alu 0xfffe
	s_delay_alu instid0(SALU_CYCLE_1) | instskip(SKIP_1) | instid1(SALU_CYCLE_2)
	s_fmamk_f32 s4, s95, 0x0, s4
	s_wait_alu 0xfffe
	v_s_rcp_f32 s4, s4
	s_delay_alu instid0(TRANS32_DEP_1) | instskip(SKIP_1) | instid1(SALU_CYCLE_2)
	s_mul_f32 s4, s4, 0x5f7ffffc
	s_wait_alu 0xfffe
	s_mul_f32 s5, s4, 0x2f800000
	s_wait_alu 0xfffe
	s_delay_alu instid0(SALU_CYCLE_2) | instskip(SKIP_1) | instid1(SALU_CYCLE_2)
	s_trunc_f32 s5, s5
	s_wait_alu 0xfffe
	s_fmamk_f32 s4, s5, 0xcf800000, s4
	s_cvt_u32_f32 s5, s5
	s_wait_alu 0xfffe
	s_delay_alu instid0(SALU_CYCLE_1) | instskip(SKIP_1) | instid1(SALU_CYCLE_2)
	s_cvt_u32_f32 s4, s4
	s_wait_alu 0xfffe
	s_mul_u64 s[56:57], s[8:9], s[4:5]
	s_wait_alu 0xfffe
	s_mul_hi_u32 s79, s4, s57
	s_mul_i32 s78, s4, s57
	s_mul_hi_u32 s68, s4, s56
	s_mul_i32 s80, s5, s56
	s_wait_alu 0xfffe
	s_add_nc_u64 s[78:79], s[68:69], s[78:79]
	s_mul_hi_u32 s11, s5, s56
	s_mul_hi_u32 s81, s5, s57
	s_mul_i32 s56, s5, s57
	s_wait_alu 0xfffe
	s_add_co_u32 s57, s78, s80
	s_add_co_ci_u32 s68, s79, s11
	s_add_co_ci_u32 s57, s81, 0
	s_wait_alu 0xfffe
	s_add_nc_u64 s[56:57], s[68:69], s[56:57]
	s_wait_alu 0xfffe
	s_add_co_u32 s4, s4, s56
	s_cselect_b32 s11, -1, 0
	s_wait_alu 0xfffe
	s_cmp_lg_u32 s11, 0
	s_add_co_ci_u32 s5, s5, s57
	s_wait_alu 0xfffe
	s_mul_u64 s[8:9], s[8:9], s[4:5]
	s_wait_alu 0xfffe
	s_mul_hi_u32 s57, s4, s9
	s_mul_i32 s56, s4, s9
	s_mul_hi_u32 s68, s4, s8
	s_mul_i32 s78, s5, s8
	s_wait_alu 0xfffe
	s_add_nc_u64 s[56:57], s[68:69], s[56:57]
	s_mul_hi_u32 s11, s5, s8
	s_mul_hi_u32 s79, s5, s9
	s_mul_i32 s8, s5, s9
	s_wait_alu 0xfffe
	s_add_co_u32 s9, s56, s78
	s_add_co_ci_u32 s68, s57, s11
	s_add_co_ci_u32 s9, s79, 0
	s_wait_alu 0xfffe
	s_add_nc_u64 s[8:9], s[68:69], s[8:9]
	s_wait_alu 0xfffe
	s_add_co_u32 s4, s4, s8
	s_cselect_b32 s8, -1, 0
	s_wait_alu 0xfffe
	s_mul_hi_u32 s68, s72, s4
	s_cmp_lg_u32 s8, 0
	s_mul_hi_u32 s11, s73, s4
	s_add_co_ci_u32 s8, s5, s9
	s_mul_i32 s9, s73, s4
	s_wait_alu 0xfffe
	s_mul_hi_u32 s5, s72, s8
	s_mul_i32 s4, s72, s8
	s_mul_hi_u32 s56, s73, s8
	s_wait_alu 0xfffe
	s_add_nc_u64 s[4:5], s[68:69], s[4:5]
	s_mul_i32 s8, s73, s8
	s_wait_alu 0xfffe
	s_add_co_u32 s4, s4, s9
	s_add_co_ci_u32 s68, s5, s11
	s_add_co_ci_u32 s9, s56, 0
	s_wait_alu 0xfffe
	s_add_nc_u64 s[4:5], s[68:69], s[8:9]
	s_wait_alu 0xfffe
	s_mul_u64 s[4:5], s[66:67], s[4:5]
	s_wait_alu 0xfffe
	s_sub_co_u32 s4, s72, s4
	s_cselect_b32 s8, -1, 0
	s_wait_alu 0xfffe
	s_cmp_lg_u32 s8, 0
	s_sub_co_ci_u32 s5, s73, s5
	s_sub_co_u32 s8, s4, s66
	s_cselect_b32 s9, -1, 0
	s_wait_alu 0xfffe
	s_cmp_lg_u32 s9, 0
	s_sub_co_ci_u32 s9, s5, 0
	;; [unrolled: 5-line block ×3, first 2 shown]
	s_cmp_ge_u32 s8, s66
	s_cselect_b32 s57, -1, 0
	s_cmp_eq_u32 s9, 0
	s_wait_alu 0xfffe
	s_cselect_b32 s57, s57, -1
	s_wait_alu 0xfffe
	s_cmp_lg_u32 s57, 0
	s_cselect_b32 s9, s56, s9
	s_cselect_b32 s8, s11, s8
	s_cmp_ge_u32 s4, s66
	s_cselect_b32 s11, -1, 0
	s_cmp_eq_u32 s5, 0
	s_wait_alu 0xfffe
	s_cselect_b32 s11, s11, -1
	s_wait_alu 0xfffe
	s_cmp_lg_u32 s11, 0
	s_cselect_b32 s5, s9, s5
	s_cselect_b32 s4, s8, s4
	s_cbranch_execnz .LBB126_264
.LBB126_263:                            ;   in Loop: Header=BB126_32 Depth=1
	v_cvt_f32_u32_e32 v2, s66
	s_sub_co_i32 s5, 0, s66
	s_delay_alu instid0(VALU_DEP_1) | instskip(NEXT) | instid1(TRANS32_DEP_1)
	v_rcp_iflag_f32_e32 v2, v2
	v_mul_f32_e32 v2, 0x4f7ffffe, v2
	s_delay_alu instid0(VALU_DEP_1) | instskip(NEXT) | instid1(VALU_DEP_1)
	v_cvt_u32_f32_e32 v2, v2
	v_readfirstlane_b32 s4, v2
	s_wait_alu 0xfffe
	s_mul_i32 s5, s5, s4
	s_wait_alu 0xfffe
	s_mul_hi_u32 s5, s4, s5
	s_wait_alu 0xfffe
	s_add_co_i32 s4, s4, s5
	s_wait_alu 0xfffe
	s_mul_hi_u32 s4, s72, s4
	s_wait_alu 0xfffe
	s_mul_i32 s4, s4, s66
	s_wait_alu 0xfffe
	s_sub_co_i32 s4, s72, s4
	s_wait_alu 0xfffe
	s_sub_co_i32 s5, s4, s66
	s_cmp_ge_u32 s4, s66
	s_wait_alu 0xfffe
	s_cselect_b32 s4, s5, s4
	s_wait_alu 0xfffe
	s_sub_co_i32 s5, s4, s66
	s_cmp_ge_u32 s4, s66
	s_wait_alu 0xfffe
	s_cselect_b32 s68, s5, s4
	s_wait_alu 0xfffe
	s_mov_b64 s[4:5], s[68:69]
.LBB126_264:                            ;   in Loop: Header=BB126_32 Depth=1
	s_wait_alu 0xfffe
	s_sub_nc_u64 s[4:5], s[72:73], s[4:5]
	s_mov_b32 s8, exec_lo
                                        ; implicit-def: $vgpr18
	s_wait_alu 0xfffe
	v_cmpx_gt_u64_e64 s[4:5], v[0:1]
	s_cbranch_execz .LBB126_274
; %bb.265:                              ;   in Loop: Header=BB126_32 Depth=1
	v_dual_mov_b32 v3, v1 :: v_dual_mov_b32 v2, v0
	s_mov_b32 s9, 0
                                        ; implicit-def: $sgpr11
	s_branch .LBB126_269
.LBB126_266:                            ;   in Loop: Header=BB126_269 Depth=2
	s_wait_alu 0xfffe
	s_or_b32 exec_lo, exec_lo, s56
	s_wait_loadcnt_dscnt 0x0
	s_barrier_signal -1
	s_barrier_wait -1
	global_inv scope:SCOPE_SE
	ds_load_b64 v[17:18], v13 offset:3072
	s_wait_loadcnt_dscnt 0x0
	s_barrier_signal -1
	s_barrier_wait -1
	global_inv scope:SCOPE_SE
	v_cmp_eq_f32_e32 vcc_lo, 0, v17
	s_cbranch_vccz .LBB126_272
; %bb.267:                              ;   in Loop: Header=BB126_269 Depth=2
	v_add_co_u32 v2, vcc_lo, v2, s66
	s_wait_alu 0xfffd
	v_add_co_ci_u32_e64 v3, null, 0, v3, vcc_lo
	s_mov_b32 s56, 0
	v_cmp_le_u64_e32 vcc_lo, s[4:5], v[2:3]
	s_or_not1_b32 s57, vcc_lo, exec_lo
.LBB126_268:                            ;   in Loop: Header=BB126_269 Depth=2
	s_wait_alu 0xfffe
	s_and_b32 s57, exec_lo, s57
	s_wait_alu 0xfffe
	s_or_b32 s9, s57, s9
	s_and_not1_b32 s11, s11, exec_lo
	s_and_b32 s56, s56, exec_lo
	s_wait_alu 0xfffe
	s_or_b32 s11, s11, s56
	s_and_not1_b32 exec_lo, exec_lo, s9
	s_cbranch_execz .LBB126_273
.LBB126_269:                            ;   Parent Loop BB126_32 Depth=1
                                        ; =>  This Inner Loop Header: Depth=2
	s_mov_b32 s56, exec_lo
	s_delay_alu instid0(VALU_DEP_1)
	v_cmpx_gt_u64_e64 s[24:25], v[2:3]
	s_cbranch_execz .LBB126_266
; %bb.270:                              ;   in Loop: Header=BB126_269 Depth=2
	v_mul_lo_u32 v9, v3, s50
	v_mul_lo_u32 v12, v2, s51
	v_mad_co_u64_u32 v[6:7], null, v2, s50, 0
	s_delay_alu instid0(VALU_DEP_1) | instskip(NEXT) | instid1(VALU_DEP_1)
	v_add3_u32 v7, v7, v12, v9
	v_lshlrev_b64_e32 v[6:7], 2, v[6:7]
	s_delay_alu instid0(VALU_DEP_1) | instskip(SKIP_1) | instid1(VALU_DEP_2)
	v_add_co_u32 v6, vcc_lo, s58, v6
	s_wait_alu 0xfffd
	v_add_co_ci_u32_e64 v7, null, s59, v7, vcc_lo
	global_load_b32 v17, v[6:7], off
	s_wait_loadcnt 0x0
	v_cmp_lt_i32_e32 vcc_lo, -1, v17
	s_wait_alu 0xfffd
	v_cndmask_b32_e64 v6, -1, 0x80000000, vcc_lo
	v_cmp_o_f32_e32 vcc_lo, v17, v17
	s_delay_alu instid0(VALU_DEP_2) | instskip(SKIP_1) | instid1(VALU_DEP_1)
	v_xor_b32_e32 v6, v6, v17
	s_wait_alu 0xfffd
	v_cndmask_b32_e32 v6, -1, v6, vcc_lo
	s_delay_alu instid0(VALU_DEP_1) | instskip(NEXT) | instid1(VALU_DEP_1)
	v_and_b32_e32 v6, v6, v32
	v_cmp_eq_u32_e32 vcc_lo, v6, v28
	s_and_b32 exec_lo, exec_lo, vcc_lo
	s_cbranch_execz .LBB126_266
; %bb.271:                              ;   in Loop: Header=BB126_269 Depth=2
	ds_store_b64 v13, v[16:17] offset:3072
	s_branch .LBB126_266
.LBB126_272:                            ;   in Loop: Header=BB126_269 Depth=2
	s_mov_b32 s57, -1
	s_mov_b32 s56, -1
                                        ; implicit-def: $vgpr2_vgpr3
	s_branch .LBB126_268
.LBB126_273:                            ;   in Loop: Header=BB126_32 Depth=1
	s_or_b32 exec_lo, exec_lo, s9
	s_delay_alu instid0(SALU_CYCLE_1)
	s_and_not1_b32 s4, s10, exec_lo
	s_wait_alu 0xfffe
	s_and_b32 s5, s11, exec_lo
	s_wait_alu 0xfffe
	s_or_b32 s10, s4, s5
.LBB126_274:                            ;   in Loop: Header=BB126_32 Depth=1
	s_or_b32 exec_lo, exec_lo, s8
	s_mov_b32 s78, 0
	s_mov_b32 s79, -1
.LBB126_275:                            ;   in Loop: Header=BB126_32 Depth=1
	s_wait_alu 0xfffe
	s_or_not1_b32 s5, s10, exec_lo
.LBB126_276:                            ;   in Loop: Header=BB126_32 Depth=1
	s_wait_alu 0xfffe
	s_or_b32 exec_lo, exec_lo, s77
	s_mov_b32 s8, 0
	s_and_saveexec_b32 s4, s5
	s_cbranch_execz .LBB126_287
; %bb.277:                              ;   in Loop: Header=BB126_32 Depth=1
	v_mov_b32_e32 v2, 1
	v_dual_mov_b32 v3, 0 :: v_dual_mov_b32 v8, 1
	s_xor_b32 s8, s18, -1
	s_wait_alu 0xfffe
	s_and_saveexec_b32 s5, s8
	s_cbranch_execz .LBB126_286
; %bb.278:                              ;   in Loop: Header=BB126_32 Depth=1
	s_mov_b32 s8, exec_lo
	v_cmpx_ge_u64_e64 s[6:7], v[4:5]
	s_wait_alu 0xfffe
	s_xor_b32 s8, exec_lo, s8
	s_cbranch_execz .LBB126_283
; %bb.279:                              ;   in Loop: Header=BB126_32 Depth=1
	ds_load_b64 v[2:3], v13 offset:5120
	v_or_b32_e32 v28, s14, v28
	v_or_b32_e32 v32, s14, v32
	s_wait_dscnt 0x0
	v_cmp_ne_u64_e32 vcc_lo, 0, v[2:3]
	s_cbranch_vccnz .LBB126_283
; %bb.280:                              ;   in Loop: Header=BB126_32 Depth=1
	s_and_saveexec_b32 s9, s3
; %bb.281:                              ;   in Loop: Header=BB126_32 Depth=1
	v_dual_mov_b32 v2, s6 :: v_dual_mov_b32 v3, s7
	ds_store_b64 v13, v[2:3] offset:5128
; %bb.282:                              ;   in Loop: Header=BB126_32 Depth=1
	s_wait_alu 0xfffe
	s_or_b32 exec_lo, exec_lo, s9
	s_wait_loadcnt_dscnt 0x0
	s_barrier_signal -1
	s_barrier_wait -1
	global_inv scope:SCOPE_SE
.LBB126_283:                            ;   in Loop: Header=BB126_32 Depth=1
	s_wait_alu 0xfffe
	s_and_not1_saveexec_b32 s8, s8
; %bb.284:                              ;   in Loop: Header=BB126_32 Depth=1
	v_sub_co_u32 v4, vcc_lo, v4, s6
	s_wait_alu 0xfffd
	v_subrev_co_ci_u32_e64 v5, null, s7, v5, vcc_lo
; %bb.285:                              ;   in Loop: Header=BB126_32 Depth=1
	s_wait_alu 0xfffe
	s_or_b32 exec_lo, exec_lo, s8
	v_mov_b32_e32 v2, v4
	s_delay_alu instid0(VALU_DEP_2)
	v_dual_mov_b32 v8, 8 :: v_dual_mov_b32 v3, v5
.LBB126_286:                            ;   in Loop: Header=BB126_32 Depth=1
	s_wait_alu 0xfffe
	s_or_b32 exec_lo, exec_lo, s5
	s_delay_alu instid0(VALU_DEP_1)
	v_dual_mov_b32 v5, v3 :: v_dual_mov_b32 v4, v2
	s_mov_b32 s8, exec_lo
.LBB126_287:                            ;   in Loop: Header=BB126_32 Depth=1
	s_wait_alu 0xfffe
	s_or_b32 exec_lo, exec_lo, s4
	s_delay_alu instid0(SALU_CYCLE_1)
	s_or_not1_b32 s4, s8, exec_lo
.LBB126_288:                            ;   in Loop: Header=BB126_32 Depth=1
	s_wait_alu 0xfffe
	s_or_b32 exec_lo, exec_lo, s13
	v_dual_mov_b32 v2, v4 :: v_dual_mov_b32 v3, v5
	s_and_not1_b32 s5, s76, exec_lo
	s_and_b32 s6, s79, exec_lo
	s_and_not1_b32 s7, s23, exec_lo
	s_and_b32 s8, s78, exec_lo
	s_wait_alu 0xfffe
	s_or_b32 s76, s5, s6
	s_or_b32 s23, s7, s8
	s_and_b32 s5, s4, exec_lo
.LBB126_289:                            ;   in Loop: Header=BB126_32 Depth=1
	s_wait_alu 0xfffe
	s_or_b32 exec_lo, exec_lo, s12
	s_delay_alu instid0(SALU_CYCLE_1)
	s_or_not1_b32 s4, s5, exec_lo
.LBB126_290:                            ;   in Loop: Header=BB126_32 Depth=1
	s_wait_alu 0xfffe
	s_or_b32 exec_lo, exec_lo, s22
	v_dual_mov_b32 v7, v3 :: v_dual_mov_b32 v6, v2
	s_and_not1_b32 s5, s20, exec_lo
	s_and_b32 s6, s76, exec_lo
	s_and_not1_b32 s7, s19, exec_lo
	s_and_b32 s8, s23, exec_lo
	s_wait_alu 0xfffe
	s_or_b32 s20, s5, s6
	s_or_b32 s19, s7, s8
	s_and_b32 s5, s4, exec_lo
.LBB126_291:                            ;   in Loop: Header=BB126_32 Depth=1
	s_wait_alu 0xfffe
	s_or_b32 exec_lo, exec_lo, s21
	s_delay_alu instid0(SALU_CYCLE_1)
	s_or_not1_b32 s4, s5, exec_lo
.LBB126_292:                            ;   in Loop: Header=BB126_32 Depth=1
	s_wait_alu 0xfffe
	s_or_b32 exec_lo, exec_lo, s17
	s_mov_b32 s5, 0
	s_and_saveexec_b32 s6, s4
	s_wait_alu 0xfffe
	s_xor_b32 s4, exec_lo, s6
	s_cbranch_execz .LBB126_30
; %bb.293:                              ;   in Loop: Header=BB126_32 Depth=1
	v_and_b32_e32 v2, 7, v8
	s_mov_b32 s6, -1
	s_mov_b32 s5, -1
	s_mov_b32 s7, exec_lo
	s_delay_alu instid0(VALU_DEP_1)
	v_cmpx_eq_u32_e32 0, v2
	s_cbranch_execz .LBB126_29
; %bb.294:                              ;   in Loop: Header=BB126_32 Depth=1
	s_xor_b32 s96, s96, 1
	s_add_co_i32 s8, s93, -2
	s_cmp_eq_u32 s93, 0
	s_wait_alu 0xfffe
	s_mov_b32 s93, s8
	s_cselect_b32 s6, -1, 0
	s_xor_b32 s5, exec_lo, -1
	s_wait_alu 0xfffe
	s_or_not1_b32 s6, s6, exec_lo
	s_branch .LBB126_29
.LBB126_295:                            ;   in Loop: Header=BB126_32 Depth=1
                                        ; implicit-def: $sgpr10_sgpr11
	s_branch .LBB126_246
.LBB126_296:                            ;   in Loop: Header=BB126_32 Depth=1
                                        ; implicit-def: $sgpr4_sgpr5
	s_branch .LBB126_263
.LBB126_297:
	s_or_b32 exec_lo, exec_lo, s94
	s_xor_b32 s3, s102, -1
	s_xor_b32 s1, s100, -1
	;; [unrolled: 1-line block ×3, first 2 shown]
	s_mov_b32 s0, 0
	s_and_saveexec_b32 s5, s1
	s_wait_alu 0xfffe
	s_xor_b32 s1, exec_lo, s5
	s_cbranch_execnz .LBB126_302
; %bb.298:
	s_and_not1_saveexec_b32 s1, s1
	s_cbranch_execnz .LBB126_315
.LBB126_299:
	s_or_b32 exec_lo, exec_lo, s1
	s_and_saveexec_b32 s1, s0
.LBB126_300:
	; divergent unreachable
.LBB126_301:
	s_endpgm
.LBB126_302:
	s_and_saveexec_b32 s0, s3
	s_delay_alu instid0(SALU_CYCLE_1)
	s_xor_b32 s3, exec_lo, s0
	s_cbranch_execz .LBB126_313
; %bb.303:
	s_and_saveexec_b32 s0, s4
	s_delay_alu instid0(SALU_CYCLE_1)
	s_xor_b32 s0, exec_lo, s0
; %bb.304:
	v_cmp_lt_i32_e32 vcc_lo, -1, v28
	s_wait_alu 0xfffd
	v_cndmask_b32_e64 v2, 0x80000000, -1, vcc_lo
	s_delay_alu instid0(VALU_DEP_1)
	v_xor_b32_e32 v18, v2, v28
; %bb.305:
	s_or_b32 exec_lo, exec_lo, s0
	s_mul_u64 s[4:5], s[54:55], s[36:37]
	s_mul_u64 s[6:7], s[54:55], s[44:45]
	s_wait_alu 0xfffe
	s_sub_nc_u64 s[4:5], s[52:53], s[4:5]
	s_mul_u64 s[8:9], s[52:53], s[38:39]
	s_wait_alu 0xfffe
	s_mul_u64 s[4:5], s[4:5], s[46:47]
	s_lshl_b64 s[6:7], s[6:7], 2
	s_sub_nc_u64 s[8:9], s[34:35], s[8:9]
	s_wait_alu 0xfffe
	s_add_nc_u64 s[6:7], s[64:65], s[6:7]
	s_lshl_b64 s[4:5], s[4:5], 2
	s_mul_u64 s[8:9], s[8:9], s[60:61]
	v_mov_b32_e32 v2, 0
	s_wait_alu 0xfffe
	s_add_nc_u64 s[4:5], s[6:7], s[4:5]
	s_lshl_b64 s[6:7], s[8:9], 2
	s_wait_alu 0xfffe
	s_add_nc_u64 s[4:5], s[4:5], s[6:7]
	global_store_b32 v2, v18, s[4:5]
	s_and_saveexec_b32 s4, s2
	s_cbranch_execz .LBB126_312
; %bb.306:
	v_cmp_u_f32_e32 vcc_lo, v18, v18
	s_mov_b32 s2, 0
                                        ; implicit-def: $sgpr5
                                        ; implicit-def: $sgpr8
                                        ; implicit-def: $sgpr7
	s_xor_b32 s6, vcc_lo, -1
	s_branch .LBB126_308
.LBB126_307:                            ;   in Loop: Header=BB126_308 Depth=1
	s_or_b32 exec_lo, exec_lo, s0
	s_wait_alu 0xfffe
	s_and_b32 s0, exec_lo, s8
	s_delay_alu instid0(SALU_CYCLE_1)
	s_or_b32 s2, s0, s2
	s_and_not1_b32 s0, s5, exec_lo
	s_and_b32 s5, s7, exec_lo
	s_wait_alu 0xfffe
	s_or_b32 s5, s0, s5
	s_and_not1_b32 exec_lo, exec_lo, s2
	s_cbranch_execz .LBB126_310
.LBB126_308:                            ; =>This Inner Loop Header: Depth=1
	v_dual_mov_b32 v3, v1 :: v_dual_mov_b32 v2, v0
	s_or_b32 s7, s7, exec_lo
	s_or_b32 s8, s8, exec_lo
	s_delay_alu instid0(VALU_DEP_1) | instskip(NEXT) | instid1(VALU_DEP_2)
	v_mul_lo_u32 v4, v3, s50
	v_mul_lo_u32 v5, v2, s51
	v_mad_co_u64_u32 v[0:1], null, v2, s50, 0
	s_delay_alu instid0(VALU_DEP_1) | instskip(NEXT) | instid1(VALU_DEP_1)
	v_add3_u32 v1, v1, v5, v4
	v_lshlrev_b64_e32 v[0:1], 2, v[0:1]
	s_delay_alu instid0(VALU_DEP_1) | instskip(SKIP_1) | instid1(VALU_DEP_2)
	v_add_co_u32 v0, vcc_lo, s58, v0
	s_wait_alu 0xfffd
	v_add_co_ci_u32_e64 v1, null, s59, v1, vcc_lo
	global_load_b32 v0, v[0:1], off
	s_wait_loadcnt 0x0
	v_cmp_o_f32_e32 vcc_lo, v0, v0
	v_cmp_neq_f32_e64 s0, v0, v18
                                        ; implicit-def: $vgpr0_vgpr1
	s_wait_alu 0xfffe
	s_or_b32 s9, vcc_lo, s6
	s_wait_alu 0xfffe
	s_and_b32 s9, s0, s9
	s_wait_alu 0xfffe
	s_and_saveexec_b32 s0, s9
	s_cbranch_execz .LBB126_307
; %bb.309:                              ;   in Loop: Header=BB126_308 Depth=1
	v_add_co_u32 v0, vcc_lo, v2, s66
	s_wait_alu 0xfffd
	v_add_co_ci_u32_e64 v1, null, 0, v3, vcc_lo
	s_and_not1_b32 s8, s8, exec_lo
	s_and_not1_b32 s7, s7, exec_lo
	v_cmp_le_u64_e32 vcc_lo, s[24:25], v[0:1]
	s_and_b32 s9, vcc_lo, exec_lo
	s_wait_alu 0xfffe
	s_or_b32 s8, s8, s9
	s_branch .LBB126_307
.LBB126_310:
	s_or_b32 exec_lo, exec_lo, s2
	s_wait_alu 0xfffe
	s_and_saveexec_b32 s0, s5
	s_delay_alu instid0(SALU_CYCLE_1)
	s_xor_b32 s0, exec_lo, s0
	s_cbranch_execz .LBB126_312
; %bb.311:
	s_mul_u64 s[6:7], s[48:49], s[28:29]
	v_readlane_b32 s12, v37, 0
	v_readlane_b32 s13, v37, 1
	s_mul_u64 s[8:9], s[48:49], s[40:41]
	s_wait_alu 0xfffe
	s_sub_nc_u64 s[6:7], s[26:27], s[6:7]
	s_mul_u64 s[10:11], s[26:27], s[30:31]
	s_wait_alu 0xfffe
	s_mul_u64 s[6:7], s[6:7], s[42:43]
	s_lshl_b64 s[8:9], s[8:9], 3
	s_sub_nc_u64 s[10:11], s[34:35], s[10:11]
	s_wait_alu 0xfffe
	s_add_nc_u64 s[8:9], s[62:63], s[8:9]
	s_lshl_b64 s[6:7], s[6:7], 3
	s_mul_u64 s[10:11], s[10:11], s[12:13]
	v_mov_b32_e32 v0, 0
	s_wait_alu 0xfffe
	s_add_nc_u64 s[6:7], s[8:9], s[6:7]
	s_lshl_b64 s[8:9], s[10:11], 3
	s_wait_alu 0xfffe
	s_add_nc_u64 s[6:7], s[6:7], s[8:9]
	global_store_b64 v0, v[2:3], s[6:7]
.LBB126_312:
	s_wait_alu 0xfffe
	s_or_b32 exec_lo, exec_lo, s4
.LBB126_313:
	s_wait_alu 0xfffe
	s_or_saveexec_b32 s0, s3
	s_mov_b32 s2, 0
	s_xor_b32 exec_lo, exec_lo, s0
	s_cbranch_execnz .LBB126_316
.LBB126_314:
	s_or_b32 exec_lo, exec_lo, s0
	s_wait_alu 0xfffe
	s_and_b32 s0, s2, exec_lo
	s_and_not1_saveexec_b32 s1, s1
	s_cbranch_execz .LBB126_299
.LBB126_315:
	s_or_b32 s0, s0, exec_lo
	s_trap 2
	s_or_b32 exec_lo, exec_lo, s1
	s_and_saveexec_b32 s1, s0
	s_cbranch_execnz .LBB126_300
	s_branch .LBB126_301
.LBB126_316:
	s_mov_b32 s2, exec_lo
	s_trap 2
	s_branch .LBB126_314
	.section	.rodata,"a",@progbits
	.p2align	6, 0x0
	.amdhsa_kernel _ZN2at6native12_GLOBAL__N_112gatherMedianIfmLi3EEEvNS_4cuda6detail10TensorInfoIT_T0_EENS5_IlS7_EENS5_IKS6_S7_EES7_S7_S7_b
		.amdhsa_group_segment_fixed_size 5152
		.amdhsa_private_segment_fixed_size 0
		.amdhsa_kernarg_size 1536
		.amdhsa_user_sgpr_count 2
		.amdhsa_user_sgpr_dispatch_ptr 0
		.amdhsa_user_sgpr_queue_ptr 0
		.amdhsa_user_sgpr_kernarg_segment_ptr 1
		.amdhsa_user_sgpr_dispatch_id 0
		.amdhsa_user_sgpr_private_segment_size 0
		.amdhsa_wavefront_size32 1
		.amdhsa_uses_dynamic_stack 0
		.amdhsa_enable_private_segment 0
		.amdhsa_system_sgpr_workgroup_id_x 1
		.amdhsa_system_sgpr_workgroup_id_y 1
		.amdhsa_system_sgpr_workgroup_id_z 1
		.amdhsa_system_sgpr_workgroup_info 0
		.amdhsa_system_vgpr_workitem_id 0
		.amdhsa_next_free_vgpr 38
		.amdhsa_next_free_sgpr 105
		.amdhsa_reserve_vcc 1
		.amdhsa_float_round_mode_32 0
		.amdhsa_float_round_mode_16_64 0
		.amdhsa_float_denorm_mode_32 3
		.amdhsa_float_denorm_mode_16_64 3
		.amdhsa_fp16_overflow 0
		.amdhsa_workgroup_processor_mode 1
		.amdhsa_memory_ordered 1
		.amdhsa_forward_progress 1
		.amdhsa_inst_pref_size 151
		.amdhsa_round_robin_scheduling 0
		.amdhsa_exception_fp_ieee_invalid_op 0
		.amdhsa_exception_fp_denorm_src 0
		.amdhsa_exception_fp_ieee_div_zero 0
		.amdhsa_exception_fp_ieee_overflow 0
		.amdhsa_exception_fp_ieee_underflow 0
		.amdhsa_exception_fp_ieee_inexact 0
		.amdhsa_exception_int_div_zero 0
	.end_amdhsa_kernel
	.section	.text._ZN2at6native12_GLOBAL__N_112gatherMedianIfmLi3EEEvNS_4cuda6detail10TensorInfoIT_T0_EENS5_IlS7_EENS5_IKS6_S7_EES7_S7_S7_b,"axG",@progbits,_ZN2at6native12_GLOBAL__N_112gatherMedianIfmLi3EEEvNS_4cuda6detail10TensorInfoIT_T0_EENS5_IlS7_EENS5_IKS6_S7_EES7_S7_S7_b,comdat
.Lfunc_end126:
	.size	_ZN2at6native12_GLOBAL__N_112gatherMedianIfmLi3EEEvNS_4cuda6detail10TensorInfoIT_T0_EENS5_IlS7_EENS5_IKS6_S7_EES7_S7_S7_b, .Lfunc_end126-_ZN2at6native12_GLOBAL__N_112gatherMedianIfmLi3EEEvNS_4cuda6detail10TensorInfoIT_T0_EENS5_IlS7_EENS5_IKS6_S7_EES7_S7_S7_b
                                        ; -- End function
	.set _ZN2at6native12_GLOBAL__N_112gatherMedianIfmLi3EEEvNS_4cuda6detail10TensorInfoIT_T0_EENS5_IlS7_EENS5_IKS6_S7_EES7_S7_S7_b.num_vgpr, 38
	.set _ZN2at6native12_GLOBAL__N_112gatherMedianIfmLi3EEEvNS_4cuda6detail10TensorInfoIT_T0_EENS5_IlS7_EENS5_IKS6_S7_EES7_S7_S7_b.num_agpr, 0
	.set _ZN2at6native12_GLOBAL__N_112gatherMedianIfmLi3EEEvNS_4cuda6detail10TensorInfoIT_T0_EENS5_IlS7_EENS5_IKS6_S7_EES7_S7_S7_b.numbered_sgpr, 105
	.set _ZN2at6native12_GLOBAL__N_112gatherMedianIfmLi3EEEvNS_4cuda6detail10TensorInfoIT_T0_EENS5_IlS7_EENS5_IKS6_S7_EES7_S7_S7_b.num_named_barrier, 0
	.set _ZN2at6native12_GLOBAL__N_112gatherMedianIfmLi3EEEvNS_4cuda6detail10TensorInfoIT_T0_EENS5_IlS7_EENS5_IKS6_S7_EES7_S7_S7_b.private_seg_size, 0
	.set _ZN2at6native12_GLOBAL__N_112gatherMedianIfmLi3EEEvNS_4cuda6detail10TensorInfoIT_T0_EENS5_IlS7_EENS5_IKS6_S7_EES7_S7_S7_b.uses_vcc, 1
	.set _ZN2at6native12_GLOBAL__N_112gatherMedianIfmLi3EEEvNS_4cuda6detail10TensorInfoIT_T0_EENS5_IlS7_EENS5_IKS6_S7_EES7_S7_S7_b.uses_flat_scratch, 0
	.set _ZN2at6native12_GLOBAL__N_112gatherMedianIfmLi3EEEvNS_4cuda6detail10TensorInfoIT_T0_EENS5_IlS7_EENS5_IKS6_S7_EES7_S7_S7_b.has_dyn_sized_stack, 0
	.set _ZN2at6native12_GLOBAL__N_112gatherMedianIfmLi3EEEvNS_4cuda6detail10TensorInfoIT_T0_EENS5_IlS7_EENS5_IKS6_S7_EES7_S7_S7_b.has_recursion, 0
	.set _ZN2at6native12_GLOBAL__N_112gatherMedianIfmLi3EEEvNS_4cuda6detail10TensorInfoIT_T0_EENS5_IlS7_EENS5_IKS6_S7_EES7_S7_S7_b.has_indirect_call, 0
	.section	.AMDGPU.csdata,"",@progbits
; Kernel info:
; codeLenInByte = 19324
; TotalNumSgprs: 107
; NumVgprs: 38
; ScratchSize: 0
; MemoryBound: 0
; FloatMode: 240
; IeeeMode: 1
; LDSByteSize: 5152 bytes/workgroup (compile time only)
; SGPRBlocks: 0
; VGPRBlocks: 4
; NumSGPRsForWavesPerEU: 107
; NumVGPRsForWavesPerEU: 38
; Occupancy: 16
; WaveLimiterHint : 1
; COMPUTE_PGM_RSRC2:SCRATCH_EN: 0
; COMPUTE_PGM_RSRC2:USER_SGPR: 2
; COMPUTE_PGM_RSRC2:TRAP_HANDLER: 0
; COMPUTE_PGM_RSRC2:TGID_X_EN: 1
; COMPUTE_PGM_RSRC2:TGID_Y_EN: 1
; COMPUTE_PGM_RSRC2:TGID_Z_EN: 1
; COMPUTE_PGM_RSRC2:TIDIG_COMP_CNT: 0
	.section	.text._ZN2at6native12_GLOBAL__N_112gatherMedianIfmLin1EEEvNS_4cuda6detail10TensorInfoIT_T0_EENS5_IlS7_EENS5_IKS6_S7_EES7_S7_S7_b,"axG",@progbits,_ZN2at6native12_GLOBAL__N_112gatherMedianIfmLin1EEEvNS_4cuda6detail10TensorInfoIT_T0_EENS5_IlS7_EENS5_IKS6_S7_EES7_S7_S7_b,comdat
	.globl	_ZN2at6native12_GLOBAL__N_112gatherMedianIfmLin1EEEvNS_4cuda6detail10TensorInfoIT_T0_EENS5_IlS7_EENS5_IKS6_S7_EES7_S7_S7_b ; -- Begin function _ZN2at6native12_GLOBAL__N_112gatherMedianIfmLin1EEEvNS_4cuda6detail10TensorInfoIT_T0_EENS5_IlS7_EENS5_IKS6_S7_EES7_S7_S7_b
	.p2align	8
	.type	_ZN2at6native12_GLOBAL__N_112gatherMedianIfmLin1EEEvNS_4cuda6detail10TensorInfoIT_T0_EENS5_IlS7_EENS5_IKS6_S7_EES7_S7_S7_b,@function
_ZN2at6native12_GLOBAL__N_112gatherMedianIfmLin1EEEvNS_4cuda6detail10TensorInfoIT_T0_EENS5_IlS7_EENS5_IKS6_S7_EES7_S7_S7_b: ; @_ZN2at6native12_GLOBAL__N_112gatherMedianIfmLin1EEEvNS_4cuda6detail10TensorInfoIT_T0_EENS5_IlS7_EENS5_IKS6_S7_EES7_S7_S7_b
; %bb.0:
	s_clause 0x1
	s_load_b64 s[6:7], s[0:1], 0x500
	s_load_b128 s[24:27], s[0:1], 0x4e0
	s_lshr_b32 s2, ttmp7, 16
	s_and_b32 s3, ttmp7, 0xffff
	s_wait_kmcnt 0x0
	s_mul_i32 s2, s7, s2
	s_delay_alu instid0(SALU_CYCLE_1) | instskip(SKIP_2) | instid1(SALU_CYCLE_1)
	s_add_co_i32 s2, s2, s3
	s_mov_b32 s3, 0
	s_mul_i32 s2, s2, s6
	s_add_co_i32 s2, s2, ttmp9
	s_delay_alu instid0(SALU_CYCLE_1)
	v_cmp_le_u64_e64 s4, s[26:27], s[2:3]
	s_and_b32 vcc_lo, exec_lo, s4
	s_cbranch_vccnz .LBB127_314
; %bb.1:
	s_clause 0x1
	s_load_b32 s5, s[0:1], 0x198
	s_load_b64 s[28:29], s[0:1], 0x4f0
	s_mov_b64 s[26:27], 0
	s_mov_b64 s[34:35], s[2:3]
	s_wait_kmcnt 0x0
	s_cmp_lt_i32 s5, 2
	s_cbranch_scc1 .LBB127_9
; %bb.2:
	s_mov_b32 s4, 0
	s_add_co_i32 s8, s5, -1
	s_mov_b32 s9, s4
	s_add_co_i32 s7, s5, 1
	s_lshl_b64 s[8:9], s[8:9], 3
	s_mov_b64 s[10:11], s[2:3]
	s_add_nc_u64 s[8:9], s[0:1], s[8:9]
	s_delay_alu instid0(SALU_CYCLE_1)
	s_add_nc_u64 s[8:9], s[8:9], 8
.LBB127_3:                              ; =>This Inner Loop Header: Depth=1
	s_load_b64 s[12:13], s[8:9], 0x0
                                        ; implicit-def: $sgpr34_sgpr35
	s_wait_kmcnt 0x0
	s_or_b64 s[14:15], s[10:11], s[12:13]
	s_delay_alu instid0(SALU_CYCLE_1)
	s_mov_b32 s5, s15
	s_wait_alu 0xfffe
	s_cmp_lg_u64 s[4:5], 0
	s_mov_b32 s5, -1
	s_cbranch_scc0 .LBB127_5
; %bb.4:                                ;   in Loop: Header=BB127_3 Depth=1
	s_cvt_f32_u32 s5, s12
	s_cvt_f32_u32 s14, s13
	s_sub_nc_u64 s[16:17], 0, s[12:13]
	s_mov_b32 s19, s4
	s_mov_b32 s23, s4
	s_wait_alu 0xfffe
	s_fmamk_f32 s5, s14, 0x4f800000, s5
	s_wait_alu 0xfffe
	s_delay_alu instid0(SALU_CYCLE_2) | instskip(NEXT) | instid1(TRANS32_DEP_1)
	v_s_rcp_f32 s5, s5
	s_mul_f32 s5, s5, 0x5f7ffffc
	s_wait_alu 0xfffe
	s_delay_alu instid0(SALU_CYCLE_2) | instskip(NEXT) | instid1(SALU_CYCLE_3)
	s_mul_f32 s14, s5, 0x2f800000
	s_trunc_f32 s14, s14
	s_delay_alu instid0(SALU_CYCLE_3) | instskip(SKIP_2) | instid1(SALU_CYCLE_1)
	s_fmamk_f32 s5, s14, 0xcf800000, s5
	s_cvt_u32_f32 s15, s14
	s_wait_alu 0xfffe
	s_cvt_u32_f32 s14, s5
	s_delay_alu instid0(SALU_CYCLE_3) | instskip(NEXT) | instid1(SALU_CYCLE_1)
	s_mul_u64 s[20:21], s[16:17], s[14:15]
	s_mul_hi_u32 s31, s14, s21
	s_mul_i32 s30, s14, s21
	s_mul_hi_u32 s18, s14, s20
	s_mul_i32 s22, s15, s20
	s_add_nc_u64 s[18:19], s[18:19], s[30:31]
	s_mul_hi_u32 s5, s15, s20
	s_mul_hi_u32 s33, s15, s21
	s_add_co_u32 s18, s18, s22
	s_wait_alu 0xfffe
	s_add_co_ci_u32 s22, s19, s5
	s_mul_i32 s20, s15, s21
	s_add_co_ci_u32 s21, s33, 0
	s_delay_alu instid0(SALU_CYCLE_1)
	s_add_nc_u64 s[18:19], s[22:23], s[20:21]
	s_mov_b32 s21, s4
	s_add_co_u32 s14, s14, s18
	s_cselect_b32 s5, -1, 0
	s_wait_alu 0xfffe
	s_cmp_lg_u32 s5, 0
	s_add_co_ci_u32 s15, s15, s19
	s_mov_b32 s19, s4
	s_mul_u64 s[16:17], s[16:17], s[14:15]
	s_delay_alu instid0(SALU_CYCLE_1)
	s_mul_hi_u32 s23, s14, s17
	s_mul_i32 s22, s14, s17
	s_mul_hi_u32 s18, s14, s16
	s_mul_i32 s20, s15, s16
	s_add_nc_u64 s[18:19], s[18:19], s[22:23]
	s_mul_hi_u32 s5, s15, s16
	s_mul_hi_u32 s30, s15, s17
	s_mul_i32 s16, s15, s17
	s_add_co_u32 s17, s18, s20
	s_wait_alu 0xfffe
	s_add_co_ci_u32 s20, s19, s5
	s_add_co_ci_u32 s17, s30, 0
	s_mov_b32 s19, s4
	s_add_nc_u64 s[16:17], s[20:21], s[16:17]
	s_delay_alu instid0(SALU_CYCLE_1)
	s_add_co_u32 s5, s14, s16
	s_cselect_b32 s14, -1, 0
	s_wait_alu 0xfffe
	s_mul_hi_u32 s18, s10, s5
	s_cmp_lg_u32 s14, 0
	s_mul_hi_u32 s20, s11, s5
	s_add_co_ci_u32 s16, s15, s17
	s_mul_i32 s5, s11, s5
	s_mul_hi_u32 s15, s10, s16
	s_mul_i32 s14, s10, s16
	s_mul_hi_u32 s17, s11, s16
	s_add_nc_u64 s[14:15], s[18:19], s[14:15]
	s_mul_i32 s16, s11, s16
	s_wait_alu 0xfffe
	s_add_co_u32 s5, s14, s5
	s_add_co_ci_u32 s20, s15, s20
	s_add_co_ci_u32 s17, s17, 0
	s_delay_alu instid0(SALU_CYCLE_1) | instskip(NEXT) | instid1(SALU_CYCLE_1)
	s_add_nc_u64 s[14:15], s[20:21], s[16:17]
	s_mul_u64 s[16:17], s[12:13], s[14:15]
	s_delay_alu instid0(SALU_CYCLE_1)
	s_sub_co_u32 s5, s10, s16
	s_cselect_b32 s16, -1, 0
	s_sub_co_i32 s18, s11, s17
	s_cmp_lg_u32 s16, 0
	s_sub_co_ci_u32 s18, s18, s13
	s_wait_alu 0xfffe
	s_sub_co_u32 s19, s5, s12
	s_cselect_b32 s20, -1, 0
	s_delay_alu instid0(SALU_CYCLE_1) | instskip(SKIP_1) | instid1(SALU_CYCLE_1)
	s_cmp_lg_u32 s20, 0
	s_sub_co_ci_u32 s18, s18, 0
	s_cmp_ge_u32 s18, s13
	s_cselect_b32 s20, -1, 0
	s_cmp_ge_u32 s19, s12
	s_cselect_b32 s21, -1, 0
	s_cmp_eq_u32 s18, s13
	s_add_nc_u64 s[18:19], s[14:15], 1
	s_cselect_b32 s22, s21, s20
	s_add_nc_u64 s[20:21], s[14:15], 2
	s_cmp_lg_u32 s22, 0
	s_cselect_b32 s18, s20, s18
	s_cselect_b32 s19, s21, s19
	s_cmp_lg_u32 s16, 0
	s_sub_co_ci_u32 s16, s11, s17
	s_delay_alu instid0(SALU_CYCLE_1)
	s_cmp_ge_u32 s16, s13
	s_cselect_b32 s17, -1, 0
	s_cmp_ge_u32 s5, s12
	s_cselect_b32 s5, -1, 0
	s_cmp_eq_u32 s16, s13
	s_wait_alu 0xfffe
	s_cselect_b32 s5, s5, s17
	s_wait_alu 0xfffe
	s_cmp_lg_u32 s5, 0
	s_mov_b32 s5, 0
	s_cselect_b32 s35, s19, s15
	s_cselect_b32 s34, s18, s14
.LBB127_5:                              ;   in Loop: Header=BB127_3 Depth=1
	s_wait_alu 0xfffe
	s_and_not1_b32 vcc_lo, exec_lo, s5
	s_cbranch_vccnz .LBB127_7
; %bb.6:                                ;   in Loop: Header=BB127_3 Depth=1
	v_cvt_f32_u32_e32 v1, s12
	s_sub_co_i32 s14, 0, s12
	s_mov_b32 s35, s4
	s_delay_alu instid0(VALU_DEP_1) | instskip(NEXT) | instid1(TRANS32_DEP_1)
	v_rcp_iflag_f32_e32 v1, v1
	v_mul_f32_e32 v1, 0x4f7ffffe, v1
	s_delay_alu instid0(VALU_DEP_1) | instskip(NEXT) | instid1(VALU_DEP_1)
	v_cvt_u32_f32_e32 v1, v1
	v_readfirstlane_b32 s5, v1
	s_mul_i32 s14, s14, s5
	s_delay_alu instid0(SALU_CYCLE_1) | instskip(NEXT) | instid1(SALU_CYCLE_1)
	s_mul_hi_u32 s14, s5, s14
	s_add_co_i32 s5, s5, s14
	s_wait_alu 0xfffe
	s_mul_hi_u32 s5, s10, s5
	s_wait_alu 0xfffe
	s_mul_i32 s14, s5, s12
	s_add_co_i32 s15, s5, 1
	s_sub_co_i32 s14, s10, s14
	s_delay_alu instid0(SALU_CYCLE_1)
	s_sub_co_i32 s16, s14, s12
	s_cmp_ge_u32 s14, s12
	s_cselect_b32 s5, s15, s5
	s_cselect_b32 s14, s16, s14
	s_wait_alu 0xfffe
	s_add_co_i32 s15, s5, 1
	s_cmp_ge_u32 s14, s12
	s_cselect_b32 s34, s15, s5
.LBB127_7:                              ;   in Loop: Header=BB127_3 Depth=1
	s_load_b64 s[14:15], s[8:9], 0xc8
	s_mul_u64 s[12:13], s[34:35], s[12:13]
	s_add_co_i32 s7, s7, -1
	s_wait_alu 0xfffe
	s_sub_nc_u64 s[10:11], s[10:11], s[12:13]
	s_cmp_gt_u32 s7, 2
	s_add_nc_u64 s[8:9], s[8:9], -8
	s_wait_kmcnt 0x0
	s_mul_u64 s[10:11], s[14:15], s[10:11]
	s_delay_alu instid0(SALU_CYCLE_1)
	s_add_nc_u64 s[26:27], s[10:11], s[26:27]
	s_cbranch_scc0 .LBB127_9
; %bb.8:                                ;   in Loop: Header=BB127_3 Depth=1
	s_mov_b64 s[10:11], s[34:35]
	s_branch .LBB127_3
.LBB127_9:
	s_load_b32 s7, s[0:1], 0x338
	s_add_nc_u64 s[8:9], s[0:1], 0x500
	s_add_nc_u64 s[4:5], s[0:1], 0x1a0
	s_mov_b64 s[30:31], 0
	s_mov_b64 s[36:37], s[2:3]
	s_wait_kmcnt 0x0
	s_cmp_lt_i32 s7, 2
	s_cbranch_scc1 .LBB127_17
; %bb.10:
	s_mov_b32 s10, 0
	s_add_co_i32 s12, s7, -1
	s_mov_b32 s13, s10
	s_add_co_i32 s7, s7, 1
	s_wait_alu 0xfffe
	s_lshl_b64 s[12:13], s[12:13], 3
	s_mov_b64 s[14:15], s[2:3]
	s_wait_alu 0xfffe
	s_add_nc_u64 s[12:13], s[4:5], s[12:13]
	s_wait_alu 0xfffe
	s_add_nc_u64 s[12:13], s[12:13], 8
.LBB127_11:                             ; =>This Inner Loop Header: Depth=1
	s_load_b64 s[16:17], s[12:13], 0x0
                                        ; implicit-def: $sgpr36_sgpr37
	s_wait_kmcnt 0x0
	s_or_b64 s[18:19], s[14:15], s[16:17]
	s_delay_alu instid0(SALU_CYCLE_1)
	s_mov_b32 s11, s19
	s_wait_alu 0xfffe
	s_cmp_lg_u64 s[10:11], 0
	s_mov_b32 s11, -1
	s_cbranch_scc0 .LBB127_13
; %bb.12:                               ;   in Loop: Header=BB127_11 Depth=1
	s_cvt_f32_u32 s11, s16
	s_cvt_f32_u32 s18, s17
	s_sub_nc_u64 s[20:21], 0, s[16:17]
	s_mov_b32 s23, s10
	s_mov_b32 s39, s10
	s_wait_alu 0xfffe
	s_fmamk_f32 s11, s18, 0x4f800000, s11
	s_wait_alu 0xfffe
	s_delay_alu instid0(SALU_CYCLE_2) | instskip(NEXT) | instid1(TRANS32_DEP_1)
	v_s_rcp_f32 s11, s11
	s_mul_f32 s11, s11, 0x5f7ffffc
	s_wait_alu 0xfffe
	s_delay_alu instid0(SALU_CYCLE_2) | instskip(NEXT) | instid1(SALU_CYCLE_3)
	s_mul_f32 s18, s11, 0x2f800000
	s_trunc_f32 s18, s18
	s_delay_alu instid0(SALU_CYCLE_3) | instskip(SKIP_2) | instid1(SALU_CYCLE_1)
	s_fmamk_f32 s11, s18, 0xcf800000, s11
	s_cvt_u32_f32 s19, s18
	s_wait_alu 0xfffe
	s_cvt_u32_f32 s18, s11
	s_delay_alu instid0(SALU_CYCLE_3) | instskip(NEXT) | instid1(SALU_CYCLE_1)
	s_mul_u64 s[36:37], s[20:21], s[18:19]
	s_mul_hi_u32 s41, s18, s37
	s_mul_i32 s40, s18, s37
	s_mul_hi_u32 s22, s18, s36
	s_mul_i32 s33, s19, s36
	s_add_nc_u64 s[22:23], s[22:23], s[40:41]
	s_mul_hi_u32 s11, s19, s36
	s_mul_hi_u32 s42, s19, s37
	s_add_co_u32 s22, s22, s33
	s_wait_alu 0xfffe
	s_add_co_ci_u32 s38, s23, s11
	s_mul_i32 s36, s19, s37
	s_add_co_ci_u32 s37, s42, 0
	s_delay_alu instid0(SALU_CYCLE_1)
	s_add_nc_u64 s[22:23], s[38:39], s[36:37]
	s_mov_b32 s37, s10
	s_add_co_u32 s18, s18, s22
	s_cselect_b32 s11, -1, 0
	s_wait_alu 0xfffe
	s_cmp_lg_u32 s11, 0
	s_add_co_ci_u32 s19, s19, s23
	s_mov_b32 s23, s10
	s_mul_u64 s[20:21], s[20:21], s[18:19]
	s_delay_alu instid0(SALU_CYCLE_1)
	s_mul_hi_u32 s39, s18, s21
	s_mul_i32 s38, s18, s21
	s_mul_hi_u32 s22, s18, s20
	s_mul_i32 s33, s19, s20
	s_add_nc_u64 s[22:23], s[22:23], s[38:39]
	s_mul_hi_u32 s11, s19, s20
	s_mul_hi_u32 s40, s19, s21
	s_mul_i32 s20, s19, s21
	s_add_co_u32 s21, s22, s33
	s_wait_alu 0xfffe
	s_add_co_ci_u32 s36, s23, s11
	s_add_co_ci_u32 s21, s40, 0
	s_mov_b32 s23, s10
	s_add_nc_u64 s[20:21], s[36:37], s[20:21]
	s_delay_alu instid0(SALU_CYCLE_1)
	s_add_co_u32 s11, s18, s20
	s_cselect_b32 s18, -1, 0
	s_wait_alu 0xfffe
	s_mul_hi_u32 s22, s14, s11
	s_cmp_lg_u32 s18, 0
	s_mul_hi_u32 s33, s15, s11
	s_add_co_ci_u32 s20, s19, s21
	s_mul_i32 s11, s15, s11
	s_mul_hi_u32 s19, s14, s20
	s_mul_i32 s18, s14, s20
	s_mul_hi_u32 s21, s15, s20
	s_add_nc_u64 s[18:19], s[22:23], s[18:19]
	s_mul_i32 s20, s15, s20
	s_wait_alu 0xfffe
	s_add_co_u32 s11, s18, s11
	s_add_co_ci_u32 s36, s19, s33
	s_add_co_ci_u32 s21, s21, 0
	s_delay_alu instid0(SALU_CYCLE_1) | instskip(NEXT) | instid1(SALU_CYCLE_1)
	s_add_nc_u64 s[18:19], s[36:37], s[20:21]
	s_mul_u64 s[20:21], s[16:17], s[18:19]
	s_delay_alu instid0(SALU_CYCLE_1)
	s_sub_co_u32 s11, s14, s20
	s_cselect_b32 s20, -1, 0
	s_sub_co_i32 s22, s15, s21
	s_cmp_lg_u32 s20, 0
	s_sub_co_ci_u32 s22, s22, s17
	s_wait_alu 0xfffe
	s_sub_co_u32 s23, s11, s16
	s_cselect_b32 s33, -1, 0
	s_delay_alu instid0(SALU_CYCLE_1) | instskip(SKIP_1) | instid1(SALU_CYCLE_1)
	s_cmp_lg_u32 s33, 0
	s_sub_co_ci_u32 s22, s22, 0
	s_cmp_ge_u32 s22, s17
	s_cselect_b32 s33, -1, 0
	s_cmp_ge_u32 s23, s16
	s_cselect_b32 s36, -1, 0
	s_cmp_eq_u32 s22, s17
	s_add_nc_u64 s[22:23], s[18:19], 1
	s_cselect_b32 s33, s36, s33
	s_add_nc_u64 s[36:37], s[18:19], 2
	s_cmp_lg_u32 s33, 0
	s_cselect_b32 s22, s36, s22
	s_cselect_b32 s23, s37, s23
	s_cmp_lg_u32 s20, 0
	s_sub_co_ci_u32 s20, s15, s21
	s_delay_alu instid0(SALU_CYCLE_1)
	s_cmp_ge_u32 s20, s17
	s_cselect_b32 s21, -1, 0
	s_cmp_ge_u32 s11, s16
	s_cselect_b32 s11, -1, 0
	s_cmp_eq_u32 s20, s17
	s_wait_alu 0xfffe
	s_cselect_b32 s11, s11, s21
	s_wait_alu 0xfffe
	s_cmp_lg_u32 s11, 0
	s_mov_b32 s11, 0
	s_cselect_b32 s37, s23, s19
	s_cselect_b32 s36, s22, s18
.LBB127_13:                             ;   in Loop: Header=BB127_11 Depth=1
	s_wait_alu 0xfffe
	s_and_not1_b32 vcc_lo, exec_lo, s11
	s_cbranch_vccnz .LBB127_15
; %bb.14:                               ;   in Loop: Header=BB127_11 Depth=1
	v_cvt_f32_u32_e32 v1, s16
	s_sub_co_i32 s18, 0, s16
	s_mov_b32 s37, s10
	s_delay_alu instid0(VALU_DEP_1) | instskip(NEXT) | instid1(TRANS32_DEP_1)
	v_rcp_iflag_f32_e32 v1, v1
	v_mul_f32_e32 v1, 0x4f7ffffe, v1
	s_delay_alu instid0(VALU_DEP_1) | instskip(NEXT) | instid1(VALU_DEP_1)
	v_cvt_u32_f32_e32 v1, v1
	v_readfirstlane_b32 s11, v1
	s_mul_i32 s18, s18, s11
	s_delay_alu instid0(SALU_CYCLE_1) | instskip(NEXT) | instid1(SALU_CYCLE_1)
	s_mul_hi_u32 s18, s11, s18
	s_add_co_i32 s11, s11, s18
	s_wait_alu 0xfffe
	s_mul_hi_u32 s11, s14, s11
	s_wait_alu 0xfffe
	s_mul_i32 s18, s11, s16
	s_add_co_i32 s19, s11, 1
	s_sub_co_i32 s18, s14, s18
	s_delay_alu instid0(SALU_CYCLE_1)
	s_sub_co_i32 s20, s18, s16
	s_cmp_ge_u32 s18, s16
	s_cselect_b32 s11, s19, s11
	s_cselect_b32 s18, s20, s18
	s_wait_alu 0xfffe
	s_add_co_i32 s19, s11, 1
	s_cmp_ge_u32 s18, s16
	s_cselect_b32 s36, s19, s11
.LBB127_15:                             ;   in Loop: Header=BB127_11 Depth=1
	s_load_b64 s[18:19], s[12:13], 0xc8
	s_mul_u64 s[16:17], s[36:37], s[16:17]
	s_add_co_i32 s7, s7, -1
	s_wait_alu 0xfffe
	s_sub_nc_u64 s[14:15], s[14:15], s[16:17]
	s_cmp_gt_u32 s7, 2
	s_add_nc_u64 s[12:13], s[12:13], -8
	s_wait_kmcnt 0x0
	s_mul_u64 s[14:15], s[18:19], s[14:15]
	s_delay_alu instid0(SALU_CYCLE_1)
	s_add_nc_u64 s[30:31], s[14:15], s[30:31]
	s_cbranch_scc0 .LBB127_17
; %bb.16:                               ;   in Loop: Header=BB127_11 Depth=1
	s_mov_b64 s[14:15], s[36:37]
	s_branch .LBB127_11
.LBB127_17:
	s_clause 0x1
	s_load_b64 s[38:39], s[0:1], 0xd0
	s_load_b32 s7, s[0:1], 0x4d8
	s_mov_b64 s[10:11], 0
	s_wait_kmcnt 0x0
	s_cmp_lt_i32 s7, 2
	s_cbranch_scc1 .LBB127_25
; %bb.18:
	s_mov_b32 s12, 0
	s_add_co_i32 s10, s7, -1
	s_wait_alu 0xfffe
	s_mov_b32 s11, s12
	s_add_nc_u64 s[14:15], s[0:1], 0x340
	s_wait_alu 0xfffe
	s_lshl_b64 s[10:11], s[10:11], 3
	s_add_co_i32 s7, s7, 1
	s_wait_alu 0xfffe
	s_add_nc_u64 s[10:11], s[14:15], s[10:11]
	s_wait_alu 0xfffe
	s_add_nc_u64 s[14:15], s[10:11], 8
	s_mov_b64 s[10:11], 0
.LBB127_19:                             ; =>This Inner Loop Header: Depth=1
	s_load_b64 s[16:17], s[14:15], 0x0
	s_wait_kmcnt 0x0
	s_or_b64 s[18:19], s[2:3], s[16:17]
	s_delay_alu instid0(SALU_CYCLE_1)
	s_mov_b32 s13, s19
                                        ; implicit-def: $sgpr18_sgpr19
	s_wait_alu 0xfffe
	s_cmp_lg_u64 s[12:13], 0
	s_mov_b32 s13, -1
	s_cbranch_scc0 .LBB127_21
; %bb.20:                               ;   in Loop: Header=BB127_19 Depth=1
	s_cvt_f32_u32 s13, s16
	s_cvt_f32_u32 s18, s17
	s_sub_nc_u64 s[20:21], 0, s[16:17]
	s_mov_b32 s23, s12
	s_mov_b32 s43, s12
	s_wait_alu 0xfffe
	s_fmamk_f32 s13, s18, 0x4f800000, s13
	s_wait_alu 0xfffe
	s_delay_alu instid0(SALU_CYCLE_2) | instskip(NEXT) | instid1(TRANS32_DEP_1)
	v_s_rcp_f32 s13, s13
	s_mul_f32 s13, s13, 0x5f7ffffc
	s_wait_alu 0xfffe
	s_delay_alu instid0(SALU_CYCLE_2) | instskip(NEXT) | instid1(SALU_CYCLE_3)
	s_mul_f32 s18, s13, 0x2f800000
	s_trunc_f32 s18, s18
	s_delay_alu instid0(SALU_CYCLE_3) | instskip(SKIP_2) | instid1(SALU_CYCLE_1)
	s_fmamk_f32 s13, s18, 0xcf800000, s13
	s_cvt_u32_f32 s19, s18
	s_wait_alu 0xfffe
	s_cvt_u32_f32 s18, s13
	s_delay_alu instid0(SALU_CYCLE_3) | instskip(NEXT) | instid1(SALU_CYCLE_1)
	s_mul_u64 s[40:41], s[20:21], s[18:19]
	s_mul_hi_u32 s45, s18, s41
	s_mul_i32 s44, s18, s41
	s_mul_hi_u32 s22, s18, s40
	s_mul_i32 s33, s19, s40
	s_add_nc_u64 s[22:23], s[22:23], s[44:45]
	s_mul_hi_u32 s13, s19, s40
	s_mul_hi_u32 s46, s19, s41
	s_add_co_u32 s22, s22, s33
	s_wait_alu 0xfffe
	s_add_co_ci_u32 s42, s23, s13
	s_mul_i32 s40, s19, s41
	s_add_co_ci_u32 s41, s46, 0
	s_delay_alu instid0(SALU_CYCLE_1)
	s_add_nc_u64 s[22:23], s[42:43], s[40:41]
	s_mov_b32 s41, s12
	s_add_co_u32 s18, s18, s22
	s_cselect_b32 s13, -1, 0
	s_wait_alu 0xfffe
	s_cmp_lg_u32 s13, 0
	s_add_co_ci_u32 s19, s19, s23
	s_mov_b32 s23, s12
	s_mul_u64 s[20:21], s[20:21], s[18:19]
	s_delay_alu instid0(SALU_CYCLE_1)
	s_mul_hi_u32 s43, s18, s21
	s_mul_i32 s42, s18, s21
	s_mul_hi_u32 s22, s18, s20
	s_mul_i32 s33, s19, s20
	s_add_nc_u64 s[22:23], s[22:23], s[42:43]
	s_mul_hi_u32 s13, s19, s20
	s_mul_hi_u32 s44, s19, s21
	s_mul_i32 s20, s19, s21
	s_add_co_u32 s21, s22, s33
	s_wait_alu 0xfffe
	s_add_co_ci_u32 s40, s23, s13
	s_add_co_ci_u32 s21, s44, 0
	s_mov_b32 s23, s12
	s_add_nc_u64 s[20:21], s[40:41], s[20:21]
	s_delay_alu instid0(SALU_CYCLE_1)
	s_add_co_u32 s13, s18, s20
	s_cselect_b32 s18, -1, 0
	s_wait_alu 0xfffe
	s_mul_hi_u32 s22, s2, s13
	s_cmp_lg_u32 s18, 0
	s_mul_hi_u32 s33, s3, s13
	s_add_co_ci_u32 s20, s19, s21
	s_mul_i32 s13, s3, s13
	s_mul_hi_u32 s19, s2, s20
	s_mul_i32 s18, s2, s20
	s_mul_hi_u32 s21, s3, s20
	s_add_nc_u64 s[18:19], s[22:23], s[18:19]
	s_mul_i32 s20, s3, s20
	s_wait_alu 0xfffe
	s_add_co_u32 s13, s18, s13
	s_add_co_ci_u32 s40, s19, s33
	s_add_co_ci_u32 s21, s21, 0
	s_delay_alu instid0(SALU_CYCLE_1) | instskip(NEXT) | instid1(SALU_CYCLE_1)
	s_add_nc_u64 s[18:19], s[40:41], s[20:21]
	s_mul_u64 s[20:21], s[16:17], s[18:19]
	s_delay_alu instid0(SALU_CYCLE_1)
	s_sub_co_u32 s13, s2, s20
	s_cselect_b32 s20, -1, 0
	s_sub_co_i32 s22, s3, s21
	s_cmp_lg_u32 s20, 0
	s_sub_co_ci_u32 s22, s22, s17
	s_wait_alu 0xfffe
	s_sub_co_u32 s23, s13, s16
	s_cselect_b32 s33, -1, 0
	s_delay_alu instid0(SALU_CYCLE_1) | instskip(SKIP_1) | instid1(SALU_CYCLE_1)
	s_cmp_lg_u32 s33, 0
	s_sub_co_ci_u32 s22, s22, 0
	s_cmp_ge_u32 s22, s17
	s_cselect_b32 s33, -1, 0
	s_cmp_ge_u32 s23, s16
	s_cselect_b32 s40, -1, 0
	s_cmp_eq_u32 s22, s17
	s_add_nc_u64 s[22:23], s[18:19], 1
	s_cselect_b32 s33, s40, s33
	s_add_nc_u64 s[40:41], s[18:19], 2
	s_cmp_lg_u32 s33, 0
	s_cselect_b32 s22, s40, s22
	s_cselect_b32 s23, s41, s23
	s_cmp_lg_u32 s20, 0
	s_sub_co_ci_u32 s20, s3, s21
	s_delay_alu instid0(SALU_CYCLE_1)
	s_cmp_ge_u32 s20, s17
	s_cselect_b32 s21, -1, 0
	s_cmp_ge_u32 s13, s16
	s_cselect_b32 s13, -1, 0
	s_cmp_eq_u32 s20, s17
	s_wait_alu 0xfffe
	s_cselect_b32 s13, s13, s21
	s_wait_alu 0xfffe
	s_cmp_lg_u32 s13, 0
	s_mov_b32 s13, 0
	s_cselect_b32 s19, s23, s19
	s_cselect_b32 s18, s22, s18
.LBB127_21:                             ;   in Loop: Header=BB127_19 Depth=1
	s_wait_alu 0xfffe
	s_and_not1_b32 vcc_lo, exec_lo, s13
	s_cbranch_vccnz .LBB127_23
; %bb.22:                               ;   in Loop: Header=BB127_19 Depth=1
	v_cvt_f32_u32_e32 v1, s16
	s_sub_co_i32 s18, 0, s16
	s_delay_alu instid0(VALU_DEP_1) | instskip(NEXT) | instid1(TRANS32_DEP_1)
	v_rcp_iflag_f32_e32 v1, v1
	v_mul_f32_e32 v1, 0x4f7ffffe, v1
	s_delay_alu instid0(VALU_DEP_1) | instskip(NEXT) | instid1(VALU_DEP_1)
	v_cvt_u32_f32_e32 v1, v1
	v_readfirstlane_b32 s13, v1
	s_mul_i32 s18, s18, s13
	s_delay_alu instid0(SALU_CYCLE_1) | instskip(NEXT) | instid1(SALU_CYCLE_1)
	s_mul_hi_u32 s18, s13, s18
	s_add_co_i32 s13, s13, s18
	s_wait_alu 0xfffe
	s_mul_hi_u32 s13, s2, s13
	s_wait_alu 0xfffe
	s_mul_i32 s18, s13, s16
	s_add_co_i32 s19, s13, 1
	s_sub_co_i32 s18, s2, s18
	s_delay_alu instid0(SALU_CYCLE_1)
	s_sub_co_i32 s20, s18, s16
	s_cmp_ge_u32 s18, s16
	s_cselect_b32 s13, s19, s13
	s_cselect_b32 s18, s20, s18
	s_wait_alu 0xfffe
	s_add_co_i32 s19, s13, 1
	s_cmp_ge_u32 s18, s16
	s_cselect_b32 s18, s19, s13
	s_mov_b32 s19, s12
.LBB127_23:                             ;   in Loop: Header=BB127_19 Depth=1
	s_load_b64 s[20:21], s[14:15], 0xc8
	s_mul_u64 s[16:17], s[18:19], s[16:17]
	s_add_co_i32 s7, s7, -1
	s_wait_alu 0xfffe
	s_sub_nc_u64 s[2:3], s[2:3], s[16:17]
	s_cmp_gt_u32 s7, 2
	s_add_nc_u64 s[14:15], s[14:15], -8
	s_wait_kmcnt 0x0
	s_wait_alu 0xfffe
	s_mul_u64 s[2:3], s[20:21], s[2:3]
	s_wait_alu 0xfffe
	s_add_nc_u64 s[10:11], s[2:3], s[10:11]
	s_cbranch_scc0 .LBB127_26
; %bb.24:                               ;   in Loop: Header=BB127_19 Depth=1
	s_mov_b64 s[2:3], s[18:19]
	s_branch .LBB127_19
.LBB127_25:
	s_mov_b64 s[18:19], s[2:3]
.LBB127_26:
	s_clause 0x2
	s_load_b64 s[40:41], s[4:5], 0xd0
	s_load_b64 s[4:5], s[0:1], 0x410
	;; [unrolled: 1-line block ×3, first 2 shown]
	v_dual_mov_b32 v1, 0 :: v_dual_mov_b32 v2, 0
	v_mov_b32_e32 v3, 0
	s_delay_alu instid0(VALU_DEP_2)
	v_cmp_gt_u64_e64 s2, s[24:25], v[0:1]
	s_wait_kmcnt 0x0
	s_mul_u64 s[4:5], s[4:5], s[18:19]
	s_and_saveexec_b32 s7, s2
	s_cbranch_execz .LBB127_30
; %bb.27:
	v_mad_co_u64_u32 v[2:3], null, s28, v0, 0
	s_load_b32 s3, s[8:9], 0xc
	s_lshl_b64 s[18:19], s[10:11], 2
	s_lshl_b64 s[16:17], s[4:5], 2
	s_add_nc_u64 s[18:19], s[12:13], s[18:19]
	s_mov_b32 s15, 0
	s_wait_alu 0xfffe
	s_add_nc_u64 s[16:17], s[18:19], s[16:17]
	v_mad_co_u64_u32 v[3:4], null, s29, v0, v[3:4]
	v_dual_mov_b32 v7, v1 :: v_dual_mov_b32 v6, v0
	s_delay_alu instid0(VALU_DEP_2)
	v_lshlrev_b64_e32 v[4:5], 2, v[2:3]
	v_mov_b32_e32 v2, 0
	v_mov_b32_e32 v3, 0
	s_wait_kmcnt 0x0
	s_and_b32 s14, s3, 0xffff
	s_wait_alu 0xfffe
	v_add_co_u32 v4, vcc_lo, s16, v4
	s_delay_alu instid0(VALU_DEP_1)
	v_add_co_ci_u32_e64 v5, null, s17, v5, vcc_lo
	s_mul_u64 s[16:17], s[28:29], s[14:15]
	s_wait_alu 0xfffe
	s_lshl_b64 s[16:17], s[16:17], 2
.LBB127_28:                             ; =>This Inner Loop Header: Depth=1
	global_load_b32 v8, v[4:5], off
	v_add_co_u32 v6, vcc_lo, v6, s14
	s_wait_alu 0xfffd
	v_add_co_ci_u32_e64 v7, null, 0, v7, vcc_lo
	s_wait_alu 0xfffe
	v_add_co_u32 v4, vcc_lo, v4, s16
	s_wait_alu 0xfffd
	v_add_co_ci_u32_e64 v5, null, s17, v5, vcc_lo
	s_wait_loadcnt 0x0
	v_cmp_u_f32_e32 vcc_lo, v8, v8
	s_wait_alu 0xfffd
	v_cndmask_b32_e64 v8, 0, 1, vcc_lo
	v_cmp_le_u64_e32 vcc_lo, s[24:25], v[6:7]
	s_delay_alu instid0(VALU_DEP_2)
	v_add_co_u32 v2, s3, v2, v8
	s_wait_alu 0xf1ff
	v_add_co_ci_u32_e64 v3, null, 0, v3, s3
	s_or_b32 s15, vcc_lo, s15
	s_wait_alu 0xfffe
	s_and_not1_b32 exec_lo, exec_lo, s15
	s_cbranch_execnz .LBB127_28
; %bb.29:
	s_or_b32 exec_lo, exec_lo, s15
.LBB127_30:
	s_delay_alu instid0(SALU_CYCLE_1)
	s_or_b32 exec_lo, exec_lo, s7
	s_clause 0x1
	s_load_b64 s[44:45], s[0:1], 0x0
	s_load_b64 s[42:43], s[0:1], 0x1a0
	v_cmp_eq_u32_e64 s3, 0, v0
	s_and_saveexec_b32 s7, s3
; %bb.31:
	v_mov_b32_e32 v4, 0
	s_delay_alu instid0(VALU_DEP_1)
	v_mov_b32_e32 v5, v4
	ds_store_b64 v4, v[4:5] offset:5136
; %bb.32:
	s_or_b32 exec_lo, exec_lo, s7
	s_mov_b64 s[14:15], 0
	s_mov_b32 s7, exec_lo
	s_wait_dscnt 0x0
	s_barrier_signal -1
	s_barrier_wait -1
	global_inv scope:SCOPE_SE
	v_cmpx_ne_u64_e32 0, v[2:3]
	s_cbranch_execz .LBB127_37
; %bb.33:
	s_mov_b32 s16, exec_lo
.LBB127_34:                             ; =>This Inner Loop Header: Depth=1
	s_wait_alu 0xfffe
	s_ctz_i32_b32 s17, s16
	s_wait_alu 0xfffe
	v_readlane_b32 s19, v3, s17
	v_readlane_b32 s18, v2, s17
	s_lshl_b32 s17, 1, s17
	s_wait_alu 0xfffe
	s_and_not1_b32 s16, s16, s17
	s_wait_alu 0xfffe
	s_cmp_lg_u32 s16, 0
	s_add_nc_u64 s[14:15], s[14:15], s[18:19]
	s_cbranch_scc1 .LBB127_34
; %bb.35:
	v_mbcnt_lo_u32_b32 v2, exec_lo, 0
	s_mov_b32 s16, exec_lo
	s_delay_alu instid0(VALU_DEP_1)
	v_cmpx_eq_u32_e32 0, v2
	s_wait_alu 0xfffe
	s_xor_b32 s16, exec_lo, s16
; %bb.36:
	v_mov_b32_e32 v2, s14
	v_dual_mov_b32 v4, 0 :: v_dual_mov_b32 v3, s15
	ds_add_u64 v4, v[2:3] offset:5136
.LBB127_37:
	s_or_b32 exec_lo, exec_lo, s7
	v_mov_b32_e32 v2, 0
	v_mov_b32_e32 v30, s25
	s_wait_loadcnt_dscnt 0x0
	s_barrier_signal -1
	s_barrier_wait -1
	global_inv scope:SCOPE_SE
	v_mov_b32_e32 v29, s24
	ds_load_b64 v[2:3], v2 offset:5136
	s_load_b32 s0, s[0:1], 0x4f8
	s_wait_dscnt 0x0
	v_cmp_gt_i64_e32 vcc_lo, 1, v[2:3]
	s_wait_kmcnt 0x0
	s_bitcmp1_b32 s0, 0
	s_cselect_b32 s0, -1, 0
	s_delay_alu instid0(SALU_CYCLE_1) | instskip(NEXT) | instid1(SALU_CYCLE_1)
	s_or_b32 s0, s0, vcc_lo
	s_and_not1_b32 vcc_lo, exec_lo, s0
	s_wait_alu 0xfffe
	s_cbranch_vccnz .LBB127_39
; %bb.38:
	v_not_b32_e32 v2, v2
	v_not_b32_e32 v3, v3
	s_delay_alu instid0(VALU_DEP_2) | instskip(SKIP_1) | instid1(VALU_DEP_2)
	v_add_co_u32 v2, vcc_lo, s24, v2
	s_wait_alu 0xfffd
	v_add_co_ci_u32_e64 v3, null, s25, v3, vcc_lo
	s_delay_alu instid0(VALU_DEP_1) | instskip(NEXT) | instid1(VALU_DEP_1)
	v_lshrrev_b64 v[2:3], 1, v[2:3]
	v_add_co_u32 v29, vcc_lo, v2, 1
	s_wait_alu 0xfffd
	s_delay_alu instid0(VALU_DEP_2)
	v_add_co_ci_u32_e64 v30, null, 0, v3, vcc_lo
.LBB127_39:
	s_and_saveexec_b32 s0, s3
	s_cbranch_execz .LBB127_41
; %bb.40:
	v_dual_mov_b32 v2, 0 :: v_dual_mov_b32 v5, s25
	s_delay_alu instid0(VALU_DEP_1)
	v_dual_mov_b32 v4, s24 :: v_dual_mov_b32 v3, v2
	ds_store_b32 v2, v2 offset:5144
	ds_store_b128 v2, v[2:5] offset:5120
.LBB127_41:
	s_or_b32 exec_lo, exec_lo, s0
	v_mbcnt_lo_u32_b32 v41, -1, 0
	s_lshl_b64 s[14:15], s[4:5], 2
	s_lshl_b64 s[48:49], s[10:11], 2
	s_wait_alu 0xfffe
	s_add_nc_u64 s[10:11], s[12:13], s[14:15]
	s_wait_loadcnt_dscnt 0x0
	v_lshlrev_b64_e64 v[6:7], v41, -1
	s_barrier_signal -1
	s_barrier_wait -1
	global_inv scope:SCOPE_SE
	s_load_b32 s5, s[8:9], 0xc
	v_mad_co_u64_u32 v[2:3], null, s28, v0, 0
	v_not_b32_e32 v43, v6
	v_lshlrev_b32_e32 v6, 4, v0
	v_cmp_gt_u32_e32 vcc_lo, 32, v0
	v_cmp_gt_i32_e64 s4, 4, v41
	s_add_nc_u64 s[54:55], s[10:11], s[48:49]
	v_dual_mov_b32 v15, 0 :: v_dual_lshlrev_b32 v12, 2, v0
	v_or_b32_e32 v11, 8, v6
	v_mad_co_u64_u32 v[3:4], null, s29, v0, v[3:4]
	s_and_b32 s82, vcc_lo, s4
	s_mov_b32 s53, 0
	v_mad_co_u64_u32 v[20:21], null, s28, v11, s[10:11]
	v_cmp_lt_u64_e64 s33, 0x300, s[24:25]
	s_mov_b32 s47, s53
	v_lshlrev_b64_e32 v[4:5], 2, v[2:3]
	s_wait_kmcnt 0x0
	s_and_b32 s46, s5, 0xffff
	s_bfe_u32 s4, s5, 0xb0005
	s_cmp_gt_u32 s46, 31
	v_mov_b32_e32 v7, v21
	v_or_b32_e32 v9, 12, v6
	v_or_b32_e32 v14, 4, v6
	s_cselect_b32 s83, -1, 0
	s_cmp_lt_u32 ttmp9, s6
	s_movk_i32 s5, 0x3e0
	v_mad_co_u64_u32 v[18:19], null, s28, v9, s[10:11]
	v_mad_co_u64_u32 v[22:23], null, s28, v14, s[10:11]
	s_cselect_b32 s52, 12, 18
	s_wait_alu 0xfffe
	s_add_co_i32 s6, s4, -1
	s_bfe_u32 s84, s46, 0x30005
	s_and_b32 s6, s6, 0xffff
	v_mov_b32_e32 v6, v19
	s_cmp_gt_u32 s6, 6
	v_mov_b32_e32 v8, v23
	v_lshlrev_b64_e32 v[2:3], 4, v[2:3]
	v_and_or_b32 v44, v0, s5, 0xc00
	v_mad_co_u64_u32 v[9:10], null, s29, v9, v[6:7]
	s_delay_alu instid0(VALU_DEP_4)
	v_mad_co_u64_u32 v[6:7], null, s29, v11, v[7:8]
	s_cselect_b32 s85, -1, 0
	s_and_b32 s86, s4, 0x7f8
	s_add_nc_u64 s[4:5], s[14:15], s[48:49]
	s_cmp_lg_u32 s84, 0
	v_add_co_u32 v16, vcc_lo, s54, v4
	v_mov_b32_e32 v21, v6
	v_mad_co_u64_u32 v[7:8], null, s29, v14, v[8:9]
	s_wait_alu 0xfffe
	s_add_nc_u64 s[60:61], s[12:13], s[4:5]
	s_add_nc_u64 s[4:5], s[12:13], s[48:49]
	s_cselect_b32 s87, -1, 0
	s_lshl_b64 s[62:63], s[28:29], 2
	s_lshl_b64 s[64:65], s[28:29], 4
	s_wait_alu 0xfffd
	v_add_co_ci_u32_e64 v17, null, s55, v5, vcc_lo
	v_add_co_u32 v24, vcc_lo, s10, v2
	s_wait_alu 0xfffe
	s_add_nc_u64 s[4:5], s[4:5], s[14:15]
	v_mul_lo_u32 v48, 0, s62
	v_mul_lo_u32 v49, 0, s64
	s_wait_alu 0xfffd
	v_add_co_ci_u32_e64 v25, null, s11, v3, vcc_lo
	s_wait_alu 0xfffe
	v_add_co_u32 v10, vcc_lo, s4, v4
	v_cmp_gt_u32_e64 s0, 2, v0
	v_cmp_eq_u32_e64 s1, 0, v41
	v_dual_mov_b32 v13, v15 :: v_dual_add_nc_u32 v42, 0xc00, v12
	v_mov_b32_e32 v19, v9
	v_dual_mov_b32 v23, v7 :: v_dual_lshlrev_b32 v46, 4, v0
	v_lshl_or_b32 v47, v41, 3, 0xc00
	s_wait_alu 0xfffd
	v_add_co_ci_u32_e64 v11, null, s5, v5, vcc_lo
	v_dual_mov_b32 v26, 1.0 :: v_dual_mov_b32 v45, 0
	v_mov_b32_e32 v28, 0
	v_mov_b32_e32 v50, 0
	s_add_nc_u64 s[56:57], s[46:47], -1
	s_mul_u64 s[6:7], s[28:29], s[46:47]
	s_add_nc_u64 s[58:59], s[56:57], s[24:25]
	s_lshl_b32 s88, s46, 2
	s_lshl_b64 s[50:51], s[6:7], 2
	s_mov_b32 s89, 30
	s_add_nc_u64 s[66:67], s[8:9], s[52:53]
	s_mov_b32 s91, 0x4f800000
	s_mov_b32 s90, 0
	;; [unrolled: 1-line block ×3, first 2 shown]
                                        ; implicit-def: $sgpr96
                                        ; implicit-def: $sgpr98
                                        ; implicit-def: $sgpr93
                                        ; implicit-def: $sgpr95
                                        ; implicit-def: $sgpr97
                                        ; implicit-def: $sgpr94
	s_branch .LBB127_45
.LBB127_42:                             ;   in Loop: Header=BB127_45 Depth=1
	s_wait_alu 0xfffe
	s_or_b32 exec_lo, exec_lo, s7
	s_delay_alu instid0(SALU_CYCLE_1)
	s_and_b32 s5, s5, exec_lo
	s_and_not1_b32 s20, s20, exec_lo
	s_and_not1_b32 s19, s19, exec_lo
	s_or_not1_b32 s16, s6, exec_lo
.LBB127_43:                             ;   in Loop: Header=BB127_45 Depth=1
	s_wait_alu 0xfffe
	s_or_b32 exec_lo, exec_lo, s4
	s_delay_alu instid0(SALU_CYCLE_1)
	s_and_not1_b32 s4, s94, exec_lo
	s_and_b32 s5, s5, exec_lo
	s_and_not1_b32 s6, s95, exec_lo
	s_wait_alu 0xfffe
	s_or_b32 s94, s4, s5
	s_and_not1_b32 s4, s97, exec_lo
	s_and_b32 s5, s20, exec_lo
	s_and_b32 s7, s19, exec_lo
	s_wait_alu 0xfffe
	s_or_b32 s97, s4, s5
	s_or_b32 s95, s6, s7
	s_or_not1_b32 s16, s16, exec_lo
.LBB127_44:                             ;   in Loop: Header=BB127_45 Depth=1
	s_wait_alu 0xfffe
	s_or_b32 exec_lo, exec_lo, s15
	s_delay_alu instid0(SALU_CYCLE_1)
	s_and_b32 s4, exec_lo, s16
	v_dual_mov_b32 v30, v7 :: v_dual_mov_b32 v29, v6
	s_wait_alu 0xfffe
	s_or_b32 s90, s4, s90
	s_and_not1_b32 s4, s93, exec_lo
	s_and_b32 s5, s94, exec_lo
	s_and_not1_b32 s6, s98, exec_lo
	s_wait_alu 0xfffe
	s_or_b32 s93, s4, s5
	s_and_b32 s4, s97, exec_lo
	s_and_not1_b32 s5, s96, exec_lo
	s_and_b32 s7, s95, exec_lo
	s_wait_alu 0xfffe
	s_or_b32 s98, s6, s4
	s_or_b32 s96, s5, s7
	s_and_not1_b32 exec_lo, exec_lo, s90
	s_cbranch_execz .LBB127_310
.LBB127_45:                             ; =>This Loop Header: Depth=1
                                        ;     Child Loop BB127_51 Depth 2
                                        ;     Child Loop BB127_64 Depth 2
	;; [unrolled: 1-line block ×16, first 2 shown]
	ds_load_b128 v[2:5], v15 offset:5120
	s_wait_dscnt 0x0
	v_readfirstlane_b32 s69, v3
	v_readfirstlane_b32 s68, v2
	s_cmp_lg_u64 s[68:69], 0
	s_cbranch_scc1 .LBB127_72
; %bb.46:                               ;   in Loop: Header=BB127_45 Depth=1
	s_and_b32 vcc_lo, exec_lo, s33
	s_wait_alu 0xfffe
	s_cbranch_vccz .LBB127_59
; %bb.47:                               ;   in Loop: Header=BB127_45 Depth=1
	v_cmp_gt_u64_e32 vcc_lo, 0x301, v[4:5]
	s_mov_b32 s6, 0
	s_mov_b32 s4, 0
	s_cbranch_vccz .LBB127_60
; %bb.48:                               ;   in Loop: Header=BB127_45 Depth=1
	s_and_saveexec_b32 s7, s2
	s_cbranch_execz .LBB127_172
; %bb.49:                               ;   in Loop: Header=BB127_45 Depth=1
	global_load_u16 v2, v15, s[66:67]
	global_load_b32 v7, v[16:17], off
	s_mov_b32 s8, 0
	s_wait_loadcnt 0x1
	v_and_b32_e32 v6, 0xffff, v2
	s_delay_alu instid0(VALU_DEP_1) | instskip(SKIP_2) | instid1(VALU_DEP_3)
	v_add_nc_u32_e32 v4, v0, v6
	v_mul_lo_u32 v5, v6, s63
	v_mul_hi_u32 v9, v6, s62
	v_mad_co_u64_u32 v[2:3], null, s62, v4, s[60:61]
	s_delay_alu instid0(VALU_DEP_1) | instskip(NEXT) | instid1(VALU_DEP_4)
	v_mad_co_u64_u32 v[3:4], null, s63, v4, v[3:4]
	v_add_nc_u32_e32 v4, v5, v48
	s_delay_alu instid0(VALU_DEP_1)
	v_add_nc_u32_e32 v9, v4, v9
	v_mov_b32_e32 v5, v1
	v_mul_lo_u32 v8, v6, s62
	v_mov_b32_e32 v4, v0
	s_branch .LBB127_51
.LBB127_50:                             ;   in Loop: Header=BB127_51 Depth=2
	s_wait_alu 0xfffe
	s_or_b32 exec_lo, exec_lo, s5
	v_add_co_u32 v2, vcc_lo, v2, v8
	s_wait_alu 0xfffd
	v_add_co_ci_u32_e64 v3, null, v3, v9, vcc_lo
	v_mov_b32_e32 v7, v14
	s_and_not1_b32 exec_lo, exec_lo, s8
	s_cbranch_execz .LBB127_172
.LBB127_51:                             ;   Parent Loop BB127_45 Depth=1
                                        ; =>  This Inner Loop Header: Depth=2
	s_delay_alu instid0(VALU_DEP_1)
	v_add_co_u32 v4, vcc_lo, v4, v6
	s_wait_alu 0xfffd
	v_add_co_ci_u32_e64 v5, null, 0, v5, vcc_lo
	s_wait_dscnt 0x0
	v_dual_mov_b32 v27, 0 :: v_dual_mov_b32 v14, 0
	s_mov_b32 s5, exec_lo
	s_delay_alu instid0(VALU_DEP_2)
	v_cmp_le_u64_e32 vcc_lo, s[24:25], v[4:5]
	v_cmpx_gt_u64_e64 s[24:25], v[4:5]
	s_cbranch_execz .LBB127_53
; %bb.52:                               ;   in Loop: Header=BB127_51 Depth=2
	global_load_b32 v14, v[2:3], off
.LBB127_53:                             ;   in Loop: Header=BB127_51 Depth=2
	s_wait_alu 0xfffe
	s_or_b32 exec_lo, exec_lo, s5
	s_wait_loadcnt 0x0
	v_cmp_lt_i32_e64 s4, -1, v7
	s_wait_alu 0xf1ff
	s_delay_alu instid0(VALU_DEP_1) | instskip(SKIP_1) | instid1(VALU_DEP_2)
	v_cndmask_b32_e64 v31, -1, 0x80000000, s4
	v_cmp_o_f32_e64 s4, v7, v7
	v_xor_b32_e32 v31, v31, v7
	s_wait_alu 0xf1ff
	s_delay_alu instid0(VALU_DEP_1) | instskip(NEXT) | instid1(VALU_DEP_1)
	v_cndmask_b32_e64 v31, -1, v31, s4
	v_and_b32_e32 v31, v31, v50
	s_delay_alu instid0(VALU_DEP_1)
	v_cmp_eq_u32_e64 s4, v31, v45
	s_cmp_lg_u32 s4, 0
	s_cselect_b32 s5, -1, 0
	s_wait_alu 0xfffe
	s_and_b32 s5, s1, s5
	s_wait_alu 0xfffe
	s_and_saveexec_b32 s9, s5
	s_cbranch_execz .LBB127_57
; %bb.54:                               ;   in Loop: Header=BB127_51 Depth=2
	s_mov_b32 s12, exec_lo
	s_bcnt1_i32_b32 s10, s4
	s_wait_alu 0xfffe
	v_mbcnt_lo_u32_b32 v27, s12, 0
	s_mov_b32 s11, exec_lo
                                        ; implicit-def: $vgpr31
	s_delay_alu instid0(VALU_DEP_1)
	v_cmpx_eq_u32_e32 0, v27
; %bb.55:                               ;   in Loop: Header=BB127_51 Depth=2
	s_bcnt1_i32_b32 s5, s12
	s_wait_alu 0xfffe
	s_mul_i32 s5, s10, s5
	s_wait_alu 0xfffe
	v_mov_b32_e32 v31, s5
	ds_add_rtn_u32 v31, v15, v31 offset:5144
; %bb.56:                               ;   in Loop: Header=BB127_51 Depth=2
	s_or_b32 exec_lo, exec_lo, s11
	s_wait_dscnt 0x0
	v_readfirstlane_b32 s5, v31
	s_wait_alu 0xf1ff
	s_delay_alu instid0(VALU_DEP_1)
	v_mad_u32_u24 v27, s10, v27, s5
.LBB127_57:                             ;   in Loop: Header=BB127_51 Depth=2
	s_wait_alu 0xfffe
	s_or_b32 exec_lo, exec_lo, s9
	ds_bpermute_b32 v27, v15, v27
	s_and_b32 s5, exec_lo, vcc_lo
	s_wait_alu 0xfffe
	s_or_b32 s8, s5, s8
	s_and_saveexec_b32 s5, s4
	s_cbranch_execz .LBB127_50
; %bb.58:                               ;   in Loop: Header=BB127_51 Depth=2
	v_and_b32_e32 v31, s4, v43
	s_delay_alu instid0(VALU_DEP_1) | instskip(NEXT) | instid1(VALU_DEP_1)
	v_bcnt_u32_b32 v31, v31, 0
	v_lshlrev_b32_e32 v31, 2, v31
	s_wait_dscnt 0x0
	s_delay_alu instid0(VALU_DEP_1)
	v_lshl_add_u32 v27, v27, 2, v31
	ds_store_b32 v27, v7
	s_branch .LBB127_50
.LBB127_59:                             ;   in Loop: Header=BB127_45 Depth=1
	s_mov_b32 s6, -1
	s_mov_b32 s4, 0
.LBB127_60:                             ;   in Loop: Header=BB127_45 Depth=1
	s_wait_alu 0xfffe
	s_and_b32 vcc_lo, exec_lo, s6
	s_wait_alu 0xfffe
	s_cbranch_vccz .LBB127_70
.LBB127_61:                             ;   in Loop: Header=BB127_45 Depth=1
	s_and_saveexec_b32 s5, s2
	s_cbranch_execz .LBB127_67
; %bb.62:                               ;   in Loop: Header=BB127_45 Depth=1
	global_load_u16 v2, v15, s[66:67]
	global_load_b32 v8, v[16:17], off
	s_mov_b32 s6, exec_lo
	s_wait_loadcnt 0x1
	v_dual_mov_b32 v2, v0 :: v_dual_and_b32 v9, 0xffff, v2
	s_delay_alu instid0(VALU_DEP_1) | instskip(NEXT) | instid1(VALU_DEP_1)
	v_add_nc_u32_e32 v14, v9, v0
	v_cmpx_gt_u64_e64 s[24:25], v[14:15]
	s_cbranch_execz .LBB127_66
; %bb.63:                               ;   in Loop: Header=BB127_45 Depth=1
	v_mul_lo_u32 v5, v9, s63
	v_mad_co_u64_u32 v[2:3], null, s62, v14, s[60:61]
	v_mul_hi_u32 v6, v9, s62
	v_mul_lo_u32 v27, v9, s62
	s_mov_b32 s7, 0
	s_delay_alu instid0(VALU_DEP_4) | instskip(NEXT) | instid1(VALU_DEP_4)
	v_add_nc_u32_e32 v7, v5, v48
	v_mad_co_u64_u32 v[3:4], null, s63, v14, v[3:4]
	v_dual_mov_b32 v4, v14 :: v_dual_mov_b32 v5, v15
	s_delay_alu instid0(VALU_DEP_3)
	v_dual_mov_b32 v7, v1 :: v_dual_add_nc_u32 v14, v7, v6
	v_mov_b32_e32 v6, v0
.LBB127_64:                             ;   Parent Loop BB127_45 Depth=1
                                        ; =>  This Inner Loop Header: Depth=2
	global_load_b32 v31, v[2:3], off
	v_dual_mov_b32 v33, v5 :: v_dual_mov_b32 v32, v4
	v_lshlrev_b32_e32 v6, 2, v6
	s_delay_alu instid0(VALU_DEP_2) | instskip(SKIP_1) | instid1(VALU_DEP_3)
	v_add_co_u32 v4, vcc_lo, v32, v9
	s_wait_alu 0xfffd
	v_add_co_ci_u32_e64 v5, null, 0, v33, vcc_lo
	v_add_co_u32 v2, vcc_lo, v2, v27
	s_wait_alu 0xfffd
	v_add_co_ci_u32_e64 v3, null, v3, v14, vcc_lo
	s_delay_alu instid0(VALU_DEP_3)
	v_cmp_le_u64_e64 s4, s[24:25], v[4:5]
	s_wait_loadcnt 0x1
	ds_store_b32 v6, v8
	v_dual_mov_b32 v6, v32 :: v_dual_mov_b32 v7, v33
	s_wait_alu 0xfffe
	s_or_b32 s7, s4, s7
	s_wait_loadcnt 0x0
	v_mov_b32_e32 v8, v31
	s_wait_alu 0xfffe
	s_and_not1_b32 exec_lo, exec_lo, s7
	s_cbranch_execnz .LBB127_64
; %bb.65:                               ;   in Loop: Header=BB127_45 Depth=1
	s_or_b32 exec_lo, exec_lo, s7
	v_sub_nc_u32_e32 v2, v4, v9
	v_mov_b32_e32 v8, v31
.LBB127_66:                             ;   in Loop: Header=BB127_45 Depth=1
	s_wait_alu 0xfffe
	s_or_b32 exec_lo, exec_lo, s6
	s_delay_alu instid0(VALU_DEP_2)
	v_lshlrev_b32_e32 v2, 2, v2
	s_wait_loadcnt 0x0
	ds_store_b32 v2, v8
.LBB127_67:                             ;   in Loop: Header=BB127_45 Depth=1
	s_wait_alu 0xfffe
	s_or_b32 exec_lo, exec_lo, s5
	s_wait_loadcnt_dscnt 0x0
	s_barrier_signal -1
	s_barrier_wait -1
	global_inv scope:SCOPE_SE
	s_and_saveexec_b32 s4, s3
; %bb.68:                               ;   in Loop: Header=BB127_45 Depth=1
	v_dual_mov_b32 v2, s24 :: v_dual_mov_b32 v3, s25
	ds_store_b64 v15, v[2:3] offset:5120
; %bb.69:                               ;   in Loop: Header=BB127_45 Depth=1
	s_wait_alu 0xfffe
	s_or_b32 exec_lo, exec_lo, s4
	s_mov_b32 s4, -1
	s_wait_loadcnt_dscnt 0x0
	s_barrier_signal -1
	s_barrier_wait -1
.LBB127_70:                             ;   in Loop: Header=BB127_45 Depth=1
	s_wait_alu 0xfffe
	s_and_b32 vcc_lo, exec_lo, s4
	s_mov_b64 s[68:69], 0
	s_wait_alu 0xfffe
	s_cbranch_vccz .LBB127_72
; %bb.71:                               ;   in Loop: Header=BB127_45 Depth=1
	s_wait_loadcnt 0x0
	global_inv scope:SCOPE_SE
	ds_load_b64 v[2:3], v15 offset:5120
	s_wait_dscnt 0x0
	v_readfirstlane_b32 s68, v2
.LBB127_72:                             ;   in Loop: Header=BB127_45 Depth=1
	s_delay_alu instid0(VALU_DEP_1)
	s_cmp_lt_i32 s68, 1
	s_mov_b32 s4, -1
                                        ; implicit-def: $vgpr2_vgpr3
                                        ; implicit-def: $vgpr6_vgpr7
	s_cbranch_scc1 .LBB127_82
; %bb.73:                               ;   in Loop: Header=BB127_45 Depth=1
	s_wait_alu 0xfffe
	s_and_b32 vcc_lo, exec_lo, s4
	s_wait_alu 0xfffe
	s_cbranch_vccnz .LBB127_96
.LBB127_74:                             ;   in Loop: Header=BB127_45 Depth=1
	s_lshl_b32 s4, s92, 7
	s_and_saveexec_b32 s5, s1
	s_cbranch_execz .LBB127_76
.LBB127_75:                             ;   in Loop: Header=BB127_45 Depth=1
	s_wait_alu 0xfffe
	v_lshl_add_u32 v14, s4, 3, v44
	ds_store_b128 v14, v[2:5]
	ds_store_b128 v14, v[6:9] offset:16
.LBB127_76:                             ;   in Loop: Header=BB127_45 Depth=1
	s_wait_alu 0xfffe
	s_or_b32 exec_lo, exec_lo, s5
	s_wait_loadcnt_dscnt 0x0
	s_barrier_signal -1
	s_barrier_wait -1
	global_inv scope:SCOPE_SE
	s_and_saveexec_b32 s5, s82
	s_cbranch_execz .LBB127_110
; %bb.77:                               ;   in Loop: Header=BB127_45 Depth=1
	v_mov_b32_e32 v2, 0
	v_mov_b32_e32 v3, 0
	s_and_not1_b32 vcc_lo, exec_lo, s83
	s_wait_alu 0xfffe
	s_cbranch_vccnz .LBB127_109
; %bb.78:                               ;   in Loop: Header=BB127_45 Depth=1
	v_mov_b32_e32 v2, 0
	v_mov_b32_e32 v3, 0
	s_and_not1_b32 vcc_lo, exec_lo, s85
	s_wait_alu 0xfffe
	s_cbranch_vccnz .LBB127_106
; %bb.79:                               ;   in Loop: Header=BB127_45 Depth=1
	v_lshl_add_u32 v4, s92, 10, v47
	s_mov_b32 s6, 0
.LBB127_80:                             ;   Parent Loop BB127_45 Depth=1
                                        ; =>  This Inner Loop Header: Depth=2
	ds_load_2addr_b64 v[5:8], v4 offset1:4
	ds_load_2addr_b64 v[31:34], v4 offset0:8 offset1:12
	ds_load_2addr_b64 v[35:38], v4 offset0:16 offset1:20
	s_wait_alu 0xfffe
	s_add_co_i32 s6, s6, 8
	s_wait_alu 0xfffe
	s_cmp_eq_u32 s86, s6
	s_wait_dscnt 0x2
	v_add_co_u32 v2, vcc_lo, v5, v2
	s_wait_alu 0xfffd
	v_add_co_ci_u32_e64 v3, null, v6, v3, vcc_lo
	s_delay_alu instid0(VALU_DEP_2) | instskip(SKIP_1) | instid1(VALU_DEP_2)
	v_add_co_u32 v2, vcc_lo, v7, v2
	s_wait_alu 0xfffd
	v_add_co_ci_u32_e64 v3, null, v8, v3, vcc_lo
	ds_load_2addr_b64 v[5:8], v4 offset0:24 offset1:28
	s_wait_dscnt 0x2
	v_add_co_u32 v2, vcc_lo, v31, v2
	s_wait_alu 0xfffd
	v_add_co_ci_u32_e64 v3, null, v32, v3, vcc_lo
	v_add_nc_u32_e32 v4, 0x100, v4
	s_delay_alu instid0(VALU_DEP_3) | instskip(SKIP_1) | instid1(VALU_DEP_3)
	v_add_co_u32 v2, vcc_lo, v33, v2
	s_wait_alu 0xfffd
	v_add_co_ci_u32_e64 v3, null, v34, v3, vcc_lo
	s_wait_dscnt 0x1
	s_delay_alu instid0(VALU_DEP_2) | instskip(SKIP_1) | instid1(VALU_DEP_2)
	v_add_co_u32 v2, vcc_lo, v35, v2
	s_wait_alu 0xfffd
	v_add_co_ci_u32_e64 v3, null, v36, v3, vcc_lo
	s_delay_alu instid0(VALU_DEP_2) | instskip(SKIP_1) | instid1(VALU_DEP_2)
	v_add_co_u32 v2, vcc_lo, v37, v2
	s_wait_alu 0xfffd
	v_add_co_ci_u32_e64 v3, null, v38, v3, vcc_lo
	s_wait_dscnt 0x0
	s_delay_alu instid0(VALU_DEP_2) | instskip(SKIP_1) | instid1(VALU_DEP_2)
	v_add_co_u32 v2, vcc_lo, v5, v2
	s_wait_alu 0xfffd
	v_add_co_ci_u32_e64 v3, null, v6, v3, vcc_lo
	s_delay_alu instid0(VALU_DEP_2) | instskip(SKIP_1) | instid1(VALU_DEP_2)
	v_add_co_u32 v2, vcc_lo, v7, v2
	s_wait_alu 0xfffd
	v_add_co_ci_u32_e64 v3, null, v8, v3, vcc_lo
	s_cbranch_scc0 .LBB127_80
; %bb.81:                               ;   in Loop: Header=BB127_45 Depth=1
	s_mov_b32 s6, s86
	s_and_not1_b32 vcc_lo, exec_lo, s87
	s_wait_alu 0xfffe
	s_cbranch_vccz .LBB127_107
	s_branch .LBB127_109
.LBB127_82:                             ;   in Loop: Header=BB127_45 Depth=1
	global_load_u16 v14, v15, s[66:67]
	s_mov_b32 s5, s25
	s_wait_loadcnt 0x0
	v_readfirstlane_b32 s4, v14
	s_wait_alu 0xfffe
	s_and_b32 s6, 0xffff, s4
	s_mov_b32 s4, s53
	s_wait_alu 0xfffe
	s_lshl_b32 s70, s6, 2
	s_cmp_lg_u64 s[4:5], 0
	s_cbranch_scc0 .LBB127_105
; %bb.83:                               ;   in Loop: Header=BB127_45 Depth=1
	s_wait_alu 0xfffe
	s_cvt_f32_u32 s4, s70
	s_mov_b32 s71, s53
	s_wait_alu 0xfffe
	s_sub_nc_u64 s[6:7], 0, s[70:71]
	s_fmamk_f32 s4, s91, 0x0, s4
	s_wait_alu 0xfffe
	s_delay_alu instid0(SALU_CYCLE_2) | instskip(NEXT) | instid1(TRANS32_DEP_1)
	v_s_rcp_f32 s4, s4
	s_mul_f32 s4, s4, 0x5f7ffffc
	s_wait_alu 0xfffe
	s_delay_alu instid0(SALU_CYCLE_2) | instskip(SKIP_1) | instid1(SALU_CYCLE_2)
	s_mul_f32 s5, s4, 0x2f800000
	s_wait_alu 0xfffe
	s_trunc_f32 s5, s5
	s_wait_alu 0xfffe
	s_delay_alu instid0(SALU_CYCLE_2) | instskip(SKIP_2) | instid1(SALU_CYCLE_1)
	s_fmamk_f32 s4, s5, 0xcf800000, s4
	s_cvt_u32_f32 s5, s5
	s_wait_alu 0xfffe
	s_cvt_u32_f32 s4, s4
	s_wait_alu 0xfffe
	s_delay_alu instid0(SALU_CYCLE_2)
	s_mul_u64 s[8:9], s[6:7], s[4:5]
	s_wait_alu 0xfffe
	s_mul_hi_u32 s11, s4, s9
	s_mul_i32 s10, s4, s9
	s_mul_hi_u32 s52, s4, s8
	s_mul_i32 s13, s5, s8
	s_wait_alu 0xfffe
	s_add_nc_u64 s[10:11], s[52:53], s[10:11]
	s_mul_hi_u32 s12, s5, s8
	s_mul_hi_u32 s14, s5, s9
	s_mul_i32 s8, s5, s9
	s_wait_alu 0xfffe
	s_add_co_u32 s9, s10, s13
	s_add_co_ci_u32 s52, s11, s12
	s_add_co_ci_u32 s9, s14, 0
	s_wait_alu 0xfffe
	s_add_nc_u64 s[8:9], s[52:53], s[8:9]
	s_wait_alu 0xfffe
	s_add_co_u32 s4, s4, s8
	s_cselect_b32 s8, -1, 0
	s_wait_alu 0xfffe
	s_cmp_lg_u32 s8, 0
	s_add_co_ci_u32 s5, s5, s9
	s_wait_alu 0xfffe
	s_mul_u64 s[6:7], s[6:7], s[4:5]
	s_wait_alu 0xfffe
	s_mul_hi_u32 s9, s4, s7
	s_mul_i32 s8, s4, s7
	s_mul_hi_u32 s52, s4, s6
	s_mul_i32 s11, s5, s6
	s_wait_alu 0xfffe
	s_add_nc_u64 s[8:9], s[52:53], s[8:9]
	s_mul_hi_u32 s10, s5, s6
	s_mul_hi_u32 s12, s5, s7
	s_mul_i32 s6, s5, s7
	s_wait_alu 0xfffe
	s_add_co_u32 s7, s8, s11
	s_add_co_ci_u32 s52, s9, s10
	s_add_co_ci_u32 s7, s12, 0
	s_wait_alu 0xfffe
	s_add_nc_u64 s[6:7], s[52:53], s[6:7]
	s_wait_alu 0xfffe
	s_add_co_u32 s4, s4, s6
	s_cselect_b32 s6, -1, 0
	s_wait_alu 0xfffe
	s_mul_hi_u32 s52, s24, s4
	s_cmp_lg_u32 s6, 0
	s_mul_hi_u32 s8, s25, s4
	s_add_co_ci_u32 s6, s5, s7
	s_mul_i32 s7, s25, s4
	s_wait_alu 0xfffe
	s_mul_hi_u32 s5, s24, s6
	s_mul_i32 s4, s24, s6
	s_mul_hi_u32 s9, s25, s6
	s_wait_alu 0xfffe
	s_add_nc_u64 s[4:5], s[52:53], s[4:5]
	s_mul_i32 s6, s25, s6
	s_wait_alu 0xfffe
	s_add_co_u32 s4, s4, s7
	s_add_co_ci_u32 s52, s5, s8
	s_add_co_ci_u32 s7, s9, 0
	s_wait_alu 0xfffe
	s_add_nc_u64 s[4:5], s[52:53], s[6:7]
	s_wait_alu 0xfffe
	s_mul_u64 s[4:5], s[70:71], s[4:5]
	s_wait_alu 0xfffe
	s_sub_co_u32 s4, s24, s4
	s_cselect_b32 s6, -1, 0
	s_wait_alu 0xfffe
	s_cmp_lg_u32 s6, 0
	s_sub_co_ci_u32 s5, s25, s5
	s_sub_co_u32 s6, s4, s70
	s_cselect_b32 s7, -1, 0
	s_wait_alu 0xfffe
	s_cmp_lg_u32 s7, 0
	s_sub_co_ci_u32 s7, s5, 0
	;; [unrolled: 5-line block ×3, first 2 shown]
	s_cmp_ge_u32 s6, s70
	s_cselect_b32 s10, -1, 0
	s_cmp_eq_u32 s7, 0
	s_wait_alu 0xfffe
	s_cselect_b32 s10, s10, -1
	s_wait_alu 0xfffe
	s_cmp_lg_u32 s10, 0
	s_cselect_b32 s7, s9, s7
	s_cselect_b32 s6, s8, s6
	s_cmp_ge_u32 s4, s70
	s_cselect_b32 s8, -1, 0
	s_cmp_eq_u32 s5, 0
	s_wait_alu 0xfffe
	s_cselect_b32 s8, s8, -1
	s_wait_alu 0xfffe
	s_cmp_lg_u32 s8, 0
	s_cselect_b32 s5, s7, s5
	s_cselect_b32 s4, s6, s4
	s_cbranch_execnz .LBB127_85
.LBB127_84:                             ;   in Loop: Header=BB127_45 Depth=1
	s_wait_alu 0xfffe
	v_cvt_f32_u32_e32 v2, s70
	s_sub_co_i32 s5, 0, s70
	s_delay_alu instid0(VALU_DEP_1) | instskip(NEXT) | instid1(TRANS32_DEP_1)
	v_rcp_iflag_f32_e32 v2, v2
	v_mul_f32_e32 v2, 0x4f7ffffe, v2
	s_delay_alu instid0(VALU_DEP_1) | instskip(NEXT) | instid1(VALU_DEP_1)
	v_cvt_u32_f32_e32 v2, v2
	v_readfirstlane_b32 s4, v2
	s_wait_alu 0xfffe
	s_mul_i32 s5, s5, s4
	s_wait_alu 0xfffe
	s_mul_hi_u32 s5, s4, s5
	s_wait_alu 0xfffe
	s_add_co_i32 s4, s4, s5
	s_wait_alu 0xfffe
	s_mul_hi_u32 s4, s24, s4
	s_wait_alu 0xfffe
	s_mul_i32 s4, s4, s70
	s_wait_alu 0xfffe
	s_sub_co_i32 s4, s24, s4
	s_wait_alu 0xfffe
	s_sub_co_i32 s5, s4, s70
	s_cmp_ge_u32 s4, s70
	s_wait_alu 0xfffe
	s_cselect_b32 s4, s5, s4
	s_wait_alu 0xfffe
	s_sub_co_i32 s5, s4, s70
	s_cmp_ge_u32 s4, s70
	s_wait_alu 0xfffe
	s_cselect_b32 s52, s5, s4
	s_wait_alu 0xfffe
	s_mov_b64 s[4:5], s[52:53]
.LBB127_85:                             ;   in Loop: Header=BB127_45 Depth=1
	v_mov_b32_e32 v2, 0
	v_dual_mov_b32 v6, 0 :: v_dual_mov_b32 v3, 0
	v_dual_mov_b32 v4, 0 :: v_dual_mov_b32 v7, 0
	;; [unrolled: 1-line block ×3, first 2 shown]
	v_dual_mov_b32 v9, 0 :: v_dual_and_b32 v14, 0xffff, v14
	s_wait_alu 0xfffe
	s_sub_nc_u64 s[72:73], s[24:25], s[4:5]
	s_mov_b32 s69, exec_lo
	s_wait_alu 0xfffe
	v_cmpx_gt_u64_e64 s[72:73], v[12:13]
	s_cbranch_execz .LBB127_89
; %bb.86:                               ;   in Loop: Header=BB127_45 Depth=1
	v_mul_lo_u32 v2, v14, s65
	v_mul_hi_u32 v3, v14, s64
	v_mul_lo_u32 v27, v14, s64
	v_mov_b32_e32 v32, v25
	v_mov_b32_e32 v34, v23
	v_dual_mov_b32 v36, v21 :: v_dual_mov_b32 v33, v22
	v_dual_mov_b32 v35, v20 :: v_dual_add_nc_u32 v2, v2, v49
	v_dual_mov_b32 v31, v24 :: v_dual_mov_b32 v38, v19
	v_dual_mov_b32 v37, v18 :: v_dual_mov_b32 v40, v13
	v_mov_b32_e32 v39, v12
	s_delay_alu instid0(VALU_DEP_4)
	v_add_nc_u32_e32 v51, v2, v3
	s_mov_b64 s[74:75], 0
	s_mov_b32 s71, 0
	s_mov_b64 s[76:77], 0
	s_mov_b64 s[78:79], 0
	;; [unrolled: 1-line block ×3, first 2 shown]
.LBB127_87:                             ;   Parent Loop BB127_45 Depth=1
                                        ; =>  This Inner Loop Header: Depth=2
	v_add_co_u32 v2, vcc_lo, v31, s48
	s_wait_alu 0xfffd
	v_add_co_ci_u32_e64 v3, null, s49, v32, vcc_lo
	v_add_co_u32 v4, vcc_lo, v33, s48
	s_wait_alu 0xfffd
	v_add_co_ci_u32_e64 v5, null, s49, v34, vcc_lo
	;; [unrolled: 3-line block ×4, first 2 shown]
	global_load_b32 v2, v[2:3], off
	global_load_b32 v3, v[4:5], off
	;; [unrolled: 1-line block ×4, first 2 shown]
	v_add_co_u32 v39, vcc_lo, v39, s70
	s_wait_alu 0xfffd
	v_add_co_ci_u32_e64 v40, null, 0, v40, vcc_lo
	v_add_co_u32 v37, vcc_lo, v37, v27
	s_wait_alu 0xfffd
	v_add_co_ci_u32_e64 v38, null, v38, v51, vcc_lo
	;; [unrolled: 3-line block ×5, first 2 shown]
	v_cmp_le_u64_e32 vcc_lo, s[72:73], v[39:40]
	s_wait_loadcnt 0x3
	v_cmp_lt_i32_e64 s4, -1, v2
	v_cmp_o_f32_e64 s7, v2, v2
	s_wait_loadcnt 0x1
	v_cmp_o_f32_e64 s5, v4, v4
	s_wait_loadcnt 0x0
	v_cmp_o_f32_e64 s6, v5, v5
	s_wait_alu 0xf1ff
	v_cndmask_b32_e64 v6, -1, 0x80000000, s4
	v_cmp_lt_i32_e64 s4, -1, v3
	s_delay_alu instid0(VALU_DEP_2) | instskip(SKIP_1) | instid1(VALU_DEP_2)
	v_xor_b32_e32 v6, v6, v2
	s_wait_alu 0xf1ff
	v_cndmask_b32_e64 v7, -1, 0x80000000, s4
	v_cmp_lt_i32_e64 s4, -1, v4
	s_delay_alu instid0(VALU_DEP_3) | instskip(NEXT) | instid1(VALU_DEP_3)
	v_cndmask_b32_e64 v2, -1, v6, s7
	v_xor_b32_e32 v7, v7, v3
	s_wait_alu 0xf1ff
	s_delay_alu instid0(VALU_DEP_3) | instskip(SKIP_4) | instid1(VALU_DEP_3)
	v_cndmask_b32_e64 v8, -1, 0x80000000, s4
	v_cmp_lt_i32_e64 s4, -1, v5
	v_and_b32_e32 v6, v2, v50
	v_bfe_u32 v2, v2, s89, 2
	s_wait_alu 0xf1ff
	v_cndmask_b32_e64 v9, -1, 0x80000000, s4
	v_cmp_o_f32_e64 s4, v3, v3
	v_xor_b32_e32 v3, v8, v4
	v_cmp_eq_u32_e64 s8, 0, v2
	v_cmp_eq_u32_e64 s12, 1, v2
	v_xor_b32_e32 v4, v9, v5
	s_wait_alu 0xf1ff
	v_cndmask_b32_e64 v5, -1, v7, s4
	v_cndmask_b32_e64 v3, -1, v3, s5
	v_cmp_eq_u32_e64 s4, v6, v45
	v_cmp_eq_u32_e64 s16, 2, v2
	v_cndmask_b32_e64 v4, -1, v4, s6
	v_and_b32_e32 v7, v5, v50
	v_bfe_u32 v5, v5, s89, 2
	v_and_b32_e32 v8, v3, v50
	v_bfe_u32 v3, v3, s89, 2
	v_and_b32_e32 v9, v4, v50
	v_bfe_u32 v4, v4, s89, 2
	v_cmp_eq_u32_e64 s5, v7, v45
	v_cmp_eq_u32_e64 s9, 0, v5
	v_cmp_eq_u32_e64 s6, v8, v45
	v_cmp_eq_u32_e64 s10, 0, v3
	s_and_b32 s8, s4, s8
	v_cmp_eq_u32_e64 s7, v9, v45
	v_cmp_eq_u32_e64 s11, 0, v4
	;; [unrolled: 1-line block ×3, first 2 shown]
	s_wait_alu 0xfffe
	v_cndmask_b32_e64 v2, 0, 1, s8
	s_and_b32 s8, s5, s9
	v_cmp_eq_u32_e64 s14, 1, v3
	v_cmp_eq_u32_e64 s18, 2, v3
	;; [unrolled: 1-line block ×3, first 2 shown]
	s_wait_alu 0xfffe
	v_cndmask_b32_e64 v3, 0, 1, s8
	s_and_b32 s8, s6, s10
	v_cmp_eq_u32_e64 s13, 1, v5
	v_cmp_eq_u32_e64 s15, 1, v4
	;; [unrolled: 1-line block ×4, first 2 shown]
	s_wait_alu 0xfffe
	v_cndmask_b32_e64 v4, 0, 1, s8
	s_and_b32 s8, s7, s11
	v_cmp_eq_u32_e64 s17, 2, v5
	v_cmp_eq_u32_e64 s21, 3, v5
	s_wait_alu 0xfffe
	v_cndmask_b32_e64 v5, 0, 1, s8
	s_and_b32 s8, s4, s12
	s_wait_alu 0xfffe
	v_cndmask_b32_e64 v6, 0, 1, s8
	s_and_b32 s8, s5, s13
	;; [unrolled: 3-line block ×4, first 2 shown]
	v_cmp_ne_u32_e64 s9, 0, v7
	s_wait_alu 0xfffe
	v_cndmask_b32_e64 v9, 0, 1, s8
	s_and_b32 s8, s4, s16
	s_and_b32 s4, s4, s20
	s_wait_alu 0xfffe
	v_cndmask_b32_e64 v52, 0, 1, s8
	v_cndmask_b32_e64 v56, 0, 1, s4
	s_and_b32 s4, s5, s21
	s_and_b32 s8, s5, s17
	s_wait_alu 0xfffe
	v_cndmask_b32_e64 v57, 0, 1, s4
	s_and_b32 s4, s6, s22
	v_cndmask_b32_e64 v53, 0, 1, s8
	s_and_b32 s8, s6, s18
	s_wait_alu 0xfffe
	v_cndmask_b32_e64 v58, 0, 1, s4
	s_and_b32 s4, s7, s23
	v_cndmask_b32_e64 v54, 0, 1, s8
	s_and_b32 s8, s7, s19
	s_wait_alu 0xfffe
	v_cndmask_b32_e64 v59, 0, 1, s4
	v_cmp_ne_u32_e64 s4, 0, v2
	v_cmp_ne_u32_e64 s5, 0, v3
	v_cndmask_b32_e64 v55, 0, 1, s8
	v_cmp_ne_u32_e64 s6, 0, v4
	v_cmp_ne_u32_e64 s8, 0, v6
	v_cmp_ne_u32_e64 s7, 0, v5
	v_cmp_ne_u32_e64 s10, 0, v8
	v_cmp_ne_u32_e64 s12, 0, v52
	v_cmp_ne_u32_e64 s13, 0, v53
	s_bcnt1_i32_b32 s4, s4
	s_bcnt1_i32_b32 s5, s5
	v_cmp_ne_u32_e64 s11, 0, v9
	v_cmp_ne_u32_e64 s14, 0, v54
	;; [unrolled: 1-line block ×4, first 2 shown]
	s_bcnt1_i32_b32 s6, s6
	s_bcnt1_i32_b32 s8, s8
	;; [unrolled: 1-line block ×3, first 2 shown]
	s_wait_alu 0xfffe
	s_add_co_i32 s4, s5, s4
	v_cmp_ne_u32_e64 s15, 0, v55
	v_cmp_ne_u32_e64 s18, 0, v58
	s_bcnt1_i32_b32 s7, s7
	s_bcnt1_i32_b32 s10, s10
	;; [unrolled: 1-line block ×4, first 2 shown]
	s_add_co_i32 s5, s9, s8
	s_wait_alu 0xfffe
	s_add_co_i32 s4, s4, s6
	v_cmp_ne_u32_e64 s19, 0, v59
	s_bcnt1_i32_b32 s11, s11
	s_bcnt1_i32_b32 s14, s14
	;; [unrolled: 1-line block ×4, first 2 shown]
	s_add_co_i32 s8, s13, s12
	s_add_co_i32 s5, s5, s10
	s_wait_alu 0xfffe
	s_add_co_i32 s52, s4, s7
	s_bcnt1_i32_b32 s15, s15
	s_bcnt1_i32_b32 s18, s18
	s_add_co_i32 s9, s17, s16
	s_add_co_i32 s6, s8, s14
	s_wait_alu 0xfffe
	s_add_nc_u64 s[80:81], s[80:81], s[52:53]
	s_add_co_i32 s52, s5, s11
	s_bcnt1_i32_b32 s19, s19
	s_add_co_i32 s8, s9, s18
	s_wait_alu 0xfffe
	s_add_nc_u64 s[78:79], s[78:79], s[52:53]
	s_add_co_i32 s52, s6, s15
	v_mov_b32_e32 v2, s80
	s_wait_alu 0xfffe
	s_add_nc_u64 s[76:77], s[76:77], s[52:53]
	s_add_co_i32 s52, s8, s19
	v_mov_b32_e32 v4, s78
	s_wait_alu 0xfffe
	s_add_nc_u64 s[74:75], s[74:75], s[52:53]
	v_mov_b32_e32 v3, s81
	v_dual_mov_b32 v5, s79 :: v_dual_mov_b32 v6, s76
	s_wait_alu 0xfffe
	v_dual_mov_b32 v7, s77 :: v_dual_mov_b32 v8, s74
	v_mov_b32_e32 v9, s75
	s_or_b32 s71, vcc_lo, s71
	s_wait_alu 0xfffe
	s_and_not1_b32 exec_lo, exec_lo, s71
	s_cbranch_execnz .LBB127_87
; %bb.88:                               ;   in Loop: Header=BB127_45 Depth=1
	s_or_b32 exec_lo, exec_lo, s71
.LBB127_89:                             ;   in Loop: Header=BB127_45 Depth=1
	s_delay_alu instid0(SALU_CYCLE_1)
	s_or_b32 exec_lo, exec_lo, s69
	v_add_co_u32 v31, s4, s72, v0
	s_wait_alu 0xf1ff
	v_add_co_ci_u32_e64 v32, null, s73, 0, s4
	s_mov_b32 s8, exec_lo
	v_cmpx_gt_u64_e64 s[24:25], v[31:32]
	s_cbranch_execz .LBB127_95
; %bb.90:                               ;   in Loop: Header=BB127_45 Depth=1
	v_mul_lo_u32 v27, v32, s28
	v_mul_lo_u32 v35, v31, s29
	v_mad_co_u64_u32 v[33:34], null, v31, s28, 0
	s_mov_b32 s9, 0
	v_add3_u32 v34, v34, v35, v27
	s_delay_alu instid0(VALU_DEP_1) | instskip(NEXT) | instid1(VALU_DEP_1)
	v_lshlrev_b64_e32 v[33:34], 2, v[33:34]
	v_add_co_u32 v33, vcc_lo, s54, v33
	s_wait_alu 0xfffd
	s_delay_alu instid0(VALU_DEP_2)
	v_add_co_ci_u32_e64 v34, null, s55, v34, vcc_lo
	global_load_b32 v33, v[33:34], off
	s_branch .LBB127_92
.LBB127_91:                             ;   in Loop: Header=BB127_92 Depth=2
	s_wait_alu 0xfffe
	s_or_b32 exec_lo, exec_lo, s5
	s_wait_loadcnt 0x0
	v_cmp_lt_i32_e64 s4, -1, v33
	s_and_b32 s5, exec_lo, vcc_lo
	s_wait_alu 0xfffe
	s_or_b32 s9, s5, s9
	v_cndmask_b32_e64 v34, -1, 0x80000000, s4
	v_cmp_o_f32_e64 s4, v33, v33
	s_delay_alu instid0(VALU_DEP_2) | instskip(SKIP_1) | instid1(VALU_DEP_1)
	v_xor_b32_e32 v34, v34, v33
	s_wait_alu 0xf1ff
	v_cndmask_b32_e64 v33, -1, v34, s4
	s_delay_alu instid0(VALU_DEP_1) | instskip(SKIP_1) | instid1(VALU_DEP_2)
	v_and_b32_e32 v34, v33, v50
	v_bfe_u32 v33, v33, s89, 2
	v_cmp_eq_u32_e32 vcc_lo, v34, v45
	s_delay_alu instid0(VALU_DEP_2)
	v_cmp_eq_u32_e64 s4, 0, v33
	v_cmp_eq_u32_e64 s5, 1, v33
	;; [unrolled: 1-line block ×4, first 2 shown]
	s_and_b32 s4, vcc_lo, s4
	s_wait_alu 0xfffe
	v_cndmask_b32_e64 v33, 0, 1, s4
	s_and_b32 s4, vcc_lo, s5
	s_wait_alu 0xfffe
	v_cndmask_b32_e64 v34, 0, 1, s4
	;; [unrolled: 3-line block ×3, first 2 shown]
	s_and_b32 s4, vcc_lo, s7
	v_cmp_ne_u32_e32 vcc_lo, 0, v33
	s_wait_alu 0xfffe
	v_cndmask_b32_e64 v36, 0, 1, s4
	v_cmp_ne_u32_e64 s4, 0, v34
	v_cmp_ne_u32_e64 s5, 0, v35
	v_mov_b32_e32 v33, v27
	s_bcnt1_i32_b32 s7, vcc_lo
	v_cmp_ne_u32_e64 s6, 0, v36
	s_bcnt1_i32_b32 s4, s4
	s_wait_alu 0xfffe
	v_add_co_u32 v2, vcc_lo, v2, s7
	s_bcnt1_i32_b32 s5, s5
	s_wait_alu 0xfffd
	v_add_co_ci_u32_e64 v3, null, 0, v3, vcc_lo
	v_add_co_u32 v4, vcc_lo, v4, s4
	s_wait_alu 0xfffd
	v_add_co_ci_u32_e64 v5, null, 0, v5, vcc_lo
	s_wait_alu 0xfffe
	v_add_co_u32 v6, vcc_lo, v6, s5
	s_bcnt1_i32_b32 s4, s6
	s_wait_alu 0xfffd
	v_add_co_ci_u32_e64 v7, null, 0, v7, vcc_lo
	s_wait_alu 0xfffe
	v_add_co_u32 v8, vcc_lo, v8, s4
	s_wait_alu 0xfffd
	v_add_co_ci_u32_e64 v9, null, 0, v9, vcc_lo
	s_and_not1_b32 exec_lo, exec_lo, s9
	s_cbranch_execz .LBB127_94
.LBB127_92:                             ;   Parent Loop BB127_45 Depth=1
                                        ; =>  This Inner Loop Header: Depth=2
	v_add_co_u32 v31, vcc_lo, v31, v14
	s_wait_alu 0xfffd
	v_add_co_ci_u32_e64 v32, null, 0, v32, vcc_lo
	v_mov_b32_e32 v27, 0
	s_mov_b32 s5, exec_lo
	s_delay_alu instid0(VALU_DEP_2)
	v_cmp_le_u64_e32 vcc_lo, s[24:25], v[31:32]
	v_cmpx_gt_u64_e64 s[24:25], v[31:32]
	s_cbranch_execz .LBB127_91
; %bb.93:                               ;   in Loop: Header=BB127_92 Depth=2
	v_mul_lo_u32 v27, v32, s28
	v_mul_lo_u32 v36, v31, s29
	v_mad_co_u64_u32 v[34:35], null, v31, s28, 0
	s_delay_alu instid0(VALU_DEP_1) | instskip(NEXT) | instid1(VALU_DEP_1)
	v_add3_u32 v35, v35, v36, v27
	v_lshlrev_b64_e32 v[34:35], 2, v[34:35]
	s_delay_alu instid0(VALU_DEP_1) | instskip(SKIP_1) | instid1(VALU_DEP_2)
	v_add_co_u32 v34, s4, s54, v34
	s_wait_alu 0xf1ff
	v_add_co_ci_u32_e64 v35, null, s55, v35, s4
	global_load_b32 v27, v[34:35], off
	s_branch .LBB127_91
.LBB127_94:                             ;   in Loop: Header=BB127_45 Depth=1
	s_or_b32 exec_lo, exec_lo, s9
.LBB127_95:                             ;   in Loop: Header=BB127_45 Depth=1
	s_wait_alu 0xfffe
	s_or_b32 exec_lo, exec_lo, s8
	s_branch .LBB127_74
.LBB127_96:                             ;   in Loop: Header=BB127_45 Depth=1
	global_load_u16 v2, v15, s[66:67]
	v_mov_b32_e32 v4, 0
	v_mov_b32_e32 v6, 0
	v_dual_mov_b32 v8, 0 :: v_dual_mov_b32 v7, 0
	v_mov_b32_e32 v9, 0
	s_mov_b32 s80, exec_lo
	v_mov_b32_e32 v5, 0
	s_wait_loadcnt 0x0
	v_readfirstlane_b32 s4, v2
	v_and_b32_e32 v14, 0xffff, v2
	s_and_b32 s78, 0xffff, s4
	s_wait_alu 0xfffe
	s_lshl_b32 s69, s78, 2
	s_wait_alu 0xfffe
	s_cvt_f32_u32 s4, s69
	s_sub_co_i32 s5, 0, s69
	s_wait_alu 0xfffe
	s_delay_alu instid0(SALU_CYCLE_1) | instskip(NEXT) | instid1(TRANS32_DEP_1)
	v_rcp_iflag_f32_e32 v3, s4
	v_readfirstlane_b32 s4, v3
	s_mul_f32 s4, s4, 0x4f7ffffe
	s_wait_alu 0xfffe
	s_delay_alu instid0(SALU_CYCLE_2) | instskip(SKIP_1) | instid1(SALU_CYCLE_2)
	s_cvt_u32_f32 s4, s4
	s_wait_alu 0xfffe
	s_mul_i32 s5, s5, s4
	s_wait_alu 0xfffe
	s_mul_hi_u32 s5, s4, s5
	s_wait_alu 0xfffe
	s_add_co_i32 s4, s4, s5
	s_wait_alu 0xfffe
	s_mul_hi_u32 s4, s68, s4
	s_wait_alu 0xfffe
	s_mul_i32 s5, s4, s69
	s_add_co_i32 s6, s4, 1
	s_wait_alu 0xfffe
	s_sub_co_i32 s5, s68, s5
	s_wait_alu 0xfffe
	s_sub_co_i32 s7, s5, s69
	s_cmp_ge_u32 s5, s69
	s_cselect_b32 s4, s6, s4
	s_wait_alu 0xfffe
	s_cselect_b32 s5, s7, s5
	s_add_co_i32 s6, s4, 1
	s_wait_alu 0xfffe
	s_cmp_ge_u32 s5, s69
	s_cselect_b32 s79, s6, s4
	s_wait_alu 0xfffe
	v_mul_hi_u32 v3, s79, v14
	v_mul_lo_u32 v2, s79, v14
	s_delay_alu instid0(VALU_DEP_1) | instskip(SKIP_2) | instid1(VALU_DEP_3)
	v_lshlrev_b64_e32 v[31:32], 2, v[2:3]
	v_mov_b32_e32 v2, 0
	v_mov_b32_e32 v3, 0
	v_cmpx_gt_u64_e64 v[31:32], v[12:13]
	s_cbranch_execz .LBB127_100
; %bb.97:                               ;   in Loop: Header=BB127_45 Depth=1
	v_dual_mov_b32 v27, v46 :: v_dual_mov_b32 v34, v13
	v_mov_b32_e32 v33, v12
	s_lshl_b32 s81, s78, 4
	s_mov_b64 s[70:71], 0
	s_mov_b32 s99, 0
	s_mov_b64 s[72:73], 0
	s_mov_b64 s[74:75], 0
	;; [unrolled: 1-line block ×3, first 2 shown]
.LBB127_98:                             ;   Parent Loop BB127_45 Depth=1
                                        ; =>  This Inner Loop Header: Depth=2
	ds_load_b128 v[2:5], v27
	v_add_co_u32 v33, vcc_lo, v33, s69
	s_wait_alu 0xfffd
	v_add_co_ci_u32_e64 v34, null, 0, v34, vcc_lo
	s_delay_alu instid0(VALU_DEP_1)
	v_cmp_ge_u64_e32 vcc_lo, v[33:34], v[31:32]
	s_wait_dscnt 0x0
	v_cmp_lt_i32_e64 s4, -1, v2
	v_cmp_o_f32_e64 s7, v2, v2
	v_cmp_o_f32_e64 s5, v4, v4
	;; [unrolled: 1-line block ×3, first 2 shown]
	s_wait_alu 0xf1ff
	v_cndmask_b32_e64 v6, -1, 0x80000000, s4
	v_cmp_lt_i32_e64 s4, -1, v3
	s_delay_alu instid0(VALU_DEP_2) | instskip(SKIP_1) | instid1(VALU_DEP_2)
	v_xor_b32_e32 v6, v6, v2
	s_wait_alu 0xf1ff
	v_cndmask_b32_e64 v7, -1, 0x80000000, s4
	v_cmp_lt_i32_e64 s4, -1, v4
	s_delay_alu instid0(VALU_DEP_3) | instskip(NEXT) | instid1(VALU_DEP_3)
	v_cndmask_b32_e64 v2, -1, v6, s7
	v_xor_b32_e32 v7, v7, v3
	s_wait_alu 0xf1ff
	s_delay_alu instid0(VALU_DEP_3) | instskip(SKIP_4) | instid1(VALU_DEP_3)
	v_cndmask_b32_e64 v8, -1, 0x80000000, s4
	v_cmp_lt_i32_e64 s4, -1, v5
	v_and_b32_e32 v6, v2, v50
	v_bfe_u32 v2, v2, s89, 2
	s_wait_alu 0xf1ff
	v_cndmask_b32_e64 v9, -1, 0x80000000, s4
	v_cmp_o_f32_e64 s4, v3, v3
	v_xor_b32_e32 v3, v8, v4
	v_cmp_eq_u32_e64 s8, 0, v2
	v_cmp_eq_u32_e64 s12, 1, v2
	v_xor_b32_e32 v4, v9, v5
	s_wait_alu 0xf1ff
	v_cndmask_b32_e64 v5, -1, v7, s4
	v_cndmask_b32_e64 v3, -1, v3, s5
	v_cmp_eq_u32_e64 s4, v6, v45
	v_cmp_eq_u32_e64 s16, 2, v2
	v_cndmask_b32_e64 v4, -1, v4, s6
	v_and_b32_e32 v7, v5, v50
	v_bfe_u32 v5, v5, s89, 2
	v_and_b32_e32 v8, v3, v50
	v_bfe_u32 v3, v3, s89, 2
	;; [unrolled: 2-line block ×3, first 2 shown]
	v_cmp_eq_u32_e64 s5, v7, v45
	v_cmp_eq_u32_e64 s9, 0, v5
	;; [unrolled: 1-line block ×4, first 2 shown]
	s_and_b32 s8, s4, s8
	v_cmp_eq_u32_e64 s7, v9, v45
	v_cmp_eq_u32_e64 s11, 0, v4
	;; [unrolled: 1-line block ×3, first 2 shown]
	s_wait_alu 0xfffe
	v_cndmask_b32_e64 v2, 0, 1, s8
	s_and_b32 s8, s5, s9
	v_cmp_eq_u32_e64 s14, 1, v3
	v_cmp_eq_u32_e64 s18, 2, v3
	;; [unrolled: 1-line block ×3, first 2 shown]
	s_wait_alu 0xfffe
	v_cndmask_b32_e64 v3, 0, 1, s8
	s_and_b32 s8, s6, s10
	v_cmp_eq_u32_e64 s13, 1, v5
	v_cmp_eq_u32_e64 s15, 1, v4
	;; [unrolled: 1-line block ×4, first 2 shown]
	s_wait_alu 0xfffe
	v_cndmask_b32_e64 v4, 0, 1, s8
	s_and_b32 s8, s7, s11
	v_cmp_eq_u32_e64 s17, 2, v5
	v_cmp_eq_u32_e64 s21, 3, v5
	s_wait_alu 0xfffe
	v_cndmask_b32_e64 v5, 0, 1, s8
	s_and_b32 s8, s4, s12
	s_wait_alu 0xfffe
	v_cndmask_b32_e64 v6, 0, 1, s8
	s_and_b32 s8, s5, s13
	;; [unrolled: 3-line block ×4, first 2 shown]
	v_cmp_ne_u32_e64 s9, 0, v7
	s_wait_alu 0xfffe
	v_cndmask_b32_e64 v9, 0, 1, s8
	s_and_b32 s8, s4, s16
	s_and_b32 s4, s4, s20
	s_wait_alu 0xfffe
	v_cndmask_b32_e64 v35, 0, 1, s8
	v_cndmask_b32_e64 v39, 0, 1, s4
	s_and_b32 s4, s5, s21
	s_and_b32 s8, s5, s17
	s_wait_alu 0xfffe
	v_cndmask_b32_e64 v40, 0, 1, s4
	s_and_b32 s4, s6, s22
	v_cndmask_b32_e64 v36, 0, 1, s8
	s_and_b32 s8, s6, s18
	s_wait_alu 0xfffe
	v_cndmask_b32_e64 v51, 0, 1, s4
	s_and_b32 s4, s7, s23
	v_cndmask_b32_e64 v37, 0, 1, s8
	s_and_b32 s8, s7, s19
	s_wait_alu 0xfffe
	v_cndmask_b32_e64 v52, 0, 1, s4
	v_cmp_ne_u32_e64 s4, 0, v2
	v_cmp_ne_u32_e64 s5, 0, v3
	v_cndmask_b32_e64 v38, 0, 1, s8
	v_cmp_ne_u32_e64 s6, 0, v4
	v_cmp_ne_u32_e64 s8, 0, v6
	;; [unrolled: 1-line block ×6, first 2 shown]
	s_bcnt1_i32_b32 s4, s4
	s_bcnt1_i32_b32 s5, s5
	v_cmp_ne_u32_e64 s11, 0, v9
	v_cmp_ne_u32_e64 s14, 0, v37
	;; [unrolled: 1-line block ×4, first 2 shown]
	s_bcnt1_i32_b32 s6, s6
	s_bcnt1_i32_b32 s8, s8
	s_bcnt1_i32_b32 s9, s9
	s_wait_alu 0xfffe
	s_add_co_i32 s4, s5, s4
	v_cmp_ne_u32_e64 s15, 0, v38
	v_cmp_ne_u32_e64 s18, 0, v51
	s_bcnt1_i32_b32 s7, s7
	s_bcnt1_i32_b32 s10, s10
	;; [unrolled: 1-line block ×4, first 2 shown]
	s_add_co_i32 s5, s9, s8
	s_wait_alu 0xfffe
	s_add_co_i32 s4, s4, s6
	v_cmp_ne_u32_e64 s19, 0, v52
	s_bcnt1_i32_b32 s11, s11
	s_bcnt1_i32_b32 s14, s14
	;; [unrolled: 1-line block ×4, first 2 shown]
	s_add_co_i32 s8, s13, s12
	s_add_co_i32 s5, s5, s10
	s_wait_alu 0xfffe
	s_add_co_i32 s52, s4, s7
	s_bcnt1_i32_b32 s15, s15
	s_bcnt1_i32_b32 s18, s18
	s_add_co_i32 s9, s17, s16
	s_add_co_i32 s6, s8, s14
	s_wait_alu 0xfffe
	s_add_nc_u64 s[76:77], s[76:77], s[52:53]
	s_add_co_i32 s52, s5, s11
	s_bcnt1_i32_b32 s19, s19
	s_add_co_i32 s8, s9, s18
	s_wait_alu 0xfffe
	s_add_nc_u64 s[74:75], s[74:75], s[52:53]
	s_add_co_i32 s52, s6, s15
	v_dual_mov_b32 v2, s76 :: v_dual_add_nc_u32 v27, s81, v27
	s_wait_alu 0xfffe
	s_add_nc_u64 s[72:73], s[72:73], s[52:53]
	s_add_co_i32 s52, s8, s19
	s_wait_alu 0xfffe
	v_mov_b32_e32 v6, s72
	s_add_nc_u64 s[70:71], s[70:71], s[52:53]
	v_dual_mov_b32 v4, s74 :: v_dual_mov_b32 v7, s73
	s_wait_alu 0xfffe
	v_dual_mov_b32 v8, s70 :: v_dual_mov_b32 v3, s77
	v_mov_b32_e32 v5, s75
	v_mov_b32_e32 v9, s71
	s_or_b32 s99, vcc_lo, s99
	s_delay_alu instid0(SALU_CYCLE_1)
	s_and_not1_b32 exec_lo, exec_lo, s99
	s_cbranch_execnz .LBB127_98
; %bb.99:                               ;   in Loop: Header=BB127_45 Depth=1
	s_or_b32 exec_lo, exec_lo, s99
.LBB127_100:                            ;   in Loop: Header=BB127_45 Depth=1
	s_delay_alu instid0(SALU_CYCLE_1)
	s_or_b32 exec_lo, exec_lo, s80
	v_add_co_u32 v31, vcc_lo, v31, v0
	s_wait_alu 0xfffd
	v_add_co_ci_u32_e64 v32, null, 0, v32, vcc_lo
	s_and_b32 s52, s68, 0x7fffffff
	s_mov_b32 s9, exec_lo
	s_wait_alu 0xfffe
	v_cmpx_gt_u64_e64 s[52:53], v[31:32]
	s_cbranch_execz .LBB127_104
; %bb.101:                              ;   in Loop: Header=BB127_45 Depth=1
	s_mul_i32 s79, s79, s78
	s_mov_b32 s10, 0
	s_wait_alu 0xfffe
	v_lshl_add_u32 v27, s79, 4, v12
.LBB127_102:                            ;   Parent Loop BB127_45 Depth=1
                                        ; =>  This Inner Loop Header: Depth=2
	ds_load_b32 v33, v27
	v_add_co_u32 v31, vcc_lo, v31, v14
	s_wait_alu 0xfffd
	v_add_co_ci_u32_e64 v32, null, 0, v32, vcc_lo
	v_add_nc_u32_e32 v27, s69, v27
	s_delay_alu instid0(VALU_DEP_2) | instskip(SKIP_3) | instid1(VALU_DEP_1)
	v_cmp_le_u64_e32 vcc_lo, s[52:53], v[31:32]
	s_wait_dscnt 0x0
	v_cmp_lt_i32_e64 s4, -1, v33
	s_wait_alu 0xf1ff
	v_cndmask_b32_e64 v34, -1, 0x80000000, s4
	v_cmp_o_f32_e64 s4, v33, v33
	s_delay_alu instid0(VALU_DEP_2) | instskip(SKIP_1) | instid1(VALU_DEP_1)
	v_xor_b32_e32 v34, v34, v33
	s_wait_alu 0xf1ff
	v_cndmask_b32_e64 v33, -1, v34, s4
	s_delay_alu instid0(VALU_DEP_1) | instskip(SKIP_1) | instid1(VALU_DEP_2)
	v_and_b32_e32 v34, v33, v50
	v_bfe_u32 v33, v33, s89, 2
	v_cmp_eq_u32_e64 s4, v34, v45
	s_delay_alu instid0(VALU_DEP_2)
	v_cmp_eq_u32_e64 s5, 0, v33
	v_cmp_eq_u32_e64 s6, 1, v33
	;; [unrolled: 1-line block ×4, first 2 shown]
	s_and_b32 s5, s4, s5
	s_wait_alu 0xfffe
	v_cndmask_b32_e64 v33, 0, 1, s5
	s_and_b32 s5, s4, s6
	s_wait_alu 0xfffe
	v_cndmask_b32_e64 v34, 0, 1, s5
	s_and_b32 s5, s4, s7
	s_and_b32 s4, s4, s8
	s_wait_alu 0xfffe
	v_cndmask_b32_e64 v35, 0, 1, s5
	v_cndmask_b32_e64 v36, 0, 1, s4
	v_cmp_ne_u32_e64 s4, 0, v33
	v_cmp_ne_u32_e64 s5, 0, v34
	s_delay_alu instid0(VALU_DEP_4) | instskip(NEXT) | instid1(VALU_DEP_4)
	v_cmp_ne_u32_e64 s6, 0, v35
	v_cmp_ne_u32_e64 s7, 0, v36
	s_bcnt1_i32_b32 s4, s4
	s_bcnt1_i32_b32 s5, s5
	s_wait_alu 0xfffe
	v_add_co_u32 v2, s4, v2, s4
	s_bcnt1_i32_b32 s6, s6
	v_add_co_ci_u32_e64 v3, null, 0, v3, s4
	v_add_co_u32 v4, s4, v4, s5
	s_bcnt1_i32_b32 s7, s7
	v_add_co_ci_u32_e64 v5, null, 0, v5, s4
	s_wait_alu 0xfffe
	v_add_co_u32 v6, s4, v6, s6
	s_wait_alu 0xf1ff
	v_add_co_ci_u32_e64 v7, null, 0, v7, s4
	v_add_co_u32 v8, s4, v8, s7
	s_wait_alu 0xf1ff
	v_add_co_ci_u32_e64 v9, null, 0, v9, s4
	s_or_b32 s10, vcc_lo, s10
	s_wait_alu 0xfffe
	s_and_not1_b32 exec_lo, exec_lo, s10
	s_cbranch_execnz .LBB127_102
; %bb.103:                              ;   in Loop: Header=BB127_45 Depth=1
	s_or_b32 exec_lo, exec_lo, s10
.LBB127_104:                            ;   in Loop: Header=BB127_45 Depth=1
	s_wait_alu 0xfffe
	s_or_b32 exec_lo, exec_lo, s9
	s_lshl_b32 s4, s92, 7
	s_and_saveexec_b32 s5, s1
	s_cbranch_execnz .LBB127_75
	s_branch .LBB127_76
.LBB127_105:                            ;   in Loop: Header=BB127_45 Depth=1
                                        ; implicit-def: $sgpr4_sgpr5
	s_branch .LBB127_84
.LBB127_106:                            ;   in Loop: Header=BB127_45 Depth=1
	s_mov_b32 s6, 0
	s_and_not1_b32 vcc_lo, exec_lo, s87
	s_wait_alu 0xfffe
	s_cbranch_vccnz .LBB127_109
.LBB127_107:                            ;   in Loop: Header=BB127_45 Depth=1
	s_lshl_b32 s7, s92, 10
	s_lshl_b32 s6, s6, 5
	s_wait_alu 0xfffe
	v_add3_u32 v4, s7, s6, v47
	s_mov_b32 s6, s84
.LBB127_108:                            ;   Parent Loop BB127_45 Depth=1
                                        ; =>  This Inner Loop Header: Depth=2
	ds_load_b64 v[5:6], v4
	v_add_nc_u32_e32 v4, 32, v4
	s_wait_alu 0xfffe
	s_add_co_i32 s6, s6, -1
	s_wait_alu 0xfffe
	s_cmp_lg_u32 s6, 0
	s_wait_dscnt 0x0
	v_add_co_u32 v2, vcc_lo, v5, v2
	s_wait_alu 0xfffd
	v_add_co_ci_u32_e64 v3, null, v6, v3, vcc_lo
	s_cbranch_scc1 .LBB127_108
.LBB127_109:                            ;   in Loop: Header=BB127_45 Depth=1
	v_add_lshl_u32 v4, s4, v41, 3
	ds_store_b64 v4, v[2:3] offset:3072
.LBB127_110:                            ;   in Loop: Header=BB127_45 Depth=1
	s_wait_alu 0xfffe
	s_or_b32 exec_lo, exec_lo, s5
	s_lshl_b32 s4, s4, 3
	s_wait_loadcnt_dscnt 0x0
	s_wait_alu 0xfffe
	v_mov_b32_e32 v6, s4
	s_barrier_signal -1
	s_barrier_wait -1
	global_inv scope:SCOPE_SE
	v_cmp_eq_u64_e32 vcc_lo, 1, v[29:30]
	ds_load_b128 v[2:5], v6 offset:3072
	ds_load_b128 v[6:9], v6 offset:3088
	s_lshl_b32 s14, 3, s89
	s_mov_b32 s16, -1
	s_wait_alu 0xfffe
	s_not_b32 s18, s14
                                        ; implicit-def: $sgpr20
                                        ; implicit-def: $sgpr19
	s_wait_dscnt 0x1
	v_cmp_eq_u64_e64 s4, 1, v[2:3]
	s_wait_dscnt 0x0
	v_readfirstlane_b32 s8, v6
	v_readfirstlane_b32 s9, v7
	;; [unrolled: 1-line block ×4, first 2 shown]
	s_and_b32 s17, s4, vcc_lo
	s_mov_b32 s4, -1
	s_wait_alu 0xfffe
	s_and_saveexec_b32 s15, s17
	s_cbranch_execz .LBB127_144
; %bb.111:                              ;   in Loop: Header=BB127_45 Depth=1
	ds_load_b64 v[6:7], v15 offset:5120
	s_wait_loadcnt_dscnt 0x0
	s_barrier_signal -1
	s_barrier_wait -1
	global_inv scope:SCOPE_SE
	v_readfirstlane_b32 s4, v6
	v_readfirstlane_b32 s5, v7
	s_and_saveexec_b32 s10, s0
; %bb.112:                              ;   in Loop: Header=BB127_45 Depth=1
	ds_store_b32 v42, v15
; %bb.113:                              ;   in Loop: Header=BB127_45 Depth=1
	s_wait_alu 0xfffe
	s_or_b32 exec_lo, exec_lo, s10
	v_and_b32_e32 v45, s18, v45
	v_or_b32_e32 v50, s14, v50
	s_mov_b32 s19, -1
	s_mov_b32 s20, 0
	s_cmp_eq_u64 s[4:5], 0
	s_mov_b32 s12, 0
	s_mov_b32 s13, -1
	s_wait_loadcnt_dscnt 0x0
	s_barrier_signal -1
	s_barrier_wait -1
	global_inv scope:SCOPE_SE
                                        ; implicit-def: $vgpr28
	s_cbranch_scc1 .LBB127_128
; %bb.114:                              ;   in Loop: Header=BB127_45 Depth=1
	s_add_nc_u64 s[10:11], s[4:5], s[56:57]
	s_mov_b32 s12, s53
	s_wait_alu 0xfffe
	s_mov_b32 s13, s11
	s_wait_alu 0xfffe
	s_cmp_lg_u64 s[12:13], 0
	s_cbranch_scc0 .LBB127_171
; %bb.115:                              ;   in Loop: Header=BB127_45 Depth=1
	s_cvt_f32_u32 s12, s46
	s_sub_nc_u64 s[22:23], 0, s[46:47]
	s_wait_alu 0xfffe
	s_delay_alu instid0(SALU_CYCLE_1) | instskip(SKIP_1) | instid1(SALU_CYCLE_2)
	s_fmamk_f32 s12, s91, 0x0, s12
	s_wait_alu 0xfffe
	v_s_rcp_f32 s12, s12
	s_delay_alu instid0(TRANS32_DEP_1) | instskip(SKIP_1) | instid1(SALU_CYCLE_2)
	s_mul_f32 s12, s12, 0x5f7ffffc
	s_wait_alu 0xfffe
	s_mul_f32 s13, s12, 0x2f800000
	s_wait_alu 0xfffe
	s_delay_alu instid0(SALU_CYCLE_2) | instskip(SKIP_1) | instid1(SALU_CYCLE_2)
	s_trunc_f32 s13, s13
	s_wait_alu 0xfffe
	s_fmamk_f32 s12, s13, 0xcf800000, s12
	s_cvt_u32_f32 s13, s13
	s_wait_alu 0xfffe
	s_delay_alu instid0(SALU_CYCLE_1) | instskip(SKIP_1) | instid1(SALU_CYCLE_2)
	s_cvt_u32_f32 s12, s12
	s_wait_alu 0xfffe
	s_mul_u64 s[68:69], s[22:23], s[12:13]
	s_wait_alu 0xfffe
	s_mul_hi_u32 s71, s12, s69
	s_mul_i32 s70, s12, s69
	s_mul_hi_u32 s52, s12, s68
	s_mul_i32 s72, s13, s68
	s_wait_alu 0xfffe
	s_add_nc_u64 s[70:71], s[52:53], s[70:71]
	s_mul_hi_u32 s21, s13, s68
	s_mul_hi_u32 s73, s13, s69
	s_wait_alu 0xfffe
	s_add_co_u32 s52, s70, s72
	s_add_co_ci_u32 s52, s71, s21
	s_mul_i32 s68, s13, s69
	s_add_co_ci_u32 s69, s73, 0
	s_wait_alu 0xfffe
	s_add_nc_u64 s[68:69], s[52:53], s[68:69]
	s_wait_alu 0xfffe
	s_add_co_u32 s12, s12, s68
	s_cselect_b32 s21, -1, 0
	s_delay_alu instid0(SALU_CYCLE_1) | instskip(SKIP_3) | instid1(SALU_CYCLE_1)
	s_cmp_lg_u32 s21, 0
	s_add_co_ci_u32 s13, s13, s69
	s_wait_alu 0xfffe
	s_mul_u64 s[22:23], s[22:23], s[12:13]
	s_mul_hi_u32 s69, s12, s23
	s_mul_i32 s68, s12, s23
	s_mul_hi_u32 s52, s12, s22
	s_mul_i32 s70, s13, s22
	s_wait_alu 0xfffe
	s_add_nc_u64 s[68:69], s[52:53], s[68:69]
	s_mul_hi_u32 s21, s13, s22
	s_mul_hi_u32 s71, s13, s23
	s_mul_i32 s22, s13, s23
	s_wait_alu 0xfffe
	s_add_co_u32 s23, s68, s70
	s_add_co_ci_u32 s52, s69, s21
	s_add_co_ci_u32 s23, s71, 0
	s_wait_alu 0xfffe
	s_add_nc_u64 s[22:23], s[52:53], s[22:23]
	s_delay_alu instid0(SALU_CYCLE_1)
	s_add_co_u32 s12, s12, s22
	s_cselect_b32 s21, -1, 0
	s_wait_alu 0xfffe
	s_mul_hi_u32 s52, s10, s12
	s_cmp_lg_u32 s21, 0
	s_mul_hi_u32 s21, s11, s12
	s_add_co_ci_u32 s22, s13, s23
	s_mul_i32 s23, s11, s12
	s_mul_hi_u32 s13, s10, s22
	s_mul_i32 s12, s10, s22
	s_mul_hi_u32 s68, s11, s22
	s_wait_alu 0xfffe
	s_add_nc_u64 s[12:13], s[52:53], s[12:13]
	s_mul_i32 s22, s11, s22
	s_wait_alu 0xfffe
	s_add_co_u32 s12, s12, s23
	s_add_co_ci_u32 s52, s13, s21
	s_add_co_ci_u32 s23, s68, 0
	s_wait_alu 0xfffe
	s_add_nc_u64 s[12:13], s[52:53], s[22:23]
	s_wait_alu 0xfffe
	s_mul_u64 s[12:13], s[46:47], s[12:13]
	s_wait_alu 0xfffe
	s_sub_co_u32 s12, s10, s12
	s_cselect_b32 s21, -1, 0
	s_delay_alu instid0(SALU_CYCLE_1) | instskip(SKIP_4) | instid1(SALU_CYCLE_1)
	s_cmp_lg_u32 s21, 0
	s_sub_co_ci_u32 s13, s11, s13
	s_wait_alu 0xfffe
	s_sub_co_u32 s21, s12, s46
	s_cselect_b32 s22, -1, 0
	s_cmp_lg_u32 s22, 0
	s_sub_co_ci_u32 s22, s13, 0
	s_sub_co_u32 s23, s21, s46
	s_cselect_b32 s52, -1, 0
	s_wait_alu 0xfffe
	s_cmp_lg_u32 s52, 0
	s_sub_co_ci_u32 s52, s22, 0
	s_cmp_ge_u32 s21, s46
	s_cselect_b32 s68, -1, 0
	s_cmp_eq_u32 s22, 0
	s_wait_alu 0xfffe
	s_cselect_b32 s68, s68, -1
	s_wait_alu 0xfffe
	s_cmp_lg_u32 s68, 0
	s_cselect_b32 s22, s52, s22
	s_cselect_b32 s21, s23, s21
	s_cmp_ge_u32 s12, s46
	s_cselect_b32 s23, -1, 0
	s_cmp_eq_u32 s13, 0
	s_cselect_b32 s23, s23, -1
	s_delay_alu instid0(SALU_CYCLE_1)
	s_cmp_lg_u32 s23, 0
	s_cselect_b32 s13, s22, s13
	s_cselect_b32 s12, s21, s12
	s_cbranch_execnz .LBB127_117
.LBB127_116:                            ;   in Loop: Header=BB127_45 Depth=1
	v_cvt_f32_u32_e32 v6, s46
	s_sub_co_i32 s13, 0, s46
	s_delay_alu instid0(VALU_DEP_1) | instskip(NEXT) | instid1(TRANS32_DEP_1)
	v_rcp_iflag_f32_e32 v6, v6
	v_mul_f32_e32 v6, 0x4f7ffffe, v6
	s_delay_alu instid0(VALU_DEP_1) | instskip(NEXT) | instid1(VALU_DEP_1)
	v_cvt_u32_f32_e32 v6, v6
	v_readfirstlane_b32 s12, v6
	s_wait_alu 0xfffe
	s_mul_i32 s13, s13, s12
	s_wait_alu 0xfffe
	s_mul_hi_u32 s13, s12, s13
	s_wait_alu 0xfffe
	s_add_co_i32 s12, s12, s13
	s_wait_alu 0xfffe
	s_mul_hi_u32 s12, s10, s12
	s_wait_alu 0xfffe
	s_mul_i32 s12, s12, s46
	s_wait_alu 0xfffe
	s_sub_co_i32 s12, s10, s12
	s_wait_alu 0xfffe
	s_sub_co_i32 s13, s12, s46
	s_cmp_ge_u32 s12, s46
	s_wait_alu 0xfffe
	s_cselect_b32 s12, s13, s12
	s_wait_alu 0xfffe
	s_sub_co_i32 s13, s12, s46
	s_cmp_ge_u32 s12, s46
	s_wait_alu 0xfffe
	s_cselect_b32 s52, s13, s12
	s_wait_alu 0xfffe
	s_mov_b64 s[12:13], s[52:53]
.LBB127_117:                            ;   in Loop: Header=BB127_45 Depth=1
	s_wait_alu 0xfffe
	s_sub_nc_u64 s[10:11], s[10:11], s[12:13]
	s_mov_b32 s13, 0
	s_mov_b32 s12, 0
	s_mov_b32 s21, exec_lo
                                        ; implicit-def: $vgpr28
	s_wait_alu 0xfffe
	v_cmpx_gt_u64_e64 s[10:11], v[0:1]
	s_cbranch_execz .LBB127_127
; %bb.118:                              ;   in Loop: Header=BB127_45 Depth=1
	v_dual_mov_b32 v8, v12 :: v_dual_mov_b32 v7, v1
	v_mov_b32_e32 v6, v0
                                        ; implicit-def: $sgpr22
	s_branch .LBB127_122
.LBB127_119:                            ;   in Loop: Header=BB127_122 Depth=2
	s_or_b32 exec_lo, exec_lo, s23
	s_wait_loadcnt_dscnt 0x0
	s_barrier_signal -1
	s_barrier_wait -1
	global_inv scope:SCOPE_SE
	ds_load_b64 v[27:28], v15 offset:3072
	s_wait_loadcnt_dscnt 0x0
	s_barrier_signal -1
	s_barrier_wait -1
	global_inv scope:SCOPE_SE
	v_cmp_neq_f32_e32 vcc_lo, 0, v27
	s_cbranch_vccnz .LBB127_125
; %bb.120:                              ;   in Loop: Header=BB127_122 Depth=2
	v_add_co_u32 v6, vcc_lo, v6, s46
	s_wait_alu 0xfffd
	v_add_co_ci_u32_e64 v7, null, 0, v7, vcc_lo
	v_add_nc_u32_e32 v8, s88, v8
	s_mov_b32 s23, 0
	s_delay_alu instid0(VALU_DEP_2)
	v_cmp_le_u64_e32 vcc_lo, s[10:11], v[6:7]
	s_or_not1_b32 s52, vcc_lo, exec_lo
.LBB127_121:                            ;   in Loop: Header=BB127_122 Depth=2
	s_wait_alu 0xfffe
	s_and_b32 s52, exec_lo, s52
	s_wait_alu 0xfffe
	s_or_b32 s12, s52, s12
	s_and_not1_b32 s22, s22, exec_lo
	s_and_b32 s23, s23, exec_lo
	s_delay_alu instid0(SALU_CYCLE_1)
	s_or_b32 s22, s22, s23
	s_wait_alu 0xfffe
	s_and_not1_b32 exec_lo, exec_lo, s12
	s_cbranch_execz .LBB127_126
.LBB127_122:                            ;   Parent Loop BB127_45 Depth=1
                                        ; =>  This Inner Loop Header: Depth=2
	s_mov_b32 s23, exec_lo
	s_delay_alu instid0(VALU_DEP_1)
	v_cmpx_gt_u64_e64 s[4:5], v[6:7]
	s_cbranch_execz .LBB127_119
; %bb.123:                              ;   in Loop: Header=BB127_122 Depth=2
	ds_load_b32 v27, v8
	s_wait_dscnt 0x0
	v_cmp_lt_i32_e32 vcc_lo, -1, v27
	s_wait_alu 0xfffd
	v_cndmask_b32_e64 v9, -1, 0x80000000, vcc_lo
	v_cmp_o_f32_e32 vcc_lo, v27, v27
	s_delay_alu instid0(VALU_DEP_2) | instskip(SKIP_1) | instid1(VALU_DEP_1)
	v_xor_b32_e32 v9, v9, v27
	s_wait_alu 0xfffd
	v_cndmask_b32_e32 v9, -1, v9, vcc_lo
	s_delay_alu instid0(VALU_DEP_1) | instskip(NEXT) | instid1(VALU_DEP_1)
	v_and_b32_e32 v9, v9, v50
	v_cmp_eq_u32_e32 vcc_lo, v9, v45
	s_and_b32 exec_lo, exec_lo, vcc_lo
	s_cbranch_execz .LBB127_119
; %bb.124:                              ;   in Loop: Header=BB127_122 Depth=2
	ds_store_b64 v15, v[26:27] offset:3072
	s_branch .LBB127_119
.LBB127_125:                            ;   in Loop: Header=BB127_122 Depth=2
	s_mov_b32 s52, -1
	s_mov_b32 s23, -1
                                        ; implicit-def: $vgpr6_vgpr7
                                        ; implicit-def: $vgpr8
	s_branch .LBB127_121
.LBB127_126:                            ;   in Loop: Header=BB127_45 Depth=1
	s_or_b32 exec_lo, exec_lo, s12
	s_delay_alu instid0(SALU_CYCLE_1)
	s_and_b32 s12, s22, exec_lo
.LBB127_127:                            ;   in Loop: Header=BB127_45 Depth=1
	s_or_b32 exec_lo, exec_lo, s21
.LBB127_128:                            ;   in Loop: Header=BB127_45 Depth=1
	s_wait_alu 0xfffe
	s_and_b32 vcc_lo, exec_lo, s13
	s_wait_alu 0xfffe
	s_cbranch_vccz .LBB127_143
; %bb.129:                              ;   in Loop: Header=BB127_45 Depth=1
	s_mov_b32 s4, s53
	s_mov_b32 s5, s59
	s_wait_alu 0xfffe
	s_cmp_lg_u64 s[4:5], 0
	s_cbranch_scc0 .LBB127_175
; %bb.130:                              ;   in Loop: Header=BB127_45 Depth=1
	s_cvt_f32_u32 s4, s46
	s_sub_nc_u64 s[10:11], 0, s[46:47]
	s_wait_alu 0xfffe
	s_delay_alu instid0(SALU_CYCLE_1) | instskip(SKIP_1) | instid1(SALU_CYCLE_2)
	s_fmamk_f32 s4, s91, 0x0, s4
	s_wait_alu 0xfffe
	v_s_rcp_f32 s4, s4
	s_delay_alu instid0(TRANS32_DEP_1) | instskip(SKIP_1) | instid1(SALU_CYCLE_2)
	s_mul_f32 s4, s4, 0x5f7ffffc
	s_wait_alu 0xfffe
	s_mul_f32 s5, s4, 0x2f800000
	s_wait_alu 0xfffe
	s_delay_alu instid0(SALU_CYCLE_2) | instskip(SKIP_1) | instid1(SALU_CYCLE_2)
	s_trunc_f32 s5, s5
	s_wait_alu 0xfffe
	s_fmamk_f32 s4, s5, 0xcf800000, s4
	s_cvt_u32_f32 s5, s5
	s_wait_alu 0xfffe
	s_delay_alu instid0(SALU_CYCLE_1) | instskip(SKIP_1) | instid1(SALU_CYCLE_2)
	s_cvt_u32_f32 s4, s4
	s_wait_alu 0xfffe
	s_mul_u64 s[20:21], s[10:11], s[4:5]
	s_delay_alu instid0(SALU_CYCLE_1)
	s_mul_hi_u32 s23, s4, s21
	s_mul_i32 s22, s4, s21
	s_mul_hi_u32 s52, s4, s20
	s_mul_i32 s19, s5, s20
	s_wait_alu 0xfffe
	s_add_nc_u64 s[22:23], s[52:53], s[22:23]
	s_mul_hi_u32 s13, s5, s20
	s_mul_hi_u32 s68, s5, s21
	s_add_co_u32 s19, s22, s19
	s_wait_alu 0xfffe
	s_add_co_ci_u32 s52, s23, s13
	s_mul_i32 s20, s5, s21
	s_add_co_ci_u32 s21, s68, 0
	s_wait_alu 0xfffe
	s_add_nc_u64 s[20:21], s[52:53], s[20:21]
	s_delay_alu instid0(SALU_CYCLE_1)
	s_add_co_u32 s4, s4, s20
	s_cselect_b32 s13, -1, 0
	s_wait_alu 0xfffe
	s_cmp_lg_u32 s13, 0
	s_add_co_ci_u32 s5, s5, s21
	s_wait_alu 0xfffe
	s_mul_u64 s[10:11], s[10:11], s[4:5]
	s_wait_alu 0xfffe
	s_mul_hi_u32 s21, s4, s11
	s_mul_i32 s20, s4, s11
	s_mul_hi_u32 s52, s4, s10
	s_mul_i32 s19, s5, s10
	s_wait_alu 0xfffe
	s_add_nc_u64 s[20:21], s[52:53], s[20:21]
	s_mul_hi_u32 s13, s5, s10
	s_mul_hi_u32 s22, s5, s11
	s_mul_i32 s10, s5, s11
	s_add_co_u32 s11, s20, s19
	s_wait_alu 0xfffe
	s_add_co_ci_u32 s52, s21, s13
	s_add_co_ci_u32 s11, s22, 0
	s_wait_alu 0xfffe
	s_add_nc_u64 s[10:11], s[52:53], s[10:11]
	s_wait_alu 0xfffe
	s_add_co_u32 s4, s4, s10
	s_cselect_b32 s10, -1, 0
	s_wait_alu 0xfffe
	s_mul_hi_u32 s52, s58, s4
	s_cmp_lg_u32 s10, 0
	s_mul_hi_u32 s13, s59, s4
	s_add_co_ci_u32 s10, s5, s11
	s_mul_i32 s11, s59, s4
	s_wait_alu 0xfffe
	s_mul_hi_u32 s5, s58, s10
	s_mul_i32 s4, s58, s10
	s_mul_hi_u32 s19, s59, s10
	s_wait_alu 0xfffe
	s_add_nc_u64 s[4:5], s[52:53], s[4:5]
	s_mul_i32 s10, s59, s10
	s_wait_alu 0xfffe
	s_add_co_u32 s4, s4, s11
	s_add_co_ci_u32 s52, s5, s13
	s_add_co_ci_u32 s11, s19, 0
	s_wait_alu 0xfffe
	s_add_nc_u64 s[4:5], s[52:53], s[10:11]
	s_wait_alu 0xfffe
	s_mul_u64 s[4:5], s[46:47], s[4:5]
	s_wait_alu 0xfffe
	s_sub_co_u32 s4, s58, s4
	s_cselect_b32 s10, -1, 0
	s_wait_alu 0xfffe
	s_cmp_lg_u32 s10, 0
	s_sub_co_ci_u32 s5, s59, s5
	s_sub_co_u32 s10, s4, s46
	s_cselect_b32 s11, -1, 0
	s_wait_alu 0xfffe
	s_cmp_lg_u32 s11, 0
	s_sub_co_ci_u32 s11, s5, 0
	;; [unrolled: 5-line block ×3, first 2 shown]
	s_cmp_ge_u32 s10, s46
	s_cselect_b32 s20, -1, 0
	s_cmp_eq_u32 s11, 0
	s_cselect_b32 s20, s20, -1
	s_delay_alu instid0(SALU_CYCLE_1)
	s_cmp_lg_u32 s20, 0
	s_wait_alu 0xfffe
	s_cselect_b32 s11, s19, s11
	s_cselect_b32 s10, s13, s10
	s_cmp_ge_u32 s4, s46
	s_cselect_b32 s13, -1, 0
	s_cmp_eq_u32 s5, 0
	s_wait_alu 0xfffe
	s_cselect_b32 s13, s13, -1
	s_wait_alu 0xfffe
	s_cmp_lg_u32 s13, 0
	s_cselect_b32 s5, s11, s5
	s_cselect_b32 s4, s10, s4
	s_cbranch_execnz .LBB127_132
.LBB127_131:                            ;   in Loop: Header=BB127_45 Depth=1
	v_cvt_f32_u32_e32 v6, s46
	s_sub_co_i32 s5, 0, s46
	s_delay_alu instid0(VALU_DEP_1) | instskip(NEXT) | instid1(TRANS32_DEP_1)
	v_rcp_iflag_f32_e32 v6, v6
	v_mul_f32_e32 v6, 0x4f7ffffe, v6
	s_delay_alu instid0(VALU_DEP_1) | instskip(NEXT) | instid1(VALU_DEP_1)
	v_cvt_u32_f32_e32 v6, v6
	v_readfirstlane_b32 s4, v6
	s_wait_alu 0xfffe
	s_mul_i32 s5, s5, s4
	s_wait_alu 0xfffe
	s_mul_hi_u32 s5, s4, s5
	s_wait_alu 0xfffe
	s_add_co_i32 s4, s4, s5
	s_wait_alu 0xfffe
	s_mul_hi_u32 s4, s58, s4
	s_wait_alu 0xfffe
	s_mul_i32 s4, s4, s46
	s_wait_alu 0xfffe
	s_sub_co_i32 s4, s58, s4
	s_wait_alu 0xfffe
	s_sub_co_i32 s5, s4, s46
	s_cmp_ge_u32 s4, s46
	s_wait_alu 0xfffe
	s_cselect_b32 s4, s5, s4
	s_wait_alu 0xfffe
	s_sub_co_i32 s5, s4, s46
	s_cmp_ge_u32 s4, s46
	s_wait_alu 0xfffe
	s_cselect_b32 s52, s5, s4
	s_wait_alu 0xfffe
	s_mov_b64 s[4:5], s[52:53]
.LBB127_132:                            ;   in Loop: Header=BB127_45 Depth=1
	s_wait_alu 0xfffe
	s_sub_nc_u64 s[10:11], s[58:59], s[4:5]
	s_mov_b32 s5, exec_lo
                                        ; implicit-def: $vgpr28
	s_wait_alu 0xfffe
	v_cmpx_gt_u64_e64 s[10:11], v[0:1]
	s_cbranch_execz .LBB127_142
; %bb.133:                              ;   in Loop: Header=BB127_45 Depth=1
	v_dual_mov_b32 v6, v10 :: v_dual_mov_b32 v7, v11
	v_dual_mov_b32 v9, v1 :: v_dual_mov_b32 v8, v0
	s_mov_b32 s13, 0
                                        ; implicit-def: $sgpr19
	s_branch .LBB127_137
.LBB127_134:                            ;   in Loop: Header=BB127_137 Depth=2
	s_wait_alu 0xfffe
	s_or_b32 exec_lo, exec_lo, s4
	s_wait_loadcnt_dscnt 0x0
	s_barrier_signal -1
	s_barrier_wait -1
	global_inv scope:SCOPE_SE
	ds_load_b64 v[27:28], v15 offset:3072
	s_wait_loadcnt_dscnt 0x0
	s_barrier_signal -1
	s_barrier_wait -1
	global_inv scope:SCOPE_SE
	v_cmp_neq_f32_e32 vcc_lo, 0, v27
	s_cbranch_vccnz .LBB127_140
; %bb.135:                              ;   in Loop: Header=BB127_137 Depth=2
	v_add_co_u32 v8, vcc_lo, v8, s46
	s_wait_alu 0xfffd
	v_add_co_ci_u32_e64 v9, null, 0, v9, vcc_lo
	v_add_co_u32 v6, s4, v6, s50
	s_wait_alu 0xf1ff
	v_add_co_ci_u32_e64 v7, null, s51, v7, s4
	s_delay_alu instid0(VALU_DEP_3)
	v_cmp_le_u64_e32 vcc_lo, s[10:11], v[8:9]
	s_mov_b32 s4, 0
	s_or_not1_b32 s20, vcc_lo, exec_lo
.LBB127_136:                            ;   in Loop: Header=BB127_137 Depth=2
	s_delay_alu instid0(SALU_CYCLE_1) | instskip(NEXT) | instid1(SALU_CYCLE_1)
	s_and_b32 s20, exec_lo, s20
	s_or_b32 s13, s20, s13
	s_and_not1_b32 s19, s19, exec_lo
	s_wait_alu 0xfffe
	s_and_b32 s4, s4, exec_lo
	s_wait_alu 0xfffe
	s_or_b32 s19, s19, s4
	s_and_not1_b32 exec_lo, exec_lo, s13
	s_cbranch_execz .LBB127_141
.LBB127_137:                            ;   Parent Loop BB127_45 Depth=1
                                        ; =>  This Inner Loop Header: Depth=2
	s_mov_b32 s4, exec_lo
	s_delay_alu instid0(VALU_DEP_1)
	v_cmpx_gt_u64_e64 s[24:25], v[8:9]
	s_cbranch_execz .LBB127_134
; %bb.138:                              ;   in Loop: Header=BB127_137 Depth=2
	global_load_b32 v27, v[6:7], off
	s_wait_loadcnt 0x0
	v_cmp_lt_i32_e32 vcc_lo, -1, v27
	s_wait_alu 0xfffd
	v_cndmask_b32_e64 v14, -1, 0x80000000, vcc_lo
	v_cmp_o_f32_e32 vcc_lo, v27, v27
	s_delay_alu instid0(VALU_DEP_2) | instskip(SKIP_1) | instid1(VALU_DEP_1)
	v_xor_b32_e32 v14, v14, v27
	s_wait_alu 0xfffd
	v_cndmask_b32_e32 v14, -1, v14, vcc_lo
	s_delay_alu instid0(VALU_DEP_1) | instskip(NEXT) | instid1(VALU_DEP_1)
	v_and_b32_e32 v14, v14, v50
	v_cmp_eq_u32_e32 vcc_lo, v14, v45
	s_and_b32 exec_lo, exec_lo, vcc_lo
	s_cbranch_execz .LBB127_134
; %bb.139:                              ;   in Loop: Header=BB127_137 Depth=2
	ds_store_b64 v15, v[26:27] offset:3072
	s_branch .LBB127_134
.LBB127_140:                            ;   in Loop: Header=BB127_137 Depth=2
	s_mov_b32 s20, -1
	s_mov_b32 s4, -1
                                        ; implicit-def: $vgpr8_vgpr9
                                        ; implicit-def: $vgpr6_vgpr7
	s_branch .LBB127_136
.LBB127_141:                            ;   in Loop: Header=BB127_45 Depth=1
	s_or_b32 exec_lo, exec_lo, s13
	s_delay_alu instid0(SALU_CYCLE_1)
	s_and_not1_b32 s4, s12, exec_lo
	s_wait_alu 0xfffe
	s_and_b32 s10, s19, exec_lo
	s_wait_alu 0xfffe
	s_or_b32 s12, s4, s10
.LBB127_142:                            ;   in Loop: Header=BB127_45 Depth=1
	s_or_b32 exec_lo, exec_lo, s5
	s_mov_b32 s19, 0
	s_mov_b32 s20, -1
.LBB127_143:                            ;   in Loop: Header=BB127_45 Depth=1
	s_wait_alu 0xfffe
	s_or_not1_b32 s4, s12, exec_lo
.LBB127_144:                            ;   in Loop: Header=BB127_45 Depth=1
	s_wait_alu 0xfffe
	s_or_b32 exec_lo, exec_lo, s15
	s_delay_alu instid0(SALU_CYCLE_1)
	s_and_not1_b32 s5, s97, exec_lo
	s_and_b32 s10, s20, exec_lo
	s_and_not1_b32 s11, s95, exec_lo
	s_and_b32 s12, s19, exec_lo
	s_and_not1_b32 s94, s94, exec_lo
	s_wait_alu 0xfffe
	s_or_b32 s97, s5, s10
	s_or_b32 s95, s11, s12
                                        ; implicit-def: $vgpr6_vgpr7
	s_and_saveexec_b32 s15, s4
	s_cbranch_execz .LBB127_44
; %bb.145:                              ;   in Loop: Header=BB127_45 Depth=1
	v_mov_b32_e32 v6, 1
	v_dual_mov_b32 v7, 0 :: v_dual_mov_b32 v14, 1
	s_xor_b32 s10, s17, -1
	s_mov_b32 s5, 0
	s_wait_alu 0xfffe
	s_and_saveexec_b32 s4, s10
	s_cbranch_execz .LBB127_154
; %bb.146:                              ;   in Loop: Header=BB127_45 Depth=1
	s_mov_b32 s5, exec_lo
	v_cmpx_le_u64_e64 v[29:30], v[2:3]
	s_wait_alu 0xfffe
	s_xor_b32 s5, exec_lo, s5
	s_cbranch_execz .LBB127_151
; %bb.147:                              ;   in Loop: Header=BB127_45 Depth=1
	ds_load_b64 v[6:7], v15 offset:5120
	v_and_b32_e32 v45, s18, v45
	v_or_b32_e32 v50, s14, v50
	s_wait_dscnt 0x0
	v_cmp_ne_u64_e32 vcc_lo, 0, v[6:7]
	s_cbranch_vccnz .LBB127_151
; %bb.148:                              ;   in Loop: Header=BB127_45 Depth=1
	s_and_saveexec_b32 s10, s3
; %bb.149:                              ;   in Loop: Header=BB127_45 Depth=1
	ds_store_b64 v15, v[2:3] offset:5128
; %bb.150:                              ;   in Loop: Header=BB127_45 Depth=1
	s_wait_alu 0xfffe
	s_or_b32 exec_lo, exec_lo, s10
	s_wait_loadcnt_dscnt 0x0
	s_barrier_signal -1
	s_barrier_wait -1
	global_inv scope:SCOPE_SE
.LBB127_151:                            ;   in Loop: Header=BB127_45 Depth=1
	s_wait_alu 0xfffe
	s_or_saveexec_b32 s5, s5
	v_mov_b32_e32 v14, 8
	s_mov_b32 s10, 0
	s_wait_alu 0xfffe
	s_xor_b32 exec_lo, exec_lo, s5
; %bb.152:                              ;   in Loop: Header=BB127_45 Depth=1
	v_sub_co_u32 v29, vcc_lo, v29, v2
	s_wait_alu 0xfffd
	v_sub_co_ci_u32_e64 v30, null, v30, v3, vcc_lo
	v_mov_b32_e32 v14, 0
	s_mov_b32 s10, exec_lo
; %bb.153:                              ;   in Loop: Header=BB127_45 Depth=1
	s_or_b32 exec_lo, exec_lo, s5
	s_delay_alu instid0(VALU_DEP_2)
	v_dual_mov_b32 v6, v29 :: v_dual_mov_b32 v7, v30
	s_wait_alu 0xfffe
	s_and_b32 s5, s10, exec_lo
.LBB127_154:                            ;   in Loop: Header=BB127_45 Depth=1
	s_wait_alu 0xfffe
	s_or_b32 exec_lo, exec_lo, s4
	s_mov_b32 s16, -1
	s_mov_b32 s4, -1
                                        ; implicit-def: $sgpr19
                                        ; implicit-def: $sgpr20
	s_and_saveexec_b32 s10, s5
	s_wait_alu 0xfffe
	s_xor_b32 s17, exec_lo, s10
	s_cbranch_execz .LBB127_305
; %bb.155:                              ;   in Loop: Header=BB127_45 Depth=1
	v_cmp_eq_u64_e32 vcc_lo, 1, v[4:5]
	v_cmp_eq_u64_e64 s4, 1, v[6:7]
                                        ; implicit-def: $sgpr20
                                        ; implicit-def: $sgpr19
	s_and_b32 s22, vcc_lo, s4
	s_mov_b32 s4, -1
	s_and_saveexec_b32 s21, s22
	s_cbranch_execz .LBB127_194
; %bb.156:                              ;   in Loop: Header=BB127_45 Depth=1
	ds_load_b64 v[2:3], v15 offset:5120
	s_wait_loadcnt_dscnt 0x0
	s_barrier_signal -1
	s_barrier_wait -1
	global_inv scope:SCOPE_SE
	v_readfirstlane_b32 s4, v2
	v_readfirstlane_b32 s5, v3
	s_and_saveexec_b32 s10, s0
; %bb.157:                              ;   in Loop: Header=BB127_45 Depth=1
	ds_store_b32 v42, v15
; %bb.158:                              ;   in Loop: Header=BB127_45 Depth=1
	s_wait_alu 0xfffe
	s_or_b32 exec_lo, exec_lo, s10
	s_lshl_b32 s10, 1, s89
	v_or_b32_e32 v50, s14, v50
	s_wait_alu 0xfffe
	v_and_or_b32 v45, v45, s18, s10
	s_mov_b32 s19, -1
	s_mov_b32 s20, 0
	s_cmp_eq_u64 s[4:5], 0
	s_mov_b32 s12, 0
	s_mov_b32 s13, -1
	s_wait_loadcnt_dscnt 0x0
	s_barrier_signal -1
	s_barrier_wait -1
	global_inv scope:SCOPE_SE
                                        ; implicit-def: $vgpr28
	s_cbranch_scc1 .LBB127_178
; %bb.159:                              ;   in Loop: Header=BB127_45 Depth=1
	s_add_nc_u64 s[10:11], s[4:5], s[56:57]
	s_mov_b32 s12, s53
	s_wait_alu 0xfffe
	s_mov_b32 s13, s11
	s_wait_alu 0xfffe
	s_cmp_lg_u64 s[12:13], 0
	s_cbranch_scc0 .LBB127_222
; %bb.160:                              ;   in Loop: Header=BB127_45 Depth=1
	s_cvt_f32_u32 s12, s46
	s_sub_nc_u64 s[68:69], 0, s[46:47]
	s_wait_alu 0xfffe
	s_delay_alu instid0(SALU_CYCLE_1) | instskip(SKIP_1) | instid1(SALU_CYCLE_2)
	s_fmamk_f32 s12, s91, 0x0, s12
	s_wait_alu 0xfffe
	v_s_rcp_f32 s12, s12
	s_delay_alu instid0(TRANS32_DEP_1) | instskip(SKIP_1) | instid1(SALU_CYCLE_2)
	s_mul_f32 s12, s12, 0x5f7ffffc
	s_wait_alu 0xfffe
	s_mul_f32 s13, s12, 0x2f800000
	s_wait_alu 0xfffe
	s_delay_alu instid0(SALU_CYCLE_2) | instskip(SKIP_1) | instid1(SALU_CYCLE_2)
	s_trunc_f32 s13, s13
	s_wait_alu 0xfffe
	s_fmamk_f32 s12, s13, 0xcf800000, s12
	s_cvt_u32_f32 s13, s13
	s_wait_alu 0xfffe
	s_delay_alu instid0(SALU_CYCLE_1) | instskip(SKIP_1) | instid1(SALU_CYCLE_2)
	s_cvt_u32_f32 s12, s12
	s_wait_alu 0xfffe
	s_mul_u64 s[70:71], s[68:69], s[12:13]
	s_wait_alu 0xfffe
	s_mul_hi_u32 s73, s12, s71
	s_mul_i32 s72, s12, s71
	s_mul_hi_u32 s52, s12, s70
	s_mul_i32 s74, s13, s70
	s_wait_alu 0xfffe
	s_add_nc_u64 s[72:73], s[52:53], s[72:73]
	s_mul_hi_u32 s23, s13, s70
	s_mul_hi_u32 s75, s13, s71
	s_wait_alu 0xfffe
	s_add_co_u32 s52, s72, s74
	s_add_co_ci_u32 s52, s73, s23
	s_mul_i32 s70, s13, s71
	s_add_co_ci_u32 s71, s75, 0
	s_wait_alu 0xfffe
	s_add_nc_u64 s[70:71], s[52:53], s[70:71]
	s_wait_alu 0xfffe
	s_add_co_u32 s12, s12, s70
	s_cselect_b32 s23, -1, 0
	s_delay_alu instid0(SALU_CYCLE_1)
	s_cmp_lg_u32 s23, 0
	s_add_co_ci_u32 s13, s13, s71
	s_wait_alu 0xfffe
	s_mul_u64 s[68:69], s[68:69], s[12:13]
	s_wait_alu 0xfffe
	s_mul_hi_u32 s71, s12, s69
	s_mul_i32 s70, s12, s69
	s_mul_hi_u32 s52, s12, s68
	s_mul_i32 s72, s13, s68
	s_wait_alu 0xfffe
	s_add_nc_u64 s[70:71], s[52:53], s[70:71]
	s_mul_hi_u32 s23, s13, s68
	s_mul_hi_u32 s73, s13, s69
	s_wait_alu 0xfffe
	s_add_co_u32 s52, s70, s72
	s_add_co_ci_u32 s52, s71, s23
	s_mul_i32 s68, s13, s69
	s_add_co_ci_u32 s69, s73, 0
	s_wait_alu 0xfffe
	s_add_nc_u64 s[68:69], s[52:53], s[68:69]
	s_wait_alu 0xfffe
	s_add_co_u32 s12, s12, s68
	s_cselect_b32 s23, -1, 0
	s_wait_alu 0xfffe
	s_mul_hi_u32 s52, s10, s12
	s_cmp_lg_u32 s23, 0
	s_mul_hi_u32 s23, s11, s12
	s_add_co_ci_u32 s68, s13, s69
	s_mul_i32 s69, s11, s12
	s_wait_alu 0xfffe
	s_mul_hi_u32 s13, s10, s68
	s_mul_i32 s12, s10, s68
	s_mul_hi_u32 s70, s11, s68
	s_wait_alu 0xfffe
	s_add_nc_u64 s[12:13], s[52:53], s[12:13]
	s_mul_i32 s68, s11, s68
	s_wait_alu 0xfffe
	s_add_co_u32 s12, s12, s69
	s_add_co_ci_u32 s52, s13, s23
	s_add_co_ci_u32 s69, s70, 0
	s_wait_alu 0xfffe
	s_add_nc_u64 s[12:13], s[52:53], s[68:69]
	s_wait_alu 0xfffe
	s_mul_u64 s[12:13], s[46:47], s[12:13]
	s_wait_alu 0xfffe
	s_sub_co_u32 s12, s10, s12
	s_cselect_b32 s23, -1, 0
	s_delay_alu instid0(SALU_CYCLE_1)
	s_cmp_lg_u32 s23, 0
	s_sub_co_ci_u32 s13, s11, s13
	s_wait_alu 0xfffe
	s_sub_co_u32 s23, s12, s46
	s_cselect_b32 s52, -1, 0
	s_wait_alu 0xfffe
	s_cmp_lg_u32 s52, 0
	s_sub_co_ci_u32 s52, s13, 0
	s_sub_co_u32 s68, s23, s46
	s_cselect_b32 s69, -1, 0
	s_wait_alu 0xfffe
	s_cmp_lg_u32 s69, 0
	s_sub_co_ci_u32 s69, s52, 0
	s_cmp_ge_u32 s23, s46
	s_cselect_b32 s70, -1, 0
	s_cmp_eq_u32 s52, 0
	s_wait_alu 0xfffe
	s_cselect_b32 s70, s70, -1
	s_wait_alu 0xfffe
	s_cmp_lg_u32 s70, 0
	s_cselect_b32 s52, s69, s52
	s_cselect_b32 s23, s68, s23
	s_cmp_ge_u32 s12, s46
	s_cselect_b32 s68, -1, 0
	s_cmp_eq_u32 s13, 0
	s_wait_alu 0xfffe
	s_cselect_b32 s68, s68, -1
	s_wait_alu 0xfffe
	s_cmp_lg_u32 s68, 0
	s_cselect_b32 s13, s52, s13
	s_cselect_b32 s12, s23, s12
	s_cbranch_execnz .LBB127_162
.LBB127_161:                            ;   in Loop: Header=BB127_45 Depth=1
	v_cvt_f32_u32_e32 v2, s46
	s_sub_co_i32 s13, 0, s46
	s_delay_alu instid0(VALU_DEP_1) | instskip(NEXT) | instid1(TRANS32_DEP_1)
	v_rcp_iflag_f32_e32 v2, v2
	v_mul_f32_e32 v2, 0x4f7ffffe, v2
	s_delay_alu instid0(VALU_DEP_1) | instskip(NEXT) | instid1(VALU_DEP_1)
	v_cvt_u32_f32_e32 v2, v2
	v_readfirstlane_b32 s12, v2
	s_wait_alu 0xfffe
	s_mul_i32 s13, s13, s12
	s_wait_alu 0xfffe
	s_mul_hi_u32 s13, s12, s13
	s_wait_alu 0xfffe
	s_add_co_i32 s12, s12, s13
	s_wait_alu 0xfffe
	s_mul_hi_u32 s12, s10, s12
	s_wait_alu 0xfffe
	s_mul_i32 s12, s12, s46
	s_wait_alu 0xfffe
	s_sub_co_i32 s12, s10, s12
	s_wait_alu 0xfffe
	s_sub_co_i32 s13, s12, s46
	s_cmp_ge_u32 s12, s46
	s_wait_alu 0xfffe
	s_cselect_b32 s12, s13, s12
	s_wait_alu 0xfffe
	s_sub_co_i32 s13, s12, s46
	s_cmp_ge_u32 s12, s46
	s_wait_alu 0xfffe
	s_cselect_b32 s52, s13, s12
	s_wait_alu 0xfffe
	s_mov_b64 s[12:13], s[52:53]
.LBB127_162:                            ;   in Loop: Header=BB127_45 Depth=1
	s_wait_alu 0xfffe
	s_sub_nc_u64 s[10:11], s[10:11], s[12:13]
	s_mov_b32 s13, 0
	s_mov_b32 s12, 0
	s_mov_b32 s23, exec_lo
                                        ; implicit-def: $vgpr28
	s_wait_alu 0xfffe
	v_cmpx_gt_u64_e64 s[10:11], v[0:1]
	s_cbranch_execz .LBB127_177
; %bb.163:                              ;   in Loop: Header=BB127_45 Depth=1
	v_dual_mov_b32 v8, v12 :: v_dual_mov_b32 v3, v1
	v_mov_b32_e32 v2, v0
                                        ; implicit-def: $sgpr52
	s_branch .LBB127_167
.LBB127_164:                            ;   in Loop: Header=BB127_167 Depth=2
	s_wait_alu 0xfffe
	s_or_b32 exec_lo, exec_lo, s68
	s_wait_loadcnt_dscnt 0x0
	s_barrier_signal -1
	s_barrier_wait -1
	global_inv scope:SCOPE_SE
	ds_load_b64 v[27:28], v15 offset:3072
	s_wait_loadcnt_dscnt 0x0
	s_barrier_signal -1
	s_barrier_wait -1
	global_inv scope:SCOPE_SE
	v_cmp_neq_f32_e32 vcc_lo, 0, v27
	s_cbranch_vccnz .LBB127_170
; %bb.165:                              ;   in Loop: Header=BB127_167 Depth=2
	v_add_co_u32 v2, vcc_lo, v2, s46
	s_wait_alu 0xfffd
	v_add_co_ci_u32_e64 v3, null, 0, v3, vcc_lo
	v_add_nc_u32_e32 v8, s88, v8
	s_mov_b32 s68, 0
	s_delay_alu instid0(VALU_DEP_2)
	v_cmp_le_u64_e32 vcc_lo, s[10:11], v[2:3]
	s_or_not1_b32 s69, vcc_lo, exec_lo
.LBB127_166:                            ;   in Loop: Header=BB127_167 Depth=2
	s_wait_alu 0xfffe
	s_and_b32 s69, exec_lo, s69
	s_wait_alu 0xfffe
	s_or_b32 s12, s69, s12
	s_and_not1_b32 s52, s52, exec_lo
	s_and_b32 s68, s68, exec_lo
	s_wait_alu 0xfffe
	s_or_b32 s52, s52, s68
	s_and_not1_b32 exec_lo, exec_lo, s12
	s_cbranch_execz .LBB127_176
.LBB127_167:                            ;   Parent Loop BB127_45 Depth=1
                                        ; =>  This Inner Loop Header: Depth=2
	s_mov_b32 s68, exec_lo
	s_delay_alu instid0(VALU_DEP_1)
	v_cmpx_gt_u64_e64 s[4:5], v[2:3]
	s_cbranch_execz .LBB127_164
; %bb.168:                              ;   in Loop: Header=BB127_167 Depth=2
	ds_load_b32 v27, v8
	s_wait_dscnt 0x0
	v_cmp_lt_i32_e32 vcc_lo, -1, v27
	s_wait_alu 0xfffd
	v_cndmask_b32_e64 v9, -1, 0x80000000, vcc_lo
	v_cmp_o_f32_e32 vcc_lo, v27, v27
	s_delay_alu instid0(VALU_DEP_2) | instskip(SKIP_1) | instid1(VALU_DEP_1)
	v_xor_b32_e32 v9, v9, v27
	s_wait_alu 0xfffd
	v_cndmask_b32_e32 v9, -1, v9, vcc_lo
	s_delay_alu instid0(VALU_DEP_1) | instskip(NEXT) | instid1(VALU_DEP_1)
	v_and_b32_e32 v9, v9, v50
	v_cmp_eq_u32_e32 vcc_lo, v9, v45
	s_and_b32 exec_lo, exec_lo, vcc_lo
	s_cbranch_execz .LBB127_164
; %bb.169:                              ;   in Loop: Header=BB127_167 Depth=2
	ds_store_b64 v15, v[26:27] offset:3072
	s_branch .LBB127_164
.LBB127_170:                            ;   in Loop: Header=BB127_167 Depth=2
	s_mov_b32 s69, -1
	s_mov_b32 s68, -1
                                        ; implicit-def: $vgpr2_vgpr3
                                        ; implicit-def: $vgpr8
	s_branch .LBB127_166
.LBB127_171:                            ;   in Loop: Header=BB127_45 Depth=1
                                        ; implicit-def: $sgpr12_sgpr13
	s_branch .LBB127_116
.LBB127_172:                            ;   in Loop: Header=BB127_45 Depth=1
	s_wait_alu 0xfffe
	s_or_b32 exec_lo, exec_lo, s7
	s_wait_loadcnt_dscnt 0x0
	s_barrier_signal -1
	s_barrier_wait -1
	global_inv scope:SCOPE_SE
	s_and_saveexec_b32 s4, s3
	s_cbranch_execz .LBB127_174
; %bb.173:                              ;   in Loop: Header=BB127_45 Depth=1
	ds_load_b32 v2, v15 offset:5144
	s_wait_dscnt 0x0
	v_ashrrev_i32_e32 v3, 31, v2
	ds_store_b64 v15, v[2:3] offset:5120
.LBB127_174:                            ;   in Loop: Header=BB127_45 Depth=1
	s_wait_alu 0xfffe
	s_or_b32 exec_lo, exec_lo, s4
	s_wait_loadcnt_dscnt 0x0
	s_barrier_signal -1
	s_mov_b32 s4, -1
	s_barrier_wait -1
	s_and_b32 vcc_lo, exec_lo, s6
	s_wait_alu 0xfffe
	s_cbranch_vccnz .LBB127_61
	s_branch .LBB127_70
.LBB127_175:                            ;   in Loop: Header=BB127_45 Depth=1
                                        ; implicit-def: $sgpr4_sgpr5
	s_branch .LBB127_131
.LBB127_176:                            ;   in Loop: Header=BB127_45 Depth=1
	s_or_b32 exec_lo, exec_lo, s12
	s_wait_alu 0xfffe
	s_and_b32 s12, s52, exec_lo
.LBB127_177:                            ;   in Loop: Header=BB127_45 Depth=1
	s_or_b32 exec_lo, exec_lo, s23
.LBB127_178:                            ;   in Loop: Header=BB127_45 Depth=1
	s_wait_alu 0xfffe
	s_and_b32 vcc_lo, exec_lo, s13
	s_wait_alu 0xfffe
	s_cbranch_vccz .LBB127_193
; %bb.179:                              ;   in Loop: Header=BB127_45 Depth=1
	s_mov_b32 s4, s53
	s_mov_b32 s5, s59
	s_wait_alu 0xfffe
	s_cmp_lg_u64 s[4:5], 0
	s_cbranch_scc0 .LBB127_223
; %bb.180:                              ;   in Loop: Header=BB127_45 Depth=1
	s_cvt_f32_u32 s4, s46
	s_sub_nc_u64 s[10:11], 0, s[46:47]
	s_wait_alu 0xfffe
	s_delay_alu instid0(SALU_CYCLE_1) | instskip(SKIP_1) | instid1(SALU_CYCLE_2)
	s_fmamk_f32 s4, s91, 0x0, s4
	s_wait_alu 0xfffe
	v_s_rcp_f32 s4, s4
	s_delay_alu instid0(TRANS32_DEP_1) | instskip(SKIP_1) | instid1(SALU_CYCLE_2)
	s_mul_f32 s4, s4, 0x5f7ffffc
	s_wait_alu 0xfffe
	s_mul_f32 s5, s4, 0x2f800000
	s_wait_alu 0xfffe
	s_delay_alu instid0(SALU_CYCLE_2) | instskip(SKIP_1) | instid1(SALU_CYCLE_2)
	s_trunc_f32 s5, s5
	s_wait_alu 0xfffe
	s_fmamk_f32 s4, s5, 0xcf800000, s4
	s_cvt_u32_f32 s5, s5
	s_wait_alu 0xfffe
	s_delay_alu instid0(SALU_CYCLE_1) | instskip(SKIP_1) | instid1(SALU_CYCLE_2)
	s_cvt_u32_f32 s4, s4
	s_wait_alu 0xfffe
	s_mul_u64 s[68:69], s[10:11], s[4:5]
	s_wait_alu 0xfffe
	s_mul_hi_u32 s71, s4, s69
	s_mul_i32 s70, s4, s69
	s_mul_hi_u32 s52, s4, s68
	s_mul_i32 s19, s5, s68
	s_wait_alu 0xfffe
	s_add_nc_u64 s[70:71], s[52:53], s[70:71]
	s_mul_hi_u32 s13, s5, s68
	s_mul_hi_u32 s20, s5, s69
	s_wait_alu 0xfffe
	s_add_co_u32 s19, s70, s19
	s_add_co_ci_u32 s52, s71, s13
	s_mul_i32 s68, s5, s69
	s_add_co_ci_u32 s69, s20, 0
	s_wait_alu 0xfffe
	s_add_nc_u64 s[68:69], s[52:53], s[68:69]
	s_wait_alu 0xfffe
	s_add_co_u32 s4, s4, s68
	s_cselect_b32 s13, -1, 0
	s_wait_alu 0xfffe
	s_cmp_lg_u32 s13, 0
	s_add_co_ci_u32 s5, s5, s69
	s_wait_alu 0xfffe
	s_mul_u64 s[10:11], s[10:11], s[4:5]
	s_wait_alu 0xfffe
	s_mul_hi_u32 s69, s4, s11
	s_mul_i32 s68, s4, s11
	s_mul_hi_u32 s52, s4, s10
	s_mul_i32 s19, s5, s10
	s_wait_alu 0xfffe
	s_add_nc_u64 s[68:69], s[52:53], s[68:69]
	s_mul_hi_u32 s13, s5, s10
	s_mul_hi_u32 s20, s5, s11
	s_mul_i32 s10, s5, s11
	s_wait_alu 0xfffe
	s_add_co_u32 s11, s68, s19
	s_add_co_ci_u32 s52, s69, s13
	s_add_co_ci_u32 s11, s20, 0
	s_wait_alu 0xfffe
	s_add_nc_u64 s[10:11], s[52:53], s[10:11]
	s_wait_alu 0xfffe
	s_add_co_u32 s4, s4, s10
	s_cselect_b32 s10, -1, 0
	s_wait_alu 0xfffe
	s_mul_hi_u32 s52, s58, s4
	s_cmp_lg_u32 s10, 0
	s_mul_hi_u32 s13, s59, s4
	s_add_co_ci_u32 s10, s5, s11
	s_mul_i32 s11, s59, s4
	s_wait_alu 0xfffe
	s_mul_hi_u32 s5, s58, s10
	s_mul_i32 s4, s58, s10
	s_mul_hi_u32 s19, s59, s10
	s_wait_alu 0xfffe
	s_add_nc_u64 s[4:5], s[52:53], s[4:5]
	s_mul_i32 s10, s59, s10
	s_wait_alu 0xfffe
	s_add_co_u32 s4, s4, s11
	s_add_co_ci_u32 s52, s5, s13
	s_add_co_ci_u32 s11, s19, 0
	s_wait_alu 0xfffe
	s_add_nc_u64 s[4:5], s[52:53], s[10:11]
	s_wait_alu 0xfffe
	s_mul_u64 s[4:5], s[46:47], s[4:5]
	s_wait_alu 0xfffe
	s_sub_co_u32 s4, s58, s4
	s_cselect_b32 s10, -1, 0
	s_wait_alu 0xfffe
	s_cmp_lg_u32 s10, 0
	s_sub_co_ci_u32 s5, s59, s5
	s_sub_co_u32 s10, s4, s46
	s_cselect_b32 s11, -1, 0
	s_wait_alu 0xfffe
	s_cmp_lg_u32 s11, 0
	s_sub_co_ci_u32 s11, s5, 0
	;; [unrolled: 5-line block ×3, first 2 shown]
	s_cmp_ge_u32 s10, s46
	s_cselect_b32 s20, -1, 0
	s_cmp_eq_u32 s11, 0
	s_cselect_b32 s20, s20, -1
	s_delay_alu instid0(SALU_CYCLE_1)
	s_cmp_lg_u32 s20, 0
	s_wait_alu 0xfffe
	s_cselect_b32 s11, s19, s11
	s_cselect_b32 s10, s13, s10
	s_cmp_ge_u32 s4, s46
	s_cselect_b32 s13, -1, 0
	s_cmp_eq_u32 s5, 0
	s_wait_alu 0xfffe
	s_cselect_b32 s13, s13, -1
	s_wait_alu 0xfffe
	s_cmp_lg_u32 s13, 0
	s_cselect_b32 s5, s11, s5
	s_cselect_b32 s4, s10, s4
	s_cbranch_execnz .LBB127_182
.LBB127_181:                            ;   in Loop: Header=BB127_45 Depth=1
	v_cvt_f32_u32_e32 v2, s46
	s_sub_co_i32 s5, 0, s46
	s_delay_alu instid0(VALU_DEP_1) | instskip(NEXT) | instid1(TRANS32_DEP_1)
	v_rcp_iflag_f32_e32 v2, v2
	v_mul_f32_e32 v2, 0x4f7ffffe, v2
	s_delay_alu instid0(VALU_DEP_1) | instskip(NEXT) | instid1(VALU_DEP_1)
	v_cvt_u32_f32_e32 v2, v2
	v_readfirstlane_b32 s4, v2
	s_wait_alu 0xfffe
	s_mul_i32 s5, s5, s4
	s_wait_alu 0xfffe
	s_mul_hi_u32 s5, s4, s5
	s_wait_alu 0xfffe
	s_add_co_i32 s4, s4, s5
	s_wait_alu 0xfffe
	s_mul_hi_u32 s4, s58, s4
	s_wait_alu 0xfffe
	s_mul_i32 s4, s4, s46
	s_wait_alu 0xfffe
	s_sub_co_i32 s4, s58, s4
	s_wait_alu 0xfffe
	s_sub_co_i32 s5, s4, s46
	s_cmp_ge_u32 s4, s46
	s_wait_alu 0xfffe
	s_cselect_b32 s4, s5, s4
	s_wait_alu 0xfffe
	s_sub_co_i32 s5, s4, s46
	s_cmp_ge_u32 s4, s46
	s_wait_alu 0xfffe
	s_cselect_b32 s52, s5, s4
	s_wait_alu 0xfffe
	s_mov_b64 s[4:5], s[52:53]
.LBB127_182:                            ;   in Loop: Header=BB127_45 Depth=1
	s_wait_alu 0xfffe
	s_sub_nc_u64 s[10:11], s[58:59], s[4:5]
	s_mov_b32 s5, exec_lo
                                        ; implicit-def: $vgpr28
	s_wait_alu 0xfffe
	v_cmpx_gt_u64_e64 s[10:11], v[0:1]
	s_cbranch_execz .LBB127_192
; %bb.183:                              ;   in Loop: Header=BB127_45 Depth=1
	v_dual_mov_b32 v2, v10 :: v_dual_mov_b32 v3, v11
	v_dual_mov_b32 v9, v1 :: v_dual_mov_b32 v8, v0
	s_mov_b32 s13, 0
                                        ; implicit-def: $sgpr19
	s_branch .LBB127_187
.LBB127_184:                            ;   in Loop: Header=BB127_187 Depth=2
	s_wait_alu 0xfffe
	s_or_b32 exec_lo, exec_lo, s4
	s_wait_loadcnt_dscnt 0x0
	s_barrier_signal -1
	s_barrier_wait -1
	global_inv scope:SCOPE_SE
	ds_load_b64 v[27:28], v15 offset:3072
	s_wait_loadcnt_dscnt 0x0
	s_barrier_signal -1
	s_barrier_wait -1
	global_inv scope:SCOPE_SE
	v_cmp_eq_f32_e32 vcc_lo, 0, v27
	s_cbranch_vccz .LBB127_190
; %bb.185:                              ;   in Loop: Header=BB127_187 Depth=2
	v_add_co_u32 v8, vcc_lo, v8, s46
	s_wait_alu 0xfffd
	v_add_co_ci_u32_e64 v9, null, 0, v9, vcc_lo
	v_add_co_u32 v2, s4, v2, s50
	s_wait_alu 0xf1ff
	v_add_co_ci_u32_e64 v3, null, s51, v3, s4
	s_delay_alu instid0(VALU_DEP_3)
	v_cmp_le_u64_e32 vcc_lo, s[10:11], v[8:9]
	s_mov_b32 s4, 0
	s_or_not1_b32 s20, vcc_lo, exec_lo
.LBB127_186:                            ;   in Loop: Header=BB127_187 Depth=2
	s_delay_alu instid0(SALU_CYCLE_1) | instskip(NEXT) | instid1(SALU_CYCLE_1)
	s_and_b32 s20, exec_lo, s20
	s_or_b32 s13, s20, s13
	s_and_not1_b32 s19, s19, exec_lo
	s_wait_alu 0xfffe
	s_and_b32 s4, s4, exec_lo
	s_wait_alu 0xfffe
	s_or_b32 s19, s19, s4
	s_and_not1_b32 exec_lo, exec_lo, s13
	s_cbranch_execz .LBB127_191
.LBB127_187:                            ;   Parent Loop BB127_45 Depth=1
                                        ; =>  This Inner Loop Header: Depth=2
	s_mov_b32 s4, exec_lo
	s_delay_alu instid0(VALU_DEP_1)
	v_cmpx_gt_u64_e64 s[24:25], v[8:9]
	s_cbranch_execz .LBB127_184
; %bb.188:                              ;   in Loop: Header=BB127_187 Depth=2
	global_load_b32 v27, v[2:3], off
	s_wait_loadcnt 0x0
	v_cmp_lt_i32_e32 vcc_lo, -1, v27
	s_wait_alu 0xfffd
	v_cndmask_b32_e64 v28, -1, 0x80000000, vcc_lo
	v_cmp_o_f32_e32 vcc_lo, v27, v27
	s_delay_alu instid0(VALU_DEP_2) | instskip(SKIP_1) | instid1(VALU_DEP_1)
	v_xor_b32_e32 v28, v28, v27
	s_wait_alu 0xfffd
	v_cndmask_b32_e32 v28, -1, v28, vcc_lo
	s_delay_alu instid0(VALU_DEP_1) | instskip(NEXT) | instid1(VALU_DEP_1)
	v_and_b32_e32 v28, v28, v50
	v_cmp_eq_u32_e32 vcc_lo, v28, v45
	s_and_b32 exec_lo, exec_lo, vcc_lo
	s_cbranch_execz .LBB127_184
; %bb.189:                              ;   in Loop: Header=BB127_187 Depth=2
	ds_store_b64 v15, v[26:27] offset:3072
	s_branch .LBB127_184
.LBB127_190:                            ;   in Loop: Header=BB127_187 Depth=2
	s_mov_b32 s20, -1
	s_mov_b32 s4, -1
                                        ; implicit-def: $vgpr8_vgpr9
                                        ; implicit-def: $vgpr2_vgpr3
	s_branch .LBB127_186
.LBB127_191:                            ;   in Loop: Header=BB127_45 Depth=1
	s_or_b32 exec_lo, exec_lo, s13
	s_delay_alu instid0(SALU_CYCLE_1)
	s_and_not1_b32 s4, s12, exec_lo
	s_wait_alu 0xfffe
	s_and_b32 s10, s19, exec_lo
	s_wait_alu 0xfffe
	s_or_b32 s12, s4, s10
.LBB127_192:                            ;   in Loop: Header=BB127_45 Depth=1
	s_or_b32 exec_lo, exec_lo, s5
	s_mov_b32 s19, 0
	s_mov_b32 s20, -1
.LBB127_193:                            ;   in Loop: Header=BB127_45 Depth=1
	s_wait_alu 0xfffe
	s_or_not1_b32 s4, s12, exec_lo
.LBB127_194:                            ;   in Loop: Header=BB127_45 Depth=1
	s_or_b32 exec_lo, exec_lo, s21
	s_mov_b32 s5, 0
	s_wait_alu 0xfffe
	s_and_saveexec_b32 s21, s4
	s_cbranch_execz .LBB127_304
; %bb.195:                              ;   in Loop: Header=BB127_45 Depth=1
	v_mov_b32_e32 v2, 1
	v_dual_mov_b32 v3, 0 :: v_dual_mov_b32 v14, 1
	s_xor_b32 s10, s22, -1
	s_wait_alu 0xfffe
	s_and_saveexec_b32 s4, s10
	s_cbranch_execz .LBB127_205
; %bb.196:                              ;   in Loop: Header=BB127_45 Depth=1
	s_mov_b32 s5, exec_lo
	v_cmpx_le_u64_e64 v[6:7], v[4:5]
	s_wait_alu 0xfffe
	s_xor_b32 s5, exec_lo, s5
	s_cbranch_execz .LBB127_202
; %bb.197:                              ;   in Loop: Header=BB127_45 Depth=1
	ds_load_b64 v[2:3], v15 offset:5120
	s_lshl_b32 s10, 1, s89
	v_or_b32_e32 v50, s14, v50
	s_wait_alu 0xfffe
	v_and_or_b32 v45, v45, s18, s10
	s_wait_dscnt 0x0
	v_cmp_ne_u64_e32 vcc_lo, 0, v[2:3]
	s_cbranch_vccnz .LBB127_201
; %bb.198:                              ;   in Loop: Header=BB127_45 Depth=1
	s_and_saveexec_b32 s10, s3
; %bb.199:                              ;   in Loop: Header=BB127_45 Depth=1
	ds_store_b64 v15, v[4:5] offset:5128
; %bb.200:                              ;   in Loop: Header=BB127_45 Depth=1
	s_wait_alu 0xfffe
	s_or_b32 exec_lo, exec_lo, s10
	s_wait_loadcnt_dscnt 0x0
	s_barrier_signal -1
	s_barrier_wait -1
	global_inv scope:SCOPE_SE
.LBB127_201:                            ;   in Loop: Header=BB127_45 Depth=1
                                        ; implicit-def: $vgpr2_vgpr3_vgpr4_vgpr5
.LBB127_202:                            ;   in Loop: Header=BB127_45 Depth=1
	s_wait_alu 0xfffe
	s_or_saveexec_b32 s5, s5
	v_mov_b32_e32 v14, 8
	s_mov_b32 s10, 0
	s_wait_alu 0xfffe
	s_xor_b32 exec_lo, exec_lo, s5
; %bb.203:                              ;   in Loop: Header=BB127_45 Depth=1
	v_sub_co_u32 v6, vcc_lo, v6, v4
	s_wait_alu 0xfffd
	v_sub_co_ci_u32_e64 v7, null, v7, v5, vcc_lo
	v_mov_b32_e32 v14, 0
	s_mov_b32 s10, exec_lo
; %bb.204:                              ;   in Loop: Header=BB127_45 Depth=1
	s_or_b32 exec_lo, exec_lo, s5
	s_delay_alu instid0(VALU_DEP_2)
	v_dual_mov_b32 v2, v6 :: v_dual_mov_b32 v3, v7
	s_wait_alu 0xfffe
	s_and_b32 s5, s10, exec_lo
.LBB127_205:                            ;   in Loop: Header=BB127_45 Depth=1
	s_wait_alu 0xfffe
	s_or_b32 exec_lo, exec_lo, s4
	s_mov_b32 s4, -1
                                        ; implicit-def: $sgpr23
                                        ; implicit-def: $sgpr68
	s_and_saveexec_b32 s22, s5
	s_cbranch_execz .LBB127_303
; %bb.206:                              ;   in Loop: Header=BB127_45 Depth=1
	v_cmp_eq_u64_e32 vcc_lo, 1, v[2:3]
	s_cmp_eq_u64 s[8:9], 1
                                        ; implicit-def: $sgpr68
                                        ; implicit-def: $sgpr23
	s_cselect_b32 s4, -1, 0
	s_wait_alu 0xfffe
	s_and_b32 s69, s4, vcc_lo
	s_mov_b32 s4, -1
	s_wait_alu 0xfffe
	s_and_saveexec_b32 s70, s69
	s_cbranch_execz .LBB127_242
; %bb.207:                              ;   in Loop: Header=BB127_45 Depth=1
	ds_load_b64 v[4:5], v15 offset:5120
	s_wait_loadcnt_dscnt 0x0
	s_barrier_signal -1
	s_barrier_wait -1
	global_inv scope:SCOPE_SE
	v_readfirstlane_b32 s4, v4
	v_readfirstlane_b32 s5, v5
	s_and_saveexec_b32 s10, s0
; %bb.208:                              ;   in Loop: Header=BB127_45 Depth=1
	ds_store_b32 v42, v15
; %bb.209:                              ;   in Loop: Header=BB127_45 Depth=1
	s_wait_alu 0xfffe
	s_or_b32 exec_lo, exec_lo, s10
	s_lshl_b32 s10, 2, s89
	v_or_b32_e32 v50, s14, v50
	s_wait_alu 0xfffe
	v_and_or_b32 v45, v45, s18, s10
	s_mov_b32 s23, -1
	s_mov_b32 s68, 0
	s_cmp_eq_u64 s[4:5], 0
	s_mov_b32 s12, 0
	s_mov_b32 s13, -1
	s_wait_loadcnt_dscnt 0x0
	s_barrier_signal -1
	s_barrier_wait -1
	global_inv scope:SCOPE_SE
                                        ; implicit-def: $vgpr28
	s_cbranch_scc1 .LBB127_226
; %bb.210:                              ;   in Loop: Header=BB127_45 Depth=1
	s_add_nc_u64 s[10:11], s[4:5], s[56:57]
	s_mov_b32 s12, s53
	s_wait_alu 0xfffe
	s_mov_b32 s13, s11
	s_wait_alu 0xfffe
	s_cmp_lg_u64 s[12:13], 0
	s_cbranch_scc0 .LBB127_269
; %bb.211:                              ;   in Loop: Header=BB127_45 Depth=1
	s_cvt_f32_u32 s12, s46
	s_sub_nc_u64 s[72:73], 0, s[46:47]
	s_wait_alu 0xfffe
	s_delay_alu instid0(SALU_CYCLE_1) | instskip(SKIP_1) | instid1(SALU_CYCLE_2)
	s_fmamk_f32 s12, s91, 0x0, s12
	s_wait_alu 0xfffe
	v_s_rcp_f32 s12, s12
	s_delay_alu instid0(TRANS32_DEP_1) | instskip(SKIP_1) | instid1(SALU_CYCLE_2)
	s_mul_f32 s12, s12, 0x5f7ffffc
	s_wait_alu 0xfffe
	s_mul_f32 s13, s12, 0x2f800000
	s_wait_alu 0xfffe
	s_delay_alu instid0(SALU_CYCLE_2) | instskip(SKIP_1) | instid1(SALU_CYCLE_2)
	s_trunc_f32 s13, s13
	s_wait_alu 0xfffe
	s_fmamk_f32 s12, s13, 0xcf800000, s12
	s_cvt_u32_f32 s13, s13
	s_wait_alu 0xfffe
	s_delay_alu instid0(SALU_CYCLE_1) | instskip(SKIP_1) | instid1(SALU_CYCLE_2)
	s_cvt_u32_f32 s12, s12
	s_wait_alu 0xfffe
	s_mul_u64 s[74:75], s[72:73], s[12:13]
	s_wait_alu 0xfffe
	s_mul_hi_u32 s77, s12, s75
	s_mul_i32 s76, s12, s75
	s_mul_hi_u32 s52, s12, s74
	s_mul_i32 s78, s13, s74
	s_wait_alu 0xfffe
	s_add_nc_u64 s[76:77], s[52:53], s[76:77]
	s_mul_hi_u32 s71, s13, s74
	s_mul_hi_u32 s79, s13, s75
	s_wait_alu 0xfffe
	s_add_co_u32 s52, s76, s78
	s_add_co_ci_u32 s52, s77, s71
	s_mul_i32 s74, s13, s75
	s_add_co_ci_u32 s75, s79, 0
	s_wait_alu 0xfffe
	s_add_nc_u64 s[74:75], s[52:53], s[74:75]
	s_wait_alu 0xfffe
	s_add_co_u32 s12, s12, s74
	s_cselect_b32 s52, -1, 0
	s_wait_alu 0xfffe
	s_cmp_lg_u32 s52, 0
	s_add_co_ci_u32 s13, s13, s75
	s_wait_alu 0xfffe
	s_mul_u64 s[72:73], s[72:73], s[12:13]
	s_wait_alu 0xfffe
	s_mul_hi_u32 s75, s12, s73
	s_mul_i32 s74, s12, s73
	s_mul_hi_u32 s52, s12, s72
	s_mul_i32 s76, s13, s72
	s_wait_alu 0xfffe
	s_add_nc_u64 s[74:75], s[52:53], s[74:75]
	s_mul_hi_u32 s71, s13, s72
	s_mul_hi_u32 s77, s13, s73
	s_wait_alu 0xfffe
	s_add_co_u32 s52, s74, s76
	s_add_co_ci_u32 s52, s75, s71
	s_mul_i32 s72, s13, s73
	s_add_co_ci_u32 s73, s77, 0
	s_wait_alu 0xfffe
	s_add_nc_u64 s[72:73], s[52:53], s[72:73]
	s_wait_alu 0xfffe
	s_add_co_u32 s12, s12, s72
	s_cselect_b32 s71, -1, 0
	s_wait_alu 0xfffe
	s_mul_hi_u32 s52, s10, s12
	s_cmp_lg_u32 s71, 0
	s_mul_hi_u32 s71, s11, s12
	s_add_co_ci_u32 s72, s13, s73
	s_mul_i32 s73, s11, s12
	s_wait_alu 0xfffe
	s_mul_hi_u32 s13, s10, s72
	s_mul_i32 s12, s10, s72
	s_mul_hi_u32 s74, s11, s72
	s_wait_alu 0xfffe
	s_add_nc_u64 s[12:13], s[52:53], s[12:13]
	s_mul_i32 s72, s11, s72
	s_wait_alu 0xfffe
	s_add_co_u32 s12, s12, s73
	s_add_co_ci_u32 s52, s13, s71
	s_add_co_ci_u32 s73, s74, 0
	s_wait_alu 0xfffe
	s_add_nc_u64 s[12:13], s[52:53], s[72:73]
	s_wait_alu 0xfffe
	s_mul_u64 s[12:13], s[46:47], s[12:13]
	s_wait_alu 0xfffe
	s_sub_co_u32 s12, s10, s12
	s_cselect_b32 s52, -1, 0
	s_wait_alu 0xfffe
	s_cmp_lg_u32 s52, 0
	s_sub_co_ci_u32 s13, s11, s13
	s_sub_co_u32 s52, s12, s46
	s_cselect_b32 s71, -1, 0
	s_wait_alu 0xfffe
	s_cmp_lg_u32 s71, 0
	s_sub_co_ci_u32 s71, s13, 0
	;; [unrolled: 5-line block ×3, first 2 shown]
	s_cmp_ge_u32 s52, s46
	s_cselect_b32 s74, -1, 0
	s_cmp_eq_u32 s71, 0
	s_wait_alu 0xfffe
	s_cselect_b32 s74, s74, -1
	s_wait_alu 0xfffe
	s_cmp_lg_u32 s74, 0
	s_cselect_b32 s71, s73, s71
	s_cselect_b32 s52, s72, s52
	s_cmp_ge_u32 s12, s46
	s_cselect_b32 s72, -1, 0
	s_cmp_eq_u32 s13, 0
	s_wait_alu 0xfffe
	s_cselect_b32 s72, s72, -1
	s_wait_alu 0xfffe
	s_cmp_lg_u32 s72, 0
	s_cselect_b32 s13, s71, s13
	s_cselect_b32 s12, s52, s12
	s_cbranch_execnz .LBB127_213
.LBB127_212:                            ;   in Loop: Header=BB127_45 Depth=1
	v_cvt_f32_u32_e32 v4, s46
	s_sub_co_i32 s13, 0, s46
	s_delay_alu instid0(VALU_DEP_1) | instskip(NEXT) | instid1(TRANS32_DEP_1)
	v_rcp_iflag_f32_e32 v4, v4
	v_mul_f32_e32 v4, 0x4f7ffffe, v4
	s_delay_alu instid0(VALU_DEP_1) | instskip(NEXT) | instid1(VALU_DEP_1)
	v_cvt_u32_f32_e32 v4, v4
	v_readfirstlane_b32 s12, v4
	s_wait_alu 0xfffe
	s_mul_i32 s13, s13, s12
	s_wait_alu 0xfffe
	s_mul_hi_u32 s13, s12, s13
	s_wait_alu 0xfffe
	s_add_co_i32 s12, s12, s13
	s_wait_alu 0xfffe
	s_mul_hi_u32 s12, s10, s12
	s_wait_alu 0xfffe
	s_mul_i32 s12, s12, s46
	s_wait_alu 0xfffe
	s_sub_co_i32 s12, s10, s12
	s_wait_alu 0xfffe
	s_sub_co_i32 s13, s12, s46
	s_cmp_ge_u32 s12, s46
	s_wait_alu 0xfffe
	s_cselect_b32 s12, s13, s12
	s_wait_alu 0xfffe
	s_sub_co_i32 s13, s12, s46
	s_cmp_ge_u32 s12, s46
	s_wait_alu 0xfffe
	s_cselect_b32 s52, s13, s12
	s_wait_alu 0xfffe
	s_mov_b64 s[12:13], s[52:53]
.LBB127_213:                            ;   in Loop: Header=BB127_45 Depth=1
	s_wait_alu 0xfffe
	s_sub_nc_u64 s[10:11], s[10:11], s[12:13]
	s_mov_b32 s13, 0
	s_mov_b32 s12, 0
	s_mov_b32 s52, exec_lo
                                        ; implicit-def: $vgpr28
	s_wait_alu 0xfffe
	v_cmpx_gt_u64_e64 s[10:11], v[0:1]
	s_cbranch_execz .LBB127_225
; %bb.214:                              ;   in Loop: Header=BB127_45 Depth=1
	v_dual_mov_b32 v6, v12 :: v_dual_mov_b32 v5, v1
	v_mov_b32_e32 v4, v0
                                        ; implicit-def: $sgpr71
	s_branch .LBB127_218
.LBB127_215:                            ;   in Loop: Header=BB127_218 Depth=2
	s_wait_alu 0xfffe
	s_or_b32 exec_lo, exec_lo, s72
	s_wait_loadcnt_dscnt 0x0
	s_barrier_signal -1
	s_barrier_wait -1
	global_inv scope:SCOPE_SE
	ds_load_b64 v[27:28], v15 offset:3072
	s_wait_loadcnt_dscnt 0x0
	s_barrier_signal -1
	s_barrier_wait -1
	global_inv scope:SCOPE_SE
	v_cmp_neq_f32_e32 vcc_lo, 0, v27
	s_cbranch_vccnz .LBB127_221
; %bb.216:                              ;   in Loop: Header=BB127_218 Depth=2
	v_add_co_u32 v4, vcc_lo, v4, s46
	s_wait_alu 0xfffd
	v_add_co_ci_u32_e64 v5, null, 0, v5, vcc_lo
	v_add_nc_u32_e32 v6, s88, v6
	s_mov_b32 s72, 0
	s_delay_alu instid0(VALU_DEP_2)
	v_cmp_le_u64_e32 vcc_lo, s[10:11], v[4:5]
	s_or_not1_b32 s73, vcc_lo, exec_lo
.LBB127_217:                            ;   in Loop: Header=BB127_218 Depth=2
	s_wait_alu 0xfffe
	s_and_b32 s73, exec_lo, s73
	s_wait_alu 0xfffe
	s_or_b32 s12, s73, s12
	s_and_not1_b32 s71, s71, exec_lo
	s_and_b32 s72, s72, exec_lo
	s_wait_alu 0xfffe
	s_or_b32 s71, s71, s72
	s_and_not1_b32 exec_lo, exec_lo, s12
	s_cbranch_execz .LBB127_224
.LBB127_218:                            ;   Parent Loop BB127_45 Depth=1
                                        ; =>  This Inner Loop Header: Depth=2
	s_mov_b32 s72, exec_lo
	s_delay_alu instid0(VALU_DEP_1)
	v_cmpx_gt_u64_e64 s[4:5], v[4:5]
	s_cbranch_execz .LBB127_215
; %bb.219:                              ;   in Loop: Header=BB127_218 Depth=2
	ds_load_b32 v27, v6
	s_wait_dscnt 0x0
	v_cmp_lt_i32_e32 vcc_lo, -1, v27
	s_wait_alu 0xfffd
	v_cndmask_b32_e64 v7, -1, 0x80000000, vcc_lo
	v_cmp_o_f32_e32 vcc_lo, v27, v27
	s_delay_alu instid0(VALU_DEP_2) | instskip(SKIP_1) | instid1(VALU_DEP_1)
	v_xor_b32_e32 v7, v7, v27
	s_wait_alu 0xfffd
	v_cndmask_b32_e32 v7, -1, v7, vcc_lo
	s_delay_alu instid0(VALU_DEP_1) | instskip(NEXT) | instid1(VALU_DEP_1)
	v_and_b32_e32 v7, v7, v50
	v_cmp_eq_u32_e32 vcc_lo, v7, v45
	s_and_b32 exec_lo, exec_lo, vcc_lo
	s_cbranch_execz .LBB127_215
; %bb.220:                              ;   in Loop: Header=BB127_218 Depth=2
	ds_store_b64 v15, v[26:27] offset:3072
	s_branch .LBB127_215
.LBB127_221:                            ;   in Loop: Header=BB127_218 Depth=2
	s_mov_b32 s73, -1
	s_mov_b32 s72, -1
                                        ; implicit-def: $vgpr4_vgpr5
                                        ; implicit-def: $vgpr6
	s_branch .LBB127_217
.LBB127_222:                            ;   in Loop: Header=BB127_45 Depth=1
                                        ; implicit-def: $sgpr12_sgpr13
	s_branch .LBB127_161
.LBB127_223:                            ;   in Loop: Header=BB127_45 Depth=1
                                        ; implicit-def: $sgpr4_sgpr5
	s_branch .LBB127_181
.LBB127_224:                            ;   in Loop: Header=BB127_45 Depth=1
	s_or_b32 exec_lo, exec_lo, s12
	s_wait_alu 0xfffe
	s_and_b32 s12, s71, exec_lo
.LBB127_225:                            ;   in Loop: Header=BB127_45 Depth=1
	s_or_b32 exec_lo, exec_lo, s52
.LBB127_226:                            ;   in Loop: Header=BB127_45 Depth=1
	s_wait_alu 0xfffe
	s_and_b32 vcc_lo, exec_lo, s13
	s_wait_alu 0xfffe
	s_cbranch_vccz .LBB127_241
; %bb.227:                              ;   in Loop: Header=BB127_45 Depth=1
	s_mov_b32 s4, s53
	s_mov_b32 s5, s59
	s_wait_alu 0xfffe
	s_cmp_lg_u64 s[4:5], 0
	s_cbranch_scc0 .LBB127_270
; %bb.228:                              ;   in Loop: Header=BB127_45 Depth=1
	s_cvt_f32_u32 s4, s46
	s_sub_nc_u64 s[10:11], 0, s[46:47]
	s_wait_alu 0xfffe
	s_delay_alu instid0(SALU_CYCLE_1) | instskip(SKIP_1) | instid1(SALU_CYCLE_2)
	s_fmamk_f32 s4, s91, 0x0, s4
	s_wait_alu 0xfffe
	v_s_rcp_f32 s4, s4
	s_delay_alu instid0(TRANS32_DEP_1) | instskip(SKIP_1) | instid1(SALU_CYCLE_2)
	s_mul_f32 s4, s4, 0x5f7ffffc
	s_wait_alu 0xfffe
	s_mul_f32 s5, s4, 0x2f800000
	s_wait_alu 0xfffe
	s_delay_alu instid0(SALU_CYCLE_2) | instskip(SKIP_1) | instid1(SALU_CYCLE_2)
	s_trunc_f32 s5, s5
	s_wait_alu 0xfffe
	s_fmamk_f32 s4, s5, 0xcf800000, s4
	s_cvt_u32_f32 s5, s5
	s_wait_alu 0xfffe
	s_delay_alu instid0(SALU_CYCLE_1) | instskip(SKIP_1) | instid1(SALU_CYCLE_2)
	s_cvt_u32_f32 s4, s4
	s_wait_alu 0xfffe
	s_mul_u64 s[72:73], s[10:11], s[4:5]
	s_wait_alu 0xfffe
	s_mul_hi_u32 s75, s4, s73
	s_mul_i32 s74, s4, s73
	s_mul_hi_u32 s52, s4, s72
	s_mul_i32 s23, s5, s72
	s_wait_alu 0xfffe
	s_add_nc_u64 s[74:75], s[52:53], s[74:75]
	s_mul_hi_u32 s13, s5, s72
	s_mul_hi_u32 s68, s5, s73
	s_wait_alu 0xfffe
	s_add_co_u32 s23, s74, s23
	s_add_co_ci_u32 s52, s75, s13
	s_mul_i32 s72, s5, s73
	s_add_co_ci_u32 s73, s68, 0
	s_wait_alu 0xfffe
	s_add_nc_u64 s[72:73], s[52:53], s[72:73]
	s_wait_alu 0xfffe
	s_add_co_u32 s4, s4, s72
	s_cselect_b32 s13, -1, 0
	s_wait_alu 0xfffe
	s_cmp_lg_u32 s13, 0
	s_add_co_ci_u32 s5, s5, s73
	s_wait_alu 0xfffe
	s_mul_u64 s[10:11], s[10:11], s[4:5]
	s_wait_alu 0xfffe
	s_mul_hi_u32 s73, s4, s11
	s_mul_i32 s72, s4, s11
	s_mul_hi_u32 s52, s4, s10
	s_mul_i32 s23, s5, s10
	s_wait_alu 0xfffe
	s_add_nc_u64 s[72:73], s[52:53], s[72:73]
	s_mul_hi_u32 s13, s5, s10
	s_mul_hi_u32 s68, s5, s11
	s_mul_i32 s10, s5, s11
	s_wait_alu 0xfffe
	s_add_co_u32 s11, s72, s23
	s_add_co_ci_u32 s52, s73, s13
	s_add_co_ci_u32 s11, s68, 0
	s_wait_alu 0xfffe
	s_add_nc_u64 s[10:11], s[52:53], s[10:11]
	s_wait_alu 0xfffe
	s_add_co_u32 s4, s4, s10
	s_cselect_b32 s10, -1, 0
	s_wait_alu 0xfffe
	s_mul_hi_u32 s52, s58, s4
	s_cmp_lg_u32 s10, 0
	s_mul_hi_u32 s13, s59, s4
	s_add_co_ci_u32 s10, s5, s11
	s_mul_i32 s11, s59, s4
	s_wait_alu 0xfffe
	s_mul_hi_u32 s5, s58, s10
	s_mul_i32 s4, s58, s10
	s_mul_hi_u32 s23, s59, s10
	s_wait_alu 0xfffe
	s_add_nc_u64 s[4:5], s[52:53], s[4:5]
	s_mul_i32 s10, s59, s10
	s_wait_alu 0xfffe
	s_add_co_u32 s4, s4, s11
	s_add_co_ci_u32 s52, s5, s13
	s_add_co_ci_u32 s11, s23, 0
	s_wait_alu 0xfffe
	s_add_nc_u64 s[4:5], s[52:53], s[10:11]
	s_wait_alu 0xfffe
	s_mul_u64 s[4:5], s[46:47], s[4:5]
	s_wait_alu 0xfffe
	s_sub_co_u32 s4, s58, s4
	s_cselect_b32 s10, -1, 0
	s_wait_alu 0xfffe
	s_cmp_lg_u32 s10, 0
	s_sub_co_ci_u32 s5, s59, s5
	s_sub_co_u32 s10, s4, s46
	s_cselect_b32 s11, -1, 0
	s_wait_alu 0xfffe
	s_cmp_lg_u32 s11, 0
	s_sub_co_ci_u32 s11, s5, 0
	s_sub_co_u32 s13, s10, s46
	s_cselect_b32 s23, -1, 0
	s_delay_alu instid0(SALU_CYCLE_1)
	s_cmp_lg_u32 s23, 0
	s_wait_alu 0xfffe
	s_sub_co_ci_u32 s23, s11, 0
	s_cmp_ge_u32 s10, s46
	s_cselect_b32 s52, -1, 0
	s_cmp_eq_u32 s11, 0
	s_wait_alu 0xfffe
	s_cselect_b32 s52, s52, -1
	s_wait_alu 0xfffe
	s_cmp_lg_u32 s52, 0
	s_cselect_b32 s11, s23, s11
	s_cselect_b32 s10, s13, s10
	s_cmp_ge_u32 s4, s46
	s_cselect_b32 s13, -1, 0
	s_cmp_eq_u32 s5, 0
	s_wait_alu 0xfffe
	s_cselect_b32 s13, s13, -1
	s_wait_alu 0xfffe
	s_cmp_lg_u32 s13, 0
	s_cselect_b32 s5, s11, s5
	s_cselect_b32 s4, s10, s4
	s_cbranch_execnz .LBB127_230
.LBB127_229:                            ;   in Loop: Header=BB127_45 Depth=1
	v_cvt_f32_u32_e32 v4, s46
	s_sub_co_i32 s5, 0, s46
	s_delay_alu instid0(VALU_DEP_1) | instskip(NEXT) | instid1(TRANS32_DEP_1)
	v_rcp_iflag_f32_e32 v4, v4
	v_mul_f32_e32 v4, 0x4f7ffffe, v4
	s_delay_alu instid0(VALU_DEP_1) | instskip(NEXT) | instid1(VALU_DEP_1)
	v_cvt_u32_f32_e32 v4, v4
	v_readfirstlane_b32 s4, v4
	s_wait_alu 0xfffe
	s_mul_i32 s5, s5, s4
	s_wait_alu 0xfffe
	s_mul_hi_u32 s5, s4, s5
	s_wait_alu 0xfffe
	s_add_co_i32 s4, s4, s5
	s_wait_alu 0xfffe
	s_mul_hi_u32 s4, s58, s4
	s_wait_alu 0xfffe
	s_mul_i32 s4, s4, s46
	s_wait_alu 0xfffe
	s_sub_co_i32 s4, s58, s4
	s_wait_alu 0xfffe
	s_sub_co_i32 s5, s4, s46
	s_cmp_ge_u32 s4, s46
	s_wait_alu 0xfffe
	s_cselect_b32 s4, s5, s4
	s_wait_alu 0xfffe
	s_sub_co_i32 s5, s4, s46
	s_cmp_ge_u32 s4, s46
	s_wait_alu 0xfffe
	s_cselect_b32 s52, s5, s4
	s_wait_alu 0xfffe
	s_mov_b64 s[4:5], s[52:53]
.LBB127_230:                            ;   in Loop: Header=BB127_45 Depth=1
	s_wait_alu 0xfffe
	s_sub_nc_u64 s[10:11], s[58:59], s[4:5]
	s_mov_b32 s5, exec_lo
                                        ; implicit-def: $vgpr28
	s_wait_alu 0xfffe
	v_cmpx_gt_u64_e64 s[10:11], v[0:1]
	s_cbranch_execz .LBB127_240
; %bb.231:                              ;   in Loop: Header=BB127_45 Depth=1
	v_dual_mov_b32 v4, v10 :: v_dual_mov_b32 v5, v11
	v_dual_mov_b32 v7, v1 :: v_dual_mov_b32 v6, v0
	s_mov_b32 s13, 0
                                        ; implicit-def: $sgpr23
	s_branch .LBB127_235
.LBB127_232:                            ;   in Loop: Header=BB127_235 Depth=2
	s_wait_alu 0xfffe
	s_or_b32 exec_lo, exec_lo, s4
	s_wait_loadcnt_dscnt 0x0
	s_barrier_signal -1
	s_barrier_wait -1
	global_inv scope:SCOPE_SE
	ds_load_b64 v[27:28], v15 offset:3072
	s_wait_loadcnt_dscnt 0x0
	s_barrier_signal -1
	s_barrier_wait -1
	global_inv scope:SCOPE_SE
	v_cmp_eq_f32_e32 vcc_lo, 0, v27
	s_cbranch_vccz .LBB127_238
; %bb.233:                              ;   in Loop: Header=BB127_235 Depth=2
	v_add_co_u32 v6, vcc_lo, v6, s46
	s_wait_alu 0xfffd
	v_add_co_ci_u32_e64 v7, null, 0, v7, vcc_lo
	v_add_co_u32 v4, s4, v4, s50
	s_wait_alu 0xf1ff
	v_add_co_ci_u32_e64 v5, null, s51, v5, s4
	s_delay_alu instid0(VALU_DEP_3)
	v_cmp_le_u64_e32 vcc_lo, s[10:11], v[6:7]
	s_mov_b32 s4, 0
	s_or_not1_b32 s52, vcc_lo, exec_lo
.LBB127_234:                            ;   in Loop: Header=BB127_235 Depth=2
	s_wait_alu 0xfffe
	s_and_b32 s52, exec_lo, s52
	s_wait_alu 0xfffe
	s_or_b32 s13, s52, s13
	s_and_not1_b32 s23, s23, exec_lo
	s_and_b32 s4, s4, exec_lo
	s_wait_alu 0xfffe
	s_or_b32 s23, s23, s4
	s_and_not1_b32 exec_lo, exec_lo, s13
	s_cbranch_execz .LBB127_239
.LBB127_235:                            ;   Parent Loop BB127_45 Depth=1
                                        ; =>  This Inner Loop Header: Depth=2
	s_mov_b32 s4, exec_lo
	s_delay_alu instid0(VALU_DEP_1)
	v_cmpx_gt_u64_e64 s[24:25], v[6:7]
	s_cbranch_execz .LBB127_232
; %bb.236:                              ;   in Loop: Header=BB127_235 Depth=2
	global_load_b32 v27, v[4:5], off
	s_wait_loadcnt 0x0
	v_cmp_lt_i32_e32 vcc_lo, -1, v27
	s_wait_alu 0xfffd
	v_cndmask_b32_e64 v8, -1, 0x80000000, vcc_lo
	v_cmp_o_f32_e32 vcc_lo, v27, v27
	s_delay_alu instid0(VALU_DEP_2) | instskip(SKIP_1) | instid1(VALU_DEP_1)
	v_xor_b32_e32 v8, v8, v27
	s_wait_alu 0xfffd
	v_cndmask_b32_e32 v8, -1, v8, vcc_lo
	s_delay_alu instid0(VALU_DEP_1) | instskip(NEXT) | instid1(VALU_DEP_1)
	v_and_b32_e32 v8, v8, v50
	v_cmp_eq_u32_e32 vcc_lo, v8, v45
	s_and_b32 exec_lo, exec_lo, vcc_lo
	s_cbranch_execz .LBB127_232
; %bb.237:                              ;   in Loop: Header=BB127_235 Depth=2
	ds_store_b64 v15, v[26:27] offset:3072
	s_branch .LBB127_232
.LBB127_238:                            ;   in Loop: Header=BB127_235 Depth=2
	s_mov_b32 s52, -1
	s_mov_b32 s4, -1
                                        ; implicit-def: $vgpr6_vgpr7
                                        ; implicit-def: $vgpr4_vgpr5
	s_branch .LBB127_234
.LBB127_239:                            ;   in Loop: Header=BB127_45 Depth=1
	s_or_b32 exec_lo, exec_lo, s13
	s_delay_alu instid0(SALU_CYCLE_1)
	s_and_not1_b32 s4, s12, exec_lo
	s_and_b32 s10, s23, exec_lo
	s_wait_alu 0xfffe
	s_or_b32 s12, s4, s10
.LBB127_240:                            ;   in Loop: Header=BB127_45 Depth=1
	s_or_b32 exec_lo, exec_lo, s5
	s_mov_b32 s23, 0
	s_mov_b32 s68, -1
.LBB127_241:                            ;   in Loop: Header=BB127_45 Depth=1
	s_wait_alu 0xfffe
	s_or_not1_b32 s4, s12, exec_lo
.LBB127_242:                            ;   in Loop: Header=BB127_45 Depth=1
	s_wait_alu 0xfffe
	s_or_b32 exec_lo, exec_lo, s70
	s_mov_b32 s5, 0
	s_and_saveexec_b32 s12, s4
	s_cbranch_execz .LBB127_302
; %bb.243:                              ;   in Loop: Header=BB127_45 Depth=1
	v_mov_b32_e32 v4, 1
	v_dual_mov_b32 v5, 0 :: v_dual_mov_b32 v14, 1
	s_xor_b32 s10, s69, -1
	s_wait_alu 0xfffe
	s_and_saveexec_b32 s4, s10
	s_cbranch_execz .LBB127_252
; %bb.244:                              ;   in Loop: Header=BB127_45 Depth=1
	s_mov_b32 s5, exec_lo
	v_cmpx_ge_u64_e64 s[8:9], v[2:3]
	s_wait_alu 0xfffe
	s_xor_b32 s5, exec_lo, s5
	s_cbranch_execz .LBB127_249
; %bb.245:                              ;   in Loop: Header=BB127_45 Depth=1
	ds_load_b64 v[4:5], v15 offset:5120
	s_lshl_b32 s10, 2, s89
	v_or_b32_e32 v50, s14, v50
	s_wait_alu 0xfffe
	v_and_or_b32 v45, v45, s18, s10
	s_wait_dscnt 0x0
	v_cmp_ne_u64_e32 vcc_lo, 0, v[4:5]
	s_cbranch_vccnz .LBB127_249
; %bb.246:                              ;   in Loop: Header=BB127_45 Depth=1
	s_and_saveexec_b32 s10, s3
; %bb.247:                              ;   in Loop: Header=BB127_45 Depth=1
	v_dual_mov_b32 v4, s8 :: v_dual_mov_b32 v5, s9
	ds_store_b64 v15, v[4:5] offset:5128
; %bb.248:                              ;   in Loop: Header=BB127_45 Depth=1
	s_wait_alu 0xfffe
	s_or_b32 exec_lo, exec_lo, s10
	s_wait_loadcnt_dscnt 0x0
	s_barrier_signal -1
	s_barrier_wait -1
	global_inv scope:SCOPE_SE
.LBB127_249:                            ;   in Loop: Header=BB127_45 Depth=1
	s_wait_alu 0xfffe
	s_or_saveexec_b32 s5, s5
	v_mov_b32_e32 v14, 8
	s_mov_b32 s10, 0
	s_wait_alu 0xfffe
	s_xor_b32 exec_lo, exec_lo, s5
; %bb.250:                              ;   in Loop: Header=BB127_45 Depth=1
	v_sub_co_u32 v2, vcc_lo, v2, s8
	s_wait_alu 0xfffd
	v_subrev_co_ci_u32_e64 v3, null, s9, v3, vcc_lo
	v_mov_b32_e32 v14, 0
	s_mov_b32 s10, exec_lo
; %bb.251:                              ;   in Loop: Header=BB127_45 Depth=1
	s_or_b32 exec_lo, exec_lo, s5
	s_delay_alu instid0(VALU_DEP_2)
	v_dual_mov_b32 v5, v3 :: v_dual_mov_b32 v4, v2
	s_wait_alu 0xfffe
	s_and_b32 s5, s10, exec_lo
.LBB127_252:                            ;   in Loop: Header=BB127_45 Depth=1
	s_wait_alu 0xfffe
	s_or_b32 exec_lo, exec_lo, s4
	s_mov_b32 s4, -1
                                        ; implicit-def: $sgpr71
                                        ; implicit-def: $sgpr70
	s_and_saveexec_b32 s13, s5
	s_cbranch_execz .LBB127_301
; %bb.253:                              ;   in Loop: Header=BB127_45 Depth=1
	v_cmp_eq_u64_e32 vcc_lo, 1, v[4:5]
	s_cmp_eq_u64 s[6:7], 1
	s_mov_b32 s5, -1
	s_cselect_b32 s4, -1, 0
                                        ; implicit-def: $sgpr71
                                        ; implicit-def: $sgpr70
	s_wait_alu 0xfffe
	s_and_b32 s18, s4, vcc_lo
	s_wait_alu 0xfffe
	s_and_saveexec_b32 s69, s18
	s_cbranch_execz .LBB127_289
; %bb.254:                              ;   in Loop: Header=BB127_45 Depth=1
	ds_load_b64 v[2:3], v15 offset:5120
	s_wait_loadcnt_dscnt 0x0
	s_barrier_signal -1
	s_barrier_wait -1
	global_inv scope:SCOPE_SE
	v_readfirstlane_b32 s4, v2
	v_readfirstlane_b32 s5, v3
	s_and_saveexec_b32 s8, s0
; %bb.255:                              ;   in Loop: Header=BB127_45 Depth=1
	ds_store_b32 v42, v15
; %bb.256:                              ;   in Loop: Header=BB127_45 Depth=1
	s_wait_alu 0xfffe
	s_or_b32 exec_lo, exec_lo, s8
	v_or_b32_e32 v45, s14, v45
	v_or_b32_e32 v50, s14, v50
	s_mov_b32 s70, -1
	s_mov_b32 s71, 0
	s_cmp_eq_u64 s[4:5], 0
	s_mov_b32 s10, 0
	s_mov_b32 s11, -1
	s_wait_loadcnt_dscnt 0x0
	s_barrier_signal -1
	s_barrier_wait -1
	global_inv scope:SCOPE_SE
                                        ; implicit-def: $vgpr28
	s_cbranch_scc1 .LBB127_273
; %bb.257:                              ;   in Loop: Header=BB127_45 Depth=1
	s_add_nc_u64 s[8:9], s[4:5], s[56:57]
	s_mov_b32 s10, s53
	s_wait_alu 0xfffe
	s_mov_b32 s11, s9
	s_wait_alu 0xfffe
	s_cmp_lg_u64 s[10:11], 0
	s_cbranch_scc0 .LBB127_308
; %bb.258:                              ;   in Loop: Header=BB127_45 Depth=1
	s_cvt_f32_u32 s10, s46
	s_sub_nc_u64 s[72:73], 0, s[46:47]
	s_wait_alu 0xfffe
	s_delay_alu instid0(SALU_CYCLE_1) | instskip(SKIP_1) | instid1(SALU_CYCLE_2)
	s_fmamk_f32 s10, s91, 0x0, s10
	s_wait_alu 0xfffe
	v_s_rcp_f32 s10, s10
	s_delay_alu instid0(TRANS32_DEP_1) | instskip(SKIP_1) | instid1(SALU_CYCLE_2)
	s_mul_f32 s10, s10, 0x5f7ffffc
	s_wait_alu 0xfffe
	s_mul_f32 s11, s10, 0x2f800000
	s_wait_alu 0xfffe
	s_delay_alu instid0(SALU_CYCLE_2) | instskip(SKIP_1) | instid1(SALU_CYCLE_2)
	s_trunc_f32 s11, s11
	s_wait_alu 0xfffe
	s_fmamk_f32 s10, s11, 0xcf800000, s10
	s_cvt_u32_f32 s11, s11
	s_wait_alu 0xfffe
	s_delay_alu instid0(SALU_CYCLE_1) | instskip(SKIP_1) | instid1(SALU_CYCLE_2)
	s_cvt_u32_f32 s10, s10
	s_wait_alu 0xfffe
	s_mul_u64 s[74:75], s[72:73], s[10:11]
	s_wait_alu 0xfffe
	s_mul_hi_u32 s77, s10, s75
	s_mul_i32 s76, s10, s75
	s_mul_hi_u32 s52, s10, s74
	s_mul_i32 s79, s11, s74
	s_wait_alu 0xfffe
	s_add_nc_u64 s[76:77], s[52:53], s[76:77]
	s_mul_hi_u32 s78, s11, s74
	s_mul_hi_u32 s80, s11, s75
	s_wait_alu 0xfffe
	s_add_co_u32 s52, s76, s79
	s_add_co_ci_u32 s52, s77, s78
	s_mul_i32 s74, s11, s75
	s_add_co_ci_u32 s75, s80, 0
	s_wait_alu 0xfffe
	s_add_nc_u64 s[74:75], s[52:53], s[74:75]
	s_wait_alu 0xfffe
	s_add_co_u32 s10, s10, s74
	s_cselect_b32 s52, -1, 0
	s_wait_alu 0xfffe
	s_cmp_lg_u32 s52, 0
	s_add_co_ci_u32 s11, s11, s75
	s_wait_alu 0xfffe
	s_mul_u64 s[72:73], s[72:73], s[10:11]
	s_wait_alu 0xfffe
	s_mul_hi_u32 s75, s10, s73
	s_mul_i32 s74, s10, s73
	s_mul_hi_u32 s52, s10, s72
	s_mul_i32 s77, s11, s72
	s_wait_alu 0xfffe
	s_add_nc_u64 s[74:75], s[52:53], s[74:75]
	s_mul_hi_u32 s76, s11, s72
	s_mul_hi_u32 s78, s11, s73
	s_wait_alu 0xfffe
	s_add_co_u32 s52, s74, s77
	s_add_co_ci_u32 s52, s75, s76
	s_mul_i32 s72, s11, s73
	s_add_co_ci_u32 s73, s78, 0
	s_wait_alu 0xfffe
	s_add_nc_u64 s[72:73], s[52:53], s[72:73]
	s_wait_alu 0xfffe
	s_add_co_u32 s10, s10, s72
	s_cselect_b32 s72, -1, 0
	s_wait_alu 0xfffe
	s_mul_hi_u32 s52, s8, s10
	s_cmp_lg_u32 s72, 0
	s_mul_hi_u32 s74, s9, s10
	s_add_co_ci_u32 s72, s11, s73
	s_mul_i32 s73, s9, s10
	s_wait_alu 0xfffe
	s_mul_hi_u32 s11, s8, s72
	s_mul_i32 s10, s8, s72
	s_mul_hi_u32 s75, s9, s72
	s_wait_alu 0xfffe
	s_add_nc_u64 s[10:11], s[52:53], s[10:11]
	s_mul_i32 s72, s9, s72
	s_wait_alu 0xfffe
	s_add_co_u32 s10, s10, s73
	s_add_co_ci_u32 s52, s11, s74
	s_add_co_ci_u32 s73, s75, 0
	s_wait_alu 0xfffe
	s_add_nc_u64 s[10:11], s[52:53], s[72:73]
	s_wait_alu 0xfffe
	s_mul_u64 s[10:11], s[46:47], s[10:11]
	s_wait_alu 0xfffe
	s_sub_co_u32 s10, s8, s10
	s_cselect_b32 s52, -1, 0
	s_wait_alu 0xfffe
	s_cmp_lg_u32 s52, 0
	s_sub_co_ci_u32 s11, s9, s11
	s_sub_co_u32 s52, s10, s46
	s_cselect_b32 s72, -1, 0
	s_wait_alu 0xfffe
	s_cmp_lg_u32 s72, 0
	s_sub_co_ci_u32 s72, s11, 0
	;; [unrolled: 5-line block ×3, first 2 shown]
	s_cmp_ge_u32 s52, s46
	s_cselect_b32 s75, -1, 0
	s_cmp_eq_u32 s72, 0
	s_wait_alu 0xfffe
	s_cselect_b32 s75, s75, -1
	s_wait_alu 0xfffe
	s_cmp_lg_u32 s75, 0
	s_cselect_b32 s72, s74, s72
	s_cselect_b32 s52, s73, s52
	s_cmp_ge_u32 s10, s46
	s_cselect_b32 s73, -1, 0
	s_cmp_eq_u32 s11, 0
	s_wait_alu 0xfffe
	s_cselect_b32 s73, s73, -1
	s_wait_alu 0xfffe
	s_cmp_lg_u32 s73, 0
	s_cselect_b32 s11, s72, s11
	s_cselect_b32 s10, s52, s10
	s_cbranch_execnz .LBB127_260
.LBB127_259:                            ;   in Loop: Header=BB127_45 Depth=1
	v_cvt_f32_u32_e32 v2, s46
	s_sub_co_i32 s11, 0, s46
	s_delay_alu instid0(VALU_DEP_1) | instskip(NEXT) | instid1(TRANS32_DEP_1)
	v_rcp_iflag_f32_e32 v2, v2
	v_mul_f32_e32 v2, 0x4f7ffffe, v2
	s_delay_alu instid0(VALU_DEP_1) | instskip(NEXT) | instid1(VALU_DEP_1)
	v_cvt_u32_f32_e32 v2, v2
	v_readfirstlane_b32 s10, v2
	s_wait_alu 0xfffe
	s_mul_i32 s11, s11, s10
	s_wait_alu 0xfffe
	s_mul_hi_u32 s11, s10, s11
	s_wait_alu 0xfffe
	s_add_co_i32 s10, s10, s11
	s_wait_alu 0xfffe
	s_mul_hi_u32 s10, s8, s10
	s_wait_alu 0xfffe
	s_mul_i32 s10, s10, s46
	s_wait_alu 0xfffe
	s_sub_co_i32 s10, s8, s10
	s_wait_alu 0xfffe
	s_sub_co_i32 s11, s10, s46
	s_cmp_ge_u32 s10, s46
	s_wait_alu 0xfffe
	s_cselect_b32 s10, s11, s10
	s_wait_alu 0xfffe
	s_sub_co_i32 s11, s10, s46
	s_cmp_ge_u32 s10, s46
	s_wait_alu 0xfffe
	s_cselect_b32 s52, s11, s10
	s_wait_alu 0xfffe
	s_mov_b64 s[10:11], s[52:53]
.LBB127_260:                            ;   in Loop: Header=BB127_45 Depth=1
	s_wait_alu 0xfffe
	s_sub_nc_u64 s[8:9], s[8:9], s[10:11]
	s_mov_b32 s11, 0
	s_mov_b32 s10, 0
	s_mov_b32 s52, exec_lo
                                        ; implicit-def: $vgpr28
	s_wait_alu 0xfffe
	v_cmpx_gt_u64_e64 s[8:9], v[0:1]
	s_cbranch_execz .LBB127_272
; %bb.261:                              ;   in Loop: Header=BB127_45 Depth=1
	v_dual_mov_b32 v6, v12 :: v_dual_mov_b32 v3, v1
	v_mov_b32_e32 v2, v0
                                        ; implicit-def: $sgpr72
	s_branch .LBB127_265
.LBB127_262:                            ;   in Loop: Header=BB127_265 Depth=2
	s_wait_alu 0xfffe
	s_or_b32 exec_lo, exec_lo, s73
	s_wait_loadcnt_dscnt 0x0
	s_barrier_signal -1
	s_barrier_wait -1
	global_inv scope:SCOPE_SE
	ds_load_b64 v[27:28], v15 offset:3072
	s_wait_loadcnt_dscnt 0x0
	s_barrier_signal -1
	s_barrier_wait -1
	global_inv scope:SCOPE_SE
	v_cmp_neq_f32_e32 vcc_lo, 0, v27
	s_cbranch_vccnz .LBB127_268
; %bb.263:                              ;   in Loop: Header=BB127_265 Depth=2
	v_add_co_u32 v2, vcc_lo, v2, s46
	s_wait_alu 0xfffd
	v_add_co_ci_u32_e64 v3, null, 0, v3, vcc_lo
	v_add_nc_u32_e32 v6, s88, v6
	s_mov_b32 s73, 0
	s_delay_alu instid0(VALU_DEP_2)
	v_cmp_le_u64_e32 vcc_lo, s[8:9], v[2:3]
	s_or_not1_b32 s74, vcc_lo, exec_lo
.LBB127_264:                            ;   in Loop: Header=BB127_265 Depth=2
	s_wait_alu 0xfffe
	s_and_b32 s74, exec_lo, s74
	s_wait_alu 0xfffe
	s_or_b32 s10, s74, s10
	s_and_not1_b32 s72, s72, exec_lo
	s_and_b32 s73, s73, exec_lo
	s_wait_alu 0xfffe
	s_or_b32 s72, s72, s73
	s_and_not1_b32 exec_lo, exec_lo, s10
	s_cbranch_execz .LBB127_271
.LBB127_265:                            ;   Parent Loop BB127_45 Depth=1
                                        ; =>  This Inner Loop Header: Depth=2
	s_mov_b32 s73, exec_lo
	s_delay_alu instid0(VALU_DEP_1)
	v_cmpx_gt_u64_e64 s[4:5], v[2:3]
	s_cbranch_execz .LBB127_262
; %bb.266:                              ;   in Loop: Header=BB127_265 Depth=2
	ds_load_b32 v27, v6
	s_wait_dscnt 0x0
	v_cmp_lt_i32_e32 vcc_lo, -1, v27
	s_wait_alu 0xfffd
	v_cndmask_b32_e64 v7, -1, 0x80000000, vcc_lo
	v_cmp_o_f32_e32 vcc_lo, v27, v27
	s_delay_alu instid0(VALU_DEP_2) | instskip(SKIP_1) | instid1(VALU_DEP_1)
	v_xor_b32_e32 v7, v7, v27
	s_wait_alu 0xfffd
	v_cndmask_b32_e32 v7, -1, v7, vcc_lo
	s_delay_alu instid0(VALU_DEP_1) | instskip(NEXT) | instid1(VALU_DEP_1)
	v_and_b32_e32 v7, v7, v50
	v_cmp_eq_u32_e32 vcc_lo, v7, v45
	s_and_b32 exec_lo, exec_lo, vcc_lo
	s_cbranch_execz .LBB127_262
; %bb.267:                              ;   in Loop: Header=BB127_265 Depth=2
	ds_store_b64 v15, v[26:27] offset:3072
	s_branch .LBB127_262
.LBB127_268:                            ;   in Loop: Header=BB127_265 Depth=2
	s_mov_b32 s74, -1
	s_mov_b32 s73, -1
                                        ; implicit-def: $vgpr2_vgpr3
                                        ; implicit-def: $vgpr6
	s_branch .LBB127_264
.LBB127_269:                            ;   in Loop: Header=BB127_45 Depth=1
                                        ; implicit-def: $sgpr12_sgpr13
	s_branch .LBB127_212
.LBB127_270:                            ;   in Loop: Header=BB127_45 Depth=1
                                        ; implicit-def: $sgpr4_sgpr5
	s_branch .LBB127_229
.LBB127_271:                            ;   in Loop: Header=BB127_45 Depth=1
	s_or_b32 exec_lo, exec_lo, s10
	s_wait_alu 0xfffe
	s_and_b32 s10, s72, exec_lo
.LBB127_272:                            ;   in Loop: Header=BB127_45 Depth=1
	s_or_b32 exec_lo, exec_lo, s52
.LBB127_273:                            ;   in Loop: Header=BB127_45 Depth=1
	s_wait_alu 0xfffe
	s_and_b32 vcc_lo, exec_lo, s11
	s_wait_alu 0xfffe
	s_cbranch_vccz .LBB127_288
; %bb.274:                              ;   in Loop: Header=BB127_45 Depth=1
	s_mov_b32 s4, s53
	s_mov_b32 s5, s59
	s_wait_alu 0xfffe
	s_cmp_lg_u64 s[4:5], 0
	s_cbranch_scc0 .LBB127_309
; %bb.275:                              ;   in Loop: Header=BB127_45 Depth=1
	s_cvt_f32_u32 s4, s46
	s_sub_nc_u64 s[8:9], 0, s[46:47]
	s_wait_alu 0xfffe
	s_delay_alu instid0(SALU_CYCLE_1) | instskip(SKIP_1) | instid1(SALU_CYCLE_2)
	s_fmamk_f32 s4, s91, 0x0, s4
	s_wait_alu 0xfffe
	v_s_rcp_f32 s4, s4
	s_delay_alu instid0(TRANS32_DEP_1) | instskip(SKIP_1) | instid1(SALU_CYCLE_2)
	s_mul_f32 s4, s4, 0x5f7ffffc
	s_wait_alu 0xfffe
	s_mul_f32 s5, s4, 0x2f800000
	s_wait_alu 0xfffe
	s_delay_alu instid0(SALU_CYCLE_2) | instskip(SKIP_1) | instid1(SALU_CYCLE_2)
	s_trunc_f32 s5, s5
	s_wait_alu 0xfffe
	s_fmamk_f32 s4, s5, 0xcf800000, s4
	s_cvt_u32_f32 s5, s5
	s_wait_alu 0xfffe
	s_delay_alu instid0(SALU_CYCLE_1) | instskip(SKIP_1) | instid1(SALU_CYCLE_2)
	s_cvt_u32_f32 s4, s4
	s_wait_alu 0xfffe
	s_mul_u64 s[70:71], s[8:9], s[4:5]
	s_wait_alu 0xfffe
	s_mul_hi_u32 s73, s4, s71
	s_mul_i32 s72, s4, s71
	s_mul_hi_u32 s52, s4, s70
	s_mul_i32 s74, s5, s70
	s_wait_alu 0xfffe
	s_add_nc_u64 s[72:73], s[52:53], s[72:73]
	s_mul_hi_u32 s11, s5, s70
	s_mul_hi_u32 s75, s5, s71
	s_wait_alu 0xfffe
	s_add_co_u32 s52, s72, s74
	s_add_co_ci_u32 s52, s73, s11
	s_mul_i32 s70, s5, s71
	s_add_co_ci_u32 s71, s75, 0
	s_wait_alu 0xfffe
	s_add_nc_u64 s[70:71], s[52:53], s[70:71]
	s_wait_alu 0xfffe
	s_add_co_u32 s4, s4, s70
	s_cselect_b32 s11, -1, 0
	s_wait_alu 0xfffe
	s_cmp_lg_u32 s11, 0
	s_add_co_ci_u32 s5, s5, s71
	s_wait_alu 0xfffe
	s_mul_u64 s[8:9], s[8:9], s[4:5]
	s_wait_alu 0xfffe
	s_mul_hi_u32 s71, s4, s9
	s_mul_i32 s70, s4, s9
	s_mul_hi_u32 s52, s4, s8
	s_mul_i32 s72, s5, s8
	s_wait_alu 0xfffe
	s_add_nc_u64 s[70:71], s[52:53], s[70:71]
	s_mul_hi_u32 s11, s5, s8
	s_mul_hi_u32 s73, s5, s9
	s_mul_i32 s8, s5, s9
	s_wait_alu 0xfffe
	s_add_co_u32 s9, s70, s72
	s_add_co_ci_u32 s52, s71, s11
	s_add_co_ci_u32 s9, s73, 0
	s_wait_alu 0xfffe
	s_add_nc_u64 s[8:9], s[52:53], s[8:9]
	s_wait_alu 0xfffe
	s_add_co_u32 s4, s4, s8
	s_cselect_b32 s8, -1, 0
	s_wait_alu 0xfffe
	s_mul_hi_u32 s52, s58, s4
	s_cmp_lg_u32 s8, 0
	s_mul_hi_u32 s11, s59, s4
	s_add_co_ci_u32 s8, s5, s9
	s_mul_i32 s9, s59, s4
	s_wait_alu 0xfffe
	s_mul_hi_u32 s5, s58, s8
	s_mul_i32 s4, s58, s8
	s_mul_hi_u32 s70, s59, s8
	s_wait_alu 0xfffe
	s_add_nc_u64 s[4:5], s[52:53], s[4:5]
	s_mul_i32 s8, s59, s8
	s_wait_alu 0xfffe
	s_add_co_u32 s4, s4, s9
	s_add_co_ci_u32 s52, s5, s11
	s_add_co_ci_u32 s9, s70, 0
	s_wait_alu 0xfffe
	s_add_nc_u64 s[4:5], s[52:53], s[8:9]
	s_wait_alu 0xfffe
	s_mul_u64 s[4:5], s[46:47], s[4:5]
	s_wait_alu 0xfffe
	s_sub_co_u32 s4, s58, s4
	s_cselect_b32 s8, -1, 0
	s_wait_alu 0xfffe
	s_cmp_lg_u32 s8, 0
	s_sub_co_ci_u32 s5, s59, s5
	s_sub_co_u32 s8, s4, s46
	s_cselect_b32 s9, -1, 0
	s_wait_alu 0xfffe
	s_cmp_lg_u32 s9, 0
	s_sub_co_ci_u32 s9, s5, 0
	s_sub_co_u32 s11, s8, s46
	s_cselect_b32 s52, -1, 0
	s_wait_alu 0xfffe
	s_cmp_lg_u32 s52, 0
	s_sub_co_ci_u32 s52, s9, 0
	s_cmp_ge_u32 s8, s46
	s_cselect_b32 s70, -1, 0
	s_cmp_eq_u32 s9, 0
	s_wait_alu 0xfffe
	s_cselect_b32 s70, s70, -1
	s_wait_alu 0xfffe
	s_cmp_lg_u32 s70, 0
	s_cselect_b32 s9, s52, s9
	s_cselect_b32 s8, s11, s8
	s_cmp_ge_u32 s4, s46
	s_cselect_b32 s11, -1, 0
	s_cmp_eq_u32 s5, 0
	s_wait_alu 0xfffe
	s_cselect_b32 s11, s11, -1
	s_wait_alu 0xfffe
	s_cmp_lg_u32 s11, 0
	s_cselect_b32 s5, s9, s5
	s_cselect_b32 s4, s8, s4
	s_cbranch_execnz .LBB127_277
.LBB127_276:                            ;   in Loop: Header=BB127_45 Depth=1
	v_cvt_f32_u32_e32 v2, s46
	s_sub_co_i32 s5, 0, s46
	s_delay_alu instid0(VALU_DEP_1) | instskip(NEXT) | instid1(TRANS32_DEP_1)
	v_rcp_iflag_f32_e32 v2, v2
	v_mul_f32_e32 v2, 0x4f7ffffe, v2
	s_delay_alu instid0(VALU_DEP_1) | instskip(NEXT) | instid1(VALU_DEP_1)
	v_cvt_u32_f32_e32 v2, v2
	v_readfirstlane_b32 s4, v2
	s_wait_alu 0xfffe
	s_mul_i32 s5, s5, s4
	s_wait_alu 0xfffe
	s_mul_hi_u32 s5, s4, s5
	s_wait_alu 0xfffe
	s_add_co_i32 s4, s4, s5
	s_wait_alu 0xfffe
	s_mul_hi_u32 s4, s58, s4
	s_wait_alu 0xfffe
	s_mul_i32 s4, s4, s46
	s_wait_alu 0xfffe
	s_sub_co_i32 s4, s58, s4
	s_wait_alu 0xfffe
	s_sub_co_i32 s5, s4, s46
	s_cmp_ge_u32 s4, s46
	s_wait_alu 0xfffe
	s_cselect_b32 s4, s5, s4
	s_wait_alu 0xfffe
	s_sub_co_i32 s5, s4, s46
	s_cmp_ge_u32 s4, s46
	s_wait_alu 0xfffe
	s_cselect_b32 s52, s5, s4
	s_wait_alu 0xfffe
	s_mov_b64 s[4:5], s[52:53]
.LBB127_277:                            ;   in Loop: Header=BB127_45 Depth=1
	s_wait_alu 0xfffe
	s_sub_nc_u64 s[8:9], s[58:59], s[4:5]
	s_mov_b32 s5, exec_lo
                                        ; implicit-def: $vgpr28
	s_wait_alu 0xfffe
	v_cmpx_gt_u64_e64 s[8:9], v[0:1]
	s_cbranch_execz .LBB127_287
; %bb.278:                              ;   in Loop: Header=BB127_45 Depth=1
	v_dual_mov_b32 v2, v10 :: v_dual_mov_b32 v3, v11
	v_dual_mov_b32 v7, v1 :: v_dual_mov_b32 v6, v0
	s_mov_b32 s11, 0
                                        ; implicit-def: $sgpr52
	s_branch .LBB127_282
.LBB127_279:                            ;   in Loop: Header=BB127_282 Depth=2
	s_wait_alu 0xfffe
	s_or_b32 exec_lo, exec_lo, s4
	s_wait_loadcnt_dscnt 0x0
	s_barrier_signal -1
	s_barrier_wait -1
	global_inv scope:SCOPE_SE
	ds_load_b64 v[27:28], v15 offset:3072
	s_wait_loadcnt_dscnt 0x0
	s_barrier_signal -1
	s_barrier_wait -1
	global_inv scope:SCOPE_SE
	v_cmp_eq_f32_e32 vcc_lo, 0, v27
	s_cbranch_vccz .LBB127_285
; %bb.280:                              ;   in Loop: Header=BB127_282 Depth=2
	v_add_co_u32 v6, vcc_lo, v6, s46
	s_wait_alu 0xfffd
	v_add_co_ci_u32_e64 v7, null, 0, v7, vcc_lo
	v_add_co_u32 v2, s4, v2, s50
	s_wait_alu 0xf1ff
	v_add_co_ci_u32_e64 v3, null, s51, v3, s4
	s_delay_alu instid0(VALU_DEP_3)
	v_cmp_le_u64_e32 vcc_lo, s[8:9], v[6:7]
	s_mov_b32 s4, 0
	s_or_not1_b32 s70, vcc_lo, exec_lo
.LBB127_281:                            ;   in Loop: Header=BB127_282 Depth=2
	s_wait_alu 0xfffe
	s_and_b32 s70, exec_lo, s70
	s_wait_alu 0xfffe
	s_or_b32 s11, s70, s11
	s_and_not1_b32 s52, s52, exec_lo
	s_and_b32 s4, s4, exec_lo
	s_wait_alu 0xfffe
	s_or_b32 s52, s52, s4
	s_and_not1_b32 exec_lo, exec_lo, s11
	s_cbranch_execz .LBB127_286
.LBB127_282:                            ;   Parent Loop BB127_45 Depth=1
                                        ; =>  This Inner Loop Header: Depth=2
	s_mov_b32 s4, exec_lo
	s_delay_alu instid0(VALU_DEP_1)
	v_cmpx_gt_u64_e64 s[24:25], v[6:7]
	s_cbranch_execz .LBB127_279
; %bb.283:                              ;   in Loop: Header=BB127_282 Depth=2
	global_load_b32 v27, v[2:3], off
	s_wait_loadcnt 0x0
	v_cmp_lt_i32_e32 vcc_lo, -1, v27
	s_wait_alu 0xfffd
	v_cndmask_b32_e64 v8, -1, 0x80000000, vcc_lo
	v_cmp_o_f32_e32 vcc_lo, v27, v27
	s_delay_alu instid0(VALU_DEP_2) | instskip(SKIP_1) | instid1(VALU_DEP_1)
	v_xor_b32_e32 v8, v8, v27
	s_wait_alu 0xfffd
	v_cndmask_b32_e32 v8, -1, v8, vcc_lo
	s_delay_alu instid0(VALU_DEP_1) | instskip(NEXT) | instid1(VALU_DEP_1)
	v_and_b32_e32 v8, v8, v50
	v_cmp_eq_u32_e32 vcc_lo, v8, v45
	s_and_b32 exec_lo, exec_lo, vcc_lo
	s_cbranch_execz .LBB127_279
; %bb.284:                              ;   in Loop: Header=BB127_282 Depth=2
	ds_store_b64 v15, v[26:27] offset:3072
	s_branch .LBB127_279
.LBB127_285:                            ;   in Loop: Header=BB127_282 Depth=2
	s_mov_b32 s70, -1
	s_mov_b32 s4, -1
                                        ; implicit-def: $vgpr6_vgpr7
                                        ; implicit-def: $vgpr2_vgpr3
	s_branch .LBB127_281
.LBB127_286:                            ;   in Loop: Header=BB127_45 Depth=1
	s_or_b32 exec_lo, exec_lo, s11
	s_delay_alu instid0(SALU_CYCLE_1)
	s_and_not1_b32 s4, s10, exec_lo
	s_wait_alu 0xfffe
	s_and_b32 s8, s52, exec_lo
	s_wait_alu 0xfffe
	s_or_b32 s10, s4, s8
.LBB127_287:                            ;   in Loop: Header=BB127_45 Depth=1
	s_or_b32 exec_lo, exec_lo, s5
	s_mov_b32 s70, 0
	s_mov_b32 s71, -1
.LBB127_288:                            ;   in Loop: Header=BB127_45 Depth=1
	s_wait_alu 0xfffe
	s_or_not1_b32 s5, s10, exec_lo
.LBB127_289:                            ;   in Loop: Header=BB127_45 Depth=1
	s_wait_alu 0xfffe
	s_or_b32 exec_lo, exec_lo, s69
	s_mov_b32 s8, 0
	s_and_saveexec_b32 s4, s5
	s_cbranch_execz .LBB127_300
; %bb.290:                              ;   in Loop: Header=BB127_45 Depth=1
	v_mov_b32_e32 v2, 1
	v_dual_mov_b32 v3, 0 :: v_dual_mov_b32 v14, 1
	s_xor_b32 s8, s18, -1
	s_wait_alu 0xfffe
	s_and_saveexec_b32 s5, s8
	s_cbranch_execz .LBB127_299
; %bb.291:                              ;   in Loop: Header=BB127_45 Depth=1
	s_mov_b32 s8, exec_lo
	v_cmpx_ge_u64_e64 s[6:7], v[4:5]
	s_wait_alu 0xfffe
	s_xor_b32 s8, exec_lo, s8
	s_cbranch_execz .LBB127_296
; %bb.292:                              ;   in Loop: Header=BB127_45 Depth=1
	ds_load_b64 v[2:3], v15 offset:5120
	v_or_b32_e32 v45, s14, v45
	v_or_b32_e32 v50, s14, v50
	s_wait_dscnt 0x0
	v_cmp_ne_u64_e32 vcc_lo, 0, v[2:3]
	s_cbranch_vccnz .LBB127_296
; %bb.293:                              ;   in Loop: Header=BB127_45 Depth=1
	s_and_saveexec_b32 s9, s3
; %bb.294:                              ;   in Loop: Header=BB127_45 Depth=1
	v_dual_mov_b32 v2, s6 :: v_dual_mov_b32 v3, s7
	ds_store_b64 v15, v[2:3] offset:5128
; %bb.295:                              ;   in Loop: Header=BB127_45 Depth=1
	s_wait_alu 0xfffe
	s_or_b32 exec_lo, exec_lo, s9
	s_wait_loadcnt_dscnt 0x0
	s_barrier_signal -1
	s_barrier_wait -1
	global_inv scope:SCOPE_SE
.LBB127_296:                            ;   in Loop: Header=BB127_45 Depth=1
	s_wait_alu 0xfffe
	s_and_not1_saveexec_b32 s8, s8
; %bb.297:                              ;   in Loop: Header=BB127_45 Depth=1
	v_sub_co_u32 v4, vcc_lo, v4, s6
	s_wait_alu 0xfffd
	v_subrev_co_ci_u32_e64 v5, null, s7, v5, vcc_lo
; %bb.298:                              ;   in Loop: Header=BB127_45 Depth=1
	s_wait_alu 0xfffe
	s_or_b32 exec_lo, exec_lo, s8
	v_mov_b32_e32 v2, v4
	s_delay_alu instid0(VALU_DEP_2)
	v_dual_mov_b32 v14, 8 :: v_dual_mov_b32 v3, v5
.LBB127_299:                            ;   in Loop: Header=BB127_45 Depth=1
	s_wait_alu 0xfffe
	s_or_b32 exec_lo, exec_lo, s5
	s_delay_alu instid0(VALU_DEP_1)
	v_dual_mov_b32 v5, v3 :: v_dual_mov_b32 v4, v2
	s_mov_b32 s8, exec_lo
.LBB127_300:                            ;   in Loop: Header=BB127_45 Depth=1
	s_wait_alu 0xfffe
	s_or_b32 exec_lo, exec_lo, s4
	s_delay_alu instid0(SALU_CYCLE_1)
	s_or_not1_b32 s4, s8, exec_lo
.LBB127_301:                            ;   in Loop: Header=BB127_45 Depth=1
	s_wait_alu 0xfffe
	s_or_b32 exec_lo, exec_lo, s13
	v_dual_mov_b32 v2, v4 :: v_dual_mov_b32 v3, v5
	s_and_not1_b32 s5, s68, exec_lo
	s_and_b32 s6, s71, exec_lo
	s_and_not1_b32 s7, s23, exec_lo
	s_and_b32 s8, s70, exec_lo
	s_wait_alu 0xfffe
	s_or_b32 s68, s5, s6
	s_or_b32 s23, s7, s8
	s_and_b32 s5, s4, exec_lo
.LBB127_302:                            ;   in Loop: Header=BB127_45 Depth=1
	s_wait_alu 0xfffe
	s_or_b32 exec_lo, exec_lo, s12
	s_delay_alu instid0(SALU_CYCLE_1)
	s_or_not1_b32 s4, s5, exec_lo
.LBB127_303:                            ;   in Loop: Header=BB127_45 Depth=1
	s_or_b32 exec_lo, exec_lo, s22
	v_dual_mov_b32 v7, v3 :: v_dual_mov_b32 v6, v2
	s_and_not1_b32 s5, s20, exec_lo
	s_and_b32 s6, s68, exec_lo
	s_and_not1_b32 s7, s19, exec_lo
	s_and_b32 s8, s23, exec_lo
	s_wait_alu 0xfffe
	s_or_b32 s20, s5, s6
	s_or_b32 s19, s7, s8
	s_and_b32 s5, s4, exec_lo
.LBB127_304:                            ;   in Loop: Header=BB127_45 Depth=1
	s_or_b32 exec_lo, exec_lo, s21
	s_wait_alu 0xfffe
	s_or_not1_b32 s4, s5, exec_lo
.LBB127_305:                            ;   in Loop: Header=BB127_45 Depth=1
	s_wait_alu 0xfffe
	s_or_b32 exec_lo, exec_lo, s17
	s_mov_b32 s5, 0
	s_and_saveexec_b32 s6, s4
	s_wait_alu 0xfffe
	s_xor_b32 s4, exec_lo, s6
	s_cbranch_execz .LBB127_43
; %bb.306:                              ;   in Loop: Header=BB127_45 Depth=1
	v_and_b32_e32 v2, 7, v14
	s_mov_b32 s6, -1
	s_mov_b32 s5, -1
	s_mov_b32 s7, exec_lo
	s_delay_alu instid0(VALU_DEP_1)
	v_cmpx_eq_u32_e32 0, v2
	s_cbranch_execz .LBB127_42
; %bb.307:                              ;   in Loop: Header=BB127_45 Depth=1
	s_xor_b32 s92, s92, 1
	s_add_co_i32 s8, s89, -2
	s_cmp_eq_u32 s89, 0
	s_wait_alu 0xfffe
	s_mov_b32 s89, s8
	s_cselect_b32 s6, -1, 0
	s_xor_b32 s5, exec_lo, -1
	s_wait_alu 0xfffe
	s_or_not1_b32 s6, s6, exec_lo
	s_branch .LBB127_42
.LBB127_308:                            ;   in Loop: Header=BB127_45 Depth=1
                                        ; implicit-def: $sgpr10_sgpr11
	s_branch .LBB127_259
.LBB127_309:                            ;   in Loop: Header=BB127_45 Depth=1
                                        ; implicit-def: $sgpr4_sgpr5
	s_branch .LBB127_276
.LBB127_310:
	s_or_b32 exec_lo, exec_lo, s90
	s_xor_b32 s3, s98, -1
	s_xor_b32 s1, s96, -1
	;; [unrolled: 1-line block ×3, first 2 shown]
	s_mov_b32 s0, 0
	s_and_saveexec_b32 s5, s1
	s_wait_alu 0xfffe
	s_xor_b32 s1, exec_lo, s5
	s_cbranch_execnz .LBB127_315
; %bb.311:
	s_and_not1_saveexec_b32 s1, s1
	s_cbranch_execnz .LBB127_328
.LBB127_312:
	s_wait_alu 0xfffe
	s_or_b32 exec_lo, exec_lo, s1
	s_and_saveexec_b32 s1, s0
.LBB127_313:
	; divergent unreachable
.LBB127_314:
	s_endpgm
.LBB127_315:
	s_and_saveexec_b32 s0, s3
	s_delay_alu instid0(SALU_CYCLE_1)
	s_xor_b32 s3, exec_lo, s0
	s_cbranch_execz .LBB127_326
; %bb.316:
	s_and_saveexec_b32 s0, s4
	s_delay_alu instid0(SALU_CYCLE_1)
	s_xor_b32 s0, exec_lo, s0
; %bb.317:
	v_cmp_lt_i32_e32 vcc_lo, -1, v45
	s_wait_alu 0xfffd
	v_cndmask_b32_e64 v2, 0x80000000, -1, vcc_lo
	s_delay_alu instid0(VALU_DEP_1)
	v_xor_b32_e32 v28, v2, v45
; %bb.318:
	s_or_b32 exec_lo, exec_lo, s0
	s_mul_u64 s[4:5], s[38:39], s[34:35]
	v_mov_b32_e32 v2, 0
	s_wait_alu 0xfffe
	s_lshl_b64 s[4:5], s[4:5], 2
	s_lshl_b64 s[6:7], s[26:27], 2
	s_wait_alu 0xfffe
	s_add_nc_u64 s[4:5], s[44:45], s[4:5]
	s_wait_alu 0xfffe
	s_add_nc_u64 s[4:5], s[4:5], s[6:7]
	global_store_b32 v2, v28, s[4:5]
	s_and_saveexec_b32 s4, s2
	s_cbranch_execz .LBB127_325
; %bb.319:
	v_cmp_u_f32_e32 vcc_lo, v28, v28
	s_mov_b32 s2, 0
                                        ; implicit-def: $sgpr5
                                        ; implicit-def: $sgpr8
                                        ; implicit-def: $sgpr7
	s_xor_b32 s6, vcc_lo, -1
	s_branch .LBB127_321
.LBB127_320:                            ;   in Loop: Header=BB127_321 Depth=1
	s_wait_alu 0xfffe
	s_or_b32 exec_lo, exec_lo, s9
	s_delay_alu instid0(SALU_CYCLE_1)
	s_and_b32 s0, exec_lo, s8
	s_wait_alu 0xfffe
	s_or_b32 s2, s0, s2
	s_and_not1_b32 s0, s5, exec_lo
	s_and_b32 s5, s7, exec_lo
	s_wait_alu 0xfffe
	s_or_b32 s5, s0, s5
	s_and_not1_b32 exec_lo, exec_lo, s2
	s_cbranch_execz .LBB127_323
.LBB127_321:                            ; =>This Inner Loop Header: Depth=1
	global_load_b32 v2, v[10:11], off
	s_or_b32 s7, s7, exec_lo
	s_or_b32 s8, s8, exec_lo
	s_wait_loadcnt 0x0
	v_cmp_o_f32_e32 vcc_lo, v2, v2
	v_cmp_neq_f32_e64 s0, v2, v28
	v_dual_mov_b32 v3, v1 :: v_dual_mov_b32 v2, v0
                                        ; implicit-def: $vgpr0_vgpr1
	s_wait_alu 0xfffe
	s_or_b32 s9, vcc_lo, s6
	s_wait_alu 0xfffe
	s_and_b32 s0, s0, s9
	s_wait_alu 0xfffe
	s_and_saveexec_b32 s9, s0
	s_cbranch_execz .LBB127_320
; %bb.322:                              ;   in Loop: Header=BB127_321 Depth=1
	v_add_co_u32 v0, vcc_lo, v2, s46
	s_wait_alu 0xfffd
	v_add_co_ci_u32_e64 v1, null, 0, v3, vcc_lo
	v_add_co_u32 v10, s0, v10, s50
	s_wait_alu 0xf1ff
	v_add_co_ci_u32_e64 v11, null, s51, v11, s0
	s_delay_alu instid0(VALU_DEP_3)
	v_cmp_le_u64_e32 vcc_lo, s[24:25], v[0:1]
	s_and_not1_b32 s0, s8, exec_lo
	s_and_not1_b32 s7, s7, exec_lo
	s_and_b32 s8, vcc_lo, exec_lo
	s_wait_alu 0xfffe
	s_or_b32 s8, s0, s8
	s_branch .LBB127_320
.LBB127_323:
	s_or_b32 exec_lo, exec_lo, s2
	s_wait_alu 0xfffe
	s_and_saveexec_b32 s0, s5
	s_wait_alu 0xfffe
	s_xor_b32 s0, exec_lo, s0
	s_cbranch_execz .LBB127_325
; %bb.324:
	s_mul_u64 s[6:7], s[40:41], s[36:37]
	v_mov_b32_e32 v0, 0
	s_wait_alu 0xfffe
	s_lshl_b64 s[6:7], s[6:7], 3
	s_lshl_b64 s[8:9], s[30:31], 3
	s_wait_alu 0xfffe
	s_add_nc_u64 s[6:7], s[42:43], s[6:7]
	s_wait_alu 0xfffe
	s_add_nc_u64 s[6:7], s[6:7], s[8:9]
	global_store_b64 v0, v[2:3], s[6:7]
.LBB127_325:
	s_wait_alu 0xfffe
	s_or_b32 exec_lo, exec_lo, s4
.LBB127_326:
	s_wait_alu 0xfffe
	s_or_saveexec_b32 s0, s3
	s_mov_b32 s2, 0
	s_wait_alu 0xfffe
	s_xor_b32 exec_lo, exec_lo, s0
	s_cbranch_execnz .LBB127_329
.LBB127_327:
	s_or_b32 exec_lo, exec_lo, s0
	s_wait_alu 0xfffe
	s_and_b32 s0, s2, exec_lo
	s_and_not1_saveexec_b32 s1, s1
	s_cbranch_execz .LBB127_312
.LBB127_328:
	s_wait_alu 0xfffe
	s_or_b32 s0, s0, exec_lo
	s_trap 2
	s_or_b32 exec_lo, exec_lo, s1
	s_wait_alu 0xfffe
	s_and_saveexec_b32 s1, s0
	s_cbranch_execnz .LBB127_313
	s_branch .LBB127_314
.LBB127_329:
	s_mov_b32 s2, exec_lo
	s_trap 2
	s_branch .LBB127_327
	.section	.rodata,"a",@progbits
	.p2align	6, 0x0
	.amdhsa_kernel _ZN2at6native12_GLOBAL__N_112gatherMedianIfmLin1EEEvNS_4cuda6detail10TensorInfoIT_T0_EENS5_IlS7_EENS5_IKS6_S7_EES7_S7_S7_b
		.amdhsa_group_segment_fixed_size 5152
		.amdhsa_private_segment_fixed_size 0
		.amdhsa_kernarg_size 1536
		.amdhsa_user_sgpr_count 2
		.amdhsa_user_sgpr_dispatch_ptr 0
		.amdhsa_user_sgpr_queue_ptr 0
		.amdhsa_user_sgpr_kernarg_segment_ptr 1
		.amdhsa_user_sgpr_dispatch_id 0
		.amdhsa_user_sgpr_private_segment_size 0
		.amdhsa_wavefront_size32 1
		.amdhsa_uses_dynamic_stack 0
		.amdhsa_enable_private_segment 0
		.amdhsa_system_sgpr_workgroup_id_x 1
		.amdhsa_system_sgpr_workgroup_id_y 1
		.amdhsa_system_sgpr_workgroup_id_z 1
		.amdhsa_system_sgpr_workgroup_info 0
		.amdhsa_system_vgpr_workitem_id 0
		.amdhsa_next_free_vgpr 60
		.amdhsa_next_free_sgpr 100
		.amdhsa_reserve_vcc 1
		.amdhsa_float_round_mode_32 0
		.amdhsa_float_round_mode_16_64 0
		.amdhsa_float_denorm_mode_32 3
		.amdhsa_float_denorm_mode_16_64 3
		.amdhsa_fp16_overflow 0
		.amdhsa_workgroup_processor_mode 1
		.amdhsa_memory_ordered 1
		.amdhsa_forward_progress 1
		.amdhsa_inst_pref_size 164
		.amdhsa_round_robin_scheduling 0
		.amdhsa_exception_fp_ieee_invalid_op 0
		.amdhsa_exception_fp_denorm_src 0
		.amdhsa_exception_fp_ieee_div_zero 0
		.amdhsa_exception_fp_ieee_overflow 0
		.amdhsa_exception_fp_ieee_underflow 0
		.amdhsa_exception_fp_ieee_inexact 0
		.amdhsa_exception_int_div_zero 0
	.end_amdhsa_kernel
	.section	.text._ZN2at6native12_GLOBAL__N_112gatherMedianIfmLin1EEEvNS_4cuda6detail10TensorInfoIT_T0_EENS5_IlS7_EENS5_IKS6_S7_EES7_S7_S7_b,"axG",@progbits,_ZN2at6native12_GLOBAL__N_112gatherMedianIfmLin1EEEvNS_4cuda6detail10TensorInfoIT_T0_EENS5_IlS7_EENS5_IKS6_S7_EES7_S7_S7_b,comdat
.Lfunc_end127:
	.size	_ZN2at6native12_GLOBAL__N_112gatherMedianIfmLin1EEEvNS_4cuda6detail10TensorInfoIT_T0_EENS5_IlS7_EENS5_IKS6_S7_EES7_S7_S7_b, .Lfunc_end127-_ZN2at6native12_GLOBAL__N_112gatherMedianIfmLin1EEEvNS_4cuda6detail10TensorInfoIT_T0_EENS5_IlS7_EENS5_IKS6_S7_EES7_S7_S7_b
                                        ; -- End function
	.set _ZN2at6native12_GLOBAL__N_112gatherMedianIfmLin1EEEvNS_4cuda6detail10TensorInfoIT_T0_EENS5_IlS7_EENS5_IKS6_S7_EES7_S7_S7_b.num_vgpr, 60
	.set _ZN2at6native12_GLOBAL__N_112gatherMedianIfmLin1EEEvNS_4cuda6detail10TensorInfoIT_T0_EENS5_IlS7_EENS5_IKS6_S7_EES7_S7_S7_b.num_agpr, 0
	.set _ZN2at6native12_GLOBAL__N_112gatherMedianIfmLin1EEEvNS_4cuda6detail10TensorInfoIT_T0_EENS5_IlS7_EENS5_IKS6_S7_EES7_S7_S7_b.numbered_sgpr, 100
	.set _ZN2at6native12_GLOBAL__N_112gatherMedianIfmLin1EEEvNS_4cuda6detail10TensorInfoIT_T0_EENS5_IlS7_EENS5_IKS6_S7_EES7_S7_S7_b.num_named_barrier, 0
	.set _ZN2at6native12_GLOBAL__N_112gatherMedianIfmLin1EEEvNS_4cuda6detail10TensorInfoIT_T0_EENS5_IlS7_EENS5_IKS6_S7_EES7_S7_S7_b.private_seg_size, 0
	.set _ZN2at6native12_GLOBAL__N_112gatherMedianIfmLin1EEEvNS_4cuda6detail10TensorInfoIT_T0_EENS5_IlS7_EENS5_IKS6_S7_EES7_S7_S7_b.uses_vcc, 1
	.set _ZN2at6native12_GLOBAL__N_112gatherMedianIfmLin1EEEvNS_4cuda6detail10TensorInfoIT_T0_EENS5_IlS7_EENS5_IKS6_S7_EES7_S7_S7_b.uses_flat_scratch, 0
	.set _ZN2at6native12_GLOBAL__N_112gatherMedianIfmLin1EEEvNS_4cuda6detail10TensorInfoIT_T0_EENS5_IlS7_EENS5_IKS6_S7_EES7_S7_S7_b.has_dyn_sized_stack, 0
	.set _ZN2at6native12_GLOBAL__N_112gatherMedianIfmLin1EEEvNS_4cuda6detail10TensorInfoIT_T0_EENS5_IlS7_EENS5_IKS6_S7_EES7_S7_S7_b.has_recursion, 0
	.set _ZN2at6native12_GLOBAL__N_112gatherMedianIfmLin1EEEvNS_4cuda6detail10TensorInfoIT_T0_EENS5_IlS7_EENS5_IKS6_S7_EES7_S7_S7_b.has_indirect_call, 0
	.section	.AMDGPU.csdata,"",@progbits
; Kernel info:
; codeLenInByte = 20964
; TotalNumSgprs: 102
; NumVgprs: 60
; ScratchSize: 0
; MemoryBound: 0
; FloatMode: 240
; IeeeMode: 1
; LDSByteSize: 5152 bytes/workgroup (compile time only)
; SGPRBlocks: 0
; VGPRBlocks: 7
; NumSGPRsForWavesPerEU: 102
; NumVGPRsForWavesPerEU: 60
; Occupancy: 16
; WaveLimiterHint : 1
; COMPUTE_PGM_RSRC2:SCRATCH_EN: 0
; COMPUTE_PGM_RSRC2:USER_SGPR: 2
; COMPUTE_PGM_RSRC2:TRAP_HANDLER: 0
; COMPUTE_PGM_RSRC2:TGID_X_EN: 1
; COMPUTE_PGM_RSRC2:TGID_Y_EN: 1
; COMPUTE_PGM_RSRC2:TGID_Z_EN: 1
; COMPUTE_PGM_RSRC2:TIDIG_COMP_CNT: 0
	.section	.text._ZN2at6native12_GLOBAL__N_112gatherMedianIN3c104HalfEjLi1EEEvNS_4cuda6detail10TensorInfoIT_T0_EENS7_IlS9_EENS7_IKS8_S9_EES9_S9_S9_b,"axG",@progbits,_ZN2at6native12_GLOBAL__N_112gatherMedianIN3c104HalfEjLi1EEEvNS_4cuda6detail10TensorInfoIT_T0_EENS7_IlS9_EENS7_IKS8_S9_EES9_S9_S9_b,comdat
	.globl	_ZN2at6native12_GLOBAL__N_112gatherMedianIN3c104HalfEjLi1EEEvNS_4cuda6detail10TensorInfoIT_T0_EENS7_IlS9_EENS7_IKS8_S9_EES9_S9_S9_b ; -- Begin function _ZN2at6native12_GLOBAL__N_112gatherMedianIN3c104HalfEjLi1EEEvNS_4cuda6detail10TensorInfoIT_T0_EENS7_IlS9_EENS7_IKS8_S9_EES9_S9_S9_b
	.p2align	8
	.type	_ZN2at6native12_GLOBAL__N_112gatherMedianIN3c104HalfEjLi1EEEvNS_4cuda6detail10TensorInfoIT_T0_EENS7_IlS9_EENS7_IKS8_S9_EES9_S9_S9_b,@function
_ZN2at6native12_GLOBAL__N_112gatherMedianIN3c104HalfEjLi1EEEvNS_4cuda6detail10TensorInfoIT_T0_EENS7_IlS9_EENS7_IKS8_S9_EES9_S9_S9_b: ; @_ZN2at6native12_GLOBAL__N_112gatherMedianIN3c104HalfEjLi1EEEvNS_4cuda6detail10TensorInfoIT_T0_EENS7_IlS9_EENS7_IKS8_S9_EES9_S9_S9_b
; %bb.0:
	s_clause 0x1
	s_load_b64 s[6:7], s[0:1], 0x298
	s_load_b128 s[28:31], s[0:1], 0x288
	s_lshr_b32 s2, ttmp7, 16
	s_and_b32 s3, ttmp7, 0xffff
	s_wait_kmcnt 0x0
	s_mul_i32 s2, s7, s2
	s_delay_alu instid0(SALU_CYCLE_1) | instskip(NEXT) | instid1(SALU_CYCLE_1)
	s_add_co_i32 s2, s2, s3
	s_mul_i32 s25, s2, s6
	s_delay_alu instid0(SALU_CYCLE_1) | instskip(NEXT) | instid1(SALU_CYCLE_1)
	s_add_co_i32 s25, s25, ttmp9
	s_cmp_ge_u32 s25, s29
	s_cbranch_scc1 .LBB128_267
; %bb.1:
	s_clause 0x1
	s_load_b32 s2, s[0:1], 0x21c
	s_load_b64 s[8:9], s[0:1], 0x1b0
	s_mov_b32 s5, 0
	v_mov_b32_e32 v3, 0
	s_add_nc_u64 s[12:13], s[0:1], 0x298
	s_wait_kmcnt 0x0
	s_mul_i32 s4, s2, s25
	v_cmp_gt_u32_e64 s2, s28, v0
	s_lshl_b64 s[10:11], s[4:5], 1
	s_delay_alu instid0(SALU_CYCLE_1)
	s_add_nc_u64 s[26:27], s[8:9], s[10:11]
	s_and_saveexec_b32 s4, s2
	s_cbranch_execz .LBB128_5
; %bb.2:
	s_load_b32 s3, s[12:13], 0xc
	v_mov_b32_e32 v2, 0
	v_mul_lo_u32 v1, v0, s30
	s_delay_alu instid0(VALU_DEP_2) | instskip(SKIP_2) | instid1(SALU_CYCLE_1)
	v_dual_mov_b32 v4, v0 :: v_dual_mov_b32 v3, v2
	s_wait_kmcnt 0x0
	s_and_b32 s7, s3, 0xffff
	s_mul_i32 s8, s30, s7
.LBB128_3:                              ; =>This Inner Loop Header: Depth=1
	s_delay_alu instid0(VALU_DEP_2) | instskip(SKIP_2) | instid1(VALU_DEP_3)
	v_lshlrev_b64_e32 v[5:6], 1, v[1:2]
	v_add_nc_u32_e32 v4, s7, v4
	v_add_nc_u32_e32 v1, s8, v1
	v_add_co_u32 v5, vcc_lo, s26, v5
	s_wait_alu 0xfffd
	s_delay_alu instid0(VALU_DEP_4)
	v_add_co_ci_u32_e64 v6, null, s27, v6, vcc_lo
	v_cmp_le_u32_e32 vcc_lo, s28, v4
	global_load_u16 v5, v[5:6], off
	s_or_b32 s5, vcc_lo, s5
	s_wait_loadcnt 0x0
	v_cmp_u_f16_e64 s3, v5, v5
	s_wait_alu 0xf1ff
	s_delay_alu instid0(VALU_DEP_1)
	v_add_co_ci_u32_e64 v3, null, 0, v3, s3
	s_and_not1_b32 exec_lo, exec_lo, s5
	s_cbranch_execnz .LBB128_3
; %bb.4:
	s_or_b32 exec_lo, exec_lo, s5
.LBB128_5:
	s_delay_alu instid0(SALU_CYCLE_1)
	s_or_b32 exec_lo, exec_lo, s4
	s_clause 0x3
	s_load_b32 s33, s[0:1], 0x144
	s_load_b64 s[34:35], s[0:1], 0xd8
	s_load_b32 s46, s[0:1], 0x6c
	s_load_b64 s[36:37], s[0:1], 0x0
	v_cmp_eq_u32_e64 s0, 0, v0
	s_and_saveexec_b32 s1, s0
; %bb.6:
	v_mov_b32_e32 v1, 0
	s_delay_alu instid0(VALU_DEP_1)
	v_mov_b32_e32 v2, v1
	ds_store_b64 v1, v[1:2] offset:4096
; %bb.7:
	s_or_b32 exec_lo, exec_lo, s1
	s_delay_alu instid0(SALU_CYCLE_1)
	s_mov_b32 s1, exec_lo
	s_wait_dscnt 0x0
	s_barrier_signal -1
	s_barrier_wait -1
	global_inv scope:SCOPE_SE
	v_cmpx_ne_u32_e32 0, v3
	s_cbranch_execz .LBB128_12
; %bb.8:
	v_mov_b32_e32 v1, 0
	s_mov_b32 s3, exec_lo
	s_mov_b64 s[4:5], 0
.LBB128_9:                              ; =>This Inner Loop Header: Depth=1
	s_wait_alu 0xfffe
	s_ctz_i32_b32 s7, s3
	s_wait_alu 0xfffe
	v_readlane_b32 s9, v1, s7
	v_readlane_b32 s8, v3, s7
	s_lshl_b32 s7, 1, s7
	s_wait_alu 0xfffe
	s_and_not1_b32 s3, s3, s7
	s_wait_alu 0xfffe
	s_cmp_lg_u32 s3, 0
	s_add_nc_u64 s[4:5], s[4:5], s[8:9]
	s_cbranch_scc1 .LBB128_9
; %bb.10:
	v_mbcnt_lo_u32_b32 v1, exec_lo, 0
	s_mov_b32 s3, exec_lo
	s_delay_alu instid0(VALU_DEP_1)
	v_cmpx_eq_u32_e32 0, v1
	s_wait_alu 0xfffe
	s_xor_b32 s3, exec_lo, s3
; %bb.11:
	v_mov_b32_e32 v1, s4
	v_dual_mov_b32 v3, 0 :: v_dual_mov_b32 v2, s5
	ds_add_u64 v3, v[1:2] offset:4096
.LBB128_12:
	s_or_b32 exec_lo, exec_lo, s1
	v_mov_b32_e32 v1, 0
	s_wait_loadcnt_dscnt 0x0
	s_barrier_signal -1
	s_barrier_wait -1
	global_inv scope:SCOPE_SE
	ds_load_b64 v[1:2], v1 offset:4096
	s_bitcmp1_b32 s31, 0
	s_mov_b32 s11, s28
	s_cselect_b32 s3, -1, 0
	s_wait_dscnt 0x0
	v_readfirstlane_b32 s4, v1
	v_readfirstlane_b32 s5, v2
	s_wait_alu 0xf1ff
	s_delay_alu instid0(VALU_DEP_1) | instskip(SKIP_2) | instid1(SALU_CYCLE_1)
	v_cmp_lt_i64_e64 s1, s[4:5], 1
	s_wait_alu 0xfffe
	s_or_b32 s1, s3, s1
	s_and_not1_b32 vcc_lo, exec_lo, s1
	s_wait_alu 0xfffe
	s_cbranch_vccnz .LBB128_14
; %bb.13:
	s_not_b64 s[4:5], s[4:5]
	s_mov_b32 s29, 0
	s_wait_alu 0xfffe
	s_add_nc_u64 s[4:5], s[4:5], s[28:29]
	s_mov_b32 s9, s29
	s_wait_alu 0xfffe
	s_lshr_b32 s8, s5, 31
	s_wait_alu 0xfffe
	s_add_nc_u64 s[4:5], s[4:5], s[8:9]
	s_wait_alu 0xfffe
	s_lshr_b64 s[4:5], s[4:5], 1
	s_wait_alu 0xfffe
	s_add_co_i32 s11, s4, 1
.LBB128_14:
	s_and_saveexec_b32 s1, s0
	s_cbranch_execz .LBB128_16
; %bb.15:
	v_dual_mov_b32 v1, 0 :: v_dual_mov_b32 v2, s28
	ds_store_b32 v1, v1 offset:4112
	ds_store_b64 v1, v[1:2] offset:4104
.LBB128_16:
	s_or_b32 exec_lo, exec_lo, s1
	s_wait_loadcnt_dscnt 0x0
	s_barrier_signal -1
	s_barrier_wait -1
	global_inv scope:SCOPE_SE
	s_load_b32 s5, s[12:13], 0xc
	v_dual_mov_b32 v7, 0 :: v_dual_lshlrev_b32 v14, 2, v0
	v_mbcnt_lo_u32_b32 v15, -1, 0
	v_mul_lo_u32 v5, s30, v0
	v_cmp_gt_u32_e32 vcc_lo, 32, v0
	v_dual_mov_b32 v35, s11 :: v_dual_lshlrev_b32 v16, 1, v0
	s_delay_alu instid0(VALU_DEP_4) | instskip(SKIP_2) | instid1(VALU_DEP_4)
	v_cmp_gt_i32_e64 s4, 4, v15
	v_mov_b32_e32 v6, v7
	v_lshlrev_b64_e64 v[3:4], v15, -1
	v_dual_mov_b32 v34, 0 :: v_dual_add_nc_u32 v17, 0xc00, v16
	s_and_b32 s47, vcc_lo, s4
	s_delay_alu instid0(VALU_DEP_3) | instskip(SKIP_1) | instid1(VALU_DEP_3)
	v_lshlrev_b64_e32 v[1:2], 1, v[5:6]
	s_mov_b32 s31, s30
	v_not_b32_e32 v18, v3
	s_wait_alu 0xfffe
	v_mad_co_u64_u32 v[12:13], null, s30, v14, s[30:31]
	v_cmp_gt_u32_e64 s1, 2, v0
	s_wait_kmcnt 0x0
	s_and_b32 s29, s5, 0xffff
	s_bfe_u32 s4, s5, 0xb0005
	s_wait_alu 0xfffe
	s_lshl_b32 s49, s29, 2
	s_add_co_i32 s48, s29, -1
	s_cvt_f32_u32 s5, s49
	s_add_co_i32 s10, s48, s28
	v_add_co_u32 v8, vcc_lo, s26, v1
	s_wait_alu 0xfffe
	v_rcp_iflag_f32_e32 v3, s5
	s_cmp_gt_u32 s28, 0x600
	s_wait_alu 0xfffd
	v_add_co_ci_u32_e64 v9, null, s27, v2, vcc_lo
	v_lshrrev_b32_e32 v2, 1, v0
	s_cselect_b32 s50, -1, 0
	s_cmp_gt_u32 s29, 31
	s_movk_i32 s5, 0x1f0
	s_cselect_b32 s52, -1, 0
	s_cmp_lt_u32 ttmp9, s6
	s_wait_alu 0xfffe
	v_and_or_b32 v19, v2, s5, 0xc00
	s_cselect_b32 s38, 12, 18
	s_add_co_i32 s5, s4, -1
	v_readfirstlane_b32 s6, v3
	s_wait_alu 0xfffe
	s_and_b32 s5, s5, 0xffff
	s_bfe_u32 s53, s29, 0x30005
	s_wait_alu 0xfffe
	s_cmp_gt_u32 s5, 6
	s_cvt_f32_u32 s5, s29
	s_cselect_b32 s54, -1, 0
	s_and_b32 s55, s4, 0x7f8
	s_mul_f32 s4, s6, 0x4f7ffffe
	s_cmp_lg_u32 s53, 0
	s_wait_alu 0xfffe
	v_rcp_iflag_f32_e32 v4, s5
	s_cselect_b32 s56, -1, 0
	s_cvt_u32_f32 s4, s4
	s_sub_co_i32 s6, 0, s49
	v_add_nc_u32_e32 v1, 2, v0
	v_mov_b32_e32 v31, 0x8000
	s_wait_alu 0xfffe
	s_mul_i32 s6, s6, s4
	v_mov_b32_e32 v13, 0
	s_wait_alu 0xfffe
	s_mul_hi_u32 s5, s4, s6
	v_max_u32_e32 v1, s28, v1
	s_wait_alu 0xfffe
	s_add_co_i32 s40, s4, s5
	v_readfirstlane_b32 s6, v4
	s_mul_hi_u32 s5, s28, s40
	v_mov_b32_e32 v32, 0
	s_wait_alu 0xfffe
	s_mul_i32 s5, s5, s49
	v_xad_u32 v1, v0, -1, v1
	s_wait_alu 0xfffe
	s_sub_co_i32 s5, s28, s5
	s_mul_f32 s6, s6, 0x4f7ffffe
	s_wait_alu 0xfffe
	s_sub_co_i32 s7, s5, s49
	s_cmp_ge_u32 s5, s49
	v_add_nc_u32_e32 v2, -2, v1
	s_wait_alu 0xfffe
	s_cselect_b32 s7, s7, s5
	s_cvt_u32_f32 s6, s6
	s_wait_alu 0xfffe
	s_sub_co_i32 s8, s7, s49
	s_cmp_ge_u32 s7, s49
	v_and_b32_e32 v20, -2, v1
	s_wait_alu 0xfffe
	s_cselect_b32 s14, s8, s7
	s_sub_co_i32 s7, 0, s29
	s_sub_co_i32 s57, s28, s14
	s_wait_alu 0xfffe
	s_mul_i32 s7, s7, s6
	v_add_nc_u32_e32 v22, s57, v0
	s_wait_alu 0xfffe
	s_mul_hi_u32 s7, s6, s7
	v_lshrrev_b32_e32 v3, 1, v2
	s_wait_alu 0xfffe
	s_add_co_i32 s42, s6, s7
	v_cmp_lt_u32_e64 s4, 31, v1
	v_mul_lo_u32 v6, v22, s30
	s_mul_hi_u32 s7, s10, s42
	v_cmp_lt_u32_e64 s5, 13, v2
	s_wait_alu 0xfffe
	s_mul_i32 s8, s7, s29
	v_cmp_ne_u32_e64 s7, v1, v20
	s_wait_alu 0xfffe
	s_sub_co_i32 s9, s10, s8
	v_add_nc_u32_e32 v3, 1, v3
	s_wait_alu 0xfffe
	s_sub_co_i32 s15, s9, s29
	v_lshlrev_b64_e32 v[1:2], 1, v[6:7]
	s_cmp_ge_u32 s9, s29
	v_cmp_eq_u32_e64 s3, 0, v15
	s_cselect_b32 s15, s15, s9
	v_dual_mov_b32 v33, 0 :: v_dual_and_b32 v4, 7, v3
	v_add_co_u32 v10, vcc_lo, s26, v1
	v_add3_u32 v1, s29, s28, v0
	v_and_b32_e32 v23, -8, v3
	s_wait_alu 0xfffd
	v_add_co_ci_u32_e64 v11, null, s27, v2, vcc_lo
	v_or_b32_e32 v2, 2, v14
	v_or_b32_e32 v3, 3, v14
	v_subrev_nc_u32_e32 v1, s14, v1
	s_sub_co_i32 s16, s15, s29
	s_cmp_ge_u32 s15, s29
	v_mul_lo_u32 v25, s30, v2
	s_cselect_b32 s15, s16, s15
	v_mul_lo_u32 v26, s30, v3
	v_mul_lo_u32 v28, s30, v1
	s_wait_alu 0xfffe
	s_sub_co_i32 s58, s10, s15
	v_add_nc_u32_e32 v21, v0, v20
	v_cmp_ne_u32_e64 s6, 0, v4
	v_cmp_gt_u32_e64 s8, s57, v14
	v_cmp_gt_u32_e64 s9, s28, v22
	;; [unrolled: 1-line block ×3, first 2 shown]
	v_lshlrev_b32_e32 v24, 2, v4
	v_lshlrev_b32_e32 v27, 2, v5
	v_lshlrev_b32_e32 v29, 3, v0
	v_lshl_or_b32 v30, v15, 2, 0xc00
	s_mov_b32 s39, 0
	s_mul_i32 s51, s30, s29
	s_mov_b32 s41, s39
	s_mov_b32 s43, s39
	s_lshl_b32 s59, s51, 2
	s_lshl_b32 s60, s29, 3
	;; [unrolled: 1-line block ×3, first 2 shown]
	s_mov_b32 s70, 14
	s_add_nc_u64 s[44:45], s[12:13], s[38:39]
	s_movk_i32 s63, 0x3c00
	s_mov_b32 s62, 0
                                        ; implicit-def: $sgpr67
                                        ; implicit-def: $sgpr69
                                        ; implicit-def: $sgpr64
                                        ; implicit-def: $sgpr66
                                        ; implicit-def: $sgpr68
                                        ; implicit-def: $sgpr65
	s_branch .LBB128_20
.LBB128_17:                             ;   in Loop: Header=BB128_20 Depth=1
	s_wait_alu 0xfffe
	s_or_b32 exec_lo, exec_lo, s15
	s_delay_alu instid0(SALU_CYCLE_1)
	s_and_b32 s12, s12, exec_lo
	s_and_not1_b32 s17, s17, exec_lo
	s_and_not1_b32 s16, s16, exec_lo
	s_or_not1_b32 s14, s14, exec_lo
.LBB128_18:                             ;   in Loop: Header=BB128_20 Depth=1
	s_wait_alu 0xfffe
	s_or_b32 exec_lo, exec_lo, s11
	s_delay_alu instid0(SALU_CYCLE_1)
	s_and_not1_b32 s11, s65, exec_lo
	s_and_b32 s12, s12, exec_lo
	s_and_not1_b32 s15, s66, exec_lo
	s_wait_alu 0xfffe
	s_or_b32 s65, s11, s12
	s_and_not1_b32 s11, s68, exec_lo
	s_and_b32 s12, s17, exec_lo
	s_and_b32 s16, s16, exec_lo
	s_wait_alu 0xfffe
	s_or_b32 s68, s11, s12
	s_or_b32 s66, s15, s16
	s_or_not1_b32 s15, s14, exec_lo
.LBB128_19:                             ;   in Loop: Header=BB128_20 Depth=1
	s_wait_alu 0xfffe
	s_or_b32 exec_lo, exec_lo, s13
	s_delay_alu instid0(SALU_CYCLE_1)
	s_and_b32 s11, exec_lo, s15
	v_mov_b32_e32 v35, v2
	s_wait_alu 0xfffe
	s_or_b32 s62, s11, s62
	s_and_not1_b32 s11, s64, exec_lo
	s_and_b32 s12, s65, exec_lo
	s_and_not1_b32 s13, s69, exec_lo
	s_wait_alu 0xfffe
	s_or_b32 s64, s11, s12
	s_and_b32 s11, s68, exec_lo
	s_and_not1_b32 s12, s67, exec_lo
	s_and_b32 s14, s66, exec_lo
	s_wait_alu 0xfffe
	s_or_b32 s69, s13, s11
	s_or_b32 s67, s12, s14
	s_mov_b32 s70, s22
	s_and_not1_b32 exec_lo, exec_lo, s62
	s_cbranch_execz .LBB128_263
.LBB128_20:                             ; =>This Loop Header: Depth=1
                                        ;     Child Loop BB128_25 Depth 2
                                        ;     Child Loop BB128_46 Depth 2
	;; [unrolled: 1-line block ×18, first 2 shown]
	ds_load_b64 v[1:2], v7 offset:4104
	s_wait_dscnt 0x0
	v_readfirstlane_b32 s38, v1
	s_cmp_lg_u32 s38, 0
	s_cbranch_scc1 .LBB128_65
; %bb.21:                               ;   in Loop: Header=BB128_20 Depth=1
	s_and_b32 vcc_lo, exec_lo, s50
	s_wait_alu 0xfffe
	s_cbranch_vccz .LBB128_33
; %bb.22:                               ;   in Loop: Header=BB128_20 Depth=1
	v_cmp_gt_u32_e32 vcc_lo, 0x601, v2
	s_mov_b32 s13, 0
	s_mov_b32 s11, 0
	s_cbranch_vccz .LBB128_34
; %bb.23:                               ;   in Loop: Header=BB128_20 Depth=1
	global_load_u16 v1, v[8:9], off
	s_load_u16 s14, s[44:45], 0x0
	s_mov_b32 s15, 0
	s_wait_kmcnt 0x0
	v_add_nc_u32_e32 v2, s14, v0
	s_mul_i32 s16, s30, s14
	s_delay_alu instid0(VALU_DEP_1)
	v_mul_lo_u32 v6, s30, v2
	v_mov_b32_e32 v2, v0
	s_branch .LBB128_25
.LBB128_24:                             ;   in Loop: Header=BB128_25 Depth=2
	s_wait_alu 0xfffe
	s_or_b32 exec_lo, exec_lo, s12
	v_dual_mov_b32 v1, v3 :: v_dual_add_nc_u32 v6, s16, v6
	s_and_not1_b32 exec_lo, exec_lo, s15
	s_cbranch_execz .LBB128_40
.LBB128_25:                             ;   Parent Loop BB128_20 Depth=1
                                        ; =>  This Inner Loop Header: Depth=2
	s_delay_alu instid0(VALU_DEP_1) | instskip(SKIP_3) | instid1(VALU_DEP_2)
	v_dual_mov_b32 v3, 0 :: v_dual_add_nc_u32 v2, s14, v2
	s_wait_dscnt 0x0
	v_mov_b32_e32 v4, 0
	s_mov_b32 s12, exec_lo
	v_cmp_le_u32_e32 vcc_lo, s28, v2
	v_cmpx_gt_u32_e64 s28, v2
	s_cbranch_execz .LBB128_27
; %bb.26:                               ;   in Loop: Header=BB128_25 Depth=2
	v_lshlrev_b64_e32 v[36:37], 1, v[6:7]
	s_delay_alu instid0(VALU_DEP_1) | instskip(SKIP_1) | instid1(VALU_DEP_2)
	v_add_co_u32 v36, s11, s26, v36
	s_wait_alu 0xf1ff
	v_add_co_ci_u32_e64 v37, null, s27, v37, s11
	global_load_u16 v3, v[36:37], off
.LBB128_27:                             ;   in Loop: Header=BB128_25 Depth=2
	s_wait_alu 0xfffe
	s_or_b32 exec_lo, exec_lo, s12
	s_wait_loadcnt 0x0
	v_cmp_lt_i16_e64 s11, -1, v1
	v_and_b32_e32 v36, 0xffff, v1
	s_wait_alu 0xf1ff
	s_delay_alu instid0(VALU_DEP_2) | instskip(SKIP_1) | instid1(VALU_DEP_2)
	v_cndmask_b32_e64 v37, 0xffff, v31, s11
	v_cmp_o_f16_e64 s11, v1, v1
	v_xor_b32_e32 v36, v37, v36
	s_wait_alu 0xf1ff
	s_delay_alu instid0(VALU_DEP_1) | instskip(NEXT) | instid1(VALU_DEP_1)
	v_cndmask_b32_e64 v36, 0xffff, v36, s11
	v_and_b32_e32 v36, v36, v33
	s_delay_alu instid0(VALU_DEP_1)
	v_cmp_eq_u32_e64 s11, v36, v13
	s_cmp_lg_u32 s11, 0
	s_cselect_b32 s12, -1, 0
	s_wait_alu 0xfffe
	s_and_b32 s12, s3, s12
	s_wait_alu 0xfffe
	s_and_saveexec_b32 s17, s12
	s_cbranch_execz .LBB128_31
; %bb.28:                               ;   in Loop: Header=BB128_25 Depth=2
	s_mov_b32 s20, exec_lo
	s_bcnt1_i32_b32 s18, s11
	s_wait_alu 0xfffe
	v_mbcnt_lo_u32_b32 v4, s20, 0
	s_mov_b32 s19, exec_lo
                                        ; implicit-def: $vgpr36
	s_delay_alu instid0(VALU_DEP_1)
	v_cmpx_eq_u32_e32 0, v4
; %bb.29:                               ;   in Loop: Header=BB128_25 Depth=2
	s_bcnt1_i32_b32 s12, s20
	s_wait_alu 0xfffe
	s_mul_i32 s12, s18, s12
	s_wait_alu 0xfffe
	v_mov_b32_e32 v36, s12
	ds_add_rtn_u32 v36, v7, v36 offset:4112
; %bb.30:                               ;   in Loop: Header=BB128_25 Depth=2
	s_or_b32 exec_lo, exec_lo, s19
	s_wait_dscnt 0x0
	v_readfirstlane_b32 s12, v36
	s_wait_alu 0xf1ff
	s_delay_alu instid0(VALU_DEP_1)
	v_mad_u32_u24 v4, s18, v4, s12
.LBB128_31:                             ;   in Loop: Header=BB128_25 Depth=2
	s_wait_alu 0xfffe
	s_or_b32 exec_lo, exec_lo, s17
	ds_bpermute_b32 v4, v7, v4
	s_and_b32 s12, exec_lo, vcc_lo
	s_wait_alu 0xfffe
	s_or_b32 s15, s12, s15
	s_and_saveexec_b32 s12, s11
	s_cbranch_execz .LBB128_24
; %bb.32:                               ;   in Loop: Header=BB128_25 Depth=2
	v_and_b32_e32 v36, s11, v18
	s_delay_alu instid0(VALU_DEP_1) | instskip(NEXT) | instid1(VALU_DEP_1)
	v_bcnt_u32_b32 v36, v36, 0
	v_lshlrev_b32_e32 v36, 1, v36
	s_wait_dscnt 0x0
	s_delay_alu instid0(VALU_DEP_1)
	v_lshl_add_u32 v4, v4, 1, v36
	ds_store_b16 v4, v1
	s_branch .LBB128_24
.LBB128_33:                             ;   in Loop: Header=BB128_20 Depth=1
	s_mov_b32 s13, -1
	s_mov_b32 s11, 0
.LBB128_34:                             ;   in Loop: Header=BB128_20 Depth=1
	s_wait_alu 0xfffe
	s_and_b32 vcc_lo, exec_lo, s13
	s_wait_alu 0xfffe
	s_cbranch_vccz .LBB128_63
.LBB128_35:                             ;   in Loop: Header=BB128_20 Depth=1
	s_and_saveexec_b32 s12, s2
	s_cbranch_execz .LBB128_60
; %bb.36:                               ;   in Loop: Header=BB128_20 Depth=1
	global_load_u16 v36, v[8:9], off
	s_load_u16 s14, s[44:45], 0x0
	v_mov_b32_e32 v3, v0
	s_mov_b32 s13, exec_lo
	s_wait_kmcnt 0x0
	v_add_nc_u32_e32 v1, s14, v0
	s_delay_alu instid0(VALU_DEP_1)
	v_cmpx_gt_u32_e64 s28, v1
	s_cbranch_execz .LBB128_59
; %bb.37:                               ;   in Loop: Header=BB128_20 Depth=1
	s_mov_b32 s11, 0
	s_mul_i32 s15, s30, s14
                                        ; implicit-def: $vgpr3
                                        ; implicit-def: $vgpr2
                                        ; implicit-def: $vgpr4
	s_and_saveexec_b32 s16, s4
	s_wait_alu 0xfffe
	s_xor_b32 s16, exec_lo, s16
	s_cbranch_execnz .LBB128_43
; %bb.38:                               ;   in Loop: Header=BB128_20 Depth=1
	s_wait_alu 0xfffe
	s_and_not1_saveexec_b32 s16, s16
	s_cbranch_execnz .LBB128_54
.LBB128_39:                             ;   in Loop: Header=BB128_20 Depth=1
	s_wait_alu 0xfffe
	s_or_b32 exec_lo, exec_lo, s16
	s_and_saveexec_b32 s15, s11
	s_cbranch_execnz .LBB128_55
	s_branch .LBB128_58
.LBB128_40:                             ;   in Loop: Header=BB128_20 Depth=1
	s_or_b32 exec_lo, exec_lo, s15
	s_wait_dscnt 0x0
	s_barrier_signal -1
	s_barrier_wait -1
	global_inv scope:SCOPE_SE
	s_and_saveexec_b32 s11, s0
	s_cbranch_execz .LBB128_42
; %bb.41:                               ;   in Loop: Header=BB128_20 Depth=1
	ds_load_b32 v1, v7 offset:4112
	s_wait_dscnt 0x0
	ds_store_b32 v7, v1 offset:4104
.LBB128_42:                             ;   in Loop: Header=BB128_20 Depth=1
	s_wait_alu 0xfffe
	s_or_b32 exec_lo, exec_lo, s11
	s_wait_loadcnt_dscnt 0x0
	s_barrier_signal -1
	s_mov_b32 s11, -1
	s_barrier_wait -1
	s_and_b32 vcc_lo, exec_lo, s13
	s_wait_alu 0xfffe
	s_cbranch_vccnz .LBB128_35
	s_branch .LBB128_63
.LBB128_43:                             ;   in Loop: Header=BB128_20 Depth=1
	v_add_nc_u32_e32 v2, s14, v1
	s_cvt_f32_u32 s11, s14
	s_wait_alu 0xfffe
	s_delay_alu instid0(SALU_CYCLE_2) | instskip(NEXT) | instid1(VALU_DEP_1)
	v_rcp_iflag_f32_e32 v3, s11
	v_max_u32_e32 v2, s28, v2
	s_lshl_b32 s11, s14, 1
	s_delay_alu instid0(VALU_DEP_1) | instskip(NEXT) | instid1(TRANS32_DEP_1)
	v_sub_nc_u32_e32 v2, v2, v0
	v_readfirstlane_b32 s17, v3
	s_wait_alu 0xfffe
	s_delay_alu instid0(VALU_DEP_2) | instskip(SKIP_3) | instid1(VALU_DEP_1)
	v_cmp_ne_u32_e32 vcc_lo, s11, v2
	s_mul_f32 s17, s17, 0x4f7ffffe
	s_wait_alu 0xfffd
	v_cndmask_b32_e64 v3, 0, 1, vcc_lo
	v_or_b32_e32 v3, s11, v3
	s_wait_alu 0xfffe
	s_cvt_u32_f32 s11, s17
	s_sub_co_i32 s17, 0, s14
	s_wait_alu 0xfffe
	s_delay_alu instid0(SALU_CYCLE_1)
	s_mul_i32 s17, s17, s11
	v_sub_nc_u32_e32 v2, v2, v3
	s_wait_alu 0xfffe
	s_mul_hi_u32 s17, s11, s17
	s_wait_alu 0xfffe
	s_add_co_i32 s11, s11, s17
	s_not_b32 s17, s15
	s_wait_alu 0xfffe
	v_mul_hi_u32 v3, v2, s11
	s_delay_alu instid0(VALU_DEP_1) | instskip(NEXT) | instid1(VALU_DEP_1)
	v_mul_lo_u32 v4, v3, s14
	v_sub_nc_u32_e32 v2, v2, v4
	v_add_nc_u32_e32 v4, 1, v3
	s_delay_alu instid0(VALU_DEP_2) | instskip(SKIP_2) | instid1(VALU_DEP_1)
	v_subrev_nc_u32_e32 v6, s14, v2
	v_cmp_le_u32_e64 s11, s14, v2
	s_wait_alu 0xf1ff
	v_cndmask_b32_e64 v3, v3, v4, s11
	s_delay_alu instid0(VALU_DEP_3) | instskip(NEXT) | instid1(VALU_DEP_2)
	v_cndmask_b32_e64 v2, v2, v6, s11
	v_add_nc_u32_e32 v4, 1, v3
	s_delay_alu instid0(VALU_DEP_2) | instskip(SKIP_1) | instid1(VALU_DEP_1)
	v_cmp_le_u32_e64 s11, s14, v2
	s_wait_alu 0xf1ff
	v_cndmask_b32_e64 v2, v3, v4, s11
	v_mul_lo_u32 v3, s30, v1
	s_abs_i32 s11, s15
	s_delay_alu instid0(VALU_DEP_2) | instskip(SKIP_1) | instid1(VALU_DEP_1)
	v_add_co_ci_u32_e64 v2, null, 0, v2, vcc_lo
	s_wait_alu 0xfffe
	v_mul_hi_u32 v4, s11, v2
	v_mul_lo_u32 v2, s11, v2
	s_ashr_i32 s11, s17, 31
	s_cmp_eq_u32 s14, 1
	s_wait_alu 0xfffe
	v_xor_b32_e32 v3, s11, v3
	s_cselect_b32 s17, -1, 0
	s_delay_alu instid0(VALU_DEP_3) | instskip(NEXT) | instid1(VALU_DEP_2)
	v_cmp_eq_u32_e32 vcc_lo, 0, v4
	v_cmp_le_u32_e64 s11, v2, v3
	v_mov_b32_e32 v2, v0
                                        ; implicit-def: $vgpr3
	s_wait_alu 0xfffe
	s_and_b32 s17, vcc_lo, s17
	s_wait_alu 0xfffe
	s_and_b32 s18, s17, s11
	s_mov_b32 s17, -1
	s_wait_alu 0xfffe
	s_and_saveexec_b32 s11, s18
	s_cbranch_execz .LBB128_53
; %bb.44:                               ;   in Loop: Header=BB128_20 Depth=1
	v_add_nc_u32_e32 v2, 1, v1
	s_wait_loadcnt 0x0
	v_dual_mov_b32 v6, 0 :: v_dual_lshlrev_b32 v39, 16, v36
                                        ; implicit-def: $vgpr36
	s_delay_alu instid0(VALU_DEP_2)
	v_dual_mov_b32 v4, v2 :: v_dual_mov_b32 v3, v1
	s_and_saveexec_b32 s17, s5
	s_cbranch_execz .LBB128_48
; %bb.45:                               ;   in Loop: Header=BB128_20 Depth=1
	v_dual_mov_b32 v37, v23 :: v_dual_mov_b32 v38, v16
	v_dual_mov_b32 v4, v2 :: v_dual_mov_b32 v3, v1
	s_mov_b32 s18, 0
	s_mov_b32 s19, 0
.LBB128_46:                             ;   Parent Loop BB128_20 Depth=1
                                        ; =>  This Inner Loop Header: Depth=2
	s_delay_alu instid0(VALU_DEP_1) | instskip(NEXT) | instid1(VALU_DEP_2)
	v_add_nc_u32_e32 v2, 2, v4
	v_mul_lo_u32 v6, v3, s30
	v_add_nc_u32_e32 v36, 4, v4
	v_mul_lo_u32 v41, v4, s31
	v_mov_b32_e32 v42, v7
	v_lshrrev_b32_e32 v40, 16, v39
	v_add_nc_u32_e32 v39, 6, v4
	v_mul_lo_u32 v43, v2, s31
	v_dual_mov_b32 v44, v7 :: v_dual_add_nc_u32 v49, 8, v4
	v_mul_lo_u32 v45, v36, s31
	v_dual_mov_b32 v46, v7 :: v_dual_add_nc_u32 v51, 10, v4
	v_mul_lo_u32 v47, v39, s31
	v_lshlrev_b64_e32 v[53:54], 1, v[6:7]
	v_mul_lo_u32 v49, v49, s31
	v_lshlrev_b64_e32 v[41:42], 1, v[41:42]
	v_dual_mov_b32 v48, v7 :: v_dual_add_nc_u32 v39, 6, v3
	v_mul_lo_u32 v51, v51, s31
	v_lshlrev_b64_e32 v[43:44], 1, v[43:44]
	v_dual_mov_b32 v50, v7 :: v_dual_add_nc_u32 v55, 8, v3
	v_lshlrev_b64_e32 v[45:46], 1, v[45:46]
	v_add_co_u32 v53, vcc_lo, s26, v53
	v_dual_mov_b32 v52, v7 :: v_dual_add_nc_u32 v57, 10, v3
	v_lshlrev_b64_e32 v[47:48], 1, v[47:48]
	s_wait_alu 0xfffd
	v_add_co_ci_u32_e64 v54, null, s27, v54, vcc_lo
	v_add_co_u32 v41, vcc_lo, s26, v41
	v_lshlrev_b64_e32 v[49:50], 1, v[49:50]
	s_wait_alu 0xfffd
	v_add_co_ci_u32_e64 v42, null, s27, v42, vcc_lo
	v_add_co_u32 v43, vcc_lo, s26, v43
	v_lshlrev_b64_e32 v[51:52], 1, v[51:52]
	s_wait_alu 0xfffd
	v_add_co_ci_u32_e64 v44, null, s27, v44, vcc_lo
	v_add_co_u32 v45, vcc_lo, s26, v45
	s_wait_alu 0xfffd
	v_add_co_ci_u32_e64 v46, null, s27, v46, vcc_lo
	v_add_co_u32 v47, vcc_lo, s26, v47
	s_wait_alu 0xfffd
	v_add_co_ci_u32_e64 v48, null, s27, v48, vcc_lo
	v_add_co_u32 v49, vcc_lo, s26, v49
	;; [unrolled: 3-line block ×3, first 2 shown]
	s_wait_alu 0xfffd
	v_add_co_ci_u32_e64 v52, null, s27, v52, vcc_lo
	s_clause 0x6
	global_load_d16_hi_b16 v40, v[53:54], off
	global_load_u16 v41, v[41:42], off
	global_load_u16 v42, v[43:44], off
	;; [unrolled: 1-line block ×6, first 2 shown]
	v_add_nc_u32_e32 v2, 2, v3
	v_add_nc_u32_e32 v6, 12, v4
	v_dual_mov_b32 v50, v7 :: v_dual_add_nc_u32 v49, 14, v4
	v_add_nc_u32_e32 v36, 4, v3
	v_dual_mov_b32 v48, v7 :: v_dual_add_nc_u32 v59, 12, v3
	s_delay_alu instid0(VALU_DEP_4)
	v_mul_lo_u32 v47, v6, s31
	v_mul_lo_u32 v6, v2, s30
	;; [unrolled: 1-line block ×3, first 2 shown]
	s_wait_alu 0xfffe
	s_add_co_i32 s19, s19, 16
	v_add_nc_u32_e32 v61, 14, v3
	v_add_nc_u32_e32 v37, -8, v37
	v_add_nc_u32_e32 v4, 16, v4
	v_add_nc_u32_e32 v3, 16, v3
	v_lshlrev_b64_e32 v[47:48], 1, v[47:48]
	v_lshlrev_b64_e32 v[51:52], 1, v[6:7]
	v_mul_lo_u32 v6, v36, s30
	v_lshlrev_b64_e32 v[49:50], 1, v[49:50]
	s_delay_alu instid0(VALU_DEP_4) | instskip(SKIP_2) | instid1(VALU_DEP_4)
	v_add_co_u32 v47, vcc_lo, s26, v47
	s_wait_alu 0xfffd
	v_add_co_ci_u32_e64 v48, null, s27, v48, vcc_lo
	v_lshlrev_b64_e32 v[53:54], 1, v[6:7]
	v_mul_lo_u32 v6, v39, s30
	v_add_co_u32 v49, vcc_lo, s26, v49
	s_wait_alu 0xfffd
	v_add_co_ci_u32_e64 v50, null, s27, v50, vcc_lo
	v_add_co_u32 v51, vcc_lo, s26, v51
	s_wait_alu 0xfffd
	v_add_co_ci_u32_e64 v52, null, s27, v52, vcc_lo
	global_load_u16 v2, v[47:48], off
	v_add_co_u32 v47, vcc_lo, s26, v53
	s_wait_alu 0xfffd
	v_add_co_ci_u32_e64 v48, null, s27, v54, vcc_lo
	v_lshlrev_b64_e32 v[53:54], 1, v[6:7]
	v_mul_lo_u32 v6, v55, s30
	s_delay_alu instid0(VALU_DEP_2) | instskip(SKIP_1) | instid1(VALU_DEP_3)
	v_add_co_u32 v53, vcc_lo, s26, v53
	s_wait_alu 0xfffd
	v_add_co_ci_u32_e64 v54, null, s27, v54, vcc_lo
	s_delay_alu instid0(VALU_DEP_3) | instskip(SKIP_1) | instid1(VALU_DEP_2)
	v_lshlrev_b64_e32 v[55:56], 1, v[6:7]
	v_mul_lo_u32 v6, v57, s30
	v_add_co_u32 v55, vcc_lo, s26, v55
	s_wait_alu 0xfffd
	s_delay_alu instid0(VALU_DEP_3) | instskip(NEXT) | instid1(VALU_DEP_3)
	v_add_co_ci_u32_e64 v56, null, s27, v56, vcc_lo
	v_lshlrev_b64_e32 v[57:58], 1, v[6:7]
	v_mul_lo_u32 v6, v59, s30
	s_delay_alu instid0(VALU_DEP_2) | instskip(SKIP_1) | instid1(VALU_DEP_3)
	v_add_co_u32 v57, vcc_lo, s26, v57
	s_wait_alu 0xfffd
	v_add_co_ci_u32_e64 v58, null, s27, v58, vcc_lo
	s_delay_alu instid0(VALU_DEP_3) | instskip(SKIP_1) | instid1(VALU_DEP_2)
	v_lshlrev_b64_e32 v[59:60], 1, v[6:7]
	v_mul_lo_u32 v6, v61, s30
	v_add_co_u32 v59, vcc_lo, s26, v59
	s_wait_alu 0xfffd
	s_delay_alu instid0(VALU_DEP_3) | instskip(NEXT) | instid1(VALU_DEP_3)
	v_add_co_ci_u32_e64 v60, null, s27, v60, vcc_lo
	v_lshlrev_b64_e32 v[61:62], 1, v[6:7]
	s_wait_alu 0xfffe
	v_mov_b32_e32 v6, s19
	s_delay_alu instid0(VALU_DEP_2) | instskip(SKIP_1) | instid1(VALU_DEP_3)
	v_add_co_u32 v61, vcc_lo, s26, v61
	s_wait_alu 0xfffd
	v_add_co_ci_u32_e64 v62, null, s27, v62, vcc_lo
	v_cmp_eq_u32_e32 vcc_lo, 0, v37
	s_wait_loadcnt 0x6
	global_load_d16_hi_b16 v41, v[51:52], off
	s_wait_loadcnt 0x6
	global_load_d16_hi_b16 v42, v[47:48], off
	;; [unrolled: 2-line block ×3, first 2 shown]
	s_wait_loadcnt 0x6
	s_clause 0x1
	global_load_d16_hi_b16 v44, v[55:56], off
	global_load_u16 v39, v[61:62], off
	s_wait_loadcnt 0x7
	global_load_d16_hi_b16 v45, v[57:58], off
	s_wait_loadcnt 0x7
	s_clause 0x1
	global_load_d16_hi_b16 v46, v[59:60], off
	global_load_u16 v36, v[49:50], off
	s_or_b32 s18, vcc_lo, s18
	s_wait_loadcnt 0x3
	v_perm_b32 v47, v39, v2, 0x5040100
	ds_store_b128 v38, v[40:43]
	s_wait_loadcnt 0x1
	ds_store_b128 v38, v[44:47] offset:16
	s_wait_loadcnt 0x0
	v_perm_b32 v39, v36, v39, 0x5040100
	v_add_nc_u32_e32 v38, 32, v38
	s_wait_alu 0xfffe
	s_and_not1_b32 exec_lo, exec_lo, s18
	s_cbranch_execnz .LBB128_46
; %bb.47:                               ;   in Loop: Header=BB128_20 Depth=1
	s_or_b32 exec_lo, exec_lo, s18
.LBB128_48:                             ;   in Loop: Header=BB128_20 Depth=1
	s_wait_alu 0xfffe
	s_or_b32 exec_lo, exec_lo, s17
	s_and_saveexec_b32 s17, s6
	s_cbranch_execz .LBB128_52
; %bb.49:                               ;   in Loop: Header=BB128_20 Depth=1
	v_lshl_add_u32 v2, v6, 1, v16
	v_mov_b32_e32 v37, v24
	s_mov_b32 s18, 0
.LBB128_50:                             ;   Parent Loop BB128_20 Depth=1
                                        ; =>  This Inner Loop Header: Depth=2
	v_mul_lo_u32 v6, v3, s30
	v_mul_lo_u32 v40, v4, s31
	v_dual_mov_b32 v41, v7 :: v_dual_add_nc_u32 v4, 2, v4
	v_add_nc_u32_e32 v37, -4, v37
	v_add_nc_u32_e32 v3, 2, v3
	v_lshlrev_b64_e32 v[42:43], 1, v[6:7]
	s_delay_alu instid0(VALU_DEP_4) | instskip(NEXT) | instid1(VALU_DEP_2)
	v_lshlrev_b64_e32 v[40:41], 1, v[40:41]
	v_add_co_u32 v42, vcc_lo, s26, v42
	s_wait_alu 0xfffd
	s_delay_alu instid0(VALU_DEP_3) | instskip(NEXT) | instid1(VALU_DEP_3)
	v_add_co_ci_u32_e64 v43, null, s27, v43, vcc_lo
	v_add_co_u32 v40, vcc_lo, s26, v40
	s_wait_alu 0xfffd
	v_add_co_ci_u32_e64 v41, null, s27, v41, vcc_lo
	s_clause 0x1
	global_load_u16 v6, v[42:43], off
	global_load_u16 v36, v[40:41], off
	v_cmp_eq_u32_e32 vcc_lo, 0, v37
	s_wait_alu 0xfffe
	s_or_b32 s18, vcc_lo, s18
	s_wait_loadcnt 0x1
	v_alignbit_b32 v38, v6, v39, 16
	s_wait_loadcnt 0x0
	v_perm_b32 v39, v36, v6, 0x5040100
	ds_store_b32 v2, v38
	v_add_nc_u32_e32 v2, 4, v2
	s_wait_alu 0xfffe
	s_and_not1_b32 exec_lo, exec_lo, s18
	s_cbranch_execnz .LBB128_50
; %bb.51:                               ;   in Loop: Header=BB128_20 Depth=1
	s_or_b32 exec_lo, exec_lo, s18
.LBB128_52:                             ;   in Loop: Header=BB128_20 Depth=1
	s_wait_alu 0xfffe
	s_or_b32 exec_lo, exec_lo, s17
	v_add_nc_u32_e32 v1, v1, v20
	s_or_not1_b32 s17, s7, exec_lo
	s_delay_alu instid0(VALU_DEP_1)
	v_dual_mov_b32 v2, v21 :: v_dual_add_nc_u32 v3, -1, v1
.LBB128_53:                             ;   in Loop: Header=BB128_20 Depth=1
	s_wait_alu 0xfffe
	s_or_b32 exec_lo, exec_lo, s11
	v_mov_b32_e32 v4, s15
	s_and_b32 s11, s17, exec_lo
	s_and_not1_saveexec_b32 s16, s16
	s_cbranch_execz .LBB128_39
.LBB128_54:                             ;   in Loop: Header=BB128_20 Depth=1
	s_wait_alu 0xfffe
	v_mov_b32_e32 v4, s15
	v_mov_b32_e32 v2, v0
	s_or_b32 s11, s11, exec_lo
	s_or_b32 exec_lo, exec_lo, s16
	s_wait_alu 0xfffe
	s_and_saveexec_b32 s15, s11
	s_cbranch_execz .LBB128_58
.LBB128_55:                             ;   in Loop: Header=BB128_20 Depth=1
	v_mul_lo_u32 v6, s30, v1
	s_mov_b32 s16, 0
	s_sub_co_i32 s11, 0, s14
.LBB128_56:                             ;   Parent Loop BB128_20 Depth=1
                                        ; =>  This Inner Loop Header: Depth=2
	s_delay_alu instid0(VALU_DEP_1) | instskip(SKIP_2) | instid1(VALU_DEP_2)
	v_lshlrev_b64_e32 v[37:38], 1, v[6:7]
	s_wait_loadcnt 0x0
	v_dual_mov_b32 v3, v36 :: v_dual_add_nc_u32 v6, v6, v4
	v_add_co_u32 v37, vcc_lo, s26, v37
	s_wait_alu 0xfffd
	s_delay_alu instid0(VALU_DEP_3) | instskip(SKIP_2) | instid1(VALU_DEP_1)
	v_add_co_ci_u32_e64 v38, null, s27, v38, vcc_lo
	global_load_u16 v36, v[37:38], off
	v_dual_mov_b32 v37, v1 :: v_dual_lshlrev_b32 v38, 1, v2
	v_dual_mov_b32 v2, v37 :: v_dual_add_nc_u32 v1, s14, v37
	ds_store_b16 v38, v3
	v_cmp_le_u32_e32 vcc_lo, s28, v1
	s_wait_alu 0xfffe
	s_or_b32 s16, vcc_lo, s16
	s_wait_alu 0xfffe
	s_and_not1_b32 exec_lo, exec_lo, s16
	s_cbranch_execnz .LBB128_56
; %bb.57:                               ;   in Loop: Header=BB128_20 Depth=1
	s_or_b32 exec_lo, exec_lo, s16
	v_add_nc_u32_e32 v3, s11, v1
.LBB128_58:                             ;   in Loop: Header=BB128_20 Depth=1
	s_wait_alu 0xfffe
	s_or_b32 exec_lo, exec_lo, s15
.LBB128_59:                             ;   in Loop: Header=BB128_20 Depth=1
	s_wait_alu 0xfffe
	s_or_b32 exec_lo, exec_lo, s13
	v_lshlrev_b32_e32 v1, 1, v3
	s_wait_loadcnt 0x0
	ds_store_b16 v1, v36
.LBB128_60:                             ;   in Loop: Header=BB128_20 Depth=1
	s_wait_alu 0xfffe
	s_or_b32 exec_lo, exec_lo, s12
	s_wait_loadcnt_dscnt 0x0
	s_barrier_signal -1
	s_barrier_wait -1
	global_inv scope:SCOPE_SE
	s_and_saveexec_b32 s11, s0
; %bb.61:                               ;   in Loop: Header=BB128_20 Depth=1
	v_mov_b32_e32 v1, s28
	ds_store_b32 v7, v1 offset:4104
; %bb.62:                               ;   in Loop: Header=BB128_20 Depth=1
	s_wait_alu 0xfffe
	s_or_b32 exec_lo, exec_lo, s11
	s_mov_b32 s11, -1
	s_wait_loadcnt_dscnt 0x0
	s_barrier_signal -1
	s_barrier_wait -1
.LBB128_63:                             ;   in Loop: Header=BB128_20 Depth=1
	s_wait_alu 0xfffe
	s_and_b32 vcc_lo, exec_lo, s11
	s_mov_b32 s38, 0
	s_wait_alu 0xfffe
	s_cbranch_vccz .LBB128_65
; %bb.64:                               ;   in Loop: Header=BB128_20 Depth=1
	s_wait_loadcnt 0x0
	global_inv scope:SCOPE_SE
	ds_load_b32 v1, v7 offset:4104
	s_wait_dscnt 0x0
	v_readfirstlane_b32 s38, v1
.LBB128_65:                             ;   in Loop: Header=BB128_20 Depth=1
	s_delay_alu instid0(VALU_DEP_1)
	s_cmp_lt_i32 s38, 1
	s_mov_b32 s11, -1
                                        ; implicit-def: $vgpr1
	s_cbranch_scc1 .LBB128_75
; %bb.66:                               ;   in Loop: Header=BB128_20 Depth=1
	s_wait_alu 0xfffe
	s_and_b32 vcc_lo, exec_lo, s11
	s_wait_alu 0xfffe
	s_cbranch_vccnz .LBB128_86
.LBB128_67:                             ;   in Loop: Header=BB128_20 Depth=1
	v_lshlrev_b32_e32 v6, 7, v32
	s_and_saveexec_b32 s11, s3
.LBB128_68:                             ;   in Loop: Header=BB128_20 Depth=1
	s_delay_alu instid0(VALU_DEP_1)
	v_lshl_add_u32 v36, v6, 2, v19
	ds_store_b128 v36, v[1:4]
.LBB128_69:                             ;   in Loop: Header=BB128_20 Depth=1
	s_wait_alu 0xfffe
	s_or_b32 exec_lo, exec_lo, s11
	s_wait_loadcnt_dscnt 0x0
	s_barrier_signal -1
	s_barrier_wait -1
	global_inv scope:SCOPE_SE
	s_and_saveexec_b32 s11, s47
	s_cbranch_execz .LBB128_99
; %bb.70:                               ;   in Loop: Header=BB128_20 Depth=1
	v_mov_b32_e32 v1, 0
	s_and_not1_b32 vcc_lo, exec_lo, s52
	s_wait_alu 0xfffe
	s_cbranch_vccnz .LBB128_98
; %bb.71:                               ;   in Loop: Header=BB128_20 Depth=1
	s_and_not1_b32 vcc_lo, exec_lo, s54
	s_wait_alu 0xfffe
	s_cbranch_vccnz .LBB128_95
; %bb.72:                               ;   in Loop: Header=BB128_20 Depth=1
	v_lshl_add_u32 v2, v32, 9, v30
	v_mov_b32_e32 v1, 0
	s_mov_b32 s12, 0
.LBB128_73:                             ;   Parent Loop BB128_20 Depth=1
                                        ; =>  This Inner Loop Header: Depth=2
	ds_load_2addr_b32 v[3:4], v2 offset1:4
	ds_load_2addr_b32 v[36:37], v2 offset0:8 offset1:12
	ds_load_2addr_b32 v[38:39], v2 offset0:16 offset1:20
	;; [unrolled: 1-line block ×3, first 2 shown]
	v_add_nc_u32_e32 v2, 0x80, v2
	s_wait_alu 0xfffe
	s_add_co_i32 s12, s12, 8
	s_wait_alu 0xfffe
	s_cmp_eq_u32 s55, s12
	s_wait_dscnt 0x3
	v_add3_u32 v1, v3, v1, v4
	s_wait_dscnt 0x2
	s_delay_alu instid0(VALU_DEP_1) | instskip(SKIP_1) | instid1(VALU_DEP_1)
	v_add3_u32 v1, v36, v1, v37
	s_wait_dscnt 0x1
	v_add3_u32 v1, v38, v1, v39
	s_wait_dscnt 0x0
	s_delay_alu instid0(VALU_DEP_1)
	v_add3_u32 v1, v40, v1, v41
	s_cbranch_scc0 .LBB128_73
; %bb.74:                               ;   in Loop: Header=BB128_20 Depth=1
	s_mov_b32 s12, s55
	s_and_not1_b32 vcc_lo, exec_lo, s56
	s_wait_alu 0xfffe
	s_cbranch_vccz .LBB128_96
	s_branch .LBB128_98
.LBB128_75:                             ;   in Loop: Header=BB128_20 Depth=1
	v_dual_mov_b32 v1, 0 :: v_dual_mov_b32 v2, 0
	v_dual_mov_b32 v3, 0 :: v_dual_mov_b32 v4, 0
	s_and_saveexec_b32 s22, s8
	s_cbranch_execz .LBB128_79
; %bb.76:                               ;   in Loop: Header=BB128_20 Depth=1
	v_mov_b32_e32 v36, v14
	s_mov_b32 s23, 0
	s_mov_b32 s24, 0
	;; [unrolled: 1-line block ×6, first 2 shown]
.LBB128_77:                             ;   Parent Loop BB128_20 Depth=1
                                        ; =>  This Inner Loop Header: Depth=2
	s_wait_alu 0xfffe
	v_add_nc_u32_e32 v6, s24, v27
	v_add_nc_u32_e32 v36, s49, v36
	s_delay_alu instid0(VALU_DEP_2) | instskip(SKIP_1) | instid1(VALU_DEP_1)
	v_lshlrev_b64_e32 v[1:2], 1, v[6:7]
	v_add_nc_u32_e32 v6, s24, v12
	v_lshlrev_b64_e32 v[3:4], 1, v[6:7]
	s_delay_alu instid0(VALU_DEP_3) | instskip(SKIP_3) | instid1(VALU_DEP_4)
	v_add_co_u32 v1, vcc_lo, s26, v1
	v_add_nc_u32_e32 v6, s24, v25
	s_wait_alu 0xfffd
	v_add_co_ci_u32_e64 v2, null, s27, v2, vcc_lo
	v_add_co_u32 v3, vcc_lo, s26, v3
	s_delay_alu instid0(VALU_DEP_3)
	v_lshlrev_b64_e32 v[37:38], 1, v[6:7]
	v_add_nc_u32_e32 v6, s24, v26
	s_wait_alu 0xfffd
	v_add_co_ci_u32_e64 v4, null, s27, v4, vcc_lo
	global_load_u16 v39, v[1:2], off
	s_add_co_i32 s24, s24, s59
	v_lshlrev_b64_e32 v[1:2], 1, v[6:7]
	global_load_u16 v6, v[3:4], off
	v_add_co_u32 v3, vcc_lo, s26, v37
	s_wait_alu 0xfffd
	v_add_co_ci_u32_e64 v4, null, s27, v38, vcc_lo
	v_add_co_u32 v1, vcc_lo, s26, v1
	s_wait_alu 0xfffd
	v_add_co_ci_u32_e64 v2, null, s27, v2, vcc_lo
	global_load_u16 v3, v[3:4], off
	v_cmp_le_u32_e32 vcc_lo, s57, v36
	global_load_u16 v1, v[1:2], off
	s_wait_loadcnt 0x3
	v_cmp_lt_i16_e64 s11, -1, v39
	v_and_b32_e32 v2, 0xffff, v39
	s_wait_loadcnt 0x2
	v_and_b32_e32 v37, 0xffff, v6
	s_wait_alu 0xf1ff
	v_cndmask_b32_e64 v4, 0xffff, v31, s11
	v_cmp_lt_i16_e64 s11, -1, v6
	s_delay_alu instid0(VALU_DEP_2) | instskip(SKIP_1) | instid1(VALU_DEP_2)
	v_xor_b32_e32 v2, v4, v2
	s_wait_alu 0xf1ff
	v_cndmask_b32_e64 v38, 0xffff, v31, s11
	v_cmp_o_f16_e64 s11, v39, v39
	s_wait_loadcnt 0x1
	v_cmp_lt_i16_e64 s12, -1, v3
	s_wait_loadcnt 0x0
	v_cmp_o_f16_e64 s16, v1, v1
	v_xor_b32_e32 v4, v38, v37
	s_wait_alu 0xf1ff
	v_cndmask_b32_e64 v2, 0xffff, v2, s11
	v_cmp_o_f16_e64 s11, v6, v6
	v_and_b32_e32 v37, 0xffff, v3
	v_cndmask_b32_e64 v38, 0xffff, v31, s12
	s_delay_alu instid0(VALU_DEP_4)
	v_and_b32_e32 v39, v2, v33
	s_wait_alu 0xf1ff
	v_cndmask_b32_e64 v4, 0xffff, v4, s11
	v_cmp_lt_i16_e64 s11, -1, v1
	v_xor_b32_e32 v6, v38, v37
	v_bfe_u32 v2, v2, s70, 2
	v_and_b32_e32 v37, 0xffff, v1
	s_wait_alu 0xf1ff
	v_cndmask_b32_e64 v38, 0xffff, v31, s11
	v_cmp_o_f16_e64 s11, v3, v3
	v_cmp_eq_u32_e64 s12, 0, v2
	v_cmp_eq_u32_e64 s13, 1, v2
	;; [unrolled: 1-line block ×4, first 2 shown]
	s_wait_alu 0xf1ff
	v_cndmask_b32_e64 v3, 0xffff, v6, s11
	v_cmp_eq_u32_e64 s11, v39, v13
	v_xor_b32_e32 v6, v38, v37
	v_and_b32_e32 v37, v4, v33
	v_bfe_u32 v4, v4, s70, 2
	v_and_b32_e32 v2, v3, v33
	s_and_b32 s12, s11, s12
	v_cndmask_b32_e64 v1, 0xffff, v6, s16
	v_cmp_eq_u32_e64 s16, v37, v13
	v_cmp_eq_u32_e64 s17, 0, v4
	s_wait_alu 0xfffe
	v_cndmask_b32_e64 v6, 0, 1, s12
	v_cmp_eq_u32_e64 s12, 1, v4
	s_and_b32 s13, s11, s13
	v_bfe_u32 v3, v3, s70, 2
	s_wait_alu 0xfffe
	v_cndmask_b32_e64 v37, 0, 1, s13
	v_cmp_eq_u32_e64 s13, 2, v4
	s_and_b32 s14, s11, s14
	s_and_b32 s11, s11, s15
	s_wait_alu 0xfffe
	v_cndmask_b32_e64 v38, 0, 1, s14
	s_and_b32 s17, s16, s17
	s_and_b32 s12, s16, s12
	v_cmp_eq_u32_e64 s14, 3, v4
	v_cndmask_b32_e64 v4, 0, 1, s11
	v_cmp_eq_u32_e64 s11, v2, v13
	v_cmp_eq_u32_e64 s15, 0, v3
	v_cmp_ne_u32_e64 s18, 0, v6
	s_wait_alu 0xfffe
	v_cndmask_b32_e64 v6, 0, 1, s17
	v_cmp_eq_u32_e64 s17, 1, v3
	v_cmp_ne_u32_e64 s19, 0, v37
	v_cndmask_b32_e64 v37, 0, 1, s12
	v_cmp_eq_u32_e64 s12, 2, v3
	s_and_b32 s13, s16, s13
	v_and_b32_e32 v2, v1, v33
	v_bfe_u32 v1, v1, s70, 2
	v_cmp_ne_u32_e64 s20, 0, v38
	s_wait_alu 0xfffe
	v_cndmask_b32_e64 v38, 0, 1, s13
	v_cmp_eq_u32_e64 s13, 3, v3
	s_and_b32 s14, s16, s14
	s_and_b32 s15, s11, s15
	s_and_b32 s17, s11, s17
	s_and_b32 s12, s11, s12
	v_cmp_ne_u32_e64 s21, 0, v4
	s_wait_alu 0xfffe
	v_cndmask_b32_e64 v3, 0, 1, s14
	v_cmp_eq_u32_e64 s14, v2, v13
	v_cmp_eq_u32_e64 s16, 0, v1
	s_bcnt1_i32_b32 s75, s18
	v_cmp_ne_u32_e64 s18, 0, v6
	v_cndmask_b32_e64 v2, 0, 1, s15
	v_cmp_eq_u32_e64 s15, 1, v1
	v_cndmask_b32_e64 v4, 0, 1, s17
	v_cmp_eq_u32_e64 s17, 2, v1
	;; [unrolled: 2-line block ×3, first 2 shown]
	s_and_b32 s11, s11, s13
	s_bcnt1_i32_b32 s78, s21
	s_wait_alu 0xfffe
	v_cndmask_b32_e64 v1, 0, 1, s11
	v_cmp_ne_u32_e64 s21, 0, v3
	s_and_b32 s13, s14, s16
	s_and_b32 s15, s14, s15
	;; [unrolled: 1-line block ×4, first 2 shown]
	v_cmp_ne_u32_e64 s11, 0, v2
	s_wait_alu 0xfffe
	v_cndmask_b32_e64 v2, 0, 1, s13
	v_cmp_ne_u32_e64 s13, 0, v4
	v_cndmask_b32_e64 v3, 0, 1, s15
	v_cndmask_b32_e64 v4, 0, 1, s16
	v_cmp_ne_u32_e64 s16, 0, v1
	v_cndmask_b32_e64 v1, 0, 1, s12
	s_bcnt1_i32_b32 s76, s19
	v_cmp_ne_u32_e64 s19, 0, v37
	s_bcnt1_i32_b32 s77, s20
	v_cmp_ne_u32_e64 s20, 0, v38
	s_add_co_i32 s71, s78, s71
	v_cmp_ne_u32_e64 s15, 0, v6
	s_bcnt1_i32_b32 s17, s21
	s_bcnt1_i32_b32 s21, s11
	s_wait_alu 0xfffe
	s_add_co_i32 s17, s71, s17
	v_cmp_ne_u32_e64 s11, 0, v2
	s_bcnt1_i32_b32 s71, s13
	v_cmp_ne_u32_e64 s12, 0, v3
	v_cmp_ne_u32_e64 s13, 0, v4
	;; [unrolled: 1-line block ×3, first 2 shown]
	s_add_co_i32 s74, s75, s74
	s_add_co_i32 s73, s76, s73
	;; [unrolled: 1-line block ×3, first 2 shown]
	s_bcnt1_i32_b32 s18, s18
	s_bcnt1_i32_b32 s19, s19
	;; [unrolled: 1-line block ×3, first 2 shown]
	s_wait_alu 0xfffe
	s_add_co_i32 s18, s74, s18
	s_add_co_i32 s19, s73, s19
	;; [unrolled: 1-line block ×3, first 2 shown]
	s_bcnt1_i32_b32 s15, s15
	s_bcnt1_i32_b32 s16, s16
	s_wait_alu 0xfffe
	s_add_co_i32 s18, s18, s21
	s_add_co_i32 s19, s19, s71
	;; [unrolled: 1-line block ×4, first 2 shown]
	s_bcnt1_i32_b32 s11, s11
	s_bcnt1_i32_b32 s12, s12
	;; [unrolled: 1-line block ×4, first 2 shown]
	s_wait_alu 0xfffe
	s_add_co_i32 s74, s18, s11
	s_add_co_i32 s73, s19, s12
	;; [unrolled: 1-line block ×4, first 2 shown]
	s_wait_alu 0xfffe
	v_dual_mov_b32 v1, s74 :: v_dual_mov_b32 v2, s73
	v_dual_mov_b32 v3, s72 :: v_dual_mov_b32 v4, s71
	s_or_b32 s23, vcc_lo, s23
	s_wait_alu 0xfffe
	s_and_not1_b32 exec_lo, exec_lo, s23
	s_cbranch_execnz .LBB128_77
; %bb.78:                               ;   in Loop: Header=BB128_20 Depth=1
	s_or_b32 exec_lo, exec_lo, s23
.LBB128_79:                             ;   in Loop: Header=BB128_20 Depth=1
	s_wait_alu 0xfffe
	s_or_b32 exec_lo, exec_lo, s22
	s_and_saveexec_b32 s15, s9
	s_cbranch_execz .LBB128_85
; %bb.80:                               ;   in Loop: Header=BB128_20 Depth=1
	global_load_u16 v38, v[10:11], off
	v_mov_b32_e32 v6, v28
	v_mov_b32_e32 v36, v22
	s_mov_b32 s16, 0
	s_branch .LBB128_82
.LBB128_81:                             ;   in Loop: Header=BB128_82 Depth=2
	s_wait_alu 0xfffe
	s_or_b32 exec_lo, exec_lo, s12
	s_wait_loadcnt 0x0
	v_cmp_lt_i16_e64 s11, -1, v38
	v_and_b32_e32 v39, 0xffff, v38
	s_and_b32 s12, exec_lo, vcc_lo
	v_add_nc_u32_e32 v6, s51, v6
	s_wait_alu 0xfffe
	s_or_b32 s16, s12, s16
	v_cndmask_b32_e64 v40, 0xffff, v31, s11
	v_cmp_o_f16_e64 s11, v38, v38
	s_delay_alu instid0(VALU_DEP_2) | instskip(SKIP_1) | instid1(VALU_DEP_1)
	v_xor_b32_e32 v39, v40, v39
	s_wait_alu 0xf1ff
	v_cndmask_b32_e64 v38, 0xffff, v39, s11
	s_delay_alu instid0(VALU_DEP_1) | instskip(SKIP_1) | instid1(VALU_DEP_2)
	v_and_b32_e32 v39, v38, v33
	v_bfe_u32 v38, v38, s70, 2
	v_cmp_eq_u32_e32 vcc_lo, v39, v13
	s_delay_alu instid0(VALU_DEP_2)
	v_cmp_eq_u32_e64 s11, 0, v38
	v_cmp_eq_u32_e64 s12, 1, v38
	;; [unrolled: 1-line block ×4, first 2 shown]
	s_and_b32 s11, vcc_lo, s11
	s_wait_alu 0xfffe
	v_cndmask_b32_e64 v38, 0, 1, s11
	s_and_b32 s11, vcc_lo, s12
	s_wait_alu 0xfffe
	v_cndmask_b32_e64 v39, 0, 1, s11
	s_and_b32 s11, vcc_lo, s13
	s_wait_alu 0xfffe
	v_cndmask_b32_e64 v40, 0, 1, s11
	s_and_b32 s11, vcc_lo, s14
	v_cmp_ne_u32_e32 vcc_lo, 0, v38
	s_wait_alu 0xfffe
	v_cndmask_b32_e64 v41, 0, 1, s11
	v_cmp_ne_u32_e64 s11, 0, v39
	v_cmp_ne_u32_e64 s12, 0, v40
	v_mov_b32_e32 v38, v37
	s_bcnt1_i32_b32 s14, vcc_lo
	v_cmp_ne_u32_e64 s13, 0, v41
	s_bcnt1_i32_b32 s11, s11
	s_bcnt1_i32_b32 s12, s12
	s_wait_alu 0xfffe
	v_add_nc_u32_e32 v1, s14, v1
	v_add_nc_u32_e32 v2, s11, v2
	s_bcnt1_i32_b32 s13, s13
	v_add_nc_u32_e32 v3, s12, v3
	s_wait_alu 0xfffe
	v_add_nc_u32_e32 v4, s13, v4
	s_and_not1_b32 exec_lo, exec_lo, s16
	s_cbranch_execz .LBB128_84
.LBB128_82:                             ;   Parent Loop BB128_20 Depth=1
                                        ; =>  This Inner Loop Header: Depth=2
	s_delay_alu instid0(VALU_DEP_1) | instskip(SKIP_1) | instid1(VALU_DEP_1)
	v_dual_mov_b32 v37, 0 :: v_dual_add_nc_u32 v36, s29, v36
	s_mov_b32 s12, exec_lo
	v_cmp_le_u32_e32 vcc_lo, s28, v36
	v_cmpx_gt_u32_e64 s28, v36
	s_cbranch_execz .LBB128_81
; %bb.83:                               ;   in Loop: Header=BB128_82 Depth=2
	v_lshlrev_b64_e32 v[39:40], 1, v[6:7]
	s_delay_alu instid0(VALU_DEP_1) | instskip(SKIP_1) | instid1(VALU_DEP_2)
	v_add_co_u32 v39, s11, s26, v39
	s_wait_alu 0xf1fe
	v_add_co_ci_u32_e64 v40, null, s27, v40, s11
	global_load_u16 v37, v[39:40], off
	s_branch .LBB128_81
.LBB128_84:                             ;   in Loop: Header=BB128_20 Depth=1
	s_or_b32 exec_lo, exec_lo, s16
.LBB128_85:                             ;   in Loop: Header=BB128_20 Depth=1
	s_wait_alu 0xfffe
	s_or_b32 exec_lo, exec_lo, s15
	s_branch .LBB128_67
.LBB128_86:                             ;   in Loop: Header=BB128_20 Depth=1
	s_mul_u64 s[12:13], s[38:39], s[40:41]
	v_dual_mov_b32 v1, 0 :: v_dual_mov_b32 v2, 0
	s_wait_alu 0xfffe
	s_mul_i32 s11, s13, s49
	v_dual_mov_b32 v3, 0 :: v_dual_mov_b32 v4, 0
	s_wait_alu 0xfffe
	s_sub_co_i32 s11, s38, s11
	s_mov_b32 s72, exec_lo
	s_wait_alu 0xfffe
	s_sub_co_i32 s12, s11, s49
	s_cmp_ge_u32 s11, s49
	s_wait_alu 0xfffe
	s_cselect_b32 s11, s12, s11
	s_wait_alu 0xfffe
	s_sub_co_i32 s12, s11, s49
	s_cmp_ge_u32 s11, s49
	s_wait_alu 0xfffe
	s_cselect_b32 s11, s12, s11
	s_wait_alu 0xfffe
	s_sub_co_i32 s71, s38, s11
	s_wait_alu 0xfffe
	v_cmpx_gt_u32_e64 s71, v14
	s_cbranch_execz .LBB128_90
; %bb.87:                               ;   in Loop: Header=BB128_20 Depth=1
	v_mov_b32_e32 v6, v29
	v_mov_b32_e32 v36, v14
	s_mov_b32 s73, 0
	s_mov_b32 s74, 0
	;; [unrolled: 1-line block ×5, first 2 shown]
.LBB128_88:                             ;   Parent Loop BB128_20 Depth=1
                                        ; =>  This Inner Loop Header: Depth=2
	ds_load_b64 v[1:2], v6
	s_wait_dscnt 0x0
	v_cmp_lt_i16_e64 s11, -1, v1
	v_lshrrev_b32_e32 v3, 16, v1
	v_lshrrev_b32_e32 v40, 16, v2
	v_and_b32_e32 v4, 0xffff, v1
	v_and_b32_e32 v38, 0xffff, v2
	s_wait_alu 0xf1ff
	v_cndmask_b32_e64 v37, 0xffff, v31, s11
	v_cmp_lt_i16_e64 s11, -1, v2
	v_cmp_lt_i16_e64 s12, -1, v40
	s_delay_alu instid0(VALU_DEP_3) | instskip(SKIP_1) | instid1(VALU_DEP_3)
	v_xor_b32_e32 v4, v37, v4
	s_wait_alu 0xf1ff
	v_cndmask_b32_e64 v39, 0xffff, v31, s11
	v_cmp_lt_i16_e64 s11, -1, v3
	s_delay_alu instid0(VALU_DEP_2) | instskip(SKIP_1) | instid1(VALU_DEP_2)
	v_xor_b32_e32 v38, v39, v38
	s_wait_alu 0xf1ff
	v_cndmask_b32_e64 v37, 0xffff, v31, s11
	v_cmp_o_f16_e64 s11, v2, v2
	v_cndmask_b32_e64 v2, 0xffff, v31, s12
	v_cmp_o_f16_e64 s12, v1, v1
	s_delay_alu instid0(VALU_DEP_2) | instskip(SKIP_1) | instid1(VALU_DEP_2)
	v_xor_b32_e32 v2, v2, v40
	s_wait_alu 0xf1ff
	v_cndmask_b32_e64 v1, 0xffff, v4, s12
	v_xor_b32_e32 v4, v37, v3
	v_cmp_o_f16_e64 s12, v3, v3
	v_cndmask_b32_e64 v37, 0xffff, v38, s11
	v_cmp_o_f16_e64 s11, v40, v40
	s_wait_alu 0xf1ff
	s_delay_alu instid0(VALU_DEP_3)
	v_cndmask_b32_e64 v3, 0xffff, v4, s12
	v_and_b32_e32 v4, v1, v33
	v_bfe_u32 v1, v1, s70, 2
	v_and_b32_e32 v38, v37, v33
	v_bfe_u32 v37, v37, s70, 2
	v_cndmask_b32_e64 v2, 0xffff, v2, s11
	v_cmp_eq_u32_e64 s11, v4, v13
	v_and_b32_e32 v4, v3, v33
	v_bfe_u32 v3, v3, s70, 2
	v_cmp_eq_u32_e64 s13, 0, v1
	v_cmp_eq_u32_e64 s15, 1, v1
	;; [unrolled: 1-line block ×8, first 2 shown]
	v_and_b32_e32 v38, v2, v33
	v_bfe_u32 v2, v2, s70, 2
	v_cmp_eq_u32_e64 s20, 3, v37
	v_cmp_eq_u32_e64 s21, v4, v13
	;; [unrolled: 1-line block ×3, first 2 shown]
	s_and_b32 s13, s11, s13
	s_and_b32 s15, s11, s15
	;; [unrolled: 1-line block ×3, first 2 shown]
	s_wait_alu 0xfffe
	v_cndmask_b32_e64 v1, 0, 1, s13
	s_and_b32 s13, s12, s14
	v_cndmask_b32_e64 v37, 0, 1, s15
	s_and_b32 s15, s12, s16
	;; [unrolled: 2-line block ×3, first 2 shown]
	s_and_b32 s11, s11, s19
	v_cmp_eq_u32_e64 s22, v38, v13
	v_cmp_eq_u32_e64 s24, 0, v2
	s_wait_alu 0xfffe
	v_cndmask_b32_e64 v4, 0, 1, s13
	v_cmp_eq_u32_e64 s13, 1, v3
	v_cmp_eq_u32_e64 s14, 1, v2
	v_cndmask_b32_e64 v38, 0, 1, s15
	v_cmp_eq_u32_e64 s15, 2, v3
	v_cmp_eq_u32_e64 s16, 2, v2
	;; [unrolled: 3-line block ×3, first 2 shown]
	v_cndmask_b32_e64 v2, 0, 1, s11
	s_and_b32 s11, s12, s20
	s_and_b32 s12, s21, s23
	s_wait_alu 0xfffe
	v_cndmask_b32_e64 v3, 0, 1, s11
	v_cmp_ne_u32_e64 s11, 0, v1
	v_cndmask_b32_e64 v1, 0, 1, s12
	s_and_b32 s19, s22, s24
	s_and_b32 s13, s21, s13
	;; [unrolled: 1-line block ×6, first 2 shown]
	v_cmp_ne_u32_e64 s12, 0, v4
	s_wait_alu 0xfffe
	v_cndmask_b32_e64 v4, 0, 1, s19
	v_cmp_ne_u32_e64 s19, 0, v37
	v_cndmask_b32_e64 v37, 0, 1, s13
	v_cmp_ne_u32_e64 s13, 0, v38
	;; [unrolled: 2-line block ×5, first 2 shown]
	v_cndmask_b32_e64 v2, 0, 1, s17
	s_bcnt1_i32_b32 s20, s11
	v_cmp_ne_u32_e64 s11, 0, v1
	s_and_b32 s18, s22, s18
	v_cmp_ne_u32_e64 s17, 0, v3
	s_wait_alu 0xfffe
	v_cndmask_b32_e64 v3, 0, 1, s18
	s_bcnt1_i32_b32 s21, s12
	v_cmp_ne_u32_e64 s12, 0, v4
	v_cmp_ne_u32_e64 s18, 0, v37
	s_bcnt1_i32_b32 s23, s14
	v_cmp_ne_u32_e64 s14, 0, v39
	s_bcnt1_i32_b32 s78, s16
	v_cmp_ne_u32_e64 s16, 0, v2
	s_add_co_i32 s20, s20, s77
	s_bcnt1_i32_b32 s11, s11
	s_bcnt1_i32_b32 s19, s19
	s_wait_alu 0xfffe
	s_add_co_i32 s11, s20, s11
	s_bcnt1_i32_b32 s22, s13
	v_cmp_ne_u32_e64 s13, 0, v38
	s_bcnt1_i32_b32 s24, s15
	v_cmp_ne_u32_e64 s15, 0, v40
	;; [unrolled: 2-line block ×3, first 2 shown]
	s_bcnt1_i32_b32 s12, s12
	s_wait_alu 0xfffe
	s_add_co_i32 s11, s11, s21
	s_add_co_i32 s19, s19, s76
	;; [unrolled: 1-line block ×4, first 2 shown]
	s_bcnt1_i32_b32 s18, s18
	s_bcnt1_i32_b32 s14, s14
	;; [unrolled: 1-line block ×3, first 2 shown]
	s_wait_alu 0xfffe
	s_add_co_i32 s77, s11, s12
	s_wait_alu 0xfffe
	v_dual_mov_b32 v1, s77 :: v_dual_add_nc_u32 v36, s49, v36
	s_add_co_i32 s18, s19, s18
	s_add_co_i32 s14, s23, s14
	;; [unrolled: 1-line block ×3, first 2 shown]
	s_bcnt1_i32_b32 s13, s13
	s_bcnt1_i32_b32 s15, s15
	s_bcnt1_i32_b32 s17, s17
	s_wait_alu 0xfffe
	s_add_co_i32 s18, s18, s22
	s_add_co_i32 s14, s14, s24
	;; [unrolled: 1-line block ×3, first 2 shown]
	v_cmp_le_u32_e32 vcc_lo, s71, v36
	s_wait_alu 0xfffe
	s_add_co_i32 s76, s18, s13
	s_add_co_i32 s75, s14, s15
	;; [unrolled: 1-line block ×3, first 2 shown]
	s_wait_alu 0xfffe
	v_dual_mov_b32 v3, s75 :: v_dual_add_nc_u32 v6, s60, v6
	v_mov_b32_e32 v2, s76
	v_mov_b32_e32 v4, s74
	s_or_b32 s73, vcc_lo, s73
	s_wait_alu 0xfffe
	s_and_not1_b32 exec_lo, exec_lo, s73
	s_cbranch_execnz .LBB128_88
; %bb.89:                               ;   in Loop: Header=BB128_20 Depth=1
	s_or_b32 exec_lo, exec_lo, s73
.LBB128_90:                             ;   in Loop: Header=BB128_20 Depth=1
	s_delay_alu instid0(SALU_CYCLE_1) | instskip(SKIP_2) | instid1(VALU_DEP_1)
	s_or_b32 exec_lo, exec_lo, s72
	v_add_nc_u32_e32 v6, s71, v0
	s_mov_b32 s16, exec_lo
	v_cmpx_gt_u32_e64 s38, v6
	s_cbranch_execz .LBB128_94
; %bb.91:                               ;   in Loop: Header=BB128_20 Depth=1
	v_lshlrev_b32_e32 v36, 1, v6
	s_mov_b32 s17, 0
.LBB128_92:                             ;   Parent Loop BB128_20 Depth=1
                                        ; =>  This Inner Loop Header: Depth=2
	ds_load_u16 v37, v36
	v_add_nc_u32_e32 v6, s29, v6
	v_add_nc_u32_e32 v36, s61, v36
	s_delay_alu instid0(VALU_DEP_2) | instskip(SKIP_4) | instid1(VALU_DEP_2)
	v_cmp_le_u32_e32 vcc_lo, s38, v6
	s_wait_dscnt 0x0
	v_cmp_lt_i16_e64 s11, -1, v37
	v_and_b32_e32 v38, 0xffff, v37
	s_wait_alu 0xf1ff
	v_cndmask_b32_e64 v39, 0xffff, v31, s11
	v_cmp_o_f16_e64 s11, v37, v37
	s_delay_alu instid0(VALU_DEP_2) | instskip(SKIP_1) | instid1(VALU_DEP_1)
	v_xor_b32_e32 v38, v39, v38
	s_wait_alu 0xf1ff
	v_cndmask_b32_e64 v37, 0xffff, v38, s11
	s_delay_alu instid0(VALU_DEP_1) | instskip(SKIP_1) | instid1(VALU_DEP_2)
	v_and_b32_e32 v38, v37, v33
	v_bfe_u32 v37, v37, s70, 2
	v_cmp_eq_u32_e64 s11, v38, v13
	s_delay_alu instid0(VALU_DEP_2)
	v_cmp_eq_u32_e64 s12, 0, v37
	v_cmp_eq_u32_e64 s13, 1, v37
	v_cmp_eq_u32_e64 s14, 2, v37
	v_cmp_eq_u32_e64 s15, 3, v37
	s_and_b32 s12, s11, s12
	s_wait_alu 0xfffe
	v_cndmask_b32_e64 v37, 0, 1, s12
	s_and_b32 s12, s11, s13
	s_wait_alu 0xfffe
	v_cndmask_b32_e64 v38, 0, 1, s12
	s_and_b32 s12, s11, s14
	s_and_b32 s11, s11, s15
	s_wait_alu 0xfffe
	v_cndmask_b32_e64 v39, 0, 1, s12
	v_cndmask_b32_e64 v40, 0, 1, s11
	v_cmp_ne_u32_e64 s11, 0, v37
	v_cmp_ne_u32_e64 s12, 0, v38
	s_delay_alu instid0(VALU_DEP_4) | instskip(NEXT) | instid1(VALU_DEP_4)
	v_cmp_ne_u32_e64 s13, 0, v39
	v_cmp_ne_u32_e64 s14, 0, v40
	s_bcnt1_i32_b32 s11, s11
	s_bcnt1_i32_b32 s12, s12
	s_wait_alu 0xfffe
	v_add_nc_u32_e32 v1, s11, v1
	s_bcnt1_i32_b32 s13, s13
	s_bcnt1_i32_b32 s14, s14
	v_add_nc_u32_e32 v2, s12, v2
	s_wait_alu 0xfffe
	v_add_nc_u32_e32 v3, s13, v3
	v_add_nc_u32_e32 v4, s14, v4
	s_or_b32 s17, vcc_lo, s17
	s_wait_alu 0xfffe
	s_and_not1_b32 exec_lo, exec_lo, s17
	s_cbranch_execnz .LBB128_92
; %bb.93:                               ;   in Loop: Header=BB128_20 Depth=1
	s_or_b32 exec_lo, exec_lo, s17
.LBB128_94:                             ;   in Loop: Header=BB128_20 Depth=1
	s_wait_alu 0xfffe
	s_or_b32 exec_lo, exec_lo, s16
	v_lshlrev_b32_e32 v6, 7, v32
	s_and_saveexec_b32 s11, s3
	s_cbranch_execnz .LBB128_68
	s_branch .LBB128_69
.LBB128_95:                             ;   in Loop: Header=BB128_20 Depth=1
	v_mov_b32_e32 v1, 0
	s_mov_b32 s12, 0
	s_and_not1_b32 vcc_lo, exec_lo, s56
	s_wait_alu 0xfffe
	s_cbranch_vccnz .LBB128_98
.LBB128_96:                             ;   in Loop: Header=BB128_20 Depth=1
	v_lshlrev_b32_e32 v2, 9, v32
	s_lshl_b32 s12, s12, 4
	s_wait_alu 0xfffe
	s_delay_alu instid0(VALU_DEP_1)
	v_add3_u32 v2, v2, s12, v30
	s_mov_b32 s12, s53
.LBB128_97:                             ;   Parent Loop BB128_20 Depth=1
                                        ; =>  This Inner Loop Header: Depth=2
	ds_load_b32 v3, v2
	v_add_nc_u32_e32 v2, 16, v2
	s_wait_alu 0xfffe
	s_add_co_i32 s12, s12, -1
	s_wait_alu 0xfffe
	s_cmp_lg_u32 s12, 0
	s_wait_dscnt 0x0
	v_add_nc_u32_e32 v1, v3, v1
	s_cbranch_scc1 .LBB128_97
.LBB128_98:                             ;   in Loop: Header=BB128_20 Depth=1
	v_add_lshl_u32 v2, v6, v15, 2
	ds_store_b32 v2, v1 offset:3072
.LBB128_99:                             ;   in Loop: Header=BB128_20 Depth=1
	s_wait_alu 0xfffe
	s_or_b32 exec_lo, exec_lo, s11
	v_lshlrev_b32_e32 v1, 2, v6
	s_wait_loadcnt_dscnt 0x0
	s_barrier_signal -1
	s_barrier_wait -1
	global_inv scope:SCOPE_SE
	ds_load_b128 v[1:4], v1 offset:3072
	s_lshl_b32 s12, 3, s70
	v_cmp_eq_u32_e32 vcc_lo, 1, v35
	s_wait_alu 0xfffe
	s_not_b32 s19, s12
	s_mov_b32 s15, -1
	s_mov_b32 s23, -1
                                        ; implicit-def: $sgpr20
                                        ; implicit-def: $sgpr17
	s_wait_dscnt 0x0
	v_readfirstlane_b32 s14, v1
	v_readfirstlane_b32 s21, v2
	;; [unrolled: 1-line block ×4, first 2 shown]
	s_cmp_eq_u32 s14, 1
	s_cselect_b32 s13, -1, 0
	s_wait_alu 0xfffe
	s_and_b32 s16, s13, vcc_lo
	s_wait_alu 0xfffe
	s_and_saveexec_b32 s13, s16
	s_cbranch_execz .LBB128_127
; %bb.100:                              ;   in Loop: Header=BB128_20 Depth=1
	ds_load_b32 v1, v7 offset:4104
	s_wait_loadcnt_dscnt 0x0
	s_barrier_signal -1
	s_barrier_wait -1
	global_inv scope:SCOPE_SE
	v_readfirstlane_b32 s23, v1
	s_and_saveexec_b32 s17, s1
; %bb.101:                              ;   in Loop: Header=BB128_20 Depth=1
	ds_store_b16 v17, v7
; %bb.102:                              ;   in Loop: Header=BB128_20 Depth=1
	s_wait_alu 0xfffe
	s_or_b32 exec_lo, exec_lo, s17
	v_and_b32_e32 v13, s19, v13
	v_or_b32_e32 v33, s12, v33
	s_mov_b32 s17, -1
	s_mov_b32 s20, 0
	s_cmp_eq_u32 s23, 0
	s_mov_b32 s22, 0
	s_mov_b32 s24, -1
	s_wait_loadcnt_dscnt 0x0
	s_barrier_signal -1
	s_barrier_wait -1
	global_inv scope:SCOPE_SE
                                        ; implicit-def: $vgpr34
	s_cbranch_scc1 .LBB128_114
; %bb.103:                              ;   in Loop: Header=BB128_20 Depth=1
	s_add_co_i32 s38, s23, s48
                                        ; implicit-def: $vgpr34
	s_wait_alu 0xfffe
	s_mul_u64 s[72:73], s[38:39], s[42:43]
	s_wait_alu 0xfffe
	s_mul_i32 s22, s73, s29
	s_wait_alu 0xfffe
	s_sub_co_i32 s22, s38, s22
	s_wait_alu 0xfffe
	s_sub_co_i32 s24, s22, s29
	s_cmp_ge_u32 s22, s29
	s_wait_alu 0xfffe
	s_cselect_b32 s22, s24, s22
	s_wait_alu 0xfffe
	s_sub_co_i32 s24, s22, s29
	s_cmp_ge_u32 s22, s29
	s_wait_alu 0xfffe
	s_cselect_b32 s22, s24, s22
	s_mov_b32 s24, 0
	s_wait_alu 0xfffe
	s_sub_co_i32 s71, s38, s22
	s_mov_b32 s22, 0
	s_mov_b32 s38, exec_lo
	s_wait_alu 0xfffe
	v_cmpx_gt_u32_e64 s71, v0
	s_cbranch_execz .LBB128_113
; %bb.104:                              ;   in Loop: Header=BB128_20 Depth=1
	v_dual_mov_b32 v1, v16 :: v_dual_mov_b32 v2, v0
                                        ; implicit-def: $sgpr72
	s_branch .LBB128_108
.LBB128_105:                            ;   in Loop: Header=BB128_108 Depth=2
	s_wait_alu 0xfffe
	s_or_b32 exec_lo, exec_lo, s73
	s_wait_loadcnt_dscnt 0x0
	s_barrier_signal -1
	s_barrier_wait -1
	global_inv scope:SCOPE_SE
	ds_load_b32 v3, v7 offset:3072
	s_wait_loadcnt_dscnt 0x0
	s_barrier_signal -1
	s_barrier_wait -1
	global_inv scope:SCOPE_SE
	v_cmp_neq_f16_e32 vcc_lo, 0, v3
	s_cbranch_vccnz .LBB128_111
; %bb.106:                              ;   in Loop: Header=BB128_108 Depth=2
	v_add_nc_u32_e32 v2, s29, v2
	v_add_nc_u32_e32 v1, s61, v1
	s_mov_b32 s73, 0
	s_delay_alu instid0(VALU_DEP_2)
	v_cmp_le_u32_e32 vcc_lo, s71, v2
	s_or_not1_b32 s74, vcc_lo, exec_lo
.LBB128_107:                            ;   in Loop: Header=BB128_108 Depth=2
	s_wait_alu 0xfffe
	s_and_b32 s74, exec_lo, s74
	s_wait_alu 0xfffe
	s_or_b32 s22, s74, s22
	s_and_not1_b32 s72, s72, exec_lo
	s_and_b32 s73, s73, exec_lo
	s_wait_alu 0xfffe
	s_or_b32 s72, s72, s73
	s_and_not1_b32 exec_lo, exec_lo, s22
	s_cbranch_execz .LBB128_112
.LBB128_108:                            ;   Parent Loop BB128_20 Depth=1
                                        ; =>  This Inner Loop Header: Depth=2
	s_mov_b32 s73, exec_lo
	s_delay_alu instid0(VALU_DEP_1)
	v_cmpx_gt_u32_e64 s23, v2
	s_cbranch_execz .LBB128_105
; %bb.109:                              ;   in Loop: Header=BB128_108 Depth=2
	ds_load_u16 v3, v1
	s_wait_dscnt 0x0
	v_cmp_lt_i16_e32 vcc_lo, -1, v3
	v_and_b32_e32 v4, 0xffff, v3
	s_wait_alu 0xfffd
	v_cndmask_b32_e32 v6, 0xffff, v31, vcc_lo
	v_cmp_o_f16_e32 vcc_lo, v3, v3
	s_delay_alu instid0(VALU_DEP_2) | instskip(SKIP_1) | instid1(VALU_DEP_1)
	v_xor_b32_e32 v4, v6, v4
	s_wait_alu 0xfffd
	v_cndmask_b32_e32 v4, 0xffff, v4, vcc_lo
	s_delay_alu instid0(VALU_DEP_1) | instskip(NEXT) | instid1(VALU_DEP_1)
	v_and_b32_e32 v4, v4, v33
	v_cmp_eq_u32_e32 vcc_lo, v4, v13
	s_and_b32 exec_lo, exec_lo, vcc_lo
	s_cbranch_execz .LBB128_105
; %bb.110:                              ;   in Loop: Header=BB128_108 Depth=2
	v_perm_b32 v3, v3, s63, 0x5040100
	ds_store_b32 v7, v3 offset:3072
	s_branch .LBB128_105
.LBB128_111:                            ;   in Loop: Header=BB128_108 Depth=2
	s_mov_b32 s74, -1
	s_mov_b32 s73, -1
                                        ; implicit-def: $vgpr2
                                        ; implicit-def: $vgpr1
	s_branch .LBB128_107
.LBB128_112:                            ;   in Loop: Header=BB128_20 Depth=1
	s_or_b32 exec_lo, exec_lo, s22
	v_lshrrev_b32_e32 v34, 16, v3
	s_wait_alu 0xfffe
	s_and_b32 s22, s72, exec_lo
.LBB128_113:                            ;   in Loop: Header=BB128_20 Depth=1
	s_or_b32 exec_lo, exec_lo, s38
.LBB128_114:                            ;   in Loop: Header=BB128_20 Depth=1
	s_wait_alu 0xfffe
	s_and_b32 vcc_lo, exec_lo, s24
	s_wait_alu 0xfffe
	s_cbranch_vccz .LBB128_126
; %bb.115:                              ;   in Loop: Header=BB128_20 Depth=1
                                        ; implicit-def: $vgpr34
	s_and_saveexec_b32 s17, s10
	s_cbranch_execz .LBB128_125
; %bb.116:                              ;   in Loop: Header=BB128_20 Depth=1
	v_dual_mov_b32 v6, v5 :: v_dual_mov_b32 v1, v0
	s_mov_b32 s20, 0
                                        ; implicit-def: $sgpr23
	s_branch .LBB128_120
.LBB128_117:                            ;   in Loop: Header=BB128_120 Depth=2
	s_wait_alu 0xfffe
	s_or_b32 exec_lo, exec_lo, s24
	s_wait_loadcnt_dscnt 0x0
	s_barrier_signal -1
	s_barrier_wait -1
	global_inv scope:SCOPE_SE
	ds_load_b32 v2, v7 offset:3072
	s_wait_loadcnt_dscnt 0x0
	s_barrier_signal -1
	s_barrier_wait -1
	global_inv scope:SCOPE_SE
	v_cmp_neq_f16_e32 vcc_lo, 0, v2
	s_cbranch_vccnz .LBB128_123
; %bb.118:                              ;   in Loop: Header=BB128_120 Depth=2
	v_add_nc_u32_e32 v1, s29, v1
	v_add_nc_u32_e32 v6, s51, v6
	s_mov_b32 s24, 0
	s_delay_alu instid0(VALU_DEP_2)
	v_cmp_le_u32_e32 vcc_lo, s58, v1
	s_or_not1_b32 s38, vcc_lo, exec_lo
.LBB128_119:                            ;   in Loop: Header=BB128_120 Depth=2
	s_wait_alu 0xfffe
	s_and_b32 s38, exec_lo, s38
	s_wait_alu 0xfffe
	s_or_b32 s20, s38, s20
	s_and_not1_b32 s23, s23, exec_lo
	s_and_b32 s24, s24, exec_lo
	s_wait_alu 0xfffe
	s_or_b32 s23, s23, s24
	s_and_not1_b32 exec_lo, exec_lo, s20
	s_cbranch_execz .LBB128_124
.LBB128_120:                            ;   Parent Loop BB128_20 Depth=1
                                        ; =>  This Inner Loop Header: Depth=2
	s_mov_b32 s24, exec_lo
	s_delay_alu instid0(VALU_DEP_1)
	v_cmpx_gt_u32_e64 s28, v1
	s_cbranch_execz .LBB128_117
; %bb.121:                              ;   in Loop: Header=BB128_120 Depth=2
	v_lshlrev_b64_e32 v[2:3], 1, v[6:7]
	s_delay_alu instid0(VALU_DEP_1) | instskip(SKIP_1) | instid1(VALU_DEP_2)
	v_add_co_u32 v2, vcc_lo, s26, v2
	s_wait_alu 0xfffd
	v_add_co_ci_u32_e64 v3, null, s27, v3, vcc_lo
	global_load_u16 v2, v[2:3], off
	s_wait_loadcnt 0x0
	v_cmp_lt_i16_e32 vcc_lo, -1, v2
	s_wait_alu 0xfffd
	v_dual_cndmask_b32 v4, 0xffff, v31 :: v_dual_and_b32 v3, 0xffff, v2
	v_cmp_o_f16_e32 vcc_lo, v2, v2
	s_delay_alu instid0(VALU_DEP_2) | instskip(SKIP_1) | instid1(VALU_DEP_1)
	v_xor_b32_e32 v3, v4, v3
	s_wait_alu 0xfffd
	v_cndmask_b32_e32 v3, 0xffff, v3, vcc_lo
	s_delay_alu instid0(VALU_DEP_1) | instskip(NEXT) | instid1(VALU_DEP_1)
	v_and_b32_e32 v3, v3, v33
	v_cmp_eq_u32_e32 vcc_lo, v3, v13
	s_and_b32 exec_lo, exec_lo, vcc_lo
	s_cbranch_execz .LBB128_117
; %bb.122:                              ;   in Loop: Header=BB128_120 Depth=2
	v_perm_b32 v2, v2, s63, 0x5040100
	ds_store_b32 v7, v2 offset:3072
	s_branch .LBB128_117
.LBB128_123:                            ;   in Loop: Header=BB128_120 Depth=2
	s_mov_b32 s38, -1
	s_mov_b32 s24, -1
                                        ; implicit-def: $vgpr1
	s_branch .LBB128_119
.LBB128_124:                            ;   in Loop: Header=BB128_20 Depth=1
	s_or_b32 exec_lo, exec_lo, s20
	v_lshrrev_b32_e32 v34, 16, v2
	s_and_not1_b32 s20, s22, exec_lo
	s_wait_alu 0xfffe
	s_and_b32 s22, s23, exec_lo
	s_wait_alu 0xfffe
	s_or_b32 s22, s20, s22
.LBB128_125:                            ;   in Loop: Header=BB128_20 Depth=1
	s_wait_alu 0xfffe
	s_or_b32 exec_lo, exec_lo, s17
	s_mov_b32 s17, 0
	s_mov_b32 s20, -1
.LBB128_126:                            ;   in Loop: Header=BB128_20 Depth=1
	s_or_not1_b32 s23, s22, exec_lo
.LBB128_127:                            ;   in Loop: Header=BB128_20 Depth=1
	s_wait_alu 0xfffe
	s_or_b32 exec_lo, exec_lo, s13
	v_readfirstlane_b32 s22, v0
	s_and_not1_b32 s13, s68, exec_lo
	s_and_b32 s20, s20, exec_lo
	s_and_not1_b32 s24, s66, exec_lo
	s_and_b32 s17, s17, exec_lo
	s_and_not1_b32 s65, s65, exec_lo
	s_wait_alu 0xfffe
	s_or_b32 s68, s13, s20
	s_or_b32 s66, s24, s17
                                        ; implicit-def: $vgpr2
	s_and_saveexec_b32 s13, s23
	s_cbranch_execz .LBB128_19
; %bb.128:                              ;   in Loop: Header=BB128_20 Depth=1
	v_dual_mov_b32 v2, 1 :: v_dual_mov_b32 v1, 1
	s_xor_b32 s16, s16, -1
	s_mov_b32 s22, 0
	s_wait_alu 0xfffe
	s_and_saveexec_b32 s15, s16
	s_cbranch_execz .LBB128_137
; %bb.129:                              ;   in Loop: Header=BB128_20 Depth=1
	s_mov_b32 s16, exec_lo
	v_cmpx_ge_u32_e64 s14, v35
	s_wait_alu 0xfffe
	s_xor_b32 s16, exec_lo, s16
	s_cbranch_execz .LBB128_134
; %bb.130:                              ;   in Loop: Header=BB128_20 Depth=1
	ds_load_b32 v1, v7 offset:4104
	v_and_b32_e32 v13, s19, v13
	v_or_b32_e32 v33, s12, v33
	s_wait_dscnt 0x0
	v_cmp_ne_u32_e32 vcc_lo, 0, v1
	s_cbranch_vccnz .LBB128_134
; %bb.131:                              ;   in Loop: Header=BB128_20 Depth=1
	s_and_saveexec_b32 s17, s0
; %bb.132:                              ;   in Loop: Header=BB128_20 Depth=1
	v_mov_b32_e32 v1, s14
	ds_store_b32 v7, v1 offset:4108
; %bb.133:                              ;   in Loop: Header=BB128_20 Depth=1
	s_wait_alu 0xfffe
	s_or_b32 exec_lo, exec_lo, s17
	s_wait_loadcnt_dscnt 0x0
	s_barrier_signal -1
	s_barrier_wait -1
	global_inv scope:SCOPE_SE
.LBB128_134:                            ;   in Loop: Header=BB128_20 Depth=1
	s_wait_alu 0xfffe
	s_or_saveexec_b32 s16, s16
	v_mov_b32_e32 v1, 8
	s_mov_b32 s17, 0
	s_wait_alu 0xfffe
	s_xor_b32 exec_lo, exec_lo, s16
; %bb.135:                              ;   in Loop: Header=BB128_20 Depth=1
	v_subrev_nc_u32_e32 v35, s14, v35
	v_mov_b32_e32 v1, 0
	s_mov_b32 s17, exec_lo
; %bb.136:                              ;   in Loop: Header=BB128_20 Depth=1
	s_or_b32 exec_lo, exec_lo, s16
	s_delay_alu instid0(VALU_DEP_2)
	v_mov_b32_e32 v2, v35
	s_wait_alu 0xfffe
	s_and_b32 s22, s17, exec_lo
.LBB128_137:                            ;   in Loop: Header=BB128_20 Depth=1
	s_wait_alu 0xfffe
	s_or_b32 exec_lo, exec_lo, s15
	s_mov_b32 s14, -1
	s_mov_b32 s20, -1
                                        ; implicit-def: $sgpr16
                                        ; implicit-def: $sgpr17
	s_and_saveexec_b32 s15, s22
	s_wait_alu 0xfffe
	s_xor_b32 s15, exec_lo, s15
	s_cbranch_execz .LBB128_260
; %bb.138:                              ;   in Loop: Header=BB128_20 Depth=1
	v_cmp_eq_u32_e32 vcc_lo, 1, v2
	s_cmp_eq_u32 s21, 1
	s_mov_b32 s23, -1
	s_cselect_b32 s16, -1, 0
                                        ; implicit-def: $sgpr17
	s_wait_alu 0xfffe
	s_and_b32 s22, s16, vcc_lo
                                        ; implicit-def: $sgpr16
	s_wait_alu 0xfffe
	s_and_saveexec_b32 s20, s22
	s_cbranch_execz .LBB128_166
; %bb.139:                              ;   in Loop: Header=BB128_20 Depth=1
	ds_load_b32 v3, v7 offset:4104
	s_wait_loadcnt_dscnt 0x0
	s_barrier_signal -1
	s_barrier_wait -1
	global_inv scope:SCOPE_SE
	v_readfirstlane_b32 s24, v3
	s_and_saveexec_b32 s16, s1
; %bb.140:                              ;   in Loop: Header=BB128_20 Depth=1
	ds_store_b16 v17, v7
; %bb.141:                              ;   in Loop: Header=BB128_20 Depth=1
	s_wait_alu 0xfffe
	s_or_b32 exec_lo, exec_lo, s16
	s_lshl_b32 s16, 1, s70
	v_or_b32_e32 v33, s12, v33
	s_wait_alu 0xfffe
	v_and_or_b32 v13, v13, s19, s16
	s_mov_b32 s16, -1
	s_mov_b32 s17, 0
	s_cmp_eq_u32 s24, 0
	s_mov_b32 s23, 0
	s_mov_b32 s38, -1
	s_wait_loadcnt_dscnt 0x0
	s_barrier_signal -1
	s_barrier_wait -1
	global_inv scope:SCOPE_SE
                                        ; implicit-def: $vgpr34
	s_cbranch_scc1 .LBB128_153
; %bb.142:                              ;   in Loop: Header=BB128_20 Depth=1
	s_add_co_i32 s38, s24, s48
                                        ; implicit-def: $vgpr34
	s_wait_alu 0xfffe
	s_mul_u64 s[72:73], s[38:39], s[42:43]
	s_wait_alu 0xfffe
	s_mul_i32 s23, s73, s29
	s_wait_alu 0xfffe
	s_sub_co_i32 s23, s38, s23
	s_wait_alu 0xfffe
	s_sub_co_i32 s71, s23, s29
	s_cmp_ge_u32 s23, s29
	s_wait_alu 0xfffe
	s_cselect_b32 s23, s71, s23
	s_wait_alu 0xfffe
	s_sub_co_i32 s71, s23, s29
	s_cmp_ge_u32 s23, s29
	s_wait_alu 0xfffe
	s_cselect_b32 s23, s71, s23
	s_mov_b32 s71, exec_lo
	s_wait_alu 0xfffe
	s_sub_co_i32 s72, s38, s23
	s_mov_b32 s38, 0
	s_mov_b32 s23, 0
	s_wait_alu 0xfffe
	v_cmpx_gt_u32_e64 s72, v0
	s_cbranch_execz .LBB128_152
; %bb.143:                              ;   in Loop: Header=BB128_20 Depth=1
	v_dual_mov_b32 v3, v16 :: v_dual_mov_b32 v4, v0
                                        ; implicit-def: $sgpr73
	s_branch .LBB128_147
.LBB128_144:                            ;   in Loop: Header=BB128_147 Depth=2
	s_wait_alu 0xfffe
	s_or_b32 exec_lo, exec_lo, s74
	s_wait_loadcnt_dscnt 0x0
	s_barrier_signal -1
	s_barrier_wait -1
	global_inv scope:SCOPE_SE
	ds_load_b32 v6, v7 offset:3072
	s_wait_loadcnt_dscnt 0x0
	s_barrier_signal -1
	s_barrier_wait -1
	global_inv scope:SCOPE_SE
	v_cmp_neq_f16_e32 vcc_lo, 0, v6
	s_cbranch_vccnz .LBB128_150
; %bb.145:                              ;   in Loop: Header=BB128_147 Depth=2
	v_add_nc_u32_e32 v4, s29, v4
	v_add_nc_u32_e32 v3, s61, v3
	s_mov_b32 s74, 0
	s_delay_alu instid0(VALU_DEP_2)
	v_cmp_le_u32_e32 vcc_lo, s72, v4
	s_or_not1_b32 s75, vcc_lo, exec_lo
.LBB128_146:                            ;   in Loop: Header=BB128_147 Depth=2
	s_wait_alu 0xfffe
	s_and_b32 s75, exec_lo, s75
	s_wait_alu 0xfffe
	s_or_b32 s23, s75, s23
	s_and_not1_b32 s73, s73, exec_lo
	s_and_b32 s74, s74, exec_lo
	s_wait_alu 0xfffe
	s_or_b32 s73, s73, s74
	s_and_not1_b32 exec_lo, exec_lo, s23
	s_cbranch_execz .LBB128_151
.LBB128_147:                            ;   Parent Loop BB128_20 Depth=1
                                        ; =>  This Inner Loop Header: Depth=2
	s_mov_b32 s74, exec_lo
	s_delay_alu instid0(VALU_DEP_1)
	v_cmpx_gt_u32_e64 s24, v4
	s_cbranch_execz .LBB128_144
; %bb.148:                              ;   in Loop: Header=BB128_147 Depth=2
	ds_load_u16 v6, v3
	s_wait_dscnt 0x0
	v_cmp_lt_i16_e32 vcc_lo, -1, v6
	s_wait_alu 0xfffd
	v_dual_cndmask_b32 v35, 0xffff, v31 :: v_dual_and_b32 v34, 0xffff, v6
	v_cmp_o_f16_e32 vcc_lo, v6, v6
	s_delay_alu instid0(VALU_DEP_2) | instskip(SKIP_1) | instid1(VALU_DEP_1)
	v_xor_b32_e32 v34, v35, v34
	s_wait_alu 0xfffd
	v_cndmask_b32_e32 v34, 0xffff, v34, vcc_lo
	s_delay_alu instid0(VALU_DEP_1) | instskip(NEXT) | instid1(VALU_DEP_1)
	v_and_b32_e32 v34, v34, v33
	v_cmp_eq_u32_e32 vcc_lo, v34, v13
	s_and_b32 exec_lo, exec_lo, vcc_lo
	s_cbranch_execz .LBB128_144
; %bb.149:                              ;   in Loop: Header=BB128_147 Depth=2
	v_perm_b32 v6, v6, s63, 0x5040100
	ds_store_b32 v7, v6 offset:3072
	s_branch .LBB128_144
.LBB128_150:                            ;   in Loop: Header=BB128_147 Depth=2
	s_mov_b32 s75, -1
	s_mov_b32 s74, -1
                                        ; implicit-def: $vgpr4
                                        ; implicit-def: $vgpr3
	s_branch .LBB128_146
.LBB128_151:                            ;   in Loop: Header=BB128_20 Depth=1
	s_or_b32 exec_lo, exec_lo, s23
	v_lshrrev_b32_e32 v34, 16, v6
	s_wait_alu 0xfffe
	s_and_b32 s23, s73, exec_lo
.LBB128_152:                            ;   in Loop: Header=BB128_20 Depth=1
	s_or_b32 exec_lo, exec_lo, s71
.LBB128_153:                            ;   in Loop: Header=BB128_20 Depth=1
	s_wait_alu 0xfffe
	s_and_b32 vcc_lo, exec_lo, s38
	s_wait_alu 0xfffe
	s_cbranch_vccz .LBB128_165
; %bb.154:                              ;   in Loop: Header=BB128_20 Depth=1
                                        ; implicit-def: $vgpr34
	s_and_saveexec_b32 s16, s10
	s_cbranch_execz .LBB128_164
; %bb.155:                              ;   in Loop: Header=BB128_20 Depth=1
	v_dual_mov_b32 v6, v5 :: v_dual_mov_b32 v3, v0
	s_mov_b32 s17, 0
                                        ; implicit-def: $sgpr24
	s_branch .LBB128_159
.LBB128_156:                            ;   in Loop: Header=BB128_159 Depth=2
	s_wait_alu 0xfffe
	s_or_b32 exec_lo, exec_lo, s38
	s_wait_loadcnt_dscnt 0x0
	s_barrier_signal -1
	s_barrier_wait -1
	global_inv scope:SCOPE_SE
	ds_load_b32 v4, v7 offset:3072
	s_wait_loadcnt_dscnt 0x0
	s_barrier_signal -1
	s_barrier_wait -1
	global_inv scope:SCOPE_SE
	v_cmp_eq_f16_e32 vcc_lo, 0, v4
	s_cbranch_vccz .LBB128_162
; %bb.157:                              ;   in Loop: Header=BB128_159 Depth=2
	v_add_nc_u32_e32 v3, s29, v3
	v_add_nc_u32_e32 v6, s51, v6
	s_mov_b32 s38, 0
	s_delay_alu instid0(VALU_DEP_2)
	v_cmp_le_u32_e32 vcc_lo, s58, v3
	s_or_not1_b32 s71, vcc_lo, exec_lo
.LBB128_158:                            ;   in Loop: Header=BB128_159 Depth=2
	s_wait_alu 0xfffe
	s_and_b32 s71, exec_lo, s71
	s_wait_alu 0xfffe
	s_or_b32 s17, s71, s17
	s_and_not1_b32 s24, s24, exec_lo
	s_and_b32 s38, s38, exec_lo
	s_wait_alu 0xfffe
	s_or_b32 s24, s24, s38
	s_and_not1_b32 exec_lo, exec_lo, s17
	s_cbranch_execz .LBB128_163
.LBB128_159:                            ;   Parent Loop BB128_20 Depth=1
                                        ; =>  This Inner Loop Header: Depth=2
	s_mov_b32 s38, exec_lo
	s_delay_alu instid0(VALU_DEP_1)
	v_cmpx_gt_u32_e64 s28, v3
	s_cbranch_execz .LBB128_156
; %bb.160:                              ;   in Loop: Header=BB128_159 Depth=2
	v_lshlrev_b64_e32 v[34:35], 1, v[6:7]
	s_delay_alu instid0(VALU_DEP_1) | instskip(SKIP_1) | instid1(VALU_DEP_2)
	v_add_co_u32 v34, vcc_lo, s26, v34
	s_wait_alu 0xfffd
	v_add_co_ci_u32_e64 v35, null, s27, v35, vcc_lo
	global_load_u16 v4, v[34:35], off
	s_wait_loadcnt 0x0
	v_cmp_lt_i16_e32 vcc_lo, -1, v4
	s_wait_alu 0xfffd
	v_dual_cndmask_b32 v35, 0xffff, v31 :: v_dual_and_b32 v34, 0xffff, v4
	v_cmp_o_f16_e32 vcc_lo, v4, v4
	s_delay_alu instid0(VALU_DEP_2) | instskip(SKIP_1) | instid1(VALU_DEP_1)
	v_xor_b32_e32 v34, v35, v34
	s_wait_alu 0xfffd
	v_cndmask_b32_e32 v34, 0xffff, v34, vcc_lo
	s_delay_alu instid0(VALU_DEP_1) | instskip(NEXT) | instid1(VALU_DEP_1)
	v_and_b32_e32 v34, v34, v33
	v_cmp_eq_u32_e32 vcc_lo, v34, v13
	s_and_b32 exec_lo, exec_lo, vcc_lo
	s_cbranch_execz .LBB128_156
; %bb.161:                              ;   in Loop: Header=BB128_159 Depth=2
	v_perm_b32 v4, v4, s63, 0x5040100
	ds_store_b32 v7, v4 offset:3072
	s_branch .LBB128_156
.LBB128_162:                            ;   in Loop: Header=BB128_159 Depth=2
	s_mov_b32 s71, -1
	s_mov_b32 s38, -1
                                        ; implicit-def: $vgpr3
	s_branch .LBB128_158
.LBB128_163:                            ;   in Loop: Header=BB128_20 Depth=1
	s_or_b32 exec_lo, exec_lo, s17
	v_lshrrev_b32_e32 v34, 16, v4
	s_and_not1_b32 s17, s23, exec_lo
	s_wait_alu 0xfffe
	s_and_b32 s23, s24, exec_lo
	s_wait_alu 0xfffe
	s_or_b32 s23, s17, s23
.LBB128_164:                            ;   in Loop: Header=BB128_20 Depth=1
	s_wait_alu 0xfffe
	s_or_b32 exec_lo, exec_lo, s16
	s_mov_b32 s16, 0
	s_mov_b32 s17, -1
.LBB128_165:                            ;   in Loop: Header=BB128_20 Depth=1
	s_or_not1_b32 s23, s23, exec_lo
.LBB128_166:                            ;   in Loop: Header=BB128_20 Depth=1
	s_wait_alu 0xfffe
	s_or_b32 exec_lo, exec_lo, s20
	s_mov_b32 s24, 0
	s_and_saveexec_b32 s20, s23
	s_cbranch_execz .LBB128_259
; %bb.167:                              ;   in Loop: Header=BB128_20 Depth=1
	v_mov_b32_e32 v3, 1
	v_mov_b32_e32 v1, 1
	s_xor_b32 s23, s22, -1
	s_mov_b32 s38, 0
	s_wait_alu 0xfffe
	s_and_saveexec_b32 s22, s23
	s_cbranch_execz .LBB128_176
; %bb.168:                              ;   in Loop: Header=BB128_20 Depth=1
	s_mov_b32 s23, exec_lo
	v_cmpx_ge_u32_e64 s21, v2
	s_wait_alu 0xfffe
	s_xor_b32 s23, exec_lo, s23
	s_cbranch_execz .LBB128_173
; %bb.169:                              ;   in Loop: Header=BB128_20 Depth=1
	ds_load_b32 v1, v7 offset:4104
	s_lshl_b32 s24, 1, s70
	v_or_b32_e32 v33, s12, v33
	s_wait_alu 0xfffe
	v_and_or_b32 v13, v13, s19, s24
	s_wait_dscnt 0x0
	v_cmp_ne_u32_e32 vcc_lo, 0, v1
	s_cbranch_vccnz .LBB128_173
; %bb.170:                              ;   in Loop: Header=BB128_20 Depth=1
	s_and_saveexec_b32 s24, s0
; %bb.171:                              ;   in Loop: Header=BB128_20 Depth=1
	v_mov_b32_e32 v1, s21
	ds_store_b32 v7, v1 offset:4108
; %bb.172:                              ;   in Loop: Header=BB128_20 Depth=1
	s_wait_alu 0xfffe
	s_or_b32 exec_lo, exec_lo, s24
	s_wait_loadcnt_dscnt 0x0
	s_barrier_signal -1
	s_barrier_wait -1
	global_inv scope:SCOPE_SE
.LBB128_173:                            ;   in Loop: Header=BB128_20 Depth=1
	s_wait_alu 0xfffe
	s_or_saveexec_b32 s23, s23
	v_mov_b32_e32 v1, 8
	s_mov_b32 s24, 0
	s_wait_alu 0xfffe
	s_xor_b32 exec_lo, exec_lo, s23
; %bb.174:                              ;   in Loop: Header=BB128_20 Depth=1
	v_subrev_nc_u32_e32 v2, s21, v2
	v_mov_b32_e32 v1, 0
	s_mov_b32 s24, exec_lo
; %bb.175:                              ;   in Loop: Header=BB128_20 Depth=1
	s_or_b32 exec_lo, exec_lo, s23
	s_delay_alu instid0(VALU_DEP_2)
	v_mov_b32_e32 v3, v2
	s_wait_alu 0xfffe
	s_and_b32 s38, s24, exec_lo
.LBB128_176:                            ;   in Loop: Header=BB128_20 Depth=1
	s_wait_alu 0xfffe
	s_or_b32 exec_lo, exec_lo, s22
	s_mov_b32 s24, -1
                                        ; implicit-def: $sgpr22
                                        ; implicit-def: $sgpr23
	s_and_saveexec_b32 s21, s38
	s_cbranch_execz .LBB128_258
; %bb.177:                              ;   in Loop: Header=BB128_20 Depth=1
	v_cmp_eq_u32_e32 vcc_lo, 1, v3
	s_cmp_eq_u32 s18, 1
	s_mov_b32 s38, -1
	s_cselect_b32 s22, -1, 0
                                        ; implicit-def: $sgpr23
	s_wait_alu 0xfffe
	s_and_b32 s71, s22, vcc_lo
                                        ; implicit-def: $sgpr22
	s_wait_alu 0xfffe
	s_and_saveexec_b32 s24, s71
	s_cbranch_execz .LBB128_205
; %bb.178:                              ;   in Loop: Header=BB128_20 Depth=1
	ds_load_b32 v2, v7 offset:4104
	s_wait_loadcnt_dscnt 0x0
	s_barrier_signal -1
	s_barrier_wait -1
	global_inv scope:SCOPE_SE
	v_readfirstlane_b32 s72, v2
	s_and_saveexec_b32 s22, s1
; %bb.179:                              ;   in Loop: Header=BB128_20 Depth=1
	ds_store_b16 v17, v7
; %bb.180:                              ;   in Loop: Header=BB128_20 Depth=1
	s_wait_alu 0xfffe
	s_or_b32 exec_lo, exec_lo, s22
	s_lshl_b32 s22, 2, s70
	v_or_b32_e32 v33, s12, v33
	s_wait_alu 0xfffe
	v_and_or_b32 v13, v13, s19, s22
	s_mov_b32 s22, -1
	s_mov_b32 s23, 0
	s_cmp_eq_u32 s72, 0
	s_mov_b32 s38, 0
	s_mov_b32 s73, -1
	s_wait_loadcnt_dscnt 0x0
	s_barrier_signal -1
	s_barrier_wait -1
	global_inv scope:SCOPE_SE
                                        ; implicit-def: $vgpr34
	s_cbranch_scc1 .LBB128_192
; %bb.181:                              ;   in Loop: Header=BB128_20 Depth=1
	s_add_co_i32 s38, s72, s48
                                        ; implicit-def: $vgpr34
	s_wait_alu 0xfffe
	s_mul_u64 s[74:75], s[38:39], s[42:43]
	s_wait_alu 0xfffe
	s_mul_i32 s73, s75, s29
	s_wait_alu 0xfffe
	s_sub_co_i32 s73, s38, s73
	s_wait_alu 0xfffe
	s_sub_co_i32 s74, s73, s29
	s_cmp_ge_u32 s73, s29
	s_wait_alu 0xfffe
	s_cselect_b32 s73, s74, s73
	s_wait_alu 0xfffe
	s_sub_co_i32 s74, s73, s29
	s_cmp_ge_u32 s73, s29
	s_wait_alu 0xfffe
	s_cselect_b32 s73, s74, s73
	s_mov_b32 s74, exec_lo
	s_wait_alu 0xfffe
	s_sub_co_i32 s75, s38, s73
	s_mov_b32 s73, 0
	s_mov_b32 s38, 0
	s_wait_alu 0xfffe
	v_cmpx_gt_u32_e64 s75, v0
	s_cbranch_execz .LBB128_191
; %bb.182:                              ;   in Loop: Header=BB128_20 Depth=1
	v_mov_b32_e32 v2, v16
	v_mov_b32_e32 v4, v0
                                        ; implicit-def: $sgpr76
	s_branch .LBB128_186
.LBB128_183:                            ;   in Loop: Header=BB128_186 Depth=2
	s_wait_alu 0xfffe
	s_or_b32 exec_lo, exec_lo, s77
	s_wait_loadcnt_dscnt 0x0
	s_barrier_signal -1
	s_barrier_wait -1
	global_inv scope:SCOPE_SE
	ds_load_b32 v6, v7 offset:3072
	s_wait_loadcnt_dscnt 0x0
	s_barrier_signal -1
	s_barrier_wait -1
	global_inv scope:SCOPE_SE
	v_cmp_neq_f16_e32 vcc_lo, 0, v6
	s_cbranch_vccnz .LBB128_189
; %bb.184:                              ;   in Loop: Header=BB128_186 Depth=2
	v_add_nc_u32_e32 v4, s29, v4
	v_add_nc_u32_e32 v2, s61, v2
	s_mov_b32 s77, 0
	s_delay_alu instid0(VALU_DEP_2)
	v_cmp_le_u32_e32 vcc_lo, s75, v4
	s_or_not1_b32 s78, vcc_lo, exec_lo
.LBB128_185:                            ;   in Loop: Header=BB128_186 Depth=2
	s_delay_alu instid0(SALU_CYCLE_1) | instskip(NEXT) | instid1(SALU_CYCLE_1)
	s_and_b32 s78, exec_lo, s78
	s_or_b32 s38, s78, s38
	s_and_not1_b32 s76, s76, exec_lo
	s_wait_alu 0xfffe
	s_and_b32 s77, s77, exec_lo
	s_wait_alu 0xfffe
	s_or_b32 s76, s76, s77
	s_and_not1_b32 exec_lo, exec_lo, s38
	s_cbranch_execz .LBB128_190
.LBB128_186:                            ;   Parent Loop BB128_20 Depth=1
                                        ; =>  This Inner Loop Header: Depth=2
	s_mov_b32 s77, exec_lo
	s_delay_alu instid0(VALU_DEP_1)
	v_cmpx_gt_u32_e64 s72, v4
	s_cbranch_execz .LBB128_183
; %bb.187:                              ;   in Loop: Header=BB128_186 Depth=2
	ds_load_u16 v6, v2
	s_wait_dscnt 0x0
	v_cmp_lt_i16_e32 vcc_lo, -1, v6
	s_wait_alu 0xfffd
	v_dual_cndmask_b32 v35, 0xffff, v31 :: v_dual_and_b32 v34, 0xffff, v6
	v_cmp_o_f16_e32 vcc_lo, v6, v6
	s_delay_alu instid0(VALU_DEP_2) | instskip(SKIP_1) | instid1(VALU_DEP_1)
	v_xor_b32_e32 v34, v35, v34
	s_wait_alu 0xfffd
	v_cndmask_b32_e32 v34, 0xffff, v34, vcc_lo
	s_delay_alu instid0(VALU_DEP_1) | instskip(NEXT) | instid1(VALU_DEP_1)
	v_and_b32_e32 v34, v34, v33
	v_cmp_eq_u32_e32 vcc_lo, v34, v13
	s_and_b32 exec_lo, exec_lo, vcc_lo
	s_cbranch_execz .LBB128_183
; %bb.188:                              ;   in Loop: Header=BB128_186 Depth=2
	v_perm_b32 v6, v6, s63, 0x5040100
	ds_store_b32 v7, v6 offset:3072
	s_branch .LBB128_183
.LBB128_189:                            ;   in Loop: Header=BB128_186 Depth=2
	s_mov_b32 s78, -1
	s_mov_b32 s77, -1
                                        ; implicit-def: $vgpr4
                                        ; implicit-def: $vgpr2
	s_branch .LBB128_185
.LBB128_190:                            ;   in Loop: Header=BB128_20 Depth=1
	s_or_b32 exec_lo, exec_lo, s38
	v_lshrrev_b32_e32 v34, 16, v6
	s_wait_alu 0xfffe
	s_and_b32 s38, s76, exec_lo
.LBB128_191:                            ;   in Loop: Header=BB128_20 Depth=1
	s_or_b32 exec_lo, exec_lo, s74
.LBB128_192:                            ;   in Loop: Header=BB128_20 Depth=1
	s_wait_alu 0xfffe
	s_and_b32 vcc_lo, exec_lo, s73
	s_wait_alu 0xfffe
	s_cbranch_vccz .LBB128_204
; %bb.193:                              ;   in Loop: Header=BB128_20 Depth=1
                                        ; implicit-def: $vgpr34
	s_and_saveexec_b32 s22, s10
	s_cbranch_execz .LBB128_203
; %bb.194:                              ;   in Loop: Header=BB128_20 Depth=1
	v_mov_b32_e32 v6, v5
	v_mov_b32_e32 v2, v0
	s_mov_b32 s23, 0
                                        ; implicit-def: $sgpr72
	s_branch .LBB128_198
.LBB128_195:                            ;   in Loop: Header=BB128_198 Depth=2
	s_wait_alu 0xfffe
	s_or_b32 exec_lo, exec_lo, s73
	s_wait_loadcnt_dscnt 0x0
	s_barrier_signal -1
	s_barrier_wait -1
	global_inv scope:SCOPE_SE
	ds_load_b32 v4, v7 offset:3072
	s_wait_loadcnt_dscnt 0x0
	s_barrier_signal -1
	s_barrier_wait -1
	global_inv scope:SCOPE_SE
	v_cmp_eq_f16_e32 vcc_lo, 0, v4
	s_cbranch_vccz .LBB128_201
; %bb.196:                              ;   in Loop: Header=BB128_198 Depth=2
	v_add_nc_u32_e32 v2, s29, v2
	v_add_nc_u32_e32 v6, s51, v6
	s_mov_b32 s73, 0
	s_delay_alu instid0(VALU_DEP_2)
	v_cmp_le_u32_e32 vcc_lo, s58, v2
	s_or_not1_b32 s74, vcc_lo, exec_lo
.LBB128_197:                            ;   in Loop: Header=BB128_198 Depth=2
	s_wait_alu 0xfffe
	s_and_b32 s74, exec_lo, s74
	s_wait_alu 0xfffe
	s_or_b32 s23, s74, s23
	s_and_not1_b32 s72, s72, exec_lo
	s_and_b32 s73, s73, exec_lo
	s_wait_alu 0xfffe
	s_or_b32 s72, s72, s73
	s_and_not1_b32 exec_lo, exec_lo, s23
	s_cbranch_execz .LBB128_202
.LBB128_198:                            ;   Parent Loop BB128_20 Depth=1
                                        ; =>  This Inner Loop Header: Depth=2
	s_mov_b32 s73, exec_lo
	s_delay_alu instid0(VALU_DEP_1)
	v_cmpx_gt_u32_e64 s28, v2
	s_cbranch_execz .LBB128_195
; %bb.199:                              ;   in Loop: Header=BB128_198 Depth=2
	v_lshlrev_b64_e32 v[34:35], 1, v[6:7]
	s_delay_alu instid0(VALU_DEP_1) | instskip(SKIP_1) | instid1(VALU_DEP_2)
	v_add_co_u32 v34, vcc_lo, s26, v34
	s_wait_alu 0xfffd
	v_add_co_ci_u32_e64 v35, null, s27, v35, vcc_lo
	global_load_u16 v4, v[34:35], off
	s_wait_loadcnt 0x0
	v_cmp_lt_i16_e32 vcc_lo, -1, v4
	s_wait_alu 0xfffd
	v_dual_cndmask_b32 v35, 0xffff, v31 :: v_dual_and_b32 v34, 0xffff, v4
	v_cmp_o_f16_e32 vcc_lo, v4, v4
	s_delay_alu instid0(VALU_DEP_2) | instskip(SKIP_1) | instid1(VALU_DEP_1)
	v_xor_b32_e32 v34, v35, v34
	s_wait_alu 0xfffd
	v_cndmask_b32_e32 v34, 0xffff, v34, vcc_lo
	s_delay_alu instid0(VALU_DEP_1) | instskip(NEXT) | instid1(VALU_DEP_1)
	v_and_b32_e32 v34, v34, v33
	v_cmp_eq_u32_e32 vcc_lo, v34, v13
	s_and_b32 exec_lo, exec_lo, vcc_lo
	s_cbranch_execz .LBB128_195
; %bb.200:                              ;   in Loop: Header=BB128_198 Depth=2
	v_perm_b32 v4, v4, s63, 0x5040100
	ds_store_b32 v7, v4 offset:3072
	s_branch .LBB128_195
.LBB128_201:                            ;   in Loop: Header=BB128_198 Depth=2
	s_mov_b32 s74, -1
	s_mov_b32 s73, -1
                                        ; implicit-def: $vgpr2
	s_branch .LBB128_197
.LBB128_202:                            ;   in Loop: Header=BB128_20 Depth=1
	s_or_b32 exec_lo, exec_lo, s23
	v_lshrrev_b32_e32 v34, 16, v4
	s_and_not1_b32 s23, s38, exec_lo
	s_wait_alu 0xfffe
	s_and_b32 s38, s72, exec_lo
	s_wait_alu 0xfffe
	s_or_b32 s38, s23, s38
.LBB128_203:                            ;   in Loop: Header=BB128_20 Depth=1
	s_wait_alu 0xfffe
	s_or_b32 exec_lo, exec_lo, s22
	s_mov_b32 s22, 0
	s_mov_b32 s23, -1
.LBB128_204:                            ;   in Loop: Header=BB128_20 Depth=1
	s_or_not1_b32 s38, s38, exec_lo
.LBB128_205:                            ;   in Loop: Header=BB128_20 Depth=1
	s_wait_alu 0xfffe
	s_or_b32 exec_lo, exec_lo, s24
	s_mov_b32 s72, 0
	s_and_saveexec_b32 s24, s38
	s_cbranch_execz .LBB128_257
; %bb.206:                              ;   in Loop: Header=BB128_20 Depth=1
	v_dual_mov_b32 v2, 1 :: v_dual_mov_b32 v1, 1
	s_xor_b32 s71, s71, -1
	s_mov_b32 s73, 0
	s_wait_alu 0xfffe
	s_and_saveexec_b32 s38, s71
	s_cbranch_execz .LBB128_215
; %bb.207:                              ;   in Loop: Header=BB128_20 Depth=1
	s_mov_b32 s71, exec_lo
	v_cmpx_ge_u32_e64 s18, v3
	s_wait_alu 0xfffe
	s_xor_b32 s71, exec_lo, s71
	s_cbranch_execz .LBB128_212
; %bb.208:                              ;   in Loop: Header=BB128_20 Depth=1
	ds_load_b32 v1, v7 offset:4104
	s_lshl_b32 s72, 2, s70
	v_or_b32_e32 v33, s12, v33
	s_wait_alu 0xfffe
	v_and_or_b32 v13, v13, s19, s72
	s_wait_dscnt 0x0
	v_cmp_ne_u32_e32 vcc_lo, 0, v1
	s_cbranch_vccnz .LBB128_212
; %bb.209:                              ;   in Loop: Header=BB128_20 Depth=1
	s_and_saveexec_b32 s19, s0
; %bb.210:                              ;   in Loop: Header=BB128_20 Depth=1
	v_mov_b32_e32 v1, s18
	ds_store_b32 v7, v1 offset:4108
; %bb.211:                              ;   in Loop: Header=BB128_20 Depth=1
	s_wait_alu 0xfffe
	s_or_b32 exec_lo, exec_lo, s19
	s_wait_loadcnt_dscnt 0x0
	s_barrier_signal -1
	s_barrier_wait -1
	global_inv scope:SCOPE_SE
.LBB128_212:                            ;   in Loop: Header=BB128_20 Depth=1
	s_wait_alu 0xfffe
	s_or_saveexec_b32 s19, s71
	v_mov_b32_e32 v1, 8
	s_mov_b32 s71, 0
	s_wait_alu 0xfffe
	s_xor_b32 exec_lo, exec_lo, s19
; %bb.213:                              ;   in Loop: Header=BB128_20 Depth=1
	v_subrev_nc_u32_e32 v3, s18, v3
	v_mov_b32_e32 v1, 0
	s_mov_b32 s71, exec_lo
; %bb.214:                              ;   in Loop: Header=BB128_20 Depth=1
	s_or_b32 exec_lo, exec_lo, s19
	s_delay_alu instid0(VALU_DEP_2)
	v_mov_b32_e32 v2, v3
	s_wait_alu 0xfffe
	s_and_b32 s73, s71, exec_lo
.LBB128_215:                            ;   in Loop: Header=BB128_20 Depth=1
	s_wait_alu 0xfffe
	s_or_b32 exec_lo, exec_lo, s38
	s_mov_b32 s19, -1
                                        ; implicit-def: $sgpr72
                                        ; implicit-def: $sgpr71
	s_and_saveexec_b32 s18, s73
	s_cbranch_execz .LBB128_256
; %bb.216:                              ;   in Loop: Header=BB128_20 Depth=1
	v_cmp_eq_u32_e32 vcc_lo, 1, v2
	s_cmp_eq_u32 s11, 1
	s_mov_b32 s74, -1
	s_cselect_b32 s19, -1, 0
                                        ; implicit-def: $sgpr72
                                        ; implicit-def: $sgpr71
	s_wait_alu 0xfffe
	s_and_b32 s19, s19, vcc_lo
	s_wait_alu 0xfffe
	s_and_saveexec_b32 s73, s19
	s_cbranch_execz .LBB128_244
; %bb.217:                              ;   in Loop: Header=BB128_20 Depth=1
	ds_load_b32 v3, v7 offset:4104
	s_wait_loadcnt_dscnt 0x0
	s_barrier_signal -1
	s_barrier_wait -1
	global_inv scope:SCOPE_SE
	v_readfirstlane_b32 s74, v3
	s_and_saveexec_b32 s38, s1
; %bb.218:                              ;   in Loop: Header=BB128_20 Depth=1
	ds_store_b16 v17, v7
; %bb.219:                              ;   in Loop: Header=BB128_20 Depth=1
	s_wait_alu 0xfffe
	s_or_b32 exec_lo, exec_lo, s38
	v_or_b32_e32 v13, s12, v13
	v_or_b32_e32 v33, s12, v33
	s_mov_b32 s71, -1
	s_mov_b32 s72, 0
	s_cmp_eq_u32 s74, 0
	s_mov_b32 s38, 0
	s_mov_b32 s75, -1
	s_wait_loadcnt_dscnt 0x0
	s_barrier_signal -1
	s_barrier_wait -1
	global_inv scope:SCOPE_SE
                                        ; implicit-def: $vgpr34
	s_cbranch_scc1 .LBB128_231
; %bb.220:                              ;   in Loop: Header=BB128_20 Depth=1
	s_add_co_i32 s38, s74, s48
                                        ; implicit-def: $vgpr34
	s_wait_alu 0xfffe
	s_mul_u64 s[76:77], s[38:39], s[42:43]
	s_wait_alu 0xfffe
	s_mul_i32 s75, s77, s29
	s_wait_alu 0xfffe
	s_sub_co_i32 s75, s38, s75
	s_wait_alu 0xfffe
	s_sub_co_i32 s76, s75, s29
	s_cmp_ge_u32 s75, s29
	s_wait_alu 0xfffe
	s_cselect_b32 s75, s76, s75
	s_wait_alu 0xfffe
	s_sub_co_i32 s76, s75, s29
	s_cmp_ge_u32 s75, s29
	s_wait_alu 0xfffe
	s_cselect_b32 s75, s76, s75
	s_mov_b32 s76, exec_lo
	s_wait_alu 0xfffe
	s_sub_co_i32 s77, s38, s75
	s_mov_b32 s75, 0
	s_mov_b32 s38, 0
	s_wait_alu 0xfffe
	v_cmpx_gt_u32_e64 s77, v0
	s_cbranch_execz .LBB128_230
; %bb.221:                              ;   in Loop: Header=BB128_20 Depth=1
	v_dual_mov_b32 v3, v16 :: v_dual_mov_b32 v4, v0
                                        ; implicit-def: $sgpr78
	s_branch .LBB128_225
.LBB128_222:                            ;   in Loop: Header=BB128_225 Depth=2
	s_or_b32 exec_lo, exec_lo, s79
	s_wait_loadcnt_dscnt 0x0
	s_barrier_signal -1
	s_barrier_wait -1
	global_inv scope:SCOPE_SE
	ds_load_b32 v6, v7 offset:3072
	s_wait_loadcnt_dscnt 0x0
	s_barrier_signal -1
	s_barrier_wait -1
	global_inv scope:SCOPE_SE
	v_cmp_neq_f16_e32 vcc_lo, 0, v6
	s_cbranch_vccnz .LBB128_228
; %bb.223:                              ;   in Loop: Header=BB128_225 Depth=2
	v_add_nc_u32_e32 v4, s29, v4
	v_add_nc_u32_e32 v3, s61, v3
	s_mov_b32 s79, 0
	s_delay_alu instid0(VALU_DEP_2)
	v_cmp_le_u32_e32 vcc_lo, s77, v4
	s_or_not1_b32 s80, vcc_lo, exec_lo
.LBB128_224:                            ;   in Loop: Header=BB128_225 Depth=2
	s_delay_alu instid0(SALU_CYCLE_1) | instskip(NEXT) | instid1(SALU_CYCLE_1)
	s_and_b32 s80, exec_lo, s80
	s_or_b32 s38, s80, s38
	s_and_not1_b32 s78, s78, exec_lo
	s_and_b32 s79, s79, exec_lo
	s_delay_alu instid0(SALU_CYCLE_1)
	s_or_b32 s78, s78, s79
	s_wait_alu 0xfffe
	s_and_not1_b32 exec_lo, exec_lo, s38
	s_cbranch_execz .LBB128_229
.LBB128_225:                            ;   Parent Loop BB128_20 Depth=1
                                        ; =>  This Inner Loop Header: Depth=2
	s_mov_b32 s79, exec_lo
	s_delay_alu instid0(VALU_DEP_1)
	v_cmpx_gt_u32_e64 s74, v4
	s_cbranch_execz .LBB128_222
; %bb.226:                              ;   in Loop: Header=BB128_225 Depth=2
	ds_load_u16 v6, v3
	s_wait_dscnt 0x0
	v_cmp_lt_i16_e32 vcc_lo, -1, v6
	s_wait_alu 0xfffd
	v_dual_cndmask_b32 v35, 0xffff, v31 :: v_dual_and_b32 v34, 0xffff, v6
	v_cmp_o_f16_e32 vcc_lo, v6, v6
	s_delay_alu instid0(VALU_DEP_2) | instskip(SKIP_1) | instid1(VALU_DEP_1)
	v_xor_b32_e32 v34, v35, v34
	s_wait_alu 0xfffd
	v_cndmask_b32_e32 v34, 0xffff, v34, vcc_lo
	s_delay_alu instid0(VALU_DEP_1) | instskip(NEXT) | instid1(VALU_DEP_1)
	v_and_b32_e32 v34, v34, v33
	v_cmp_eq_u32_e32 vcc_lo, v34, v13
	s_and_b32 exec_lo, exec_lo, vcc_lo
	s_cbranch_execz .LBB128_222
; %bb.227:                              ;   in Loop: Header=BB128_225 Depth=2
	v_perm_b32 v6, v6, s63, 0x5040100
	ds_store_b32 v7, v6 offset:3072
	s_branch .LBB128_222
.LBB128_228:                            ;   in Loop: Header=BB128_225 Depth=2
	s_mov_b32 s80, -1
	s_mov_b32 s79, -1
                                        ; implicit-def: $vgpr4
                                        ; implicit-def: $vgpr3
	s_branch .LBB128_224
.LBB128_229:                            ;   in Loop: Header=BB128_20 Depth=1
	s_or_b32 exec_lo, exec_lo, s38
	v_lshrrev_b32_e32 v34, 16, v6
	s_and_b32 s38, s78, exec_lo
.LBB128_230:                            ;   in Loop: Header=BB128_20 Depth=1
	s_or_b32 exec_lo, exec_lo, s76
.LBB128_231:                            ;   in Loop: Header=BB128_20 Depth=1
	s_wait_alu 0xfffe
	s_and_b32 vcc_lo, exec_lo, s75
	s_wait_alu 0xfffe
	s_cbranch_vccz .LBB128_243
; %bb.232:                              ;   in Loop: Header=BB128_20 Depth=1
                                        ; implicit-def: $vgpr34
	s_and_saveexec_b32 s71, s10
	s_cbranch_execz .LBB128_242
; %bb.233:                              ;   in Loop: Header=BB128_20 Depth=1
	v_dual_mov_b32 v6, v5 :: v_dual_mov_b32 v3, v0
	s_mov_b32 s72, 0
                                        ; implicit-def: $sgpr74
	s_branch .LBB128_237
.LBB128_234:                            ;   in Loop: Header=BB128_237 Depth=2
	s_wait_alu 0xfffe
	s_or_b32 exec_lo, exec_lo, s75
	s_wait_loadcnt_dscnt 0x0
	s_barrier_signal -1
	s_barrier_wait -1
	global_inv scope:SCOPE_SE
	ds_load_b32 v4, v7 offset:3072
	s_wait_loadcnt_dscnt 0x0
	s_barrier_signal -1
	s_barrier_wait -1
	global_inv scope:SCOPE_SE
	v_cmp_eq_f16_e32 vcc_lo, 0, v4
	s_cbranch_vccz .LBB128_240
; %bb.235:                              ;   in Loop: Header=BB128_237 Depth=2
	v_add_nc_u32_e32 v3, s29, v3
	v_add_nc_u32_e32 v6, s51, v6
	s_mov_b32 s75, 0
	s_delay_alu instid0(VALU_DEP_2)
	v_cmp_le_u32_e32 vcc_lo, s58, v3
	s_or_not1_b32 s76, vcc_lo, exec_lo
.LBB128_236:                            ;   in Loop: Header=BB128_237 Depth=2
	s_wait_alu 0xfffe
	s_and_b32 s76, exec_lo, s76
	s_wait_alu 0xfffe
	s_or_b32 s72, s76, s72
	s_and_not1_b32 s74, s74, exec_lo
	s_and_b32 s75, s75, exec_lo
	s_wait_alu 0xfffe
	s_or_b32 s74, s74, s75
	s_and_not1_b32 exec_lo, exec_lo, s72
	s_cbranch_execz .LBB128_241
.LBB128_237:                            ;   Parent Loop BB128_20 Depth=1
                                        ; =>  This Inner Loop Header: Depth=2
	s_mov_b32 s75, exec_lo
	s_delay_alu instid0(VALU_DEP_1)
	v_cmpx_gt_u32_e64 s28, v3
	s_cbranch_execz .LBB128_234
; %bb.238:                              ;   in Loop: Header=BB128_237 Depth=2
	v_lshlrev_b64_e32 v[34:35], 1, v[6:7]
	s_delay_alu instid0(VALU_DEP_1) | instskip(SKIP_1) | instid1(VALU_DEP_2)
	v_add_co_u32 v34, vcc_lo, s26, v34
	s_wait_alu 0xfffd
	v_add_co_ci_u32_e64 v35, null, s27, v35, vcc_lo
	global_load_u16 v4, v[34:35], off
	s_wait_loadcnt 0x0
	v_cmp_lt_i16_e32 vcc_lo, -1, v4
	s_wait_alu 0xfffd
	v_dual_cndmask_b32 v35, 0xffff, v31 :: v_dual_and_b32 v34, 0xffff, v4
	v_cmp_o_f16_e32 vcc_lo, v4, v4
	s_delay_alu instid0(VALU_DEP_2) | instskip(SKIP_1) | instid1(VALU_DEP_1)
	v_xor_b32_e32 v34, v35, v34
	s_wait_alu 0xfffd
	v_cndmask_b32_e32 v34, 0xffff, v34, vcc_lo
	s_delay_alu instid0(VALU_DEP_1) | instskip(NEXT) | instid1(VALU_DEP_1)
	v_and_b32_e32 v34, v34, v33
	v_cmp_eq_u32_e32 vcc_lo, v34, v13
	s_and_b32 exec_lo, exec_lo, vcc_lo
	s_cbranch_execz .LBB128_234
; %bb.239:                              ;   in Loop: Header=BB128_237 Depth=2
	v_perm_b32 v4, v4, s63, 0x5040100
	ds_store_b32 v7, v4 offset:3072
	s_branch .LBB128_234
.LBB128_240:                            ;   in Loop: Header=BB128_237 Depth=2
	s_mov_b32 s76, -1
	s_mov_b32 s75, -1
                                        ; implicit-def: $vgpr3
	s_branch .LBB128_236
.LBB128_241:                            ;   in Loop: Header=BB128_20 Depth=1
	s_or_b32 exec_lo, exec_lo, s72
	v_lshrrev_b32_e32 v34, 16, v4
	s_and_not1_b32 s38, s38, exec_lo
	s_wait_alu 0xfffe
	s_and_b32 s72, s74, exec_lo
	s_wait_alu 0xfffe
	s_or_b32 s38, s38, s72
.LBB128_242:                            ;   in Loop: Header=BB128_20 Depth=1
	s_wait_alu 0xfffe
	s_or_b32 exec_lo, exec_lo, s71
	s_mov_b32 s71, 0
	s_mov_b32 s72, -1
.LBB128_243:                            ;   in Loop: Header=BB128_20 Depth=1
	s_or_not1_b32 s74, s38, exec_lo
.LBB128_244:                            ;   in Loop: Header=BB128_20 Depth=1
	s_wait_alu 0xfffe
	s_or_b32 exec_lo, exec_lo, s73
	s_mov_b32 s73, 0
	s_and_saveexec_b32 s38, s74
	s_cbranch_execz .LBB128_255
; %bb.245:                              ;   in Loop: Header=BB128_20 Depth=1
	v_mov_b32_e32 v1, 1
	v_mov_b32_e32 v3, 1
	s_xor_b32 s73, s19, -1
	s_wait_alu 0xfffe
	s_and_saveexec_b32 s19, s73
	s_cbranch_execz .LBB128_254
; %bb.246:                              ;   in Loop: Header=BB128_20 Depth=1
	s_mov_b32 s73, exec_lo
	v_cmpx_ge_u32_e64 s11, v2
	s_wait_alu 0xfffe
	s_xor_b32 s73, exec_lo, s73
	s_cbranch_execz .LBB128_251
; %bb.247:                              ;   in Loop: Header=BB128_20 Depth=1
	ds_load_b32 v1, v7 offset:4104
	v_or_b32_e32 v13, s12, v13
	v_or_b32_e32 v33, s12, v33
	s_wait_dscnt 0x0
	v_cmp_ne_u32_e32 vcc_lo, 0, v1
	s_cbranch_vccnz .LBB128_251
; %bb.248:                              ;   in Loop: Header=BB128_20 Depth=1
	s_and_saveexec_b32 s12, s0
; %bb.249:                              ;   in Loop: Header=BB128_20 Depth=1
	v_mov_b32_e32 v1, s11
	ds_store_b32 v7, v1 offset:4108
; %bb.250:                              ;   in Loop: Header=BB128_20 Depth=1
	s_wait_alu 0xfffe
	s_or_b32 exec_lo, exec_lo, s12
	s_wait_loadcnt_dscnt 0x0
	s_barrier_signal -1
	s_barrier_wait -1
	global_inv scope:SCOPE_SE
.LBB128_251:                            ;   in Loop: Header=BB128_20 Depth=1
	s_wait_alu 0xfffe
	s_and_not1_saveexec_b32 s12, s73
; %bb.252:                              ;   in Loop: Header=BB128_20 Depth=1
	v_subrev_nc_u32_e32 v2, s11, v2
; %bb.253:                              ;   in Loop: Header=BB128_20 Depth=1
	s_wait_alu 0xfffe
	s_or_b32 exec_lo, exec_lo, s12
	v_mov_b32_e32 v1, 8
	s_delay_alu instid0(VALU_DEP_2)
	v_mov_b32_e32 v3, v2
.LBB128_254:                            ;   in Loop: Header=BB128_20 Depth=1
	s_wait_alu 0xfffe
	s_or_b32 exec_lo, exec_lo, s19
	s_delay_alu instid0(VALU_DEP_1)
	v_mov_b32_e32 v2, v3
	s_mov_b32 s73, exec_lo
.LBB128_255:                            ;   in Loop: Header=BB128_20 Depth=1
	s_wait_alu 0xfffe
	s_or_b32 exec_lo, exec_lo, s38
	s_delay_alu instid0(SALU_CYCLE_1)
	s_or_not1_b32 s19, s73, exec_lo
.LBB128_256:                            ;   in Loop: Header=BB128_20 Depth=1
	s_wait_alu 0xfffe
	s_or_b32 exec_lo, exec_lo, s18
	v_mov_b32_e32 v3, v2
	s_and_not1_b32 s11, s23, exec_lo
	s_and_b32 s12, s72, exec_lo
	s_and_not1_b32 s18, s22, exec_lo
	s_and_b32 s22, s71, exec_lo
	s_wait_alu 0xfffe
	s_or_b32 s23, s11, s12
	s_or_b32 s22, s18, s22
	s_and_b32 s72, s19, exec_lo
.LBB128_257:                            ;   in Loop: Header=BB128_20 Depth=1
	s_wait_alu 0xfffe
	s_or_b32 exec_lo, exec_lo, s24
	s_delay_alu instid0(SALU_CYCLE_1)
	s_or_not1_b32 s24, s72, exec_lo
.LBB128_258:                            ;   in Loop: Header=BB128_20 Depth=1
	s_wait_alu 0xfffe
	s_or_b32 exec_lo, exec_lo, s21
	v_mov_b32_e32 v2, v3
	s_and_not1_b32 s11, s17, exec_lo
	s_and_b32 s12, s23, exec_lo
	s_and_not1_b32 s16, s16, exec_lo
	s_and_b32 s18, s22, exec_lo
	s_wait_alu 0xfffe
	s_or_b32 s17, s11, s12
	s_or_b32 s16, s16, s18
	s_and_b32 s24, s24, exec_lo
.LBB128_259:                            ;   in Loop: Header=BB128_20 Depth=1
	s_wait_alu 0xfffe
	s_or_b32 exec_lo, exec_lo, s20
	s_delay_alu instid0(SALU_CYCLE_1)
	s_or_not1_b32 s20, s24, exec_lo
.LBB128_260:                            ;   in Loop: Header=BB128_20 Depth=1
	s_wait_alu 0xfffe
	s_or_b32 exec_lo, exec_lo, s15
	s_mov_b32 s12, 0
                                        ; implicit-def: $sgpr22
	s_and_saveexec_b32 s11, s20
	s_wait_alu 0xfffe
	s_xor_b32 s11, exec_lo, s11
	s_cbranch_execz .LBB128_18
; %bb.261:                              ;   in Loop: Header=BB128_20 Depth=1
	v_and_b32_e32 v1, 7, v1
	s_mov_b32 s14, -1
	s_mov_b32 s12, -1
	s_mov_b32 s15, exec_lo
                                        ; implicit-def: $sgpr22
	s_delay_alu instid0(VALU_DEP_1)
	v_cmpx_eq_u32_e32 0, v1
	s_cbranch_execz .LBB128_17
; %bb.262:                              ;   in Loop: Header=BB128_20 Depth=1
	s_add_co_i32 s22, s70, -2
	s_cmp_eq_u32 s70, 0
	v_xor_b32_e32 v32, 1, v32
	s_cselect_b32 s14, -1, 0
	s_xor_b32 s12, exec_lo, -1
	s_wait_alu 0xfffe
	s_or_not1_b32 s14, s14, exec_lo
	s_branch .LBB128_17
.LBB128_263:
	s_or_b32 exec_lo, exec_lo, s62
	s_xor_b32 s4, s69, -1
	s_xor_b32 s3, s67, -1
	;; [unrolled: 1-line block ×3, first 2 shown]
	s_mov_b32 s0, 0
	s_wait_alu 0xfffe
	s_and_saveexec_b32 s5, s3
	s_wait_alu 0xfffe
	s_xor_b32 s3, exec_lo, s5
	s_cbranch_execnz .LBB128_268
; %bb.264:
	s_wait_alu 0xfffe
	s_and_not1_saveexec_b32 s1, s3
	s_cbranch_execnz .LBB128_281
.LBB128_265:
	s_or_b32 exec_lo, exec_lo, s1
	s_and_saveexec_b32 s1, s0
.LBB128_266:
	; divergent unreachable
.LBB128_267:
	s_endpgm
.LBB128_268:
	s_and_saveexec_b32 s0, s4
	s_delay_alu instid0(SALU_CYCLE_1)
	s_xor_b32 s4, exec_lo, s0
	s_cbranch_execz .LBB128_279
; %bb.269:
	s_and_saveexec_b32 s0, s1
	s_delay_alu instid0(SALU_CYCLE_1)
	s_xor_b32 s0, exec_lo, s0
; %bb.270:
	v_and_b32_e32 v1, 0x8000, v13
	v_mov_b32_e32 v2, 0xffff
	s_delay_alu instid0(VALU_DEP_2) | instskip(SKIP_1) | instid1(VALU_DEP_2)
	v_cmp_eq_u32_e32 vcc_lo, 0, v1
	s_wait_alu 0xfffd
	v_cndmask_b32_e32 v1, 0x8000, v2, vcc_lo
	s_delay_alu instid0(VALU_DEP_1)
	v_xor_b32_e32 v34, v1, v13
; %bb.271:
	s_or_b32 exec_lo, exec_lo, s0
	s_mul_i32 s0, s46, s25
	s_mov_b32 s1, 0
	v_mov_b32_e32 v6, 0
	s_lshl_b64 s[6:7], s[0:1], 1
	s_wait_alu 0xfffe
	s_add_nc_u64 s[6:7], s[36:37], s[6:7]
	global_store_b16 v6, v34, s[6:7]
	s_and_saveexec_b32 s5, s2
	s_cbranch_execz .LBB128_278
; %bb.272:
	v_cmp_u_f16_e32 vcc_lo, v34, v34
                                        ; implicit-def: $sgpr2
                                        ; implicit-def: $sgpr8
                                        ; implicit-def: $sgpr7
	s_xor_b32 s6, vcc_lo, -1
	s_branch .LBB128_274
.LBB128_273:                            ;   in Loop: Header=BB128_274 Depth=1
	s_or_b32 exec_lo, exec_lo, s0
	s_wait_alu 0xfffe
	s_and_b32 s0, exec_lo, s8
	s_delay_alu instid0(SALU_CYCLE_1)
	s_or_b32 s1, s0, s1
	s_and_not1_b32 s0, s2, exec_lo
	s_and_b32 s2, s7, exec_lo
	s_wait_alu 0xfffe
	s_or_b32 s2, s0, s2
	s_and_not1_b32 exec_lo, exec_lo, s1
	s_cbranch_execz .LBB128_276
.LBB128_274:                            ; =>This Inner Loop Header: Depth=1
	v_lshlrev_b64_e32 v[1:2], 1, v[5:6]
	s_wait_alu 0xfffe
	s_or_b32 s7, s7, exec_lo
	s_or_b32 s8, s8, exec_lo
	s_delay_alu instid0(VALU_DEP_1)
	v_add_co_u32 v1, vcc_lo, s26, v1
	s_wait_alu 0xfffd
	v_add_co_ci_u32_e64 v2, null, s27, v2, vcc_lo
	global_load_u16 v1, v[1:2], off
	s_wait_loadcnt 0x0
	v_cmp_o_f16_e32 vcc_lo, v1, v1
	v_cmp_neq_f16_e64 s0, v1, v34
	v_mov_b32_e32 v1, v0
                                        ; implicit-def: $vgpr0
	s_or_b32 s9, s6, vcc_lo
	s_wait_alu 0xfffe
	s_and_b32 s9, s0, s9
	s_wait_alu 0xfffe
	s_and_saveexec_b32 s0, s9
	s_cbranch_execz .LBB128_273
; %bb.275:                              ;   in Loop: Header=BB128_274 Depth=1
	v_add_nc_u32_e32 v0, s29, v1
	v_add_nc_u32_e32 v5, s51, v5
	s_and_not1_b32 s8, s8, exec_lo
	s_and_not1_b32 s7, s7, exec_lo
	s_delay_alu instid0(VALU_DEP_2)
	v_cmp_le_u32_e32 vcc_lo, s28, v0
	s_and_b32 s9, vcc_lo, exec_lo
	s_wait_alu 0xfffe
	s_or_b32 s8, s8, s9
	s_branch .LBB128_273
.LBB128_276:
	s_or_b32 exec_lo, exec_lo, s1
	s_wait_alu 0xfffe
	s_and_saveexec_b32 s0, s2
	s_delay_alu instid0(SALU_CYCLE_1)
	s_xor_b32 s0, exec_lo, s0
	s_cbranch_execz .LBB128_278
; %bb.277:
	s_mul_i32 s0, s33, s25
	s_mov_b32 s1, 0
	v_mov_b32_e32 v2, 0
	s_lshl_b64 s[0:1], s[0:1], 3
	s_delay_alu instid0(SALU_CYCLE_1)
	s_add_nc_u64 s[0:1], s[34:35], s[0:1]
	global_store_b64 v2, v[1:2], s[0:1]
.LBB128_278:
	s_wait_alu 0xfffe
	s_or_b32 exec_lo, exec_lo, s5
.LBB128_279:
	s_wait_alu 0xfffe
	s_or_saveexec_b32 s0, s4
	s_mov_b32 s1, 0
	s_xor_b32 exec_lo, exec_lo, s0
	s_cbranch_execnz .LBB128_282
.LBB128_280:
	s_or_b32 exec_lo, exec_lo, s0
	s_delay_alu instid0(SALU_CYCLE_1)
	s_and_b32 s0, s1, exec_lo
	s_and_not1_saveexec_b32 s1, s3
	s_cbranch_execz .LBB128_265
.LBB128_281:
	s_or_b32 s0, s0, exec_lo
	s_trap 2
	s_or_b32 exec_lo, exec_lo, s1
	s_and_saveexec_b32 s1, s0
	s_cbranch_execnz .LBB128_266
	s_branch .LBB128_267
.LBB128_282:
	s_mov_b32 s1, exec_lo
	s_trap 2
	s_branch .LBB128_280
	.section	.rodata,"a",@progbits
	.p2align	6, 0x0
	.amdhsa_kernel _ZN2at6native12_GLOBAL__N_112gatherMedianIN3c104HalfEjLi1EEEvNS_4cuda6detail10TensorInfoIT_T0_EENS7_IlS9_EENS7_IKS8_S9_EES9_S9_S9_b
		.amdhsa_group_segment_fixed_size 4120
		.amdhsa_private_segment_fixed_size 0
		.amdhsa_kernarg_size 920
		.amdhsa_user_sgpr_count 2
		.amdhsa_user_sgpr_dispatch_ptr 0
		.amdhsa_user_sgpr_queue_ptr 0
		.amdhsa_user_sgpr_kernarg_segment_ptr 1
		.amdhsa_user_sgpr_dispatch_id 0
		.amdhsa_user_sgpr_private_segment_size 0
		.amdhsa_wavefront_size32 1
		.amdhsa_uses_dynamic_stack 0
		.amdhsa_enable_private_segment 0
		.amdhsa_system_sgpr_workgroup_id_x 1
		.amdhsa_system_sgpr_workgroup_id_y 1
		.amdhsa_system_sgpr_workgroup_id_z 1
		.amdhsa_system_sgpr_workgroup_info 0
		.amdhsa_system_vgpr_workitem_id 0
		.amdhsa_next_free_vgpr 63
		.amdhsa_next_free_sgpr 81
		.amdhsa_reserve_vcc 1
		.amdhsa_float_round_mode_32 0
		.amdhsa_float_round_mode_16_64 0
		.amdhsa_float_denorm_mode_32 3
		.amdhsa_float_denorm_mode_16_64 3
		.amdhsa_fp16_overflow 0
		.amdhsa_workgroup_processor_mode 1
		.amdhsa_memory_ordered 1
		.amdhsa_forward_progress 1
		.amdhsa_inst_pref_size 106
		.amdhsa_round_robin_scheduling 0
		.amdhsa_exception_fp_ieee_invalid_op 0
		.amdhsa_exception_fp_denorm_src 0
		.amdhsa_exception_fp_ieee_div_zero 0
		.amdhsa_exception_fp_ieee_overflow 0
		.amdhsa_exception_fp_ieee_underflow 0
		.amdhsa_exception_fp_ieee_inexact 0
		.amdhsa_exception_int_div_zero 0
	.end_amdhsa_kernel
	.section	.text._ZN2at6native12_GLOBAL__N_112gatherMedianIN3c104HalfEjLi1EEEvNS_4cuda6detail10TensorInfoIT_T0_EENS7_IlS9_EENS7_IKS8_S9_EES9_S9_S9_b,"axG",@progbits,_ZN2at6native12_GLOBAL__N_112gatherMedianIN3c104HalfEjLi1EEEvNS_4cuda6detail10TensorInfoIT_T0_EENS7_IlS9_EENS7_IKS8_S9_EES9_S9_S9_b,comdat
.Lfunc_end128:
	.size	_ZN2at6native12_GLOBAL__N_112gatherMedianIN3c104HalfEjLi1EEEvNS_4cuda6detail10TensorInfoIT_T0_EENS7_IlS9_EENS7_IKS8_S9_EES9_S9_S9_b, .Lfunc_end128-_ZN2at6native12_GLOBAL__N_112gatherMedianIN3c104HalfEjLi1EEEvNS_4cuda6detail10TensorInfoIT_T0_EENS7_IlS9_EENS7_IKS8_S9_EES9_S9_S9_b
                                        ; -- End function
	.set _ZN2at6native12_GLOBAL__N_112gatherMedianIN3c104HalfEjLi1EEEvNS_4cuda6detail10TensorInfoIT_T0_EENS7_IlS9_EENS7_IKS8_S9_EES9_S9_S9_b.num_vgpr, 63
	.set _ZN2at6native12_GLOBAL__N_112gatherMedianIN3c104HalfEjLi1EEEvNS_4cuda6detail10TensorInfoIT_T0_EENS7_IlS9_EENS7_IKS8_S9_EES9_S9_S9_b.num_agpr, 0
	.set _ZN2at6native12_GLOBAL__N_112gatherMedianIN3c104HalfEjLi1EEEvNS_4cuda6detail10TensorInfoIT_T0_EENS7_IlS9_EENS7_IKS8_S9_EES9_S9_S9_b.numbered_sgpr, 81
	.set _ZN2at6native12_GLOBAL__N_112gatherMedianIN3c104HalfEjLi1EEEvNS_4cuda6detail10TensorInfoIT_T0_EENS7_IlS9_EENS7_IKS8_S9_EES9_S9_S9_b.num_named_barrier, 0
	.set _ZN2at6native12_GLOBAL__N_112gatherMedianIN3c104HalfEjLi1EEEvNS_4cuda6detail10TensorInfoIT_T0_EENS7_IlS9_EENS7_IKS8_S9_EES9_S9_S9_b.private_seg_size, 0
	.set _ZN2at6native12_GLOBAL__N_112gatherMedianIN3c104HalfEjLi1EEEvNS_4cuda6detail10TensorInfoIT_T0_EENS7_IlS9_EENS7_IKS8_S9_EES9_S9_S9_b.uses_vcc, 1
	.set _ZN2at6native12_GLOBAL__N_112gatherMedianIN3c104HalfEjLi1EEEvNS_4cuda6detail10TensorInfoIT_T0_EENS7_IlS9_EENS7_IKS8_S9_EES9_S9_S9_b.uses_flat_scratch, 0
	.set _ZN2at6native12_GLOBAL__N_112gatherMedianIN3c104HalfEjLi1EEEvNS_4cuda6detail10TensorInfoIT_T0_EENS7_IlS9_EENS7_IKS8_S9_EES9_S9_S9_b.has_dyn_sized_stack, 0
	.set _ZN2at6native12_GLOBAL__N_112gatherMedianIN3c104HalfEjLi1EEEvNS_4cuda6detail10TensorInfoIT_T0_EENS7_IlS9_EENS7_IKS8_S9_EES9_S9_S9_b.has_recursion, 0
	.set _ZN2at6native12_GLOBAL__N_112gatherMedianIN3c104HalfEjLi1EEEvNS_4cuda6detail10TensorInfoIT_T0_EENS7_IlS9_EENS7_IKS8_S9_EES9_S9_S9_b.has_indirect_call, 0
	.section	.AMDGPU.csdata,"",@progbits
; Kernel info:
; codeLenInByte = 13500
; TotalNumSgprs: 83
; NumVgprs: 63
; ScratchSize: 0
; MemoryBound: 0
; FloatMode: 240
; IeeeMode: 1
; LDSByteSize: 4120 bytes/workgroup (compile time only)
; SGPRBlocks: 0
; VGPRBlocks: 7
; NumSGPRsForWavesPerEU: 83
; NumVGPRsForWavesPerEU: 63
; Occupancy: 16
; WaveLimiterHint : 1
; COMPUTE_PGM_RSRC2:SCRATCH_EN: 0
; COMPUTE_PGM_RSRC2:USER_SGPR: 2
; COMPUTE_PGM_RSRC2:TRAP_HANDLER: 0
; COMPUTE_PGM_RSRC2:TGID_X_EN: 1
; COMPUTE_PGM_RSRC2:TGID_Y_EN: 1
; COMPUTE_PGM_RSRC2:TGID_Z_EN: 1
; COMPUTE_PGM_RSRC2:TIDIG_COMP_CNT: 0
	.section	.text._ZN2at6native12_GLOBAL__N_112gatherMedianIN3c104HalfEjLi2EEEvNS_4cuda6detail10TensorInfoIT_T0_EENS7_IlS9_EENS7_IKS8_S9_EES9_S9_S9_b,"axG",@progbits,_ZN2at6native12_GLOBAL__N_112gatherMedianIN3c104HalfEjLi2EEEvNS_4cuda6detail10TensorInfoIT_T0_EENS7_IlS9_EENS7_IKS8_S9_EES9_S9_S9_b,comdat
	.globl	_ZN2at6native12_GLOBAL__N_112gatherMedianIN3c104HalfEjLi2EEEvNS_4cuda6detail10TensorInfoIT_T0_EENS7_IlS9_EENS7_IKS8_S9_EES9_S9_S9_b ; -- Begin function _ZN2at6native12_GLOBAL__N_112gatherMedianIN3c104HalfEjLi2EEEvNS_4cuda6detail10TensorInfoIT_T0_EENS7_IlS9_EENS7_IKS8_S9_EES9_S9_S9_b
	.p2align	8
	.type	_ZN2at6native12_GLOBAL__N_112gatherMedianIN3c104HalfEjLi2EEEvNS_4cuda6detail10TensorInfoIT_T0_EENS7_IlS9_EENS7_IKS8_S9_EES9_S9_S9_b,@function
_ZN2at6native12_GLOBAL__N_112gatherMedianIN3c104HalfEjLi2EEEvNS_4cuda6detail10TensorInfoIT_T0_EENS7_IlS9_EENS7_IKS8_S9_EES9_S9_S9_b: ; @_ZN2at6native12_GLOBAL__N_112gatherMedianIN3c104HalfEjLi2EEEvNS_4cuda6detail10TensorInfoIT_T0_EENS7_IlS9_EENS7_IKS8_S9_EES9_S9_S9_b
; %bb.0:
	s_clause 0x1
	s_load_b64 s[6:7], s[0:1], 0x298
	s_load_b128 s[28:31], s[0:1], 0x288
	s_lshr_b32 s2, ttmp7, 16
	s_and_b32 s3, ttmp7, 0xffff
	s_wait_kmcnt 0x0
	s_mul_i32 s2, s7, s2
	s_delay_alu instid0(SALU_CYCLE_1) | instskip(NEXT) | instid1(SALU_CYCLE_1)
	s_add_co_i32 s2, s2, s3
	s_mul_i32 s2, s2, s6
	s_delay_alu instid0(SALU_CYCLE_1) | instskip(NEXT) | instid1(SALU_CYCLE_1)
	s_add_co_i32 s26, s2, ttmp9
	s_cmp_ge_u32 s26, s29
	s_cbranch_scc1 .LBB129_267
; %bb.1:
	s_clause 0x4
	s_load_b32 s54, s[0:1], 0xc
	s_load_b32 s5, s[0:1], 0x1bc
	;; [unrolled: 1-line block ×3, first 2 shown]
	s_load_b64 s[38:39], s[0:1], 0x6c
	s_load_b64 s[10:11], s[0:1], 0x1b0
	s_mov_b32 s27, 0
	s_load_b64 s[34:35], s[0:1], 0x144
	s_mov_b32 s15, s27
	s_wait_kmcnt 0x0
	s_cvt_f32_u32 s2, s54
	s_cvt_f32_u32 s3, s5
	;; [unrolled: 1-line block ×3, first 2 shown]
	s_sub_co_i32 s13, 0, s5
	v_rcp_iflag_f32_e32 v1, s2
	v_rcp_iflag_f32_e32 v2, s3
	;; [unrolled: 1-line block ×3, first 2 shown]
	s_sub_co_i32 s9, 0, s54
	s_load_b64 s[2:3], s[0:1], 0x21c
	s_sub_co_i32 s12, 0, s33
	s_delay_alu instid0(TRANS32_DEP_3) | instskip(NEXT) | instid1(TRANS32_DEP_2)
	v_readfirstlane_b32 s4, v1
	v_readfirstlane_b32 s7, v2
	s_delay_alu instid0(TRANS32_DEP_1)
	v_readfirstlane_b32 s8, v3
	v_mov_b32_e32 v3, 0
	s_mul_f32 s4, s4, 0x4f7ffffe
	s_mul_f32 s7, s7, 0x4f7ffffe
	;; [unrolled: 1-line block ×3, first 2 shown]
	s_wait_alu 0xfffe
	s_cvt_u32_f32 s4, s4
	s_cvt_u32_f32 s7, s7
	;; [unrolled: 1-line block ×3, first 2 shown]
	s_wait_alu 0xfffe
	s_mul_i32 s9, s9, s4
	s_mul_i32 s13, s13, s7
	s_mul_hi_u32 s9, s4, s9
	s_mul_hi_u32 s13, s7, s13
	s_mul_i32 s12, s12, s8
	s_add_co_i32 s7, s7, s13
	s_add_co_i32 s4, s4, s9
	s_mul_hi_u32 s7, s26, s7
	s_mul_hi_u32 s12, s8, s12
	s_mul_i32 s9, s7, s5
	s_add_co_i32 s8, s8, s12
	s_sub_co_i32 s9, s26, s9
	s_add_co_i32 s12, s7, 1
	s_sub_co_i32 s13, s9, s5
	s_cmp_ge_u32 s9, s5
	s_cselect_b32 s7, s12, s7
	s_cselect_b32 s9, s13, s9
	s_add_co_i32 s14, s7, 1
	s_cmp_ge_u32 s9, s5
	s_add_nc_u64 s[12:13], s[0:1], 0x298
	s_cselect_b32 s7, s14, s7
	s_delay_alu instid0(SALU_CYCLE_1)
	s_mul_i32 s9, s7, s5
	s_wait_kmcnt 0x0
	s_mul_i32 s2, s7, s2
	s_sub_co_i32 s9, s26, s9
	s_mov_b32 s5, s27
	s_mul_i32 s9, s9, s3
	s_wait_alu 0xfffe
	s_add_co_i32 s14, s2, s9
	v_cmp_gt_u32_e64 s2, s28, v0
	s_lshl_b64 s[14:15], s[14:15], 1
	s_mov_b32 s9, s27
	s_add_nc_u64 s[36:37], s[10:11], s[14:15]
	s_and_saveexec_b32 s7, s2
	s_cbranch_execz .LBB129_5
; %bb.2:
	s_load_b32 s3, s[12:13], 0xc
	v_mov_b32_e32 v2, 0
	v_mul_lo_u32 v1, v0, s30
	v_mov_b32_e32 v4, v0
	s_mov_b32 s11, s27
	s_delay_alu instid0(VALU_DEP_3) | instskip(SKIP_2) | instid1(SALU_CYCLE_1)
	v_mov_b32_e32 v3, v2
	s_wait_kmcnt 0x0
	s_and_b32 s10, s3, 0xffff
	s_mul_i32 s14, s30, s10
.LBB129_3:                              ; =>This Inner Loop Header: Depth=1
	s_delay_alu instid0(VALU_DEP_3) | instskip(SKIP_2) | instid1(VALU_DEP_3)
	v_lshlrev_b64_e32 v[5:6], 1, v[1:2]
	v_add_nc_u32_e32 v4, s10, v4
	v_add_nc_u32_e32 v1, s14, v1
	v_add_co_u32 v5, vcc_lo, s36, v5
	s_wait_alu 0xfffd
	s_delay_alu instid0(VALU_DEP_4)
	v_add_co_ci_u32_e64 v6, null, s37, v6, vcc_lo
	v_cmp_le_u32_e32 vcc_lo, s28, v4
	global_load_u16 v5, v[5:6], off
	s_or_b32 s11, vcc_lo, s11
	s_wait_loadcnt 0x0
	v_cmp_u_f16_e64 s3, v5, v5
	s_wait_alu 0xf1ff
	s_delay_alu instid0(VALU_DEP_1)
	v_add_co_ci_u32_e64 v3, null, 0, v3, s3
	s_wait_alu 0xfffe
	s_and_not1_b32 exec_lo, exec_lo, s11
	s_cbranch_execnz .LBB129_3
; %bb.4:
	s_or_b32 exec_lo, exec_lo, s11
.LBB129_5:
	s_delay_alu instid0(SALU_CYCLE_1)
	s_or_b32 exec_lo, exec_lo, s7
	s_clause 0x1
	s_load_b64 s[40:41], s[0:1], 0xd8
	s_load_b64 s[42:43], s[0:1], 0x0
	v_cmp_eq_u32_e64 s0, 0, v0
	s_mul_u64 s[44:45], s[26:27], s[4:5]
	s_mul_u64 s[24:25], s[26:27], s[8:9]
	s_and_saveexec_b32 s1, s0
; %bb.6:
	v_mov_b32_e32 v1, 0
	s_delay_alu instid0(VALU_DEP_1)
	v_mov_b32_e32 v2, v1
	ds_store_b64 v1, v[1:2] offset:4096
; %bb.7:
	s_or_b32 exec_lo, exec_lo, s1
	s_delay_alu instid0(SALU_CYCLE_1)
	s_mov_b32 s1, exec_lo
	s_wait_dscnt 0x0
	s_barrier_signal -1
	s_barrier_wait -1
	global_inv scope:SCOPE_SE
	v_cmpx_ne_u32_e32 0, v3
	s_cbranch_execz .LBB129_12
; %bb.8:
	v_mov_b32_e32 v1, 0
	s_mov_b32 s3, exec_lo
	s_mov_b64 s[4:5], 0
.LBB129_9:                              ; =>This Inner Loop Header: Depth=1
	s_wait_alu 0xfffe
	s_ctz_i32_b32 s7, s3
	s_wait_alu 0xfffe
	v_readlane_b32 s9, v1, s7
	v_readlane_b32 s8, v3, s7
	s_lshl_b32 s7, 1, s7
	s_wait_alu 0xfffe
	s_and_not1_b32 s3, s3, s7
	s_wait_alu 0xfffe
	s_cmp_lg_u32 s3, 0
	s_add_nc_u64 s[4:5], s[4:5], s[8:9]
	s_cbranch_scc1 .LBB129_9
; %bb.10:
	v_mbcnt_lo_u32_b32 v1, exec_lo, 0
	s_mov_b32 s3, exec_lo
	s_delay_alu instid0(VALU_DEP_1)
	v_cmpx_eq_u32_e32 0, v1
	s_wait_alu 0xfffe
	s_xor_b32 s3, exec_lo, s3
; %bb.11:
	v_mov_b32_e32 v1, s4
	v_dual_mov_b32 v3, 0 :: v_dual_mov_b32 v2, s5
	ds_add_u64 v3, v[1:2] offset:4096
.LBB129_12:
	s_or_b32 exec_lo, exec_lo, s1
	v_mov_b32_e32 v1, 0
	s_wait_loadcnt_dscnt 0x0
	s_barrier_signal -1
	s_barrier_wait -1
	global_inv scope:SCOPE_SE
	ds_load_b64 v[1:2], v1 offset:4096
	s_bitcmp1_b32 s31, 0
	s_mov_b32 s11, s28
	s_cselect_b32 s3, -1, 0
	s_wait_dscnt 0x0
	v_readfirstlane_b32 s4, v1
	v_readfirstlane_b32 s5, v2
	s_wait_alu 0xf1ff
	s_delay_alu instid0(VALU_DEP_1) | instskip(SKIP_2) | instid1(SALU_CYCLE_1)
	v_cmp_lt_i64_e64 s1, s[4:5], 1
	s_wait_alu 0xfffe
	s_or_b32 s1, s3, s1
	s_and_not1_b32 vcc_lo, exec_lo, s1
	s_wait_alu 0xfffe
	s_cbranch_vccnz .LBB129_14
; %bb.13:
	s_not_b64 s[4:5], s[4:5]
	s_mov_b32 s29, 0
	s_wait_alu 0xfffe
	s_add_nc_u64 s[4:5], s[4:5], s[28:29]
	s_mov_b32 s9, s29
	s_wait_alu 0xfffe
	s_lshr_b32 s8, s5, 31
	s_delay_alu instid0(SALU_CYCLE_1)
	s_add_nc_u64 s[4:5], s[4:5], s[8:9]
	s_wait_alu 0xfffe
	s_lshr_b64 s[4:5], s[4:5], 1
	s_wait_alu 0xfffe
	s_add_co_i32 s11, s4, 1
.LBB129_14:
	s_and_saveexec_b32 s1, s0
	s_cbranch_execz .LBB129_16
; %bb.15:
	v_dual_mov_b32 v1, 0 :: v_dual_mov_b32 v2, s28
	ds_store_b32 v1, v1 offset:4112
	ds_store_b64 v1, v[1:2] offset:4104
.LBB129_16:
	s_or_b32 exec_lo, exec_lo, s1
	s_wait_loadcnt_dscnt 0x0
	s_barrier_signal -1
	s_barrier_wait -1
	global_inv scope:SCOPE_SE
	s_load_b32 s5, s[12:13], 0xc
	v_dual_mov_b32 v7, 0 :: v_dual_lshlrev_b32 v14, 2, v0
	v_mbcnt_lo_u32_b32 v15, -1, 0
	v_mul_lo_u32 v5, s30, v0
	v_cmp_gt_u32_e32 vcc_lo, 32, v0
	v_dual_mov_b32 v35, s11 :: v_dual_lshlrev_b32 v16, 1, v0
	s_delay_alu instid0(VALU_DEP_4) | instskip(SKIP_2) | instid1(VALU_DEP_4)
	v_cmp_gt_i32_e64 s4, 4, v15
	v_mov_b32_e32 v6, v7
	v_lshlrev_b64_e64 v[3:4], v15, -1
	v_dual_mov_b32 v34, 0 :: v_dual_add_nc_u32 v17, 0xc00, v16
	s_and_b32 s29, vcc_lo, s4
	s_delay_alu instid0(VALU_DEP_3) | instskip(SKIP_1) | instid1(VALU_DEP_3)
	v_lshlrev_b64_e32 v[1:2], 1, v[5:6]
	s_mov_b32 s31, s30
	v_not_b32_e32 v18, v3
	s_wait_alu 0xfffe
	v_mad_co_u64_u32 v[12:13], null, s30, v14, s[30:31]
	v_cmp_gt_u32_e64 s1, 2, v0
	s_wait_kmcnt 0x0
	s_and_b32 s27, s5, 0xffff
	s_bfe_u32 s4, s5, 0xb0005
	s_lshl_b32 s55, s27, 2
	s_add_co_i32 s44, s27, -1
	s_cvt_f32_u32 s5, s55
	s_add_co_i32 s10, s44, s28
	v_add_co_u32 v8, vcc_lo, s36, v1
	s_wait_alu 0xfffe
	v_rcp_iflag_f32_e32 v3, s5
	s_cmp_gt_u32 s28, 0x600
	s_wait_alu 0xfffd
	v_add_co_ci_u32_e64 v9, null, s37, v2, vcc_lo
	v_lshrrev_b32_e32 v2, 1, v0
	s_cselect_b32 s56, -1, 0
	s_cmp_gt_u32 s27, 31
	s_movk_i32 s5, 0x1f0
	s_cselect_b32 s58, -1, 0
	s_cmp_lt_u32 ttmp9, s6
	s_wait_alu 0xfffe
	v_and_or_b32 v19, v2, s5, 0xc00
	s_cselect_b32 s46, 12, 18
	s_add_co_i32 s5, s4, -1
	v_readfirstlane_b32 s6, v3
	s_wait_alu 0xfffe
	s_and_b32 s5, s5, 0xffff
	s_bfe_u32 s59, s27, 0x30005
	s_wait_alu 0xfffe
	s_cmp_gt_u32 s5, 6
	s_cvt_f32_u32 s5, s27
	s_cselect_b32 s60, -1, 0
	s_and_b32 s61, s4, 0x7f8
	s_mul_f32 s4, s6, 0x4f7ffffe
	s_cmp_lg_u32 s59, 0
	s_wait_alu 0xfffe
	v_rcp_iflag_f32_e32 v4, s5
	s_cselect_b32 s62, -1, 0
	s_cvt_u32_f32 s4, s4
	s_sub_co_i32 s6, 0, s55
	v_add_nc_u32_e32 v1, 2, v0
	v_mov_b32_e32 v31, 0x8000
	s_wait_alu 0xfffe
	s_mul_i32 s6, s6, s4
	v_mov_b32_e32 v13, 0
	s_wait_alu 0xfffe
	s_mul_hi_u32 s5, s4, s6
	v_max_u32_e32 v1, s28, v1
	s_wait_alu 0xfffe
	s_add_co_i32 s48, s4, s5
	v_readfirstlane_b32 s6, v4
	s_mul_hi_u32 s5, s28, s48
	v_mov_b32_e32 v32, 0
	s_wait_alu 0xfffe
	s_mul_i32 s5, s5, s55
	v_xad_u32 v1, v0, -1, v1
	s_wait_alu 0xfffe
	s_sub_co_i32 s5, s28, s5
	s_mul_f32 s6, s6, 0x4f7ffffe
	s_wait_alu 0xfffe
	s_sub_co_i32 s7, s5, s55
	s_cmp_ge_u32 s5, s55
	v_add_nc_u32_e32 v2, -2, v1
	s_wait_alu 0xfffe
	s_cselect_b32 s7, s7, s5
	s_cvt_u32_f32 s6, s6
	s_wait_alu 0xfffe
	s_sub_co_i32 s8, s7, s55
	s_cmp_ge_u32 s7, s55
	v_and_b32_e32 v20, -2, v1
	s_cselect_b32 s14, s8, s7
	s_sub_co_i32 s7, 0, s27
	s_wait_alu 0xfffe
	s_sub_co_i32 s63, s28, s14
	s_mul_i32 s7, s7, s6
	v_add_nc_u32_e32 v22, s63, v0
	s_wait_alu 0xfffe
	s_mul_hi_u32 s7, s6, s7
	v_lshrrev_b32_e32 v3, 1, v2
	s_wait_alu 0xfffe
	s_add_co_i32 s50, s6, s7
	v_cmp_lt_u32_e64 s4, 31, v1
	v_mul_lo_u32 v6, v22, s30
	s_mul_hi_u32 s7, s10, s50
	v_cmp_lt_u32_e64 s5, 13, v2
	s_wait_alu 0xfffe
	s_mul_i32 s8, s7, s27
	v_cmp_ne_u32_e64 s7, v1, v20
	s_sub_co_i32 s9, s10, s8
	v_add_nc_u32_e32 v3, 1, v3
	s_sub_co_i32 s15, s9, s27
	v_lshlrev_b64_e32 v[1:2], 1, v[6:7]
	s_cmp_ge_u32 s9, s27
	v_cmp_eq_u32_e64 s3, 0, v15
	s_wait_alu 0xfffe
	s_cselect_b32 s15, s15, s9
	v_dual_mov_b32 v33, 0 :: v_dual_and_b32 v4, 7, v3
	v_add_co_u32 v10, vcc_lo, s36, v1
	v_add3_u32 v1, s27, s28, v0
	v_and_b32_e32 v23, -8, v3
	s_wait_alu 0xfffd
	v_add_co_ci_u32_e64 v11, null, s37, v2, vcc_lo
	v_or_b32_e32 v2, 2, v14
	v_or_b32_e32 v3, 3, v14
	v_subrev_nc_u32_e32 v1, s14, v1
	s_wait_alu 0xfffe
	s_sub_co_i32 s16, s15, s27
	s_cmp_ge_u32 s15, s27
	v_mul_lo_u32 v25, s30, v2
	s_cselect_b32 s15, s16, s15
	v_mul_lo_u32 v26, s30, v3
	v_mul_lo_u32 v28, s30, v1
	s_wait_alu 0xfffe
	s_sub_co_i32 s64, s10, s15
	v_add_nc_u32_e32 v21, v0, v20
	v_cmp_ne_u32_e64 s6, 0, v4
	v_cmp_gt_u32_e64 s8, s63, v14
	v_cmp_gt_u32_e64 s9, s28, v22
	v_cmp_gt_u32_e64 s10, s64, v0
	v_lshlrev_b32_e32 v24, 2, v4
	v_lshlrev_b32_e32 v27, 2, v5
	;; [unrolled: 1-line block ×3, first 2 shown]
	v_lshl_or_b32 v30, v15, 2, 0xc00
	s_mov_b32 s47, 0
	s_mul_i32 s57, s30, s27
	s_mov_b32 s49, s47
	s_mov_b32 s51, s47
	s_lshl_b32 s65, s57, 2
	s_lshl_b32 s66, s27, 3
	;; [unrolled: 1-line block ×3, first 2 shown]
	s_mov_b32 s76, 14
	s_add_nc_u64 s[52:53], s[12:13], s[46:47]
	s_movk_i32 s69, 0x3c00
	s_mov_b32 s68, 0
                                        ; implicit-def: $sgpr73
                                        ; implicit-def: $sgpr75
                                        ; implicit-def: $sgpr70
                                        ; implicit-def: $sgpr72
                                        ; implicit-def: $sgpr74
                                        ; implicit-def: $sgpr71
	s_branch .LBB129_20
.LBB129_17:                             ;   in Loop: Header=BB129_20 Depth=1
	s_wait_alu 0xfffe
	s_or_b32 exec_lo, exec_lo, s15
	s_delay_alu instid0(SALU_CYCLE_1)
	s_and_b32 s12, s12, exec_lo
	s_and_not1_b32 s17, s17, exec_lo
	s_and_not1_b32 s16, s16, exec_lo
	s_or_not1_b32 s14, s14, exec_lo
.LBB129_18:                             ;   in Loop: Header=BB129_20 Depth=1
	s_wait_alu 0xfffe
	s_or_b32 exec_lo, exec_lo, s11
	s_delay_alu instid0(SALU_CYCLE_1)
	s_and_not1_b32 s11, s71, exec_lo
	s_and_b32 s12, s12, exec_lo
	s_and_not1_b32 s15, s72, exec_lo
	s_wait_alu 0xfffe
	s_or_b32 s71, s11, s12
	s_and_not1_b32 s11, s74, exec_lo
	s_and_b32 s12, s17, exec_lo
	s_and_b32 s16, s16, exec_lo
	s_wait_alu 0xfffe
	s_or_b32 s74, s11, s12
	s_or_b32 s72, s15, s16
	s_or_not1_b32 s15, s14, exec_lo
.LBB129_19:                             ;   in Loop: Header=BB129_20 Depth=1
	s_wait_alu 0xfffe
	s_or_b32 exec_lo, exec_lo, s13
	s_delay_alu instid0(SALU_CYCLE_1)
	s_and_b32 s11, exec_lo, s15
	v_mov_b32_e32 v35, v2
	s_wait_alu 0xfffe
	s_or_b32 s68, s11, s68
	s_and_not1_b32 s11, s70, exec_lo
	s_and_b32 s12, s71, exec_lo
	s_and_not1_b32 s13, s75, exec_lo
	s_wait_alu 0xfffe
	s_or_b32 s70, s11, s12
	s_and_b32 s11, s74, exec_lo
	s_and_not1_b32 s12, s73, exec_lo
	s_and_b32 s14, s72, exec_lo
	s_wait_alu 0xfffe
	s_or_b32 s75, s13, s11
	s_or_b32 s73, s12, s14
	s_mov_b32 s76, s22
	s_and_not1_b32 exec_lo, exec_lo, s68
	s_cbranch_execz .LBB129_263
.LBB129_20:                             ; =>This Loop Header: Depth=1
                                        ;     Child Loop BB129_25 Depth 2
                                        ;     Child Loop BB129_46 Depth 2
	;; [unrolled: 1-line block ×18, first 2 shown]
	ds_load_b64 v[1:2], v7 offset:4104
	s_wait_dscnt 0x0
	v_readfirstlane_b32 s46, v1
	s_cmp_lg_u32 s46, 0
	s_cbranch_scc1 .LBB129_65
; %bb.21:                               ;   in Loop: Header=BB129_20 Depth=1
	s_and_b32 vcc_lo, exec_lo, s56
	s_wait_alu 0xfffe
	s_cbranch_vccz .LBB129_33
; %bb.22:                               ;   in Loop: Header=BB129_20 Depth=1
	v_cmp_gt_u32_e32 vcc_lo, 0x601, v2
	s_mov_b32 s13, 0
	s_mov_b32 s11, 0
	s_cbranch_vccz .LBB129_34
; %bb.23:                               ;   in Loop: Header=BB129_20 Depth=1
	global_load_u16 v1, v[8:9], off
	s_load_u16 s14, s[52:53], 0x0
	s_mov_b32 s15, 0
	s_wait_kmcnt 0x0
	v_add_nc_u32_e32 v2, s14, v0
	s_mul_i32 s16, s30, s14
	s_delay_alu instid0(VALU_DEP_1)
	v_mul_lo_u32 v6, s30, v2
	v_mov_b32_e32 v2, v0
	s_branch .LBB129_25
.LBB129_24:                             ;   in Loop: Header=BB129_25 Depth=2
	s_wait_alu 0xfffe
	s_or_b32 exec_lo, exec_lo, s12
	v_dual_mov_b32 v1, v3 :: v_dual_add_nc_u32 v6, s16, v6
	s_and_not1_b32 exec_lo, exec_lo, s15
	s_cbranch_execz .LBB129_40
.LBB129_25:                             ;   Parent Loop BB129_20 Depth=1
                                        ; =>  This Inner Loop Header: Depth=2
	s_delay_alu instid0(VALU_DEP_1) | instskip(SKIP_3) | instid1(VALU_DEP_2)
	v_dual_mov_b32 v3, 0 :: v_dual_add_nc_u32 v2, s14, v2
	s_wait_dscnt 0x0
	v_mov_b32_e32 v4, 0
	s_mov_b32 s12, exec_lo
	v_cmp_le_u32_e32 vcc_lo, s28, v2
	v_cmpx_gt_u32_e64 s28, v2
	s_cbranch_execz .LBB129_27
; %bb.26:                               ;   in Loop: Header=BB129_25 Depth=2
	v_lshlrev_b64_e32 v[36:37], 1, v[6:7]
	s_delay_alu instid0(VALU_DEP_1) | instskip(SKIP_1) | instid1(VALU_DEP_2)
	v_add_co_u32 v36, s11, s36, v36
	s_wait_alu 0xf1ff
	v_add_co_ci_u32_e64 v37, null, s37, v37, s11
	global_load_u16 v3, v[36:37], off
.LBB129_27:                             ;   in Loop: Header=BB129_25 Depth=2
	s_wait_alu 0xfffe
	s_or_b32 exec_lo, exec_lo, s12
	s_wait_loadcnt 0x0
	v_cmp_lt_i16_e64 s11, -1, v1
	v_and_b32_e32 v36, 0xffff, v1
	s_wait_alu 0xf1ff
	s_delay_alu instid0(VALU_DEP_2) | instskip(SKIP_1) | instid1(VALU_DEP_2)
	v_cndmask_b32_e64 v37, 0xffff, v31, s11
	v_cmp_o_f16_e64 s11, v1, v1
	v_xor_b32_e32 v36, v37, v36
	s_wait_alu 0xf1ff
	s_delay_alu instid0(VALU_DEP_1) | instskip(NEXT) | instid1(VALU_DEP_1)
	v_cndmask_b32_e64 v36, 0xffff, v36, s11
	v_and_b32_e32 v36, v36, v33
	s_delay_alu instid0(VALU_DEP_1)
	v_cmp_eq_u32_e64 s11, v36, v13
	s_cmp_lg_u32 s11, 0
	s_cselect_b32 s12, -1, 0
	s_wait_alu 0xfffe
	s_and_b32 s12, s3, s12
	s_wait_alu 0xfffe
	s_and_saveexec_b32 s17, s12
	s_cbranch_execz .LBB129_31
; %bb.28:                               ;   in Loop: Header=BB129_25 Depth=2
	s_mov_b32 s20, exec_lo
	s_bcnt1_i32_b32 s18, s11
	s_wait_alu 0xfffe
	v_mbcnt_lo_u32_b32 v4, s20, 0
	s_mov_b32 s19, exec_lo
                                        ; implicit-def: $vgpr36
	s_delay_alu instid0(VALU_DEP_1)
	v_cmpx_eq_u32_e32 0, v4
; %bb.29:                               ;   in Loop: Header=BB129_25 Depth=2
	s_bcnt1_i32_b32 s12, s20
	s_wait_alu 0xfffe
	s_mul_i32 s12, s18, s12
	s_wait_alu 0xfffe
	v_mov_b32_e32 v36, s12
	ds_add_rtn_u32 v36, v7, v36 offset:4112
; %bb.30:                               ;   in Loop: Header=BB129_25 Depth=2
	s_or_b32 exec_lo, exec_lo, s19
	s_wait_dscnt 0x0
	v_readfirstlane_b32 s12, v36
	s_wait_alu 0xf1ff
	s_delay_alu instid0(VALU_DEP_1)
	v_mad_u32_u24 v4, s18, v4, s12
.LBB129_31:                             ;   in Loop: Header=BB129_25 Depth=2
	s_wait_alu 0xfffe
	s_or_b32 exec_lo, exec_lo, s17
	ds_bpermute_b32 v4, v7, v4
	s_and_b32 s12, exec_lo, vcc_lo
	s_wait_alu 0xfffe
	s_or_b32 s15, s12, s15
	s_and_saveexec_b32 s12, s11
	s_cbranch_execz .LBB129_24
; %bb.32:                               ;   in Loop: Header=BB129_25 Depth=2
	v_and_b32_e32 v36, s11, v18
	s_delay_alu instid0(VALU_DEP_1) | instskip(NEXT) | instid1(VALU_DEP_1)
	v_bcnt_u32_b32 v36, v36, 0
	v_lshlrev_b32_e32 v36, 1, v36
	s_wait_dscnt 0x0
	s_delay_alu instid0(VALU_DEP_1)
	v_lshl_add_u32 v4, v4, 1, v36
	ds_store_b16 v4, v1
	s_branch .LBB129_24
.LBB129_33:                             ;   in Loop: Header=BB129_20 Depth=1
	s_mov_b32 s13, -1
	s_mov_b32 s11, 0
.LBB129_34:                             ;   in Loop: Header=BB129_20 Depth=1
	s_wait_alu 0xfffe
	s_and_b32 vcc_lo, exec_lo, s13
	s_wait_alu 0xfffe
	s_cbranch_vccz .LBB129_63
.LBB129_35:                             ;   in Loop: Header=BB129_20 Depth=1
	s_and_saveexec_b32 s12, s2
	s_cbranch_execz .LBB129_60
; %bb.36:                               ;   in Loop: Header=BB129_20 Depth=1
	global_load_u16 v36, v[8:9], off
	s_load_u16 s14, s[52:53], 0x0
	v_mov_b32_e32 v3, v0
	s_mov_b32 s13, exec_lo
	s_wait_kmcnt 0x0
	v_add_nc_u32_e32 v1, s14, v0
	s_delay_alu instid0(VALU_DEP_1)
	v_cmpx_gt_u32_e64 s28, v1
	s_cbranch_execz .LBB129_59
; %bb.37:                               ;   in Loop: Header=BB129_20 Depth=1
	s_mov_b32 s11, 0
	s_mul_i32 s15, s30, s14
                                        ; implicit-def: $vgpr3
                                        ; implicit-def: $vgpr2
                                        ; implicit-def: $vgpr4
	s_and_saveexec_b32 s16, s4
	s_wait_alu 0xfffe
	s_xor_b32 s16, exec_lo, s16
	s_cbranch_execnz .LBB129_43
; %bb.38:                               ;   in Loop: Header=BB129_20 Depth=1
	s_wait_alu 0xfffe
	s_and_not1_saveexec_b32 s16, s16
	s_cbranch_execnz .LBB129_54
.LBB129_39:                             ;   in Loop: Header=BB129_20 Depth=1
	s_wait_alu 0xfffe
	s_or_b32 exec_lo, exec_lo, s16
	s_and_saveexec_b32 s15, s11
	s_cbranch_execnz .LBB129_55
	s_branch .LBB129_58
.LBB129_40:                             ;   in Loop: Header=BB129_20 Depth=1
	s_or_b32 exec_lo, exec_lo, s15
	s_wait_dscnt 0x0
	s_barrier_signal -1
	s_barrier_wait -1
	global_inv scope:SCOPE_SE
	s_and_saveexec_b32 s11, s0
	s_cbranch_execz .LBB129_42
; %bb.41:                               ;   in Loop: Header=BB129_20 Depth=1
	ds_load_b32 v1, v7 offset:4112
	s_wait_dscnt 0x0
	ds_store_b32 v7, v1 offset:4104
.LBB129_42:                             ;   in Loop: Header=BB129_20 Depth=1
	s_wait_alu 0xfffe
	s_or_b32 exec_lo, exec_lo, s11
	s_wait_loadcnt_dscnt 0x0
	s_barrier_signal -1
	s_mov_b32 s11, -1
	s_barrier_wait -1
	s_and_b32 vcc_lo, exec_lo, s13
	s_wait_alu 0xfffe
	s_cbranch_vccnz .LBB129_35
	s_branch .LBB129_63
.LBB129_43:                             ;   in Loop: Header=BB129_20 Depth=1
	v_add_nc_u32_e32 v2, s14, v1
	s_cvt_f32_u32 s11, s14
	s_wait_alu 0xfffe
	s_delay_alu instid0(SALU_CYCLE_2) | instskip(NEXT) | instid1(VALU_DEP_1)
	v_rcp_iflag_f32_e32 v3, s11
	v_max_u32_e32 v2, s28, v2
	s_lshl_b32 s11, s14, 1
	s_delay_alu instid0(VALU_DEP_1) | instskip(NEXT) | instid1(TRANS32_DEP_1)
	v_sub_nc_u32_e32 v2, v2, v0
	v_readfirstlane_b32 s17, v3
	s_wait_alu 0xfffe
	s_delay_alu instid0(VALU_DEP_2) | instskip(SKIP_3) | instid1(VALU_DEP_1)
	v_cmp_ne_u32_e32 vcc_lo, s11, v2
	s_mul_f32 s17, s17, 0x4f7ffffe
	s_wait_alu 0xfffd
	v_cndmask_b32_e64 v3, 0, 1, vcc_lo
	v_or_b32_e32 v3, s11, v3
	s_wait_alu 0xfffe
	s_cvt_u32_f32 s11, s17
	s_sub_co_i32 s17, 0, s14
	s_wait_alu 0xfffe
	s_delay_alu instid0(SALU_CYCLE_1)
	s_mul_i32 s17, s17, s11
	v_sub_nc_u32_e32 v2, v2, v3
	s_wait_alu 0xfffe
	s_mul_hi_u32 s17, s11, s17
	s_wait_alu 0xfffe
	s_add_co_i32 s11, s11, s17
	s_not_b32 s17, s15
	s_wait_alu 0xfffe
	v_mul_hi_u32 v3, v2, s11
	s_delay_alu instid0(VALU_DEP_1) | instskip(NEXT) | instid1(VALU_DEP_1)
	v_mul_lo_u32 v4, v3, s14
	v_sub_nc_u32_e32 v2, v2, v4
	v_add_nc_u32_e32 v4, 1, v3
	s_delay_alu instid0(VALU_DEP_2) | instskip(SKIP_2) | instid1(VALU_DEP_1)
	v_subrev_nc_u32_e32 v6, s14, v2
	v_cmp_le_u32_e64 s11, s14, v2
	s_wait_alu 0xf1ff
	v_cndmask_b32_e64 v3, v3, v4, s11
	s_delay_alu instid0(VALU_DEP_3) | instskip(NEXT) | instid1(VALU_DEP_2)
	v_cndmask_b32_e64 v2, v2, v6, s11
	v_add_nc_u32_e32 v4, 1, v3
	s_delay_alu instid0(VALU_DEP_2) | instskip(SKIP_1) | instid1(VALU_DEP_1)
	v_cmp_le_u32_e64 s11, s14, v2
	s_wait_alu 0xf1ff
	v_cndmask_b32_e64 v2, v3, v4, s11
	v_mul_lo_u32 v3, s30, v1
	s_abs_i32 s11, s15
	s_delay_alu instid0(VALU_DEP_2) | instskip(SKIP_1) | instid1(VALU_DEP_1)
	v_add_co_ci_u32_e64 v2, null, 0, v2, vcc_lo
	s_wait_alu 0xfffe
	v_mul_hi_u32 v4, s11, v2
	v_mul_lo_u32 v2, s11, v2
	s_ashr_i32 s11, s17, 31
	s_cmp_eq_u32 s14, 1
	s_wait_alu 0xfffe
	v_xor_b32_e32 v3, s11, v3
	s_cselect_b32 s17, -1, 0
	s_delay_alu instid0(VALU_DEP_3) | instskip(NEXT) | instid1(VALU_DEP_2)
	v_cmp_eq_u32_e32 vcc_lo, 0, v4
	v_cmp_le_u32_e64 s11, v2, v3
	v_mov_b32_e32 v2, v0
                                        ; implicit-def: $vgpr3
	s_wait_alu 0xfffe
	s_and_b32 s17, vcc_lo, s17
	s_wait_alu 0xfffe
	s_and_b32 s18, s17, s11
	s_mov_b32 s17, -1
	s_wait_alu 0xfffe
	s_and_saveexec_b32 s11, s18
	s_cbranch_execz .LBB129_53
; %bb.44:                               ;   in Loop: Header=BB129_20 Depth=1
	v_add_nc_u32_e32 v2, 1, v1
	s_wait_loadcnt 0x0
	v_dual_mov_b32 v6, 0 :: v_dual_lshlrev_b32 v39, 16, v36
                                        ; implicit-def: $vgpr36
	s_delay_alu instid0(VALU_DEP_2)
	v_dual_mov_b32 v4, v2 :: v_dual_mov_b32 v3, v1
	s_and_saveexec_b32 s17, s5
	s_cbranch_execz .LBB129_48
; %bb.45:                               ;   in Loop: Header=BB129_20 Depth=1
	v_dual_mov_b32 v37, v23 :: v_dual_mov_b32 v38, v16
	v_dual_mov_b32 v4, v2 :: v_dual_mov_b32 v3, v1
	s_mov_b32 s18, 0
	s_mov_b32 s19, 0
.LBB129_46:                             ;   Parent Loop BB129_20 Depth=1
                                        ; =>  This Inner Loop Header: Depth=2
	s_delay_alu instid0(VALU_DEP_1) | instskip(NEXT) | instid1(VALU_DEP_2)
	v_add_nc_u32_e32 v2, 2, v4
	v_mul_lo_u32 v6, v3, s30
	v_add_nc_u32_e32 v36, 4, v4
	v_mul_lo_u32 v41, v4, s31
	v_mov_b32_e32 v42, v7
	v_lshrrev_b32_e32 v40, 16, v39
	v_add_nc_u32_e32 v39, 6, v4
	v_mul_lo_u32 v43, v2, s31
	v_dual_mov_b32 v44, v7 :: v_dual_add_nc_u32 v49, 8, v4
	v_mul_lo_u32 v45, v36, s31
	v_dual_mov_b32 v46, v7 :: v_dual_add_nc_u32 v51, 10, v4
	v_mul_lo_u32 v47, v39, s31
	v_lshlrev_b64_e32 v[53:54], 1, v[6:7]
	v_mul_lo_u32 v49, v49, s31
	v_lshlrev_b64_e32 v[41:42], 1, v[41:42]
	v_dual_mov_b32 v48, v7 :: v_dual_add_nc_u32 v39, 6, v3
	v_mul_lo_u32 v51, v51, s31
	v_lshlrev_b64_e32 v[43:44], 1, v[43:44]
	v_dual_mov_b32 v50, v7 :: v_dual_add_nc_u32 v55, 8, v3
	v_lshlrev_b64_e32 v[45:46], 1, v[45:46]
	v_add_co_u32 v53, vcc_lo, s36, v53
	v_dual_mov_b32 v52, v7 :: v_dual_add_nc_u32 v57, 10, v3
	v_lshlrev_b64_e32 v[47:48], 1, v[47:48]
	s_wait_alu 0xfffd
	v_add_co_ci_u32_e64 v54, null, s37, v54, vcc_lo
	v_add_co_u32 v41, vcc_lo, s36, v41
	v_lshlrev_b64_e32 v[49:50], 1, v[49:50]
	s_wait_alu 0xfffd
	v_add_co_ci_u32_e64 v42, null, s37, v42, vcc_lo
	v_add_co_u32 v43, vcc_lo, s36, v43
	;; [unrolled: 4-line block ×3, first 2 shown]
	s_wait_alu 0xfffd
	v_add_co_ci_u32_e64 v46, null, s37, v46, vcc_lo
	v_add_co_u32 v47, vcc_lo, s36, v47
	s_wait_alu 0xfffd
	v_add_co_ci_u32_e64 v48, null, s37, v48, vcc_lo
	v_add_co_u32 v49, vcc_lo, s36, v49
	;; [unrolled: 3-line block ×3, first 2 shown]
	s_wait_alu 0xfffd
	v_add_co_ci_u32_e64 v52, null, s37, v52, vcc_lo
	s_clause 0x6
	global_load_d16_hi_b16 v40, v[53:54], off
	global_load_u16 v41, v[41:42], off
	global_load_u16 v42, v[43:44], off
	;; [unrolled: 1-line block ×6, first 2 shown]
	v_add_nc_u32_e32 v2, 2, v3
	v_add_nc_u32_e32 v6, 12, v4
	v_dual_mov_b32 v50, v7 :: v_dual_add_nc_u32 v49, 14, v4
	v_add_nc_u32_e32 v36, 4, v3
	v_dual_mov_b32 v48, v7 :: v_dual_add_nc_u32 v59, 12, v3
	s_delay_alu instid0(VALU_DEP_4)
	v_mul_lo_u32 v47, v6, s31
	v_mul_lo_u32 v6, v2, s30
	;; [unrolled: 1-line block ×3, first 2 shown]
	s_wait_alu 0xfffe
	s_add_co_i32 s19, s19, 16
	v_add_nc_u32_e32 v61, 14, v3
	v_add_nc_u32_e32 v37, -8, v37
	v_add_nc_u32_e32 v4, 16, v4
	v_add_nc_u32_e32 v3, 16, v3
	v_lshlrev_b64_e32 v[47:48], 1, v[47:48]
	v_lshlrev_b64_e32 v[51:52], 1, v[6:7]
	v_mul_lo_u32 v6, v36, s30
	v_lshlrev_b64_e32 v[49:50], 1, v[49:50]
	s_delay_alu instid0(VALU_DEP_4) | instskip(SKIP_2) | instid1(VALU_DEP_4)
	v_add_co_u32 v47, vcc_lo, s36, v47
	s_wait_alu 0xfffd
	v_add_co_ci_u32_e64 v48, null, s37, v48, vcc_lo
	v_lshlrev_b64_e32 v[53:54], 1, v[6:7]
	v_mul_lo_u32 v6, v39, s30
	v_add_co_u32 v49, vcc_lo, s36, v49
	s_wait_alu 0xfffd
	v_add_co_ci_u32_e64 v50, null, s37, v50, vcc_lo
	v_add_co_u32 v51, vcc_lo, s36, v51
	s_wait_alu 0xfffd
	v_add_co_ci_u32_e64 v52, null, s37, v52, vcc_lo
	global_load_u16 v2, v[47:48], off
	v_add_co_u32 v47, vcc_lo, s36, v53
	s_wait_alu 0xfffd
	v_add_co_ci_u32_e64 v48, null, s37, v54, vcc_lo
	v_lshlrev_b64_e32 v[53:54], 1, v[6:7]
	v_mul_lo_u32 v6, v55, s30
	s_delay_alu instid0(VALU_DEP_2) | instskip(SKIP_1) | instid1(VALU_DEP_3)
	v_add_co_u32 v53, vcc_lo, s36, v53
	s_wait_alu 0xfffd
	v_add_co_ci_u32_e64 v54, null, s37, v54, vcc_lo
	s_delay_alu instid0(VALU_DEP_3) | instskip(SKIP_1) | instid1(VALU_DEP_2)
	v_lshlrev_b64_e32 v[55:56], 1, v[6:7]
	v_mul_lo_u32 v6, v57, s30
	v_add_co_u32 v55, vcc_lo, s36, v55
	s_wait_alu 0xfffd
	s_delay_alu instid0(VALU_DEP_3) | instskip(NEXT) | instid1(VALU_DEP_3)
	v_add_co_ci_u32_e64 v56, null, s37, v56, vcc_lo
	v_lshlrev_b64_e32 v[57:58], 1, v[6:7]
	v_mul_lo_u32 v6, v59, s30
	s_delay_alu instid0(VALU_DEP_2) | instskip(SKIP_1) | instid1(VALU_DEP_3)
	v_add_co_u32 v57, vcc_lo, s36, v57
	s_wait_alu 0xfffd
	v_add_co_ci_u32_e64 v58, null, s37, v58, vcc_lo
	s_delay_alu instid0(VALU_DEP_3) | instskip(SKIP_1) | instid1(VALU_DEP_2)
	v_lshlrev_b64_e32 v[59:60], 1, v[6:7]
	v_mul_lo_u32 v6, v61, s30
	v_add_co_u32 v59, vcc_lo, s36, v59
	s_wait_alu 0xfffd
	s_delay_alu instid0(VALU_DEP_3) | instskip(NEXT) | instid1(VALU_DEP_3)
	v_add_co_ci_u32_e64 v60, null, s37, v60, vcc_lo
	v_lshlrev_b64_e32 v[61:62], 1, v[6:7]
	s_wait_alu 0xfffe
	v_mov_b32_e32 v6, s19
	s_delay_alu instid0(VALU_DEP_2) | instskip(SKIP_1) | instid1(VALU_DEP_3)
	v_add_co_u32 v61, vcc_lo, s36, v61
	s_wait_alu 0xfffd
	v_add_co_ci_u32_e64 v62, null, s37, v62, vcc_lo
	v_cmp_eq_u32_e32 vcc_lo, 0, v37
	s_wait_loadcnt 0x6
	global_load_d16_hi_b16 v41, v[51:52], off
	s_wait_loadcnt 0x6
	global_load_d16_hi_b16 v42, v[47:48], off
	;; [unrolled: 2-line block ×3, first 2 shown]
	s_wait_loadcnt 0x6
	s_clause 0x1
	global_load_d16_hi_b16 v44, v[55:56], off
	global_load_u16 v39, v[61:62], off
	s_wait_loadcnt 0x7
	global_load_d16_hi_b16 v45, v[57:58], off
	s_wait_loadcnt 0x7
	s_clause 0x1
	global_load_d16_hi_b16 v46, v[59:60], off
	global_load_u16 v36, v[49:50], off
	s_or_b32 s18, vcc_lo, s18
	s_wait_loadcnt 0x3
	v_perm_b32 v47, v39, v2, 0x5040100
	ds_store_b128 v38, v[40:43]
	s_wait_loadcnt 0x1
	ds_store_b128 v38, v[44:47] offset:16
	s_wait_loadcnt 0x0
	v_perm_b32 v39, v36, v39, 0x5040100
	v_add_nc_u32_e32 v38, 32, v38
	s_wait_alu 0xfffe
	s_and_not1_b32 exec_lo, exec_lo, s18
	s_cbranch_execnz .LBB129_46
; %bb.47:                               ;   in Loop: Header=BB129_20 Depth=1
	s_or_b32 exec_lo, exec_lo, s18
.LBB129_48:                             ;   in Loop: Header=BB129_20 Depth=1
	s_wait_alu 0xfffe
	s_or_b32 exec_lo, exec_lo, s17
	s_and_saveexec_b32 s17, s6
	s_cbranch_execz .LBB129_52
; %bb.49:                               ;   in Loop: Header=BB129_20 Depth=1
	v_lshl_add_u32 v2, v6, 1, v16
	v_mov_b32_e32 v37, v24
	s_mov_b32 s18, 0
.LBB129_50:                             ;   Parent Loop BB129_20 Depth=1
                                        ; =>  This Inner Loop Header: Depth=2
	v_mul_lo_u32 v6, v3, s30
	v_mul_lo_u32 v40, v4, s31
	v_dual_mov_b32 v41, v7 :: v_dual_add_nc_u32 v4, 2, v4
	v_add_nc_u32_e32 v37, -4, v37
	v_add_nc_u32_e32 v3, 2, v3
	v_lshlrev_b64_e32 v[42:43], 1, v[6:7]
	s_delay_alu instid0(VALU_DEP_4) | instskip(NEXT) | instid1(VALU_DEP_2)
	v_lshlrev_b64_e32 v[40:41], 1, v[40:41]
	v_add_co_u32 v42, vcc_lo, s36, v42
	s_wait_alu 0xfffd
	s_delay_alu instid0(VALU_DEP_3) | instskip(NEXT) | instid1(VALU_DEP_3)
	v_add_co_ci_u32_e64 v43, null, s37, v43, vcc_lo
	v_add_co_u32 v40, vcc_lo, s36, v40
	s_wait_alu 0xfffd
	v_add_co_ci_u32_e64 v41, null, s37, v41, vcc_lo
	s_clause 0x1
	global_load_u16 v6, v[42:43], off
	global_load_u16 v36, v[40:41], off
	v_cmp_eq_u32_e32 vcc_lo, 0, v37
	s_wait_alu 0xfffe
	s_or_b32 s18, vcc_lo, s18
	s_wait_loadcnt 0x1
	v_alignbit_b32 v38, v6, v39, 16
	s_wait_loadcnt 0x0
	v_perm_b32 v39, v36, v6, 0x5040100
	ds_store_b32 v2, v38
	v_add_nc_u32_e32 v2, 4, v2
	s_wait_alu 0xfffe
	s_and_not1_b32 exec_lo, exec_lo, s18
	s_cbranch_execnz .LBB129_50
; %bb.51:                               ;   in Loop: Header=BB129_20 Depth=1
	s_or_b32 exec_lo, exec_lo, s18
.LBB129_52:                             ;   in Loop: Header=BB129_20 Depth=1
	s_wait_alu 0xfffe
	s_or_b32 exec_lo, exec_lo, s17
	v_add_nc_u32_e32 v1, v1, v20
	s_or_not1_b32 s17, s7, exec_lo
	s_delay_alu instid0(VALU_DEP_1)
	v_dual_mov_b32 v2, v21 :: v_dual_add_nc_u32 v3, -1, v1
.LBB129_53:                             ;   in Loop: Header=BB129_20 Depth=1
	s_wait_alu 0xfffe
	s_or_b32 exec_lo, exec_lo, s11
	v_mov_b32_e32 v4, s15
	s_and_b32 s11, s17, exec_lo
	s_and_not1_saveexec_b32 s16, s16
	s_cbranch_execz .LBB129_39
.LBB129_54:                             ;   in Loop: Header=BB129_20 Depth=1
	s_wait_alu 0xfffe
	v_mov_b32_e32 v4, s15
	v_mov_b32_e32 v2, v0
	s_or_b32 s11, s11, exec_lo
	s_or_b32 exec_lo, exec_lo, s16
	s_wait_alu 0xfffe
	s_and_saveexec_b32 s15, s11
	s_cbranch_execz .LBB129_58
.LBB129_55:                             ;   in Loop: Header=BB129_20 Depth=1
	v_mul_lo_u32 v6, s30, v1
	s_mov_b32 s16, 0
	s_sub_co_i32 s11, 0, s14
.LBB129_56:                             ;   Parent Loop BB129_20 Depth=1
                                        ; =>  This Inner Loop Header: Depth=2
	s_delay_alu instid0(VALU_DEP_1) | instskip(SKIP_2) | instid1(VALU_DEP_2)
	v_lshlrev_b64_e32 v[37:38], 1, v[6:7]
	s_wait_loadcnt 0x0
	v_dual_mov_b32 v3, v36 :: v_dual_add_nc_u32 v6, v6, v4
	v_add_co_u32 v37, vcc_lo, s36, v37
	s_wait_alu 0xfffd
	s_delay_alu instid0(VALU_DEP_3) | instskip(SKIP_2) | instid1(VALU_DEP_1)
	v_add_co_ci_u32_e64 v38, null, s37, v38, vcc_lo
	global_load_u16 v36, v[37:38], off
	v_dual_mov_b32 v37, v1 :: v_dual_lshlrev_b32 v38, 1, v2
	v_dual_mov_b32 v2, v37 :: v_dual_add_nc_u32 v1, s14, v37
	ds_store_b16 v38, v3
	v_cmp_le_u32_e32 vcc_lo, s28, v1
	s_wait_alu 0xfffe
	s_or_b32 s16, vcc_lo, s16
	s_wait_alu 0xfffe
	s_and_not1_b32 exec_lo, exec_lo, s16
	s_cbranch_execnz .LBB129_56
; %bb.57:                               ;   in Loop: Header=BB129_20 Depth=1
	s_or_b32 exec_lo, exec_lo, s16
	v_add_nc_u32_e32 v3, s11, v1
.LBB129_58:                             ;   in Loop: Header=BB129_20 Depth=1
	s_wait_alu 0xfffe
	s_or_b32 exec_lo, exec_lo, s15
.LBB129_59:                             ;   in Loop: Header=BB129_20 Depth=1
	s_wait_alu 0xfffe
	s_or_b32 exec_lo, exec_lo, s13
	v_lshlrev_b32_e32 v1, 1, v3
	s_wait_loadcnt 0x0
	ds_store_b16 v1, v36
.LBB129_60:                             ;   in Loop: Header=BB129_20 Depth=1
	s_wait_alu 0xfffe
	s_or_b32 exec_lo, exec_lo, s12
	s_wait_loadcnt_dscnt 0x0
	s_barrier_signal -1
	s_barrier_wait -1
	global_inv scope:SCOPE_SE
	s_and_saveexec_b32 s11, s0
; %bb.61:                               ;   in Loop: Header=BB129_20 Depth=1
	v_mov_b32_e32 v1, s28
	ds_store_b32 v7, v1 offset:4104
; %bb.62:                               ;   in Loop: Header=BB129_20 Depth=1
	s_wait_alu 0xfffe
	s_or_b32 exec_lo, exec_lo, s11
	s_mov_b32 s11, -1
	s_wait_loadcnt_dscnt 0x0
	s_barrier_signal -1
	s_barrier_wait -1
.LBB129_63:                             ;   in Loop: Header=BB129_20 Depth=1
	s_wait_alu 0xfffe
	s_and_b32 vcc_lo, exec_lo, s11
	s_mov_b32 s46, 0
	s_wait_alu 0xfffe
	s_cbranch_vccz .LBB129_65
; %bb.64:                               ;   in Loop: Header=BB129_20 Depth=1
	s_wait_loadcnt 0x0
	global_inv scope:SCOPE_SE
	ds_load_b32 v1, v7 offset:4104
	s_wait_dscnt 0x0
	v_readfirstlane_b32 s46, v1
.LBB129_65:                             ;   in Loop: Header=BB129_20 Depth=1
	s_delay_alu instid0(VALU_DEP_1)
	s_cmp_lt_i32 s46, 1
	s_mov_b32 s11, -1
                                        ; implicit-def: $vgpr1
	s_cbranch_scc1 .LBB129_75
; %bb.66:                               ;   in Loop: Header=BB129_20 Depth=1
	s_wait_alu 0xfffe
	s_and_b32 vcc_lo, exec_lo, s11
	s_wait_alu 0xfffe
	s_cbranch_vccnz .LBB129_86
.LBB129_67:                             ;   in Loop: Header=BB129_20 Depth=1
	v_lshlrev_b32_e32 v6, 7, v32
	s_and_saveexec_b32 s11, s3
.LBB129_68:                             ;   in Loop: Header=BB129_20 Depth=1
	s_delay_alu instid0(VALU_DEP_1)
	v_lshl_add_u32 v36, v6, 2, v19
	ds_store_b128 v36, v[1:4]
.LBB129_69:                             ;   in Loop: Header=BB129_20 Depth=1
	s_wait_alu 0xfffe
	s_or_b32 exec_lo, exec_lo, s11
	s_wait_loadcnt_dscnt 0x0
	s_barrier_signal -1
	s_barrier_wait -1
	global_inv scope:SCOPE_SE
	s_and_saveexec_b32 s11, s29
	s_cbranch_execz .LBB129_99
; %bb.70:                               ;   in Loop: Header=BB129_20 Depth=1
	v_mov_b32_e32 v1, 0
	s_and_not1_b32 vcc_lo, exec_lo, s58
	s_wait_alu 0xfffe
	s_cbranch_vccnz .LBB129_98
; %bb.71:                               ;   in Loop: Header=BB129_20 Depth=1
	s_and_not1_b32 vcc_lo, exec_lo, s60
	s_wait_alu 0xfffe
	s_cbranch_vccnz .LBB129_95
; %bb.72:                               ;   in Loop: Header=BB129_20 Depth=1
	v_lshl_add_u32 v2, v32, 9, v30
	v_mov_b32_e32 v1, 0
	s_mov_b32 s12, 0
.LBB129_73:                             ;   Parent Loop BB129_20 Depth=1
                                        ; =>  This Inner Loop Header: Depth=2
	ds_load_2addr_b32 v[3:4], v2 offset1:4
	ds_load_2addr_b32 v[36:37], v2 offset0:8 offset1:12
	ds_load_2addr_b32 v[38:39], v2 offset0:16 offset1:20
	;; [unrolled: 1-line block ×3, first 2 shown]
	v_add_nc_u32_e32 v2, 0x80, v2
	s_wait_alu 0xfffe
	s_add_co_i32 s12, s12, 8
	s_wait_alu 0xfffe
	s_cmp_eq_u32 s61, s12
	s_wait_dscnt 0x3
	v_add3_u32 v1, v3, v1, v4
	s_wait_dscnt 0x2
	s_delay_alu instid0(VALU_DEP_1) | instskip(SKIP_1) | instid1(VALU_DEP_1)
	v_add3_u32 v1, v36, v1, v37
	s_wait_dscnt 0x1
	v_add3_u32 v1, v38, v1, v39
	s_wait_dscnt 0x0
	s_delay_alu instid0(VALU_DEP_1)
	v_add3_u32 v1, v40, v1, v41
	s_cbranch_scc0 .LBB129_73
; %bb.74:                               ;   in Loop: Header=BB129_20 Depth=1
	s_mov_b32 s12, s61
	s_and_not1_b32 vcc_lo, exec_lo, s62
	s_wait_alu 0xfffe
	s_cbranch_vccz .LBB129_96
	s_branch .LBB129_98
.LBB129_75:                             ;   in Loop: Header=BB129_20 Depth=1
	v_dual_mov_b32 v1, 0 :: v_dual_mov_b32 v2, 0
	v_dual_mov_b32 v3, 0 :: v_dual_mov_b32 v4, 0
	s_and_saveexec_b32 s22, s8
	s_cbranch_execz .LBB129_79
; %bb.76:                               ;   in Loop: Header=BB129_20 Depth=1
	v_mov_b32_e32 v36, v14
	s_mov_b32 s23, 0
	s_mov_b32 s24, 0
	;; [unrolled: 1-line block ×6, first 2 shown]
.LBB129_77:                             ;   Parent Loop BB129_20 Depth=1
                                        ; =>  This Inner Loop Header: Depth=2
	s_wait_alu 0xfffe
	v_add_nc_u32_e32 v6, s24, v27
	v_add_nc_u32_e32 v36, s55, v36
	s_delay_alu instid0(VALU_DEP_2) | instskip(SKIP_1) | instid1(VALU_DEP_1)
	v_lshlrev_b64_e32 v[1:2], 1, v[6:7]
	v_add_nc_u32_e32 v6, s24, v12
	v_lshlrev_b64_e32 v[3:4], 1, v[6:7]
	s_delay_alu instid0(VALU_DEP_3) | instskip(SKIP_3) | instid1(VALU_DEP_4)
	v_add_co_u32 v1, vcc_lo, s36, v1
	v_add_nc_u32_e32 v6, s24, v25
	s_wait_alu 0xfffd
	v_add_co_ci_u32_e64 v2, null, s37, v2, vcc_lo
	v_add_co_u32 v3, vcc_lo, s36, v3
	s_delay_alu instid0(VALU_DEP_3)
	v_lshlrev_b64_e32 v[37:38], 1, v[6:7]
	v_add_nc_u32_e32 v6, s24, v26
	s_wait_alu 0xfffd
	v_add_co_ci_u32_e64 v4, null, s37, v4, vcc_lo
	global_load_u16 v39, v[1:2], off
	s_add_co_i32 s24, s24, s65
	v_lshlrev_b64_e32 v[1:2], 1, v[6:7]
	global_load_u16 v6, v[3:4], off
	v_add_co_u32 v3, vcc_lo, s36, v37
	s_wait_alu 0xfffd
	v_add_co_ci_u32_e64 v4, null, s37, v38, vcc_lo
	v_add_co_u32 v1, vcc_lo, s36, v1
	s_wait_alu 0xfffd
	v_add_co_ci_u32_e64 v2, null, s37, v2, vcc_lo
	global_load_u16 v3, v[3:4], off
	v_cmp_le_u32_e32 vcc_lo, s63, v36
	global_load_u16 v1, v[1:2], off
	s_wait_loadcnt 0x3
	v_cmp_lt_i16_e64 s11, -1, v39
	v_and_b32_e32 v2, 0xffff, v39
	s_wait_loadcnt 0x2
	v_and_b32_e32 v37, 0xffff, v6
	s_wait_alu 0xf1ff
	v_cndmask_b32_e64 v4, 0xffff, v31, s11
	v_cmp_lt_i16_e64 s11, -1, v6
	s_delay_alu instid0(VALU_DEP_2) | instskip(SKIP_1) | instid1(VALU_DEP_2)
	v_xor_b32_e32 v2, v4, v2
	s_wait_alu 0xf1ff
	v_cndmask_b32_e64 v38, 0xffff, v31, s11
	v_cmp_o_f16_e64 s11, v39, v39
	s_wait_loadcnt 0x1
	v_cmp_lt_i16_e64 s12, -1, v3
	s_wait_loadcnt 0x0
	v_cmp_o_f16_e64 s16, v1, v1
	v_xor_b32_e32 v4, v38, v37
	s_wait_alu 0xf1ff
	v_cndmask_b32_e64 v2, 0xffff, v2, s11
	v_cmp_o_f16_e64 s11, v6, v6
	v_and_b32_e32 v37, 0xffff, v3
	v_cndmask_b32_e64 v38, 0xffff, v31, s12
	s_delay_alu instid0(VALU_DEP_4)
	v_and_b32_e32 v39, v2, v33
	s_wait_alu 0xf1ff
	v_cndmask_b32_e64 v4, 0xffff, v4, s11
	v_cmp_lt_i16_e64 s11, -1, v1
	v_xor_b32_e32 v6, v38, v37
	v_bfe_u32 v2, v2, s76, 2
	v_and_b32_e32 v37, 0xffff, v1
	s_wait_alu 0xf1ff
	v_cndmask_b32_e64 v38, 0xffff, v31, s11
	v_cmp_o_f16_e64 s11, v3, v3
	v_cmp_eq_u32_e64 s12, 0, v2
	v_cmp_eq_u32_e64 s13, 1, v2
	;; [unrolled: 1-line block ×4, first 2 shown]
	s_wait_alu 0xf1ff
	v_cndmask_b32_e64 v3, 0xffff, v6, s11
	v_cmp_eq_u32_e64 s11, v39, v13
	v_xor_b32_e32 v6, v38, v37
	v_and_b32_e32 v37, v4, v33
	v_bfe_u32 v4, v4, s76, 2
	v_and_b32_e32 v2, v3, v33
	s_and_b32 s12, s11, s12
	v_cndmask_b32_e64 v1, 0xffff, v6, s16
	v_cmp_eq_u32_e64 s16, v37, v13
	v_cmp_eq_u32_e64 s17, 0, v4
	s_wait_alu 0xfffe
	v_cndmask_b32_e64 v6, 0, 1, s12
	v_cmp_eq_u32_e64 s12, 1, v4
	s_and_b32 s13, s11, s13
	v_bfe_u32 v3, v3, s76, 2
	s_wait_alu 0xfffe
	v_cndmask_b32_e64 v37, 0, 1, s13
	v_cmp_eq_u32_e64 s13, 2, v4
	s_and_b32 s14, s11, s14
	s_and_b32 s11, s11, s15
	s_wait_alu 0xfffe
	v_cndmask_b32_e64 v38, 0, 1, s14
	s_and_b32 s17, s16, s17
	s_and_b32 s12, s16, s12
	v_cmp_eq_u32_e64 s14, 3, v4
	v_cndmask_b32_e64 v4, 0, 1, s11
	v_cmp_eq_u32_e64 s11, v2, v13
	v_cmp_eq_u32_e64 s15, 0, v3
	v_cmp_ne_u32_e64 s18, 0, v6
	s_wait_alu 0xfffe
	v_cndmask_b32_e64 v6, 0, 1, s17
	v_cmp_eq_u32_e64 s17, 1, v3
	v_cmp_ne_u32_e64 s19, 0, v37
	v_cndmask_b32_e64 v37, 0, 1, s12
	v_cmp_eq_u32_e64 s12, 2, v3
	s_and_b32 s13, s16, s13
	v_and_b32_e32 v2, v1, v33
	v_bfe_u32 v1, v1, s76, 2
	v_cmp_ne_u32_e64 s20, 0, v38
	s_wait_alu 0xfffe
	v_cndmask_b32_e64 v38, 0, 1, s13
	v_cmp_eq_u32_e64 s13, 3, v3
	s_and_b32 s14, s16, s14
	s_and_b32 s15, s11, s15
	;; [unrolled: 1-line block ×4, first 2 shown]
	v_cmp_ne_u32_e64 s21, 0, v4
	s_wait_alu 0xfffe
	v_cndmask_b32_e64 v3, 0, 1, s14
	v_cmp_eq_u32_e64 s14, v2, v13
	v_cmp_eq_u32_e64 s16, 0, v1
	s_bcnt1_i32_b32 s81, s18
	v_cmp_ne_u32_e64 s18, 0, v6
	v_cndmask_b32_e64 v2, 0, 1, s15
	v_cmp_eq_u32_e64 s15, 1, v1
	v_cndmask_b32_e64 v4, 0, 1, s17
	v_cmp_eq_u32_e64 s17, 2, v1
	;; [unrolled: 2-line block ×3, first 2 shown]
	s_and_b32 s11, s11, s13
	s_bcnt1_i32_b32 s84, s21
	s_wait_alu 0xfffe
	v_cndmask_b32_e64 v1, 0, 1, s11
	v_cmp_ne_u32_e64 s21, 0, v3
	s_and_b32 s13, s14, s16
	s_and_b32 s15, s14, s15
	;; [unrolled: 1-line block ×4, first 2 shown]
	v_cmp_ne_u32_e64 s11, 0, v2
	s_wait_alu 0xfffe
	v_cndmask_b32_e64 v2, 0, 1, s13
	v_cmp_ne_u32_e64 s13, 0, v4
	v_cndmask_b32_e64 v3, 0, 1, s15
	v_cndmask_b32_e64 v4, 0, 1, s16
	v_cmp_ne_u32_e64 s16, 0, v1
	v_cndmask_b32_e64 v1, 0, 1, s12
	s_bcnt1_i32_b32 s82, s19
	v_cmp_ne_u32_e64 s19, 0, v37
	s_bcnt1_i32_b32 s83, s20
	v_cmp_ne_u32_e64 s20, 0, v38
	s_add_co_i32 s77, s84, s77
	v_cmp_ne_u32_e64 s15, 0, v6
	s_bcnt1_i32_b32 s17, s21
	s_bcnt1_i32_b32 s21, s11
	s_wait_alu 0xfffe
	s_add_co_i32 s17, s77, s17
	v_cmp_ne_u32_e64 s11, 0, v2
	s_bcnt1_i32_b32 s77, s13
	v_cmp_ne_u32_e64 s12, 0, v3
	v_cmp_ne_u32_e64 s13, 0, v4
	;; [unrolled: 1-line block ×3, first 2 shown]
	s_add_co_i32 s80, s81, s80
	s_add_co_i32 s79, s82, s79
	;; [unrolled: 1-line block ×3, first 2 shown]
	s_bcnt1_i32_b32 s18, s18
	s_bcnt1_i32_b32 s19, s19
	;; [unrolled: 1-line block ×3, first 2 shown]
	s_wait_alu 0xfffe
	s_add_co_i32 s18, s80, s18
	s_add_co_i32 s19, s79, s19
	;; [unrolled: 1-line block ×3, first 2 shown]
	s_bcnt1_i32_b32 s15, s15
	s_bcnt1_i32_b32 s16, s16
	s_wait_alu 0xfffe
	s_add_co_i32 s18, s18, s21
	s_add_co_i32 s19, s19, s77
	;; [unrolled: 1-line block ×4, first 2 shown]
	s_bcnt1_i32_b32 s11, s11
	s_bcnt1_i32_b32 s12, s12
	;; [unrolled: 1-line block ×4, first 2 shown]
	s_wait_alu 0xfffe
	s_add_co_i32 s80, s18, s11
	s_add_co_i32 s79, s19, s12
	;; [unrolled: 1-line block ×4, first 2 shown]
	s_wait_alu 0xfffe
	v_dual_mov_b32 v1, s80 :: v_dual_mov_b32 v2, s79
	v_dual_mov_b32 v3, s78 :: v_dual_mov_b32 v4, s77
	s_or_b32 s23, vcc_lo, s23
	s_wait_alu 0xfffe
	s_and_not1_b32 exec_lo, exec_lo, s23
	s_cbranch_execnz .LBB129_77
; %bb.78:                               ;   in Loop: Header=BB129_20 Depth=1
	s_or_b32 exec_lo, exec_lo, s23
.LBB129_79:                             ;   in Loop: Header=BB129_20 Depth=1
	s_wait_alu 0xfffe
	s_or_b32 exec_lo, exec_lo, s22
	s_and_saveexec_b32 s15, s9
	s_cbranch_execz .LBB129_85
; %bb.80:                               ;   in Loop: Header=BB129_20 Depth=1
	global_load_u16 v38, v[10:11], off
	v_mov_b32_e32 v6, v28
	v_mov_b32_e32 v36, v22
	s_mov_b32 s16, 0
	s_branch .LBB129_82
.LBB129_81:                             ;   in Loop: Header=BB129_82 Depth=2
	s_wait_alu 0xfffe
	s_or_b32 exec_lo, exec_lo, s12
	s_wait_loadcnt 0x0
	v_cmp_lt_i16_e64 s11, -1, v38
	v_and_b32_e32 v39, 0xffff, v38
	s_and_b32 s12, exec_lo, vcc_lo
	v_add_nc_u32_e32 v6, s57, v6
	s_wait_alu 0xfffe
	s_or_b32 s16, s12, s16
	v_cndmask_b32_e64 v40, 0xffff, v31, s11
	v_cmp_o_f16_e64 s11, v38, v38
	s_delay_alu instid0(VALU_DEP_2) | instskip(SKIP_1) | instid1(VALU_DEP_1)
	v_xor_b32_e32 v39, v40, v39
	s_wait_alu 0xf1ff
	v_cndmask_b32_e64 v38, 0xffff, v39, s11
	s_delay_alu instid0(VALU_DEP_1) | instskip(SKIP_1) | instid1(VALU_DEP_2)
	v_and_b32_e32 v39, v38, v33
	v_bfe_u32 v38, v38, s76, 2
	v_cmp_eq_u32_e32 vcc_lo, v39, v13
	s_delay_alu instid0(VALU_DEP_2)
	v_cmp_eq_u32_e64 s11, 0, v38
	v_cmp_eq_u32_e64 s12, 1, v38
	;; [unrolled: 1-line block ×4, first 2 shown]
	s_and_b32 s11, vcc_lo, s11
	s_wait_alu 0xfffe
	v_cndmask_b32_e64 v38, 0, 1, s11
	s_and_b32 s11, vcc_lo, s12
	s_wait_alu 0xfffe
	v_cndmask_b32_e64 v39, 0, 1, s11
	;; [unrolled: 3-line block ×3, first 2 shown]
	s_and_b32 s11, vcc_lo, s14
	v_cmp_ne_u32_e32 vcc_lo, 0, v38
	s_wait_alu 0xfffe
	v_cndmask_b32_e64 v41, 0, 1, s11
	v_cmp_ne_u32_e64 s11, 0, v39
	v_cmp_ne_u32_e64 s12, 0, v40
	v_mov_b32_e32 v38, v37
	s_bcnt1_i32_b32 s14, vcc_lo
	v_cmp_ne_u32_e64 s13, 0, v41
	s_bcnt1_i32_b32 s11, s11
	s_bcnt1_i32_b32 s12, s12
	s_wait_alu 0xfffe
	v_add_nc_u32_e32 v1, s14, v1
	v_add_nc_u32_e32 v2, s11, v2
	s_bcnt1_i32_b32 s13, s13
	v_add_nc_u32_e32 v3, s12, v3
	s_wait_alu 0xfffe
	v_add_nc_u32_e32 v4, s13, v4
	s_and_not1_b32 exec_lo, exec_lo, s16
	s_cbranch_execz .LBB129_84
.LBB129_82:                             ;   Parent Loop BB129_20 Depth=1
                                        ; =>  This Inner Loop Header: Depth=2
	s_delay_alu instid0(VALU_DEP_1) | instskip(SKIP_1) | instid1(VALU_DEP_1)
	v_dual_mov_b32 v37, 0 :: v_dual_add_nc_u32 v36, s27, v36
	s_mov_b32 s12, exec_lo
	v_cmp_le_u32_e32 vcc_lo, s28, v36
	v_cmpx_gt_u32_e64 s28, v36
	s_cbranch_execz .LBB129_81
; %bb.83:                               ;   in Loop: Header=BB129_82 Depth=2
	v_lshlrev_b64_e32 v[39:40], 1, v[6:7]
	s_delay_alu instid0(VALU_DEP_1) | instskip(SKIP_1) | instid1(VALU_DEP_2)
	v_add_co_u32 v39, s11, s36, v39
	s_wait_alu 0xf1fe
	v_add_co_ci_u32_e64 v40, null, s37, v40, s11
	global_load_u16 v37, v[39:40], off
	s_branch .LBB129_81
.LBB129_84:                             ;   in Loop: Header=BB129_20 Depth=1
	s_or_b32 exec_lo, exec_lo, s16
.LBB129_85:                             ;   in Loop: Header=BB129_20 Depth=1
	s_wait_alu 0xfffe
	s_or_b32 exec_lo, exec_lo, s15
	s_branch .LBB129_67
.LBB129_86:                             ;   in Loop: Header=BB129_20 Depth=1
	s_mul_u64 s[12:13], s[46:47], s[48:49]
	v_dual_mov_b32 v1, 0 :: v_dual_mov_b32 v2, 0
	s_wait_alu 0xfffe
	s_mul_i32 s11, s13, s55
	v_dual_mov_b32 v3, 0 :: v_dual_mov_b32 v4, 0
	s_wait_alu 0xfffe
	s_sub_co_i32 s11, s46, s11
	s_mov_b32 s78, exec_lo
	s_wait_alu 0xfffe
	s_sub_co_i32 s12, s11, s55
	s_cmp_ge_u32 s11, s55
	s_wait_alu 0xfffe
	s_cselect_b32 s11, s12, s11
	s_wait_alu 0xfffe
	s_sub_co_i32 s12, s11, s55
	s_cmp_ge_u32 s11, s55
	s_wait_alu 0xfffe
	s_cselect_b32 s11, s12, s11
	s_wait_alu 0xfffe
	s_sub_co_i32 s77, s46, s11
	s_wait_alu 0xfffe
	v_cmpx_gt_u32_e64 s77, v14
	s_cbranch_execz .LBB129_90
; %bb.87:                               ;   in Loop: Header=BB129_20 Depth=1
	v_mov_b32_e32 v6, v29
	v_mov_b32_e32 v36, v14
	s_mov_b32 s79, 0
	s_mov_b32 s80, 0
	;; [unrolled: 1-line block ×5, first 2 shown]
.LBB129_88:                             ;   Parent Loop BB129_20 Depth=1
                                        ; =>  This Inner Loop Header: Depth=2
	ds_load_b64 v[1:2], v6
	s_wait_dscnt 0x0
	v_cmp_lt_i16_e64 s11, -1, v1
	v_lshrrev_b32_e32 v3, 16, v1
	v_lshrrev_b32_e32 v40, 16, v2
	v_and_b32_e32 v4, 0xffff, v1
	v_and_b32_e32 v38, 0xffff, v2
	s_wait_alu 0xf1ff
	v_cndmask_b32_e64 v37, 0xffff, v31, s11
	v_cmp_lt_i16_e64 s11, -1, v2
	v_cmp_lt_i16_e64 s12, -1, v40
	s_delay_alu instid0(VALU_DEP_3) | instskip(SKIP_1) | instid1(VALU_DEP_3)
	v_xor_b32_e32 v4, v37, v4
	s_wait_alu 0xf1ff
	v_cndmask_b32_e64 v39, 0xffff, v31, s11
	v_cmp_lt_i16_e64 s11, -1, v3
	s_delay_alu instid0(VALU_DEP_2) | instskip(SKIP_1) | instid1(VALU_DEP_2)
	v_xor_b32_e32 v38, v39, v38
	s_wait_alu 0xf1ff
	v_cndmask_b32_e64 v37, 0xffff, v31, s11
	v_cmp_o_f16_e64 s11, v2, v2
	v_cndmask_b32_e64 v2, 0xffff, v31, s12
	v_cmp_o_f16_e64 s12, v1, v1
	s_delay_alu instid0(VALU_DEP_2) | instskip(SKIP_1) | instid1(VALU_DEP_2)
	v_xor_b32_e32 v2, v2, v40
	s_wait_alu 0xf1ff
	v_cndmask_b32_e64 v1, 0xffff, v4, s12
	v_xor_b32_e32 v4, v37, v3
	v_cmp_o_f16_e64 s12, v3, v3
	v_cndmask_b32_e64 v37, 0xffff, v38, s11
	v_cmp_o_f16_e64 s11, v40, v40
	s_wait_alu 0xf1ff
	s_delay_alu instid0(VALU_DEP_3)
	v_cndmask_b32_e64 v3, 0xffff, v4, s12
	v_and_b32_e32 v4, v1, v33
	v_bfe_u32 v1, v1, s76, 2
	v_and_b32_e32 v38, v37, v33
	v_bfe_u32 v37, v37, s76, 2
	v_cndmask_b32_e64 v2, 0xffff, v2, s11
	v_cmp_eq_u32_e64 s11, v4, v13
	v_and_b32_e32 v4, v3, v33
	v_bfe_u32 v3, v3, s76, 2
	v_cmp_eq_u32_e64 s13, 0, v1
	v_cmp_eq_u32_e64 s15, 1, v1
	;; [unrolled: 1-line block ×8, first 2 shown]
	v_and_b32_e32 v38, v2, v33
	v_bfe_u32 v2, v2, s76, 2
	v_cmp_eq_u32_e64 s20, 3, v37
	v_cmp_eq_u32_e64 s21, v4, v13
	;; [unrolled: 1-line block ×3, first 2 shown]
	s_and_b32 s13, s11, s13
	s_and_b32 s15, s11, s15
	;; [unrolled: 1-line block ×3, first 2 shown]
	s_wait_alu 0xfffe
	v_cndmask_b32_e64 v1, 0, 1, s13
	s_and_b32 s13, s12, s14
	v_cndmask_b32_e64 v37, 0, 1, s15
	s_and_b32 s15, s12, s16
	;; [unrolled: 2-line block ×3, first 2 shown]
	s_and_b32 s11, s11, s19
	v_cmp_eq_u32_e64 s22, v38, v13
	v_cmp_eq_u32_e64 s24, 0, v2
	s_wait_alu 0xfffe
	v_cndmask_b32_e64 v4, 0, 1, s13
	v_cmp_eq_u32_e64 s13, 1, v3
	v_cmp_eq_u32_e64 s14, 1, v2
	v_cndmask_b32_e64 v38, 0, 1, s15
	v_cmp_eq_u32_e64 s15, 2, v3
	v_cmp_eq_u32_e64 s16, 2, v2
	;; [unrolled: 3-line block ×3, first 2 shown]
	v_cndmask_b32_e64 v2, 0, 1, s11
	s_and_b32 s11, s12, s20
	s_and_b32 s12, s21, s23
	s_wait_alu 0xfffe
	v_cndmask_b32_e64 v3, 0, 1, s11
	v_cmp_ne_u32_e64 s11, 0, v1
	v_cndmask_b32_e64 v1, 0, 1, s12
	s_and_b32 s19, s22, s24
	s_and_b32 s13, s21, s13
	;; [unrolled: 1-line block ×6, first 2 shown]
	v_cmp_ne_u32_e64 s12, 0, v4
	s_wait_alu 0xfffe
	v_cndmask_b32_e64 v4, 0, 1, s19
	v_cmp_ne_u32_e64 s19, 0, v37
	v_cndmask_b32_e64 v37, 0, 1, s13
	v_cmp_ne_u32_e64 s13, 0, v38
	;; [unrolled: 2-line block ×5, first 2 shown]
	v_cndmask_b32_e64 v2, 0, 1, s17
	s_bcnt1_i32_b32 s20, s11
	v_cmp_ne_u32_e64 s11, 0, v1
	s_and_b32 s18, s22, s18
	v_cmp_ne_u32_e64 s17, 0, v3
	s_wait_alu 0xfffe
	v_cndmask_b32_e64 v3, 0, 1, s18
	s_bcnt1_i32_b32 s21, s12
	v_cmp_ne_u32_e64 s12, 0, v4
	v_cmp_ne_u32_e64 s18, 0, v37
	s_bcnt1_i32_b32 s23, s14
	v_cmp_ne_u32_e64 s14, 0, v39
	s_bcnt1_i32_b32 s84, s16
	v_cmp_ne_u32_e64 s16, 0, v2
	s_add_co_i32 s20, s20, s83
	s_bcnt1_i32_b32 s11, s11
	s_bcnt1_i32_b32 s19, s19
	s_wait_alu 0xfffe
	s_add_co_i32 s11, s20, s11
	s_bcnt1_i32_b32 s22, s13
	v_cmp_ne_u32_e64 s13, 0, v38
	s_bcnt1_i32_b32 s24, s15
	v_cmp_ne_u32_e64 s15, 0, v40
	;; [unrolled: 2-line block ×3, first 2 shown]
	s_bcnt1_i32_b32 s12, s12
	s_wait_alu 0xfffe
	s_add_co_i32 s11, s11, s21
	s_add_co_i32 s19, s19, s82
	s_add_co_i32 s23, s23, s81
	s_add_co_i32 s80, s84, s80
	s_bcnt1_i32_b32 s18, s18
	s_bcnt1_i32_b32 s14, s14
	;; [unrolled: 1-line block ×3, first 2 shown]
	s_wait_alu 0xfffe
	s_add_co_i32 s83, s11, s12
	s_wait_alu 0xfffe
	v_dual_mov_b32 v1, s83 :: v_dual_add_nc_u32 v36, s55, v36
	s_add_co_i32 s18, s19, s18
	s_add_co_i32 s14, s23, s14
	;; [unrolled: 1-line block ×3, first 2 shown]
	s_bcnt1_i32_b32 s13, s13
	s_bcnt1_i32_b32 s15, s15
	;; [unrolled: 1-line block ×3, first 2 shown]
	s_wait_alu 0xfffe
	s_add_co_i32 s18, s18, s22
	s_add_co_i32 s14, s14, s24
	;; [unrolled: 1-line block ×3, first 2 shown]
	v_cmp_le_u32_e32 vcc_lo, s77, v36
	s_wait_alu 0xfffe
	s_add_co_i32 s82, s18, s13
	s_add_co_i32 s81, s14, s15
	;; [unrolled: 1-line block ×3, first 2 shown]
	s_wait_alu 0xfffe
	v_dual_mov_b32 v3, s81 :: v_dual_add_nc_u32 v6, s66, v6
	v_mov_b32_e32 v2, s82
	v_mov_b32_e32 v4, s80
	s_or_b32 s79, vcc_lo, s79
	s_wait_alu 0xfffe
	s_and_not1_b32 exec_lo, exec_lo, s79
	s_cbranch_execnz .LBB129_88
; %bb.89:                               ;   in Loop: Header=BB129_20 Depth=1
	s_or_b32 exec_lo, exec_lo, s79
.LBB129_90:                             ;   in Loop: Header=BB129_20 Depth=1
	s_delay_alu instid0(SALU_CYCLE_1) | instskip(SKIP_2) | instid1(VALU_DEP_1)
	s_or_b32 exec_lo, exec_lo, s78
	v_add_nc_u32_e32 v6, s77, v0
	s_mov_b32 s16, exec_lo
	v_cmpx_gt_u32_e64 s46, v6
	s_cbranch_execz .LBB129_94
; %bb.91:                               ;   in Loop: Header=BB129_20 Depth=1
	v_lshlrev_b32_e32 v36, 1, v6
	s_mov_b32 s17, 0
.LBB129_92:                             ;   Parent Loop BB129_20 Depth=1
                                        ; =>  This Inner Loop Header: Depth=2
	ds_load_u16 v37, v36
	v_add_nc_u32_e32 v6, s27, v6
	v_add_nc_u32_e32 v36, s67, v36
	s_delay_alu instid0(VALU_DEP_2) | instskip(SKIP_4) | instid1(VALU_DEP_2)
	v_cmp_le_u32_e32 vcc_lo, s46, v6
	s_wait_dscnt 0x0
	v_cmp_lt_i16_e64 s11, -1, v37
	v_and_b32_e32 v38, 0xffff, v37
	s_wait_alu 0xf1ff
	v_cndmask_b32_e64 v39, 0xffff, v31, s11
	v_cmp_o_f16_e64 s11, v37, v37
	s_delay_alu instid0(VALU_DEP_2) | instskip(SKIP_1) | instid1(VALU_DEP_1)
	v_xor_b32_e32 v38, v39, v38
	s_wait_alu 0xf1ff
	v_cndmask_b32_e64 v37, 0xffff, v38, s11
	s_delay_alu instid0(VALU_DEP_1) | instskip(SKIP_1) | instid1(VALU_DEP_2)
	v_and_b32_e32 v38, v37, v33
	v_bfe_u32 v37, v37, s76, 2
	v_cmp_eq_u32_e64 s11, v38, v13
	s_delay_alu instid0(VALU_DEP_2)
	v_cmp_eq_u32_e64 s12, 0, v37
	v_cmp_eq_u32_e64 s13, 1, v37
	;; [unrolled: 1-line block ×4, first 2 shown]
	s_and_b32 s12, s11, s12
	s_wait_alu 0xfffe
	v_cndmask_b32_e64 v37, 0, 1, s12
	s_and_b32 s12, s11, s13
	s_wait_alu 0xfffe
	v_cndmask_b32_e64 v38, 0, 1, s12
	s_and_b32 s12, s11, s14
	s_and_b32 s11, s11, s15
	s_wait_alu 0xfffe
	v_cndmask_b32_e64 v39, 0, 1, s12
	v_cndmask_b32_e64 v40, 0, 1, s11
	v_cmp_ne_u32_e64 s11, 0, v37
	v_cmp_ne_u32_e64 s12, 0, v38
	s_delay_alu instid0(VALU_DEP_4) | instskip(NEXT) | instid1(VALU_DEP_4)
	v_cmp_ne_u32_e64 s13, 0, v39
	v_cmp_ne_u32_e64 s14, 0, v40
	s_bcnt1_i32_b32 s11, s11
	s_bcnt1_i32_b32 s12, s12
	s_wait_alu 0xfffe
	v_add_nc_u32_e32 v1, s11, v1
	s_bcnt1_i32_b32 s13, s13
	s_bcnt1_i32_b32 s14, s14
	v_add_nc_u32_e32 v2, s12, v2
	s_wait_alu 0xfffe
	v_add_nc_u32_e32 v3, s13, v3
	v_add_nc_u32_e32 v4, s14, v4
	s_or_b32 s17, vcc_lo, s17
	s_wait_alu 0xfffe
	s_and_not1_b32 exec_lo, exec_lo, s17
	s_cbranch_execnz .LBB129_92
; %bb.93:                               ;   in Loop: Header=BB129_20 Depth=1
	s_or_b32 exec_lo, exec_lo, s17
.LBB129_94:                             ;   in Loop: Header=BB129_20 Depth=1
	s_wait_alu 0xfffe
	s_or_b32 exec_lo, exec_lo, s16
	v_lshlrev_b32_e32 v6, 7, v32
	s_and_saveexec_b32 s11, s3
	s_cbranch_execnz .LBB129_68
	s_branch .LBB129_69
.LBB129_95:                             ;   in Loop: Header=BB129_20 Depth=1
	v_mov_b32_e32 v1, 0
	s_mov_b32 s12, 0
	s_and_not1_b32 vcc_lo, exec_lo, s62
	s_wait_alu 0xfffe
	s_cbranch_vccnz .LBB129_98
.LBB129_96:                             ;   in Loop: Header=BB129_20 Depth=1
	v_lshlrev_b32_e32 v2, 9, v32
	s_lshl_b32 s12, s12, 4
	s_wait_alu 0xfffe
	s_delay_alu instid0(VALU_DEP_1)
	v_add3_u32 v2, v2, s12, v30
	s_mov_b32 s12, s59
.LBB129_97:                             ;   Parent Loop BB129_20 Depth=1
                                        ; =>  This Inner Loop Header: Depth=2
	ds_load_b32 v3, v2
	v_add_nc_u32_e32 v2, 16, v2
	s_wait_alu 0xfffe
	s_add_co_i32 s12, s12, -1
	s_wait_alu 0xfffe
	s_cmp_lg_u32 s12, 0
	s_wait_dscnt 0x0
	v_add_nc_u32_e32 v1, v3, v1
	s_cbranch_scc1 .LBB129_97
.LBB129_98:                             ;   in Loop: Header=BB129_20 Depth=1
	v_add_lshl_u32 v2, v6, v15, 2
	ds_store_b32 v2, v1 offset:3072
.LBB129_99:                             ;   in Loop: Header=BB129_20 Depth=1
	s_wait_alu 0xfffe
	s_or_b32 exec_lo, exec_lo, s11
	v_lshlrev_b32_e32 v1, 2, v6
	s_wait_loadcnt_dscnt 0x0
	s_barrier_signal -1
	s_barrier_wait -1
	global_inv scope:SCOPE_SE
	ds_load_b128 v[1:4], v1 offset:3072
	s_lshl_b32 s12, 3, s76
	v_cmp_eq_u32_e32 vcc_lo, 1, v35
	s_wait_alu 0xfffe
	s_not_b32 s19, s12
	s_mov_b32 s15, -1
	s_mov_b32 s23, -1
                                        ; implicit-def: $sgpr20
                                        ; implicit-def: $sgpr17
	s_wait_dscnt 0x0
	v_readfirstlane_b32 s14, v1
	v_readfirstlane_b32 s21, v2
	;; [unrolled: 1-line block ×4, first 2 shown]
	s_cmp_eq_u32 s14, 1
	s_cselect_b32 s13, -1, 0
	s_wait_alu 0xfffe
	s_and_b32 s16, s13, vcc_lo
	s_wait_alu 0xfffe
	s_and_saveexec_b32 s13, s16
	s_cbranch_execz .LBB129_127
; %bb.100:                              ;   in Loop: Header=BB129_20 Depth=1
	ds_load_b32 v1, v7 offset:4104
	s_wait_loadcnt_dscnt 0x0
	s_barrier_signal -1
	s_barrier_wait -1
	global_inv scope:SCOPE_SE
	v_readfirstlane_b32 s23, v1
	s_and_saveexec_b32 s17, s1
; %bb.101:                              ;   in Loop: Header=BB129_20 Depth=1
	ds_store_b16 v17, v7
; %bb.102:                              ;   in Loop: Header=BB129_20 Depth=1
	s_wait_alu 0xfffe
	s_or_b32 exec_lo, exec_lo, s17
	v_and_b32_e32 v13, s19, v13
	v_or_b32_e32 v33, s12, v33
	s_mov_b32 s17, -1
	s_mov_b32 s20, 0
	s_cmp_eq_u32 s23, 0
	s_mov_b32 s22, 0
	s_mov_b32 s24, -1
	s_wait_loadcnt_dscnt 0x0
	s_barrier_signal -1
	s_barrier_wait -1
	global_inv scope:SCOPE_SE
                                        ; implicit-def: $vgpr34
	s_cbranch_scc1 .LBB129_114
; %bb.103:                              ;   in Loop: Header=BB129_20 Depth=1
	s_add_co_i32 s46, s23, s44
                                        ; implicit-def: $vgpr34
	s_wait_alu 0xfffe
	s_mul_u64 s[78:79], s[46:47], s[50:51]
	s_wait_alu 0xfffe
	s_mul_i32 s22, s79, s27
	s_wait_alu 0xfffe
	s_sub_co_i32 s22, s46, s22
	s_wait_alu 0xfffe
	s_sub_co_i32 s24, s22, s27
	s_cmp_ge_u32 s22, s27
	s_wait_alu 0xfffe
	s_cselect_b32 s22, s24, s22
	s_wait_alu 0xfffe
	s_sub_co_i32 s24, s22, s27
	s_cmp_ge_u32 s22, s27
	s_wait_alu 0xfffe
	s_cselect_b32 s22, s24, s22
	s_mov_b32 s24, 0
	s_wait_alu 0xfffe
	s_sub_co_i32 s77, s46, s22
	s_mov_b32 s22, 0
	s_mov_b32 s46, exec_lo
	s_wait_alu 0xfffe
	v_cmpx_gt_u32_e64 s77, v0
	s_cbranch_execz .LBB129_113
; %bb.104:                              ;   in Loop: Header=BB129_20 Depth=1
	v_dual_mov_b32 v1, v16 :: v_dual_mov_b32 v2, v0
                                        ; implicit-def: $sgpr78
	s_branch .LBB129_108
.LBB129_105:                            ;   in Loop: Header=BB129_108 Depth=2
	s_wait_alu 0xfffe
	s_or_b32 exec_lo, exec_lo, s79
	s_wait_loadcnt_dscnt 0x0
	s_barrier_signal -1
	s_barrier_wait -1
	global_inv scope:SCOPE_SE
	ds_load_b32 v3, v7 offset:3072
	s_wait_loadcnt_dscnt 0x0
	s_barrier_signal -1
	s_barrier_wait -1
	global_inv scope:SCOPE_SE
	v_cmp_neq_f16_e32 vcc_lo, 0, v3
	s_cbranch_vccnz .LBB129_111
; %bb.106:                              ;   in Loop: Header=BB129_108 Depth=2
	v_add_nc_u32_e32 v2, s27, v2
	v_add_nc_u32_e32 v1, s67, v1
	s_mov_b32 s79, 0
	s_delay_alu instid0(VALU_DEP_2)
	v_cmp_le_u32_e32 vcc_lo, s77, v2
	s_or_not1_b32 s80, vcc_lo, exec_lo
.LBB129_107:                            ;   in Loop: Header=BB129_108 Depth=2
	s_wait_alu 0xfffe
	s_and_b32 s80, exec_lo, s80
	s_wait_alu 0xfffe
	s_or_b32 s22, s80, s22
	s_and_not1_b32 s78, s78, exec_lo
	s_and_b32 s79, s79, exec_lo
	s_wait_alu 0xfffe
	s_or_b32 s78, s78, s79
	s_and_not1_b32 exec_lo, exec_lo, s22
	s_cbranch_execz .LBB129_112
.LBB129_108:                            ;   Parent Loop BB129_20 Depth=1
                                        ; =>  This Inner Loop Header: Depth=2
	s_mov_b32 s79, exec_lo
	s_delay_alu instid0(VALU_DEP_1)
	v_cmpx_gt_u32_e64 s23, v2
	s_cbranch_execz .LBB129_105
; %bb.109:                              ;   in Loop: Header=BB129_108 Depth=2
	ds_load_u16 v3, v1
	s_wait_dscnt 0x0
	v_cmp_lt_i16_e32 vcc_lo, -1, v3
	v_and_b32_e32 v4, 0xffff, v3
	s_wait_alu 0xfffd
	v_cndmask_b32_e32 v6, 0xffff, v31, vcc_lo
	v_cmp_o_f16_e32 vcc_lo, v3, v3
	s_delay_alu instid0(VALU_DEP_2) | instskip(SKIP_1) | instid1(VALU_DEP_1)
	v_xor_b32_e32 v4, v6, v4
	s_wait_alu 0xfffd
	v_cndmask_b32_e32 v4, 0xffff, v4, vcc_lo
	s_delay_alu instid0(VALU_DEP_1) | instskip(NEXT) | instid1(VALU_DEP_1)
	v_and_b32_e32 v4, v4, v33
	v_cmp_eq_u32_e32 vcc_lo, v4, v13
	s_and_b32 exec_lo, exec_lo, vcc_lo
	s_cbranch_execz .LBB129_105
; %bb.110:                              ;   in Loop: Header=BB129_108 Depth=2
	v_perm_b32 v3, v3, s69, 0x5040100
	ds_store_b32 v7, v3 offset:3072
	s_branch .LBB129_105
.LBB129_111:                            ;   in Loop: Header=BB129_108 Depth=2
	s_mov_b32 s80, -1
	s_mov_b32 s79, -1
                                        ; implicit-def: $vgpr2
                                        ; implicit-def: $vgpr1
	s_branch .LBB129_107
.LBB129_112:                            ;   in Loop: Header=BB129_20 Depth=1
	s_or_b32 exec_lo, exec_lo, s22
	v_lshrrev_b32_e32 v34, 16, v3
	s_wait_alu 0xfffe
	s_and_b32 s22, s78, exec_lo
.LBB129_113:                            ;   in Loop: Header=BB129_20 Depth=1
	s_or_b32 exec_lo, exec_lo, s46
.LBB129_114:                            ;   in Loop: Header=BB129_20 Depth=1
	s_wait_alu 0xfffe
	s_and_b32 vcc_lo, exec_lo, s24
	s_wait_alu 0xfffe
	s_cbranch_vccz .LBB129_126
; %bb.115:                              ;   in Loop: Header=BB129_20 Depth=1
                                        ; implicit-def: $vgpr34
	s_and_saveexec_b32 s17, s10
	s_cbranch_execz .LBB129_125
; %bb.116:                              ;   in Loop: Header=BB129_20 Depth=1
	v_dual_mov_b32 v6, v5 :: v_dual_mov_b32 v1, v0
	s_mov_b32 s20, 0
                                        ; implicit-def: $sgpr23
	s_branch .LBB129_120
.LBB129_117:                            ;   in Loop: Header=BB129_120 Depth=2
	s_wait_alu 0xfffe
	s_or_b32 exec_lo, exec_lo, s24
	s_wait_loadcnt_dscnt 0x0
	s_barrier_signal -1
	s_barrier_wait -1
	global_inv scope:SCOPE_SE
	ds_load_b32 v2, v7 offset:3072
	s_wait_loadcnt_dscnt 0x0
	s_barrier_signal -1
	s_barrier_wait -1
	global_inv scope:SCOPE_SE
	v_cmp_neq_f16_e32 vcc_lo, 0, v2
	s_cbranch_vccnz .LBB129_123
; %bb.118:                              ;   in Loop: Header=BB129_120 Depth=2
	v_add_nc_u32_e32 v1, s27, v1
	v_add_nc_u32_e32 v6, s57, v6
	s_mov_b32 s24, 0
	s_delay_alu instid0(VALU_DEP_2)
	v_cmp_le_u32_e32 vcc_lo, s64, v1
	s_or_not1_b32 s46, vcc_lo, exec_lo
.LBB129_119:                            ;   in Loop: Header=BB129_120 Depth=2
	s_wait_alu 0xfffe
	s_and_b32 s46, exec_lo, s46
	s_wait_alu 0xfffe
	s_or_b32 s20, s46, s20
	s_and_not1_b32 s23, s23, exec_lo
	s_and_b32 s24, s24, exec_lo
	s_wait_alu 0xfffe
	s_or_b32 s23, s23, s24
	s_and_not1_b32 exec_lo, exec_lo, s20
	s_cbranch_execz .LBB129_124
.LBB129_120:                            ;   Parent Loop BB129_20 Depth=1
                                        ; =>  This Inner Loop Header: Depth=2
	s_mov_b32 s24, exec_lo
	s_delay_alu instid0(VALU_DEP_1)
	v_cmpx_gt_u32_e64 s28, v1
	s_cbranch_execz .LBB129_117
; %bb.121:                              ;   in Loop: Header=BB129_120 Depth=2
	v_lshlrev_b64_e32 v[2:3], 1, v[6:7]
	s_delay_alu instid0(VALU_DEP_1) | instskip(SKIP_1) | instid1(VALU_DEP_2)
	v_add_co_u32 v2, vcc_lo, s36, v2
	s_wait_alu 0xfffd
	v_add_co_ci_u32_e64 v3, null, s37, v3, vcc_lo
	global_load_u16 v2, v[2:3], off
	s_wait_loadcnt 0x0
	v_cmp_lt_i16_e32 vcc_lo, -1, v2
	s_wait_alu 0xfffd
	v_dual_cndmask_b32 v4, 0xffff, v31 :: v_dual_and_b32 v3, 0xffff, v2
	v_cmp_o_f16_e32 vcc_lo, v2, v2
	s_delay_alu instid0(VALU_DEP_2) | instskip(SKIP_1) | instid1(VALU_DEP_1)
	v_xor_b32_e32 v3, v4, v3
	s_wait_alu 0xfffd
	v_cndmask_b32_e32 v3, 0xffff, v3, vcc_lo
	s_delay_alu instid0(VALU_DEP_1) | instskip(NEXT) | instid1(VALU_DEP_1)
	v_and_b32_e32 v3, v3, v33
	v_cmp_eq_u32_e32 vcc_lo, v3, v13
	s_and_b32 exec_lo, exec_lo, vcc_lo
	s_cbranch_execz .LBB129_117
; %bb.122:                              ;   in Loop: Header=BB129_120 Depth=2
	v_perm_b32 v2, v2, s69, 0x5040100
	ds_store_b32 v7, v2 offset:3072
	s_branch .LBB129_117
.LBB129_123:                            ;   in Loop: Header=BB129_120 Depth=2
	s_mov_b32 s46, -1
	s_mov_b32 s24, -1
                                        ; implicit-def: $vgpr1
	s_branch .LBB129_119
.LBB129_124:                            ;   in Loop: Header=BB129_20 Depth=1
	s_or_b32 exec_lo, exec_lo, s20
	v_lshrrev_b32_e32 v34, 16, v2
	s_and_not1_b32 s20, s22, exec_lo
	s_wait_alu 0xfffe
	s_and_b32 s22, s23, exec_lo
	s_wait_alu 0xfffe
	s_or_b32 s22, s20, s22
.LBB129_125:                            ;   in Loop: Header=BB129_20 Depth=1
	s_wait_alu 0xfffe
	s_or_b32 exec_lo, exec_lo, s17
	s_mov_b32 s17, 0
	s_mov_b32 s20, -1
.LBB129_126:                            ;   in Loop: Header=BB129_20 Depth=1
	s_or_not1_b32 s23, s22, exec_lo
.LBB129_127:                            ;   in Loop: Header=BB129_20 Depth=1
	s_wait_alu 0xfffe
	s_or_b32 exec_lo, exec_lo, s13
	v_readfirstlane_b32 s22, v0
	s_and_not1_b32 s13, s74, exec_lo
	s_and_b32 s20, s20, exec_lo
	s_and_not1_b32 s24, s72, exec_lo
	s_and_b32 s17, s17, exec_lo
	s_and_not1_b32 s71, s71, exec_lo
	s_wait_alu 0xfffe
	s_or_b32 s74, s13, s20
	s_or_b32 s72, s24, s17
                                        ; implicit-def: $vgpr2
	s_and_saveexec_b32 s13, s23
	s_cbranch_execz .LBB129_19
; %bb.128:                              ;   in Loop: Header=BB129_20 Depth=1
	v_dual_mov_b32 v2, 1 :: v_dual_mov_b32 v1, 1
	s_xor_b32 s16, s16, -1
	s_mov_b32 s22, 0
	s_wait_alu 0xfffe
	s_and_saveexec_b32 s15, s16
	s_cbranch_execz .LBB129_137
; %bb.129:                              ;   in Loop: Header=BB129_20 Depth=1
	s_mov_b32 s16, exec_lo
	v_cmpx_ge_u32_e64 s14, v35
	s_wait_alu 0xfffe
	s_xor_b32 s16, exec_lo, s16
	s_cbranch_execz .LBB129_134
; %bb.130:                              ;   in Loop: Header=BB129_20 Depth=1
	ds_load_b32 v1, v7 offset:4104
	v_and_b32_e32 v13, s19, v13
	v_or_b32_e32 v33, s12, v33
	s_wait_dscnt 0x0
	v_cmp_ne_u32_e32 vcc_lo, 0, v1
	s_cbranch_vccnz .LBB129_134
; %bb.131:                              ;   in Loop: Header=BB129_20 Depth=1
	s_and_saveexec_b32 s17, s0
; %bb.132:                              ;   in Loop: Header=BB129_20 Depth=1
	v_mov_b32_e32 v1, s14
	ds_store_b32 v7, v1 offset:4108
; %bb.133:                              ;   in Loop: Header=BB129_20 Depth=1
	s_wait_alu 0xfffe
	s_or_b32 exec_lo, exec_lo, s17
	s_wait_loadcnt_dscnt 0x0
	s_barrier_signal -1
	s_barrier_wait -1
	global_inv scope:SCOPE_SE
.LBB129_134:                            ;   in Loop: Header=BB129_20 Depth=1
	s_wait_alu 0xfffe
	s_or_saveexec_b32 s16, s16
	v_mov_b32_e32 v1, 8
	s_mov_b32 s17, 0
	s_wait_alu 0xfffe
	s_xor_b32 exec_lo, exec_lo, s16
; %bb.135:                              ;   in Loop: Header=BB129_20 Depth=1
	v_subrev_nc_u32_e32 v35, s14, v35
	v_mov_b32_e32 v1, 0
	s_mov_b32 s17, exec_lo
; %bb.136:                              ;   in Loop: Header=BB129_20 Depth=1
	s_or_b32 exec_lo, exec_lo, s16
	s_delay_alu instid0(VALU_DEP_2)
	v_mov_b32_e32 v2, v35
	s_wait_alu 0xfffe
	s_and_b32 s22, s17, exec_lo
.LBB129_137:                            ;   in Loop: Header=BB129_20 Depth=1
	s_wait_alu 0xfffe
	s_or_b32 exec_lo, exec_lo, s15
	s_mov_b32 s14, -1
	s_mov_b32 s20, -1
                                        ; implicit-def: $sgpr16
                                        ; implicit-def: $sgpr17
	s_and_saveexec_b32 s15, s22
	s_wait_alu 0xfffe
	s_xor_b32 s15, exec_lo, s15
	s_cbranch_execz .LBB129_260
; %bb.138:                              ;   in Loop: Header=BB129_20 Depth=1
	v_cmp_eq_u32_e32 vcc_lo, 1, v2
	s_cmp_eq_u32 s21, 1
	s_mov_b32 s23, -1
	s_cselect_b32 s16, -1, 0
                                        ; implicit-def: $sgpr17
	s_wait_alu 0xfffe
	s_and_b32 s22, s16, vcc_lo
                                        ; implicit-def: $sgpr16
	s_wait_alu 0xfffe
	s_and_saveexec_b32 s20, s22
	s_cbranch_execz .LBB129_166
; %bb.139:                              ;   in Loop: Header=BB129_20 Depth=1
	ds_load_b32 v3, v7 offset:4104
	s_wait_loadcnt_dscnt 0x0
	s_barrier_signal -1
	s_barrier_wait -1
	global_inv scope:SCOPE_SE
	v_readfirstlane_b32 s24, v3
	s_and_saveexec_b32 s16, s1
; %bb.140:                              ;   in Loop: Header=BB129_20 Depth=1
	ds_store_b16 v17, v7
; %bb.141:                              ;   in Loop: Header=BB129_20 Depth=1
	s_wait_alu 0xfffe
	s_or_b32 exec_lo, exec_lo, s16
	s_lshl_b32 s16, 1, s76
	v_or_b32_e32 v33, s12, v33
	s_wait_alu 0xfffe
	v_and_or_b32 v13, v13, s19, s16
	s_mov_b32 s16, -1
	s_mov_b32 s17, 0
	s_cmp_eq_u32 s24, 0
	s_mov_b32 s23, 0
	s_mov_b32 s46, -1
	s_wait_loadcnt_dscnt 0x0
	s_barrier_signal -1
	s_barrier_wait -1
	global_inv scope:SCOPE_SE
                                        ; implicit-def: $vgpr34
	s_cbranch_scc1 .LBB129_153
; %bb.142:                              ;   in Loop: Header=BB129_20 Depth=1
	s_add_co_i32 s46, s24, s44
                                        ; implicit-def: $vgpr34
	s_wait_alu 0xfffe
	s_mul_u64 s[78:79], s[46:47], s[50:51]
	s_wait_alu 0xfffe
	s_mul_i32 s23, s79, s27
	s_wait_alu 0xfffe
	s_sub_co_i32 s23, s46, s23
	s_wait_alu 0xfffe
	s_sub_co_i32 s77, s23, s27
	s_cmp_ge_u32 s23, s27
	s_wait_alu 0xfffe
	s_cselect_b32 s23, s77, s23
	s_wait_alu 0xfffe
	s_sub_co_i32 s77, s23, s27
	s_cmp_ge_u32 s23, s27
	s_wait_alu 0xfffe
	s_cselect_b32 s23, s77, s23
	s_mov_b32 s77, exec_lo
	s_wait_alu 0xfffe
	s_sub_co_i32 s78, s46, s23
	s_mov_b32 s46, 0
	s_mov_b32 s23, 0
	s_wait_alu 0xfffe
	v_cmpx_gt_u32_e64 s78, v0
	s_cbranch_execz .LBB129_152
; %bb.143:                              ;   in Loop: Header=BB129_20 Depth=1
	v_dual_mov_b32 v3, v16 :: v_dual_mov_b32 v4, v0
                                        ; implicit-def: $sgpr79
	s_branch .LBB129_147
.LBB129_144:                            ;   in Loop: Header=BB129_147 Depth=2
	s_wait_alu 0xfffe
	s_or_b32 exec_lo, exec_lo, s80
	s_wait_loadcnt_dscnt 0x0
	s_barrier_signal -1
	s_barrier_wait -1
	global_inv scope:SCOPE_SE
	ds_load_b32 v6, v7 offset:3072
	s_wait_loadcnt_dscnt 0x0
	s_barrier_signal -1
	s_barrier_wait -1
	global_inv scope:SCOPE_SE
	v_cmp_neq_f16_e32 vcc_lo, 0, v6
	s_cbranch_vccnz .LBB129_150
; %bb.145:                              ;   in Loop: Header=BB129_147 Depth=2
	v_add_nc_u32_e32 v4, s27, v4
	v_add_nc_u32_e32 v3, s67, v3
	s_mov_b32 s80, 0
	s_delay_alu instid0(VALU_DEP_2)
	v_cmp_le_u32_e32 vcc_lo, s78, v4
	s_or_not1_b32 s81, vcc_lo, exec_lo
.LBB129_146:                            ;   in Loop: Header=BB129_147 Depth=2
	s_wait_alu 0xfffe
	s_and_b32 s81, exec_lo, s81
	s_wait_alu 0xfffe
	s_or_b32 s23, s81, s23
	s_and_not1_b32 s79, s79, exec_lo
	s_and_b32 s80, s80, exec_lo
	s_wait_alu 0xfffe
	s_or_b32 s79, s79, s80
	s_and_not1_b32 exec_lo, exec_lo, s23
	s_cbranch_execz .LBB129_151
.LBB129_147:                            ;   Parent Loop BB129_20 Depth=1
                                        ; =>  This Inner Loop Header: Depth=2
	s_mov_b32 s80, exec_lo
	s_delay_alu instid0(VALU_DEP_1)
	v_cmpx_gt_u32_e64 s24, v4
	s_cbranch_execz .LBB129_144
; %bb.148:                              ;   in Loop: Header=BB129_147 Depth=2
	ds_load_u16 v6, v3
	s_wait_dscnt 0x0
	v_cmp_lt_i16_e32 vcc_lo, -1, v6
	s_wait_alu 0xfffd
	v_dual_cndmask_b32 v35, 0xffff, v31 :: v_dual_and_b32 v34, 0xffff, v6
	v_cmp_o_f16_e32 vcc_lo, v6, v6
	s_delay_alu instid0(VALU_DEP_2) | instskip(SKIP_1) | instid1(VALU_DEP_1)
	v_xor_b32_e32 v34, v35, v34
	s_wait_alu 0xfffd
	v_cndmask_b32_e32 v34, 0xffff, v34, vcc_lo
	s_delay_alu instid0(VALU_DEP_1) | instskip(NEXT) | instid1(VALU_DEP_1)
	v_and_b32_e32 v34, v34, v33
	v_cmp_eq_u32_e32 vcc_lo, v34, v13
	s_and_b32 exec_lo, exec_lo, vcc_lo
	s_cbranch_execz .LBB129_144
; %bb.149:                              ;   in Loop: Header=BB129_147 Depth=2
	v_perm_b32 v6, v6, s69, 0x5040100
	ds_store_b32 v7, v6 offset:3072
	s_branch .LBB129_144
.LBB129_150:                            ;   in Loop: Header=BB129_147 Depth=2
	s_mov_b32 s81, -1
	s_mov_b32 s80, -1
                                        ; implicit-def: $vgpr4
                                        ; implicit-def: $vgpr3
	s_branch .LBB129_146
.LBB129_151:                            ;   in Loop: Header=BB129_20 Depth=1
	s_or_b32 exec_lo, exec_lo, s23
	v_lshrrev_b32_e32 v34, 16, v6
	s_wait_alu 0xfffe
	s_and_b32 s23, s79, exec_lo
.LBB129_152:                            ;   in Loop: Header=BB129_20 Depth=1
	s_or_b32 exec_lo, exec_lo, s77
.LBB129_153:                            ;   in Loop: Header=BB129_20 Depth=1
	s_wait_alu 0xfffe
	s_and_b32 vcc_lo, exec_lo, s46
	s_wait_alu 0xfffe
	s_cbranch_vccz .LBB129_165
; %bb.154:                              ;   in Loop: Header=BB129_20 Depth=1
                                        ; implicit-def: $vgpr34
	s_and_saveexec_b32 s16, s10
	s_cbranch_execz .LBB129_164
; %bb.155:                              ;   in Loop: Header=BB129_20 Depth=1
	v_dual_mov_b32 v6, v5 :: v_dual_mov_b32 v3, v0
	s_mov_b32 s17, 0
                                        ; implicit-def: $sgpr24
	s_branch .LBB129_159
.LBB129_156:                            ;   in Loop: Header=BB129_159 Depth=2
	s_wait_alu 0xfffe
	s_or_b32 exec_lo, exec_lo, s46
	s_wait_loadcnt_dscnt 0x0
	s_barrier_signal -1
	s_barrier_wait -1
	global_inv scope:SCOPE_SE
	ds_load_b32 v4, v7 offset:3072
	s_wait_loadcnt_dscnt 0x0
	s_barrier_signal -1
	s_barrier_wait -1
	global_inv scope:SCOPE_SE
	v_cmp_eq_f16_e32 vcc_lo, 0, v4
	s_cbranch_vccz .LBB129_162
; %bb.157:                              ;   in Loop: Header=BB129_159 Depth=2
	v_add_nc_u32_e32 v3, s27, v3
	v_add_nc_u32_e32 v6, s57, v6
	s_mov_b32 s46, 0
	s_delay_alu instid0(VALU_DEP_2)
	v_cmp_le_u32_e32 vcc_lo, s64, v3
	s_or_not1_b32 s77, vcc_lo, exec_lo
.LBB129_158:                            ;   in Loop: Header=BB129_159 Depth=2
	s_wait_alu 0xfffe
	s_and_b32 s77, exec_lo, s77
	s_wait_alu 0xfffe
	s_or_b32 s17, s77, s17
	s_and_not1_b32 s24, s24, exec_lo
	s_and_b32 s46, s46, exec_lo
	s_wait_alu 0xfffe
	s_or_b32 s24, s24, s46
	s_and_not1_b32 exec_lo, exec_lo, s17
	s_cbranch_execz .LBB129_163
.LBB129_159:                            ;   Parent Loop BB129_20 Depth=1
                                        ; =>  This Inner Loop Header: Depth=2
	s_mov_b32 s46, exec_lo
	s_delay_alu instid0(VALU_DEP_1)
	v_cmpx_gt_u32_e64 s28, v3
	s_cbranch_execz .LBB129_156
; %bb.160:                              ;   in Loop: Header=BB129_159 Depth=2
	v_lshlrev_b64_e32 v[34:35], 1, v[6:7]
	s_delay_alu instid0(VALU_DEP_1) | instskip(SKIP_1) | instid1(VALU_DEP_2)
	v_add_co_u32 v34, vcc_lo, s36, v34
	s_wait_alu 0xfffd
	v_add_co_ci_u32_e64 v35, null, s37, v35, vcc_lo
	global_load_u16 v4, v[34:35], off
	s_wait_loadcnt 0x0
	v_cmp_lt_i16_e32 vcc_lo, -1, v4
	s_wait_alu 0xfffd
	v_dual_cndmask_b32 v35, 0xffff, v31 :: v_dual_and_b32 v34, 0xffff, v4
	v_cmp_o_f16_e32 vcc_lo, v4, v4
	s_delay_alu instid0(VALU_DEP_2) | instskip(SKIP_1) | instid1(VALU_DEP_1)
	v_xor_b32_e32 v34, v35, v34
	s_wait_alu 0xfffd
	v_cndmask_b32_e32 v34, 0xffff, v34, vcc_lo
	s_delay_alu instid0(VALU_DEP_1) | instskip(NEXT) | instid1(VALU_DEP_1)
	v_and_b32_e32 v34, v34, v33
	v_cmp_eq_u32_e32 vcc_lo, v34, v13
	s_and_b32 exec_lo, exec_lo, vcc_lo
	s_cbranch_execz .LBB129_156
; %bb.161:                              ;   in Loop: Header=BB129_159 Depth=2
	v_perm_b32 v4, v4, s69, 0x5040100
	ds_store_b32 v7, v4 offset:3072
	s_branch .LBB129_156
.LBB129_162:                            ;   in Loop: Header=BB129_159 Depth=2
	s_mov_b32 s77, -1
	s_mov_b32 s46, -1
                                        ; implicit-def: $vgpr3
	s_branch .LBB129_158
.LBB129_163:                            ;   in Loop: Header=BB129_20 Depth=1
	s_or_b32 exec_lo, exec_lo, s17
	v_lshrrev_b32_e32 v34, 16, v4
	s_and_not1_b32 s17, s23, exec_lo
	s_wait_alu 0xfffe
	s_and_b32 s23, s24, exec_lo
	s_wait_alu 0xfffe
	s_or_b32 s23, s17, s23
.LBB129_164:                            ;   in Loop: Header=BB129_20 Depth=1
	s_wait_alu 0xfffe
	s_or_b32 exec_lo, exec_lo, s16
	s_mov_b32 s16, 0
	s_mov_b32 s17, -1
.LBB129_165:                            ;   in Loop: Header=BB129_20 Depth=1
	s_or_not1_b32 s23, s23, exec_lo
.LBB129_166:                            ;   in Loop: Header=BB129_20 Depth=1
	s_wait_alu 0xfffe
	s_or_b32 exec_lo, exec_lo, s20
	s_mov_b32 s24, 0
	s_and_saveexec_b32 s20, s23
	s_cbranch_execz .LBB129_259
; %bb.167:                              ;   in Loop: Header=BB129_20 Depth=1
	v_mov_b32_e32 v3, 1
	v_mov_b32_e32 v1, 1
	s_xor_b32 s23, s22, -1
	s_mov_b32 s46, 0
	s_wait_alu 0xfffe
	s_and_saveexec_b32 s22, s23
	s_cbranch_execz .LBB129_176
; %bb.168:                              ;   in Loop: Header=BB129_20 Depth=1
	s_mov_b32 s23, exec_lo
	v_cmpx_ge_u32_e64 s21, v2
	s_wait_alu 0xfffe
	s_xor_b32 s23, exec_lo, s23
	s_cbranch_execz .LBB129_173
; %bb.169:                              ;   in Loop: Header=BB129_20 Depth=1
	ds_load_b32 v1, v7 offset:4104
	s_lshl_b32 s24, 1, s76
	v_or_b32_e32 v33, s12, v33
	s_wait_alu 0xfffe
	v_and_or_b32 v13, v13, s19, s24
	s_wait_dscnt 0x0
	v_cmp_ne_u32_e32 vcc_lo, 0, v1
	s_cbranch_vccnz .LBB129_173
; %bb.170:                              ;   in Loop: Header=BB129_20 Depth=1
	s_and_saveexec_b32 s24, s0
; %bb.171:                              ;   in Loop: Header=BB129_20 Depth=1
	v_mov_b32_e32 v1, s21
	ds_store_b32 v7, v1 offset:4108
; %bb.172:                              ;   in Loop: Header=BB129_20 Depth=1
	s_wait_alu 0xfffe
	s_or_b32 exec_lo, exec_lo, s24
	s_wait_loadcnt_dscnt 0x0
	s_barrier_signal -1
	s_barrier_wait -1
	global_inv scope:SCOPE_SE
.LBB129_173:                            ;   in Loop: Header=BB129_20 Depth=1
	s_wait_alu 0xfffe
	s_or_saveexec_b32 s23, s23
	v_mov_b32_e32 v1, 8
	s_mov_b32 s24, 0
	s_wait_alu 0xfffe
	s_xor_b32 exec_lo, exec_lo, s23
; %bb.174:                              ;   in Loop: Header=BB129_20 Depth=1
	v_subrev_nc_u32_e32 v2, s21, v2
	v_mov_b32_e32 v1, 0
	s_mov_b32 s24, exec_lo
; %bb.175:                              ;   in Loop: Header=BB129_20 Depth=1
	s_or_b32 exec_lo, exec_lo, s23
	s_delay_alu instid0(VALU_DEP_2)
	v_mov_b32_e32 v3, v2
	s_wait_alu 0xfffe
	s_and_b32 s46, s24, exec_lo
.LBB129_176:                            ;   in Loop: Header=BB129_20 Depth=1
	s_wait_alu 0xfffe
	s_or_b32 exec_lo, exec_lo, s22
	s_mov_b32 s24, -1
                                        ; implicit-def: $sgpr22
                                        ; implicit-def: $sgpr23
	s_and_saveexec_b32 s21, s46
	s_cbranch_execz .LBB129_258
; %bb.177:                              ;   in Loop: Header=BB129_20 Depth=1
	v_cmp_eq_u32_e32 vcc_lo, 1, v3
	s_cmp_eq_u32 s18, 1
	s_mov_b32 s46, -1
	s_cselect_b32 s22, -1, 0
                                        ; implicit-def: $sgpr23
	s_wait_alu 0xfffe
	s_and_b32 s77, s22, vcc_lo
                                        ; implicit-def: $sgpr22
	s_wait_alu 0xfffe
	s_and_saveexec_b32 s24, s77
	s_cbranch_execz .LBB129_205
; %bb.178:                              ;   in Loop: Header=BB129_20 Depth=1
	ds_load_b32 v2, v7 offset:4104
	s_wait_loadcnt_dscnt 0x0
	s_barrier_signal -1
	s_barrier_wait -1
	global_inv scope:SCOPE_SE
	v_readfirstlane_b32 s78, v2
	s_and_saveexec_b32 s22, s1
; %bb.179:                              ;   in Loop: Header=BB129_20 Depth=1
	ds_store_b16 v17, v7
; %bb.180:                              ;   in Loop: Header=BB129_20 Depth=1
	s_wait_alu 0xfffe
	s_or_b32 exec_lo, exec_lo, s22
	s_lshl_b32 s22, 2, s76
	v_or_b32_e32 v33, s12, v33
	s_wait_alu 0xfffe
	v_and_or_b32 v13, v13, s19, s22
	s_mov_b32 s22, -1
	s_mov_b32 s23, 0
	s_cmp_eq_u32 s78, 0
	s_mov_b32 s46, 0
	s_mov_b32 s79, -1
	s_wait_loadcnt_dscnt 0x0
	s_barrier_signal -1
	s_barrier_wait -1
	global_inv scope:SCOPE_SE
                                        ; implicit-def: $vgpr34
	s_cbranch_scc1 .LBB129_192
; %bb.181:                              ;   in Loop: Header=BB129_20 Depth=1
	s_add_co_i32 s46, s78, s44
                                        ; implicit-def: $vgpr34
	s_wait_alu 0xfffe
	s_mul_u64 s[80:81], s[46:47], s[50:51]
	s_wait_alu 0xfffe
	s_mul_i32 s79, s81, s27
	s_wait_alu 0xfffe
	s_sub_co_i32 s79, s46, s79
	s_wait_alu 0xfffe
	s_sub_co_i32 s80, s79, s27
	s_cmp_ge_u32 s79, s27
	s_wait_alu 0xfffe
	s_cselect_b32 s79, s80, s79
	s_wait_alu 0xfffe
	s_sub_co_i32 s80, s79, s27
	s_cmp_ge_u32 s79, s27
	s_wait_alu 0xfffe
	s_cselect_b32 s79, s80, s79
	s_mov_b32 s80, exec_lo
	s_wait_alu 0xfffe
	s_sub_co_i32 s81, s46, s79
	s_mov_b32 s79, 0
	s_mov_b32 s46, 0
	s_wait_alu 0xfffe
	v_cmpx_gt_u32_e64 s81, v0
	s_cbranch_execz .LBB129_191
; %bb.182:                              ;   in Loop: Header=BB129_20 Depth=1
	v_mov_b32_e32 v2, v16
	v_mov_b32_e32 v4, v0
                                        ; implicit-def: $sgpr82
	s_branch .LBB129_186
.LBB129_183:                            ;   in Loop: Header=BB129_186 Depth=2
	s_wait_alu 0xfffe
	s_or_b32 exec_lo, exec_lo, s83
	s_wait_loadcnt_dscnt 0x0
	s_barrier_signal -1
	s_barrier_wait -1
	global_inv scope:SCOPE_SE
	ds_load_b32 v6, v7 offset:3072
	s_wait_loadcnt_dscnt 0x0
	s_barrier_signal -1
	s_barrier_wait -1
	global_inv scope:SCOPE_SE
	v_cmp_neq_f16_e32 vcc_lo, 0, v6
	s_cbranch_vccnz .LBB129_189
; %bb.184:                              ;   in Loop: Header=BB129_186 Depth=2
	v_add_nc_u32_e32 v4, s27, v4
	v_add_nc_u32_e32 v2, s67, v2
	s_mov_b32 s83, 0
	s_delay_alu instid0(VALU_DEP_2)
	v_cmp_le_u32_e32 vcc_lo, s81, v4
	s_or_not1_b32 s84, vcc_lo, exec_lo
.LBB129_185:                            ;   in Loop: Header=BB129_186 Depth=2
	s_delay_alu instid0(SALU_CYCLE_1) | instskip(NEXT) | instid1(SALU_CYCLE_1)
	s_and_b32 s84, exec_lo, s84
	s_or_b32 s46, s84, s46
	s_and_not1_b32 s82, s82, exec_lo
	s_wait_alu 0xfffe
	s_and_b32 s83, s83, exec_lo
	s_wait_alu 0xfffe
	s_or_b32 s82, s82, s83
	s_and_not1_b32 exec_lo, exec_lo, s46
	s_cbranch_execz .LBB129_190
.LBB129_186:                            ;   Parent Loop BB129_20 Depth=1
                                        ; =>  This Inner Loop Header: Depth=2
	s_mov_b32 s83, exec_lo
	s_delay_alu instid0(VALU_DEP_1)
	v_cmpx_gt_u32_e64 s78, v4
	s_cbranch_execz .LBB129_183
; %bb.187:                              ;   in Loop: Header=BB129_186 Depth=2
	ds_load_u16 v6, v2
	s_wait_dscnt 0x0
	v_cmp_lt_i16_e32 vcc_lo, -1, v6
	s_wait_alu 0xfffd
	v_dual_cndmask_b32 v35, 0xffff, v31 :: v_dual_and_b32 v34, 0xffff, v6
	v_cmp_o_f16_e32 vcc_lo, v6, v6
	s_delay_alu instid0(VALU_DEP_2) | instskip(SKIP_1) | instid1(VALU_DEP_1)
	v_xor_b32_e32 v34, v35, v34
	s_wait_alu 0xfffd
	v_cndmask_b32_e32 v34, 0xffff, v34, vcc_lo
	s_delay_alu instid0(VALU_DEP_1) | instskip(NEXT) | instid1(VALU_DEP_1)
	v_and_b32_e32 v34, v34, v33
	v_cmp_eq_u32_e32 vcc_lo, v34, v13
	s_and_b32 exec_lo, exec_lo, vcc_lo
	s_cbranch_execz .LBB129_183
; %bb.188:                              ;   in Loop: Header=BB129_186 Depth=2
	v_perm_b32 v6, v6, s69, 0x5040100
	ds_store_b32 v7, v6 offset:3072
	s_branch .LBB129_183
.LBB129_189:                            ;   in Loop: Header=BB129_186 Depth=2
	s_mov_b32 s84, -1
	s_mov_b32 s83, -1
                                        ; implicit-def: $vgpr4
                                        ; implicit-def: $vgpr2
	s_branch .LBB129_185
.LBB129_190:                            ;   in Loop: Header=BB129_20 Depth=1
	s_or_b32 exec_lo, exec_lo, s46
	v_lshrrev_b32_e32 v34, 16, v6
	s_wait_alu 0xfffe
	s_and_b32 s46, s82, exec_lo
.LBB129_191:                            ;   in Loop: Header=BB129_20 Depth=1
	s_or_b32 exec_lo, exec_lo, s80
.LBB129_192:                            ;   in Loop: Header=BB129_20 Depth=1
	s_wait_alu 0xfffe
	s_and_b32 vcc_lo, exec_lo, s79
	s_wait_alu 0xfffe
	s_cbranch_vccz .LBB129_204
; %bb.193:                              ;   in Loop: Header=BB129_20 Depth=1
                                        ; implicit-def: $vgpr34
	s_and_saveexec_b32 s22, s10
	s_cbranch_execz .LBB129_203
; %bb.194:                              ;   in Loop: Header=BB129_20 Depth=1
	v_mov_b32_e32 v6, v5
	v_mov_b32_e32 v2, v0
	s_mov_b32 s23, 0
                                        ; implicit-def: $sgpr78
	s_branch .LBB129_198
.LBB129_195:                            ;   in Loop: Header=BB129_198 Depth=2
	s_wait_alu 0xfffe
	s_or_b32 exec_lo, exec_lo, s79
	s_wait_loadcnt_dscnt 0x0
	s_barrier_signal -1
	s_barrier_wait -1
	global_inv scope:SCOPE_SE
	ds_load_b32 v4, v7 offset:3072
	s_wait_loadcnt_dscnt 0x0
	s_barrier_signal -1
	s_barrier_wait -1
	global_inv scope:SCOPE_SE
	v_cmp_eq_f16_e32 vcc_lo, 0, v4
	s_cbranch_vccz .LBB129_201
; %bb.196:                              ;   in Loop: Header=BB129_198 Depth=2
	v_add_nc_u32_e32 v2, s27, v2
	v_add_nc_u32_e32 v6, s57, v6
	s_mov_b32 s79, 0
	s_delay_alu instid0(VALU_DEP_2)
	v_cmp_le_u32_e32 vcc_lo, s64, v2
	s_or_not1_b32 s80, vcc_lo, exec_lo
.LBB129_197:                            ;   in Loop: Header=BB129_198 Depth=2
	s_wait_alu 0xfffe
	s_and_b32 s80, exec_lo, s80
	s_wait_alu 0xfffe
	s_or_b32 s23, s80, s23
	s_and_not1_b32 s78, s78, exec_lo
	s_and_b32 s79, s79, exec_lo
	s_wait_alu 0xfffe
	s_or_b32 s78, s78, s79
	s_and_not1_b32 exec_lo, exec_lo, s23
	s_cbranch_execz .LBB129_202
.LBB129_198:                            ;   Parent Loop BB129_20 Depth=1
                                        ; =>  This Inner Loop Header: Depth=2
	s_mov_b32 s79, exec_lo
	s_delay_alu instid0(VALU_DEP_1)
	v_cmpx_gt_u32_e64 s28, v2
	s_cbranch_execz .LBB129_195
; %bb.199:                              ;   in Loop: Header=BB129_198 Depth=2
	v_lshlrev_b64_e32 v[34:35], 1, v[6:7]
	s_delay_alu instid0(VALU_DEP_1) | instskip(SKIP_1) | instid1(VALU_DEP_2)
	v_add_co_u32 v34, vcc_lo, s36, v34
	s_wait_alu 0xfffd
	v_add_co_ci_u32_e64 v35, null, s37, v35, vcc_lo
	global_load_u16 v4, v[34:35], off
	s_wait_loadcnt 0x0
	v_cmp_lt_i16_e32 vcc_lo, -1, v4
	s_wait_alu 0xfffd
	v_dual_cndmask_b32 v35, 0xffff, v31 :: v_dual_and_b32 v34, 0xffff, v4
	v_cmp_o_f16_e32 vcc_lo, v4, v4
	s_delay_alu instid0(VALU_DEP_2) | instskip(SKIP_1) | instid1(VALU_DEP_1)
	v_xor_b32_e32 v34, v35, v34
	s_wait_alu 0xfffd
	v_cndmask_b32_e32 v34, 0xffff, v34, vcc_lo
	s_delay_alu instid0(VALU_DEP_1) | instskip(NEXT) | instid1(VALU_DEP_1)
	v_and_b32_e32 v34, v34, v33
	v_cmp_eq_u32_e32 vcc_lo, v34, v13
	s_and_b32 exec_lo, exec_lo, vcc_lo
	s_cbranch_execz .LBB129_195
; %bb.200:                              ;   in Loop: Header=BB129_198 Depth=2
	v_perm_b32 v4, v4, s69, 0x5040100
	ds_store_b32 v7, v4 offset:3072
	s_branch .LBB129_195
.LBB129_201:                            ;   in Loop: Header=BB129_198 Depth=2
	s_mov_b32 s80, -1
	s_mov_b32 s79, -1
                                        ; implicit-def: $vgpr2
	s_branch .LBB129_197
.LBB129_202:                            ;   in Loop: Header=BB129_20 Depth=1
	s_or_b32 exec_lo, exec_lo, s23
	v_lshrrev_b32_e32 v34, 16, v4
	s_and_not1_b32 s23, s46, exec_lo
	s_wait_alu 0xfffe
	s_and_b32 s46, s78, exec_lo
	s_wait_alu 0xfffe
	s_or_b32 s46, s23, s46
.LBB129_203:                            ;   in Loop: Header=BB129_20 Depth=1
	s_wait_alu 0xfffe
	s_or_b32 exec_lo, exec_lo, s22
	s_mov_b32 s22, 0
	s_mov_b32 s23, -1
.LBB129_204:                            ;   in Loop: Header=BB129_20 Depth=1
	s_or_not1_b32 s46, s46, exec_lo
.LBB129_205:                            ;   in Loop: Header=BB129_20 Depth=1
	s_wait_alu 0xfffe
	s_or_b32 exec_lo, exec_lo, s24
	s_mov_b32 s78, 0
	s_and_saveexec_b32 s24, s46
	s_cbranch_execz .LBB129_257
; %bb.206:                              ;   in Loop: Header=BB129_20 Depth=1
	v_dual_mov_b32 v2, 1 :: v_dual_mov_b32 v1, 1
	s_xor_b32 s77, s77, -1
	s_mov_b32 s79, 0
	s_wait_alu 0xfffe
	s_and_saveexec_b32 s46, s77
	s_cbranch_execz .LBB129_215
; %bb.207:                              ;   in Loop: Header=BB129_20 Depth=1
	s_mov_b32 s77, exec_lo
	v_cmpx_ge_u32_e64 s18, v3
	s_wait_alu 0xfffe
	s_xor_b32 s77, exec_lo, s77
	s_cbranch_execz .LBB129_212
; %bb.208:                              ;   in Loop: Header=BB129_20 Depth=1
	ds_load_b32 v1, v7 offset:4104
	s_lshl_b32 s78, 2, s76
	v_or_b32_e32 v33, s12, v33
	s_wait_alu 0xfffe
	v_and_or_b32 v13, v13, s19, s78
	s_wait_dscnt 0x0
	v_cmp_ne_u32_e32 vcc_lo, 0, v1
	s_cbranch_vccnz .LBB129_212
; %bb.209:                              ;   in Loop: Header=BB129_20 Depth=1
	s_and_saveexec_b32 s19, s0
; %bb.210:                              ;   in Loop: Header=BB129_20 Depth=1
	v_mov_b32_e32 v1, s18
	ds_store_b32 v7, v1 offset:4108
; %bb.211:                              ;   in Loop: Header=BB129_20 Depth=1
	s_wait_alu 0xfffe
	s_or_b32 exec_lo, exec_lo, s19
	s_wait_loadcnt_dscnt 0x0
	s_barrier_signal -1
	s_barrier_wait -1
	global_inv scope:SCOPE_SE
.LBB129_212:                            ;   in Loop: Header=BB129_20 Depth=1
	s_wait_alu 0xfffe
	s_or_saveexec_b32 s19, s77
	v_mov_b32_e32 v1, 8
	s_mov_b32 s77, 0
	s_wait_alu 0xfffe
	s_xor_b32 exec_lo, exec_lo, s19
; %bb.213:                              ;   in Loop: Header=BB129_20 Depth=1
	v_subrev_nc_u32_e32 v3, s18, v3
	v_mov_b32_e32 v1, 0
	s_mov_b32 s77, exec_lo
; %bb.214:                              ;   in Loop: Header=BB129_20 Depth=1
	s_or_b32 exec_lo, exec_lo, s19
	s_delay_alu instid0(VALU_DEP_2)
	v_mov_b32_e32 v2, v3
	s_wait_alu 0xfffe
	s_and_b32 s79, s77, exec_lo
.LBB129_215:                            ;   in Loop: Header=BB129_20 Depth=1
	s_wait_alu 0xfffe
	s_or_b32 exec_lo, exec_lo, s46
	s_mov_b32 s19, -1
                                        ; implicit-def: $sgpr78
                                        ; implicit-def: $sgpr77
	s_and_saveexec_b32 s18, s79
	s_cbranch_execz .LBB129_256
; %bb.216:                              ;   in Loop: Header=BB129_20 Depth=1
	v_cmp_eq_u32_e32 vcc_lo, 1, v2
	s_cmp_eq_u32 s11, 1
	s_mov_b32 s80, -1
	s_cselect_b32 s19, -1, 0
                                        ; implicit-def: $sgpr78
                                        ; implicit-def: $sgpr77
	s_wait_alu 0xfffe
	s_and_b32 s19, s19, vcc_lo
	s_wait_alu 0xfffe
	s_and_saveexec_b32 s79, s19
	s_cbranch_execz .LBB129_244
; %bb.217:                              ;   in Loop: Header=BB129_20 Depth=1
	ds_load_b32 v3, v7 offset:4104
	s_wait_loadcnt_dscnt 0x0
	s_barrier_signal -1
	s_barrier_wait -1
	global_inv scope:SCOPE_SE
	v_readfirstlane_b32 s80, v3
	s_and_saveexec_b32 s46, s1
; %bb.218:                              ;   in Loop: Header=BB129_20 Depth=1
	ds_store_b16 v17, v7
; %bb.219:                              ;   in Loop: Header=BB129_20 Depth=1
	s_wait_alu 0xfffe
	s_or_b32 exec_lo, exec_lo, s46
	v_or_b32_e32 v13, s12, v13
	v_or_b32_e32 v33, s12, v33
	s_mov_b32 s77, -1
	s_mov_b32 s78, 0
	s_cmp_eq_u32 s80, 0
	s_mov_b32 s46, 0
	s_mov_b32 s81, -1
	s_wait_loadcnt_dscnt 0x0
	s_barrier_signal -1
	s_barrier_wait -1
	global_inv scope:SCOPE_SE
                                        ; implicit-def: $vgpr34
	s_cbranch_scc1 .LBB129_231
; %bb.220:                              ;   in Loop: Header=BB129_20 Depth=1
	s_add_co_i32 s46, s80, s44
                                        ; implicit-def: $vgpr34
	s_wait_alu 0xfffe
	s_mul_u64 s[82:83], s[46:47], s[50:51]
	s_wait_alu 0xfffe
	s_mul_i32 s81, s83, s27
	s_wait_alu 0xfffe
	s_sub_co_i32 s81, s46, s81
	s_wait_alu 0xfffe
	s_sub_co_i32 s82, s81, s27
	s_cmp_ge_u32 s81, s27
	s_wait_alu 0xfffe
	s_cselect_b32 s81, s82, s81
	s_wait_alu 0xfffe
	s_sub_co_i32 s82, s81, s27
	s_cmp_ge_u32 s81, s27
	s_wait_alu 0xfffe
	s_cselect_b32 s81, s82, s81
	s_mov_b32 s82, exec_lo
	s_wait_alu 0xfffe
	s_sub_co_i32 s83, s46, s81
	s_mov_b32 s81, 0
	s_mov_b32 s46, 0
	s_wait_alu 0xfffe
	v_cmpx_gt_u32_e64 s83, v0
	s_cbranch_execz .LBB129_230
; %bb.221:                              ;   in Loop: Header=BB129_20 Depth=1
	v_dual_mov_b32 v3, v16 :: v_dual_mov_b32 v4, v0
                                        ; implicit-def: $sgpr84
	s_branch .LBB129_225
.LBB129_222:                            ;   in Loop: Header=BB129_225 Depth=2
	s_or_b32 exec_lo, exec_lo, s85
	s_wait_loadcnt_dscnt 0x0
	s_barrier_signal -1
	s_barrier_wait -1
	global_inv scope:SCOPE_SE
	ds_load_b32 v6, v7 offset:3072
	s_wait_loadcnt_dscnt 0x0
	s_barrier_signal -1
	s_barrier_wait -1
	global_inv scope:SCOPE_SE
	v_cmp_neq_f16_e32 vcc_lo, 0, v6
	s_cbranch_vccnz .LBB129_228
; %bb.223:                              ;   in Loop: Header=BB129_225 Depth=2
	v_add_nc_u32_e32 v4, s27, v4
	v_add_nc_u32_e32 v3, s67, v3
	s_mov_b32 s85, 0
	s_delay_alu instid0(VALU_DEP_2)
	v_cmp_le_u32_e32 vcc_lo, s83, v4
	s_or_not1_b32 s86, vcc_lo, exec_lo
.LBB129_224:                            ;   in Loop: Header=BB129_225 Depth=2
	s_delay_alu instid0(SALU_CYCLE_1) | instskip(NEXT) | instid1(SALU_CYCLE_1)
	s_and_b32 s86, exec_lo, s86
	s_or_b32 s46, s86, s46
	s_and_not1_b32 s84, s84, exec_lo
	s_and_b32 s85, s85, exec_lo
	s_delay_alu instid0(SALU_CYCLE_1)
	s_or_b32 s84, s84, s85
	s_wait_alu 0xfffe
	s_and_not1_b32 exec_lo, exec_lo, s46
	s_cbranch_execz .LBB129_229
.LBB129_225:                            ;   Parent Loop BB129_20 Depth=1
                                        ; =>  This Inner Loop Header: Depth=2
	s_mov_b32 s85, exec_lo
	s_delay_alu instid0(VALU_DEP_1)
	v_cmpx_gt_u32_e64 s80, v4
	s_cbranch_execz .LBB129_222
; %bb.226:                              ;   in Loop: Header=BB129_225 Depth=2
	ds_load_u16 v6, v3
	s_wait_dscnt 0x0
	v_cmp_lt_i16_e32 vcc_lo, -1, v6
	s_wait_alu 0xfffd
	v_dual_cndmask_b32 v35, 0xffff, v31 :: v_dual_and_b32 v34, 0xffff, v6
	v_cmp_o_f16_e32 vcc_lo, v6, v6
	s_delay_alu instid0(VALU_DEP_2) | instskip(SKIP_1) | instid1(VALU_DEP_1)
	v_xor_b32_e32 v34, v35, v34
	s_wait_alu 0xfffd
	v_cndmask_b32_e32 v34, 0xffff, v34, vcc_lo
	s_delay_alu instid0(VALU_DEP_1) | instskip(NEXT) | instid1(VALU_DEP_1)
	v_and_b32_e32 v34, v34, v33
	v_cmp_eq_u32_e32 vcc_lo, v34, v13
	s_and_b32 exec_lo, exec_lo, vcc_lo
	s_cbranch_execz .LBB129_222
; %bb.227:                              ;   in Loop: Header=BB129_225 Depth=2
	v_perm_b32 v6, v6, s69, 0x5040100
	ds_store_b32 v7, v6 offset:3072
	s_branch .LBB129_222
.LBB129_228:                            ;   in Loop: Header=BB129_225 Depth=2
	s_mov_b32 s86, -1
	s_mov_b32 s85, -1
                                        ; implicit-def: $vgpr4
                                        ; implicit-def: $vgpr3
	s_branch .LBB129_224
.LBB129_229:                            ;   in Loop: Header=BB129_20 Depth=1
	s_or_b32 exec_lo, exec_lo, s46
	v_lshrrev_b32_e32 v34, 16, v6
	s_and_b32 s46, s84, exec_lo
.LBB129_230:                            ;   in Loop: Header=BB129_20 Depth=1
	s_or_b32 exec_lo, exec_lo, s82
.LBB129_231:                            ;   in Loop: Header=BB129_20 Depth=1
	s_wait_alu 0xfffe
	s_and_b32 vcc_lo, exec_lo, s81
	s_wait_alu 0xfffe
	s_cbranch_vccz .LBB129_243
; %bb.232:                              ;   in Loop: Header=BB129_20 Depth=1
                                        ; implicit-def: $vgpr34
	s_and_saveexec_b32 s77, s10
	s_cbranch_execz .LBB129_242
; %bb.233:                              ;   in Loop: Header=BB129_20 Depth=1
	v_dual_mov_b32 v6, v5 :: v_dual_mov_b32 v3, v0
	s_mov_b32 s78, 0
                                        ; implicit-def: $sgpr80
	s_branch .LBB129_237
.LBB129_234:                            ;   in Loop: Header=BB129_237 Depth=2
	s_wait_alu 0xfffe
	s_or_b32 exec_lo, exec_lo, s81
	s_wait_loadcnt_dscnt 0x0
	s_barrier_signal -1
	s_barrier_wait -1
	global_inv scope:SCOPE_SE
	ds_load_b32 v4, v7 offset:3072
	s_wait_loadcnt_dscnt 0x0
	s_barrier_signal -1
	s_barrier_wait -1
	global_inv scope:SCOPE_SE
	v_cmp_eq_f16_e32 vcc_lo, 0, v4
	s_cbranch_vccz .LBB129_240
; %bb.235:                              ;   in Loop: Header=BB129_237 Depth=2
	v_add_nc_u32_e32 v3, s27, v3
	v_add_nc_u32_e32 v6, s57, v6
	s_mov_b32 s81, 0
	s_delay_alu instid0(VALU_DEP_2)
	v_cmp_le_u32_e32 vcc_lo, s64, v3
	s_or_not1_b32 s82, vcc_lo, exec_lo
.LBB129_236:                            ;   in Loop: Header=BB129_237 Depth=2
	s_wait_alu 0xfffe
	s_and_b32 s82, exec_lo, s82
	s_wait_alu 0xfffe
	s_or_b32 s78, s82, s78
	s_and_not1_b32 s80, s80, exec_lo
	s_and_b32 s81, s81, exec_lo
	s_wait_alu 0xfffe
	s_or_b32 s80, s80, s81
	s_and_not1_b32 exec_lo, exec_lo, s78
	s_cbranch_execz .LBB129_241
.LBB129_237:                            ;   Parent Loop BB129_20 Depth=1
                                        ; =>  This Inner Loop Header: Depth=2
	s_mov_b32 s81, exec_lo
	s_delay_alu instid0(VALU_DEP_1)
	v_cmpx_gt_u32_e64 s28, v3
	s_cbranch_execz .LBB129_234
; %bb.238:                              ;   in Loop: Header=BB129_237 Depth=2
	v_lshlrev_b64_e32 v[34:35], 1, v[6:7]
	s_delay_alu instid0(VALU_DEP_1) | instskip(SKIP_1) | instid1(VALU_DEP_2)
	v_add_co_u32 v34, vcc_lo, s36, v34
	s_wait_alu 0xfffd
	v_add_co_ci_u32_e64 v35, null, s37, v35, vcc_lo
	global_load_u16 v4, v[34:35], off
	s_wait_loadcnt 0x0
	v_cmp_lt_i16_e32 vcc_lo, -1, v4
	s_wait_alu 0xfffd
	v_dual_cndmask_b32 v35, 0xffff, v31 :: v_dual_and_b32 v34, 0xffff, v4
	v_cmp_o_f16_e32 vcc_lo, v4, v4
	s_delay_alu instid0(VALU_DEP_2) | instskip(SKIP_1) | instid1(VALU_DEP_1)
	v_xor_b32_e32 v34, v35, v34
	s_wait_alu 0xfffd
	v_cndmask_b32_e32 v34, 0xffff, v34, vcc_lo
	s_delay_alu instid0(VALU_DEP_1) | instskip(NEXT) | instid1(VALU_DEP_1)
	v_and_b32_e32 v34, v34, v33
	v_cmp_eq_u32_e32 vcc_lo, v34, v13
	s_and_b32 exec_lo, exec_lo, vcc_lo
	s_cbranch_execz .LBB129_234
; %bb.239:                              ;   in Loop: Header=BB129_237 Depth=2
	v_perm_b32 v4, v4, s69, 0x5040100
	ds_store_b32 v7, v4 offset:3072
	s_branch .LBB129_234
.LBB129_240:                            ;   in Loop: Header=BB129_237 Depth=2
	s_mov_b32 s82, -1
	s_mov_b32 s81, -1
                                        ; implicit-def: $vgpr3
	s_branch .LBB129_236
.LBB129_241:                            ;   in Loop: Header=BB129_20 Depth=1
	s_or_b32 exec_lo, exec_lo, s78
	v_lshrrev_b32_e32 v34, 16, v4
	s_and_not1_b32 s46, s46, exec_lo
	s_wait_alu 0xfffe
	s_and_b32 s78, s80, exec_lo
	s_wait_alu 0xfffe
	s_or_b32 s46, s46, s78
.LBB129_242:                            ;   in Loop: Header=BB129_20 Depth=1
	s_wait_alu 0xfffe
	s_or_b32 exec_lo, exec_lo, s77
	s_mov_b32 s77, 0
	s_mov_b32 s78, -1
.LBB129_243:                            ;   in Loop: Header=BB129_20 Depth=1
	s_or_not1_b32 s80, s46, exec_lo
.LBB129_244:                            ;   in Loop: Header=BB129_20 Depth=1
	s_wait_alu 0xfffe
	s_or_b32 exec_lo, exec_lo, s79
	s_mov_b32 s79, 0
	s_and_saveexec_b32 s46, s80
	s_cbranch_execz .LBB129_255
; %bb.245:                              ;   in Loop: Header=BB129_20 Depth=1
	v_mov_b32_e32 v1, 1
	v_mov_b32_e32 v3, 1
	s_xor_b32 s79, s19, -1
	s_wait_alu 0xfffe
	s_and_saveexec_b32 s19, s79
	s_cbranch_execz .LBB129_254
; %bb.246:                              ;   in Loop: Header=BB129_20 Depth=1
	s_mov_b32 s79, exec_lo
	v_cmpx_ge_u32_e64 s11, v2
	s_wait_alu 0xfffe
	s_xor_b32 s79, exec_lo, s79
	s_cbranch_execz .LBB129_251
; %bb.247:                              ;   in Loop: Header=BB129_20 Depth=1
	ds_load_b32 v1, v7 offset:4104
	v_or_b32_e32 v13, s12, v13
	v_or_b32_e32 v33, s12, v33
	s_wait_dscnt 0x0
	v_cmp_ne_u32_e32 vcc_lo, 0, v1
	s_cbranch_vccnz .LBB129_251
; %bb.248:                              ;   in Loop: Header=BB129_20 Depth=1
	s_and_saveexec_b32 s12, s0
; %bb.249:                              ;   in Loop: Header=BB129_20 Depth=1
	v_mov_b32_e32 v1, s11
	ds_store_b32 v7, v1 offset:4108
; %bb.250:                              ;   in Loop: Header=BB129_20 Depth=1
	s_wait_alu 0xfffe
	s_or_b32 exec_lo, exec_lo, s12
	s_wait_loadcnt_dscnt 0x0
	s_barrier_signal -1
	s_barrier_wait -1
	global_inv scope:SCOPE_SE
.LBB129_251:                            ;   in Loop: Header=BB129_20 Depth=1
	s_wait_alu 0xfffe
	s_and_not1_saveexec_b32 s12, s79
; %bb.252:                              ;   in Loop: Header=BB129_20 Depth=1
	v_subrev_nc_u32_e32 v2, s11, v2
; %bb.253:                              ;   in Loop: Header=BB129_20 Depth=1
	s_wait_alu 0xfffe
	s_or_b32 exec_lo, exec_lo, s12
	v_mov_b32_e32 v1, 8
	s_delay_alu instid0(VALU_DEP_2)
	v_mov_b32_e32 v3, v2
.LBB129_254:                            ;   in Loop: Header=BB129_20 Depth=1
	s_wait_alu 0xfffe
	s_or_b32 exec_lo, exec_lo, s19
	s_delay_alu instid0(VALU_DEP_1)
	v_mov_b32_e32 v2, v3
	s_mov_b32 s79, exec_lo
.LBB129_255:                            ;   in Loop: Header=BB129_20 Depth=1
	s_wait_alu 0xfffe
	s_or_b32 exec_lo, exec_lo, s46
	s_delay_alu instid0(SALU_CYCLE_1)
	s_or_not1_b32 s19, s79, exec_lo
.LBB129_256:                            ;   in Loop: Header=BB129_20 Depth=1
	s_wait_alu 0xfffe
	s_or_b32 exec_lo, exec_lo, s18
	v_mov_b32_e32 v3, v2
	s_and_not1_b32 s11, s23, exec_lo
	s_and_b32 s12, s78, exec_lo
	s_and_not1_b32 s18, s22, exec_lo
	s_and_b32 s22, s77, exec_lo
	s_wait_alu 0xfffe
	s_or_b32 s23, s11, s12
	s_or_b32 s22, s18, s22
	s_and_b32 s78, s19, exec_lo
.LBB129_257:                            ;   in Loop: Header=BB129_20 Depth=1
	s_wait_alu 0xfffe
	s_or_b32 exec_lo, exec_lo, s24
	s_delay_alu instid0(SALU_CYCLE_1)
	s_or_not1_b32 s24, s78, exec_lo
.LBB129_258:                            ;   in Loop: Header=BB129_20 Depth=1
	s_wait_alu 0xfffe
	s_or_b32 exec_lo, exec_lo, s21
	v_mov_b32_e32 v2, v3
	s_and_not1_b32 s11, s17, exec_lo
	s_and_b32 s12, s23, exec_lo
	s_and_not1_b32 s16, s16, exec_lo
	s_and_b32 s18, s22, exec_lo
	s_wait_alu 0xfffe
	s_or_b32 s17, s11, s12
	s_or_b32 s16, s16, s18
	s_and_b32 s24, s24, exec_lo
.LBB129_259:                            ;   in Loop: Header=BB129_20 Depth=1
	s_wait_alu 0xfffe
	s_or_b32 exec_lo, exec_lo, s20
	s_delay_alu instid0(SALU_CYCLE_1)
	s_or_not1_b32 s20, s24, exec_lo
.LBB129_260:                            ;   in Loop: Header=BB129_20 Depth=1
	s_wait_alu 0xfffe
	s_or_b32 exec_lo, exec_lo, s15
	s_mov_b32 s12, 0
                                        ; implicit-def: $sgpr22
	s_and_saveexec_b32 s11, s20
	s_wait_alu 0xfffe
	s_xor_b32 s11, exec_lo, s11
	s_cbranch_execz .LBB129_18
; %bb.261:                              ;   in Loop: Header=BB129_20 Depth=1
	v_and_b32_e32 v1, 7, v1
	s_mov_b32 s14, -1
	s_mov_b32 s12, -1
	s_mov_b32 s15, exec_lo
                                        ; implicit-def: $sgpr22
	s_delay_alu instid0(VALU_DEP_1)
	v_cmpx_eq_u32_e32 0, v1
	s_cbranch_execz .LBB129_17
; %bb.262:                              ;   in Loop: Header=BB129_20 Depth=1
	s_add_co_i32 s22, s76, -2
	s_cmp_eq_u32 s76, 0
	v_xor_b32_e32 v32, 1, v32
	s_cselect_b32 s14, -1, 0
	s_xor_b32 s12, exec_lo, -1
	s_wait_alu 0xfffe
	s_or_not1_b32 s14, s14, exec_lo
	s_branch .LBB129_17
.LBB129_263:
	s_or_b32 exec_lo, exec_lo, s68
	s_xor_b32 s4, s75, -1
	s_xor_b32 s3, s73, -1
	;; [unrolled: 1-line block ×3, first 2 shown]
	s_mov_b32 s0, 0
	s_wait_alu 0xfffe
	s_and_saveexec_b32 s5, s3
	s_wait_alu 0xfffe
	s_xor_b32 s3, exec_lo, s5
	s_cbranch_execnz .LBB129_268
; %bb.264:
	s_wait_alu 0xfffe
	s_and_not1_saveexec_b32 s1, s3
	s_cbranch_execnz .LBB129_281
.LBB129_265:
	s_or_b32 exec_lo, exec_lo, s1
	s_and_saveexec_b32 s1, s0
.LBB129_266:
	; divergent unreachable
.LBB129_267:
	s_endpgm
.LBB129_268:
	s_and_saveexec_b32 s0, s4
	s_delay_alu instid0(SALU_CYCLE_1)
	s_xor_b32 s4, exec_lo, s0
	s_cbranch_execz .LBB129_279
; %bb.269:
	s_and_saveexec_b32 s0, s1
	s_delay_alu instid0(SALU_CYCLE_1)
	s_xor_b32 s0, exec_lo, s0
; %bb.270:
	v_and_b32_e32 v1, 0x8000, v13
	v_mov_b32_e32 v2, 0xffff
	s_delay_alu instid0(VALU_DEP_2) | instskip(SKIP_1) | instid1(VALU_DEP_2)
	v_cmp_eq_u32_e32 vcc_lo, 0, v1
	s_wait_alu 0xfffd
	v_cndmask_b32_e32 v1, 0x8000, v2, vcc_lo
	s_delay_alu instid0(VALU_DEP_1)
	v_xor_b32_e32 v34, v1, v13
; %bb.271:
	s_or_b32 exec_lo, exec_lo, s0
	s_mul_i32 s0, s45, s54
	s_add_co_i32 s1, s45, 1
	s_sub_co_i32 s0, s26, s0
	v_mov_b32_e32 v6, 0
	s_sub_co_i32 s5, s0, s54
	s_cmp_ge_u32 s0, s54
	s_cselect_b32 s1, s1, s45
	s_wait_alu 0xfffe
	s_cselect_b32 s0, s5, s0
	s_add_co_i32 s5, s1, 1
	s_cmp_ge_u32 s0, s54
	s_wait_alu 0xfffe
	s_cselect_b32 s0, s5, s1
	s_delay_alu instid0(SALU_CYCLE_1) | instskip(SKIP_2) | instid1(SALU_CYCLE_1)
	s_mul_i32 s1, s0, s54
	s_mul_i32 s0, s0, s38
	s_sub_co_i32 s1, s26, s1
	s_mul_i32 s1, s1, s39
	s_delay_alu instid0(SALU_CYCLE_1) | instskip(SKIP_1) | instid1(SALU_CYCLE_1)
	s_add_co_i32 s0, s0, s1
	s_mov_b32 s1, 0
	s_lshl_b64 s[6:7], s[0:1], 1
	s_wait_alu 0xfffe
	s_add_nc_u64 s[6:7], s[42:43], s[6:7]
	global_store_b16 v6, v34, s[6:7]
	s_and_saveexec_b32 s5, s2
	s_cbranch_execz .LBB129_278
; %bb.272:
	v_cmp_u_f16_e32 vcc_lo, v34, v34
                                        ; implicit-def: $sgpr2
                                        ; implicit-def: $sgpr8
                                        ; implicit-def: $sgpr7
	s_xor_b32 s6, vcc_lo, -1
	s_branch .LBB129_274
.LBB129_273:                            ;   in Loop: Header=BB129_274 Depth=1
	s_or_b32 exec_lo, exec_lo, s0
	s_delay_alu instid0(SALU_CYCLE_1) | instskip(NEXT) | instid1(SALU_CYCLE_1)
	s_and_b32 s0, exec_lo, s8
	s_or_b32 s1, s0, s1
	s_and_not1_b32 s0, s2, exec_lo
	s_wait_alu 0xfffe
	s_and_b32 s2, s7, exec_lo
	s_wait_alu 0xfffe
	s_or_b32 s2, s0, s2
	s_and_not1_b32 exec_lo, exec_lo, s1
	s_cbranch_execz .LBB129_276
.LBB129_274:                            ; =>This Inner Loop Header: Depth=1
	v_lshlrev_b64_e32 v[1:2], 1, v[5:6]
	s_wait_alu 0xfffe
	s_or_b32 s7, s7, exec_lo
	s_or_b32 s8, s8, exec_lo
	s_delay_alu instid0(VALU_DEP_1)
	v_add_co_u32 v1, vcc_lo, s36, v1
	s_wait_alu 0xfffd
	v_add_co_ci_u32_e64 v2, null, s37, v2, vcc_lo
	global_load_u16 v1, v[1:2], off
	s_wait_loadcnt 0x0
	v_cmp_o_f16_e32 vcc_lo, v1, v1
	v_cmp_neq_f16_e64 s0, v1, v34
	v_mov_b32_e32 v1, v0
                                        ; implicit-def: $vgpr0
	s_or_b32 s9, s6, vcc_lo
	s_delay_alu instid0(SALU_CYCLE_1) | instskip(NEXT) | instid1(SALU_CYCLE_1)
	s_and_b32 s9, s0, s9
	s_and_saveexec_b32 s0, s9
	s_cbranch_execz .LBB129_273
; %bb.275:                              ;   in Loop: Header=BB129_274 Depth=1
	v_add_nc_u32_e32 v0, s27, v1
	v_add_nc_u32_e32 v5, s57, v5
	s_and_not1_b32 s8, s8, exec_lo
	s_wait_alu 0xfffe
	s_and_not1_b32 s7, s7, exec_lo
	v_cmp_le_u32_e32 vcc_lo, s28, v0
	s_and_b32 s9, vcc_lo, exec_lo
	s_delay_alu instid0(SALU_CYCLE_1)
	s_or_b32 s8, s8, s9
	s_branch .LBB129_273
.LBB129_276:
	s_or_b32 exec_lo, exec_lo, s1
	s_wait_alu 0xfffe
	s_and_saveexec_b32 s0, s2
	s_delay_alu instid0(SALU_CYCLE_1)
	s_xor_b32 s0, exec_lo, s0
	s_cbranch_execz .LBB129_278
; %bb.277:
	s_mul_i32 s0, s25, s33
	s_add_co_i32 s1, s25, 1
	s_sub_co_i32 s0, s26, s0
	v_mov_b32_e32 v2, 0
	s_sub_co_i32 s2, s0, s33
	s_cmp_ge_u32 s0, s33
	s_cselect_b32 s1, s1, s25
	s_wait_alu 0xfffe
	s_cselect_b32 s0, s2, s0
	s_add_co_i32 s2, s1, 1
	s_cmp_ge_u32 s0, s33
	s_wait_alu 0xfffe
	s_cselect_b32 s0, s2, s1
	s_delay_alu instid0(SALU_CYCLE_1) | instskip(SKIP_2) | instid1(SALU_CYCLE_1)
	s_mul_i32 s1, s0, s33
	s_mul_i32 s0, s0, s34
	s_sub_co_i32 s1, s26, s1
	s_mul_i32 s1, s1, s35
	s_delay_alu instid0(SALU_CYCLE_1) | instskip(SKIP_1) | instid1(SALU_CYCLE_1)
	s_add_co_i32 s0, s0, s1
	s_mov_b32 s1, 0
	s_lshl_b64 s[0:1], s[0:1], 3
	s_delay_alu instid0(SALU_CYCLE_1)
	s_add_nc_u64 s[0:1], s[40:41], s[0:1]
	global_store_b64 v2, v[1:2], s[0:1]
.LBB129_278:
	s_wait_alu 0xfffe
	s_or_b32 exec_lo, exec_lo, s5
.LBB129_279:
	s_wait_alu 0xfffe
	s_or_saveexec_b32 s0, s4
	s_mov_b32 s1, 0
	s_xor_b32 exec_lo, exec_lo, s0
	s_cbranch_execnz .LBB129_282
.LBB129_280:
	s_or_b32 exec_lo, exec_lo, s0
	s_delay_alu instid0(SALU_CYCLE_1)
	s_and_b32 s0, s1, exec_lo
	s_and_not1_saveexec_b32 s1, s3
	s_cbranch_execz .LBB129_265
.LBB129_281:
	s_or_b32 s0, s0, exec_lo
	s_trap 2
	s_or_b32 exec_lo, exec_lo, s1
	s_and_saveexec_b32 s1, s0
	s_cbranch_execnz .LBB129_266
	s_branch .LBB129_267
.LBB129_282:
	s_mov_b32 s1, exec_lo
	s_trap 2
	s_branch .LBB129_280
	.section	.rodata,"a",@progbits
	.p2align	6, 0x0
	.amdhsa_kernel _ZN2at6native12_GLOBAL__N_112gatherMedianIN3c104HalfEjLi2EEEvNS_4cuda6detail10TensorInfoIT_T0_EENS7_IlS9_EENS7_IKS8_S9_EES9_S9_S9_b
		.amdhsa_group_segment_fixed_size 4120
		.amdhsa_private_segment_fixed_size 0
		.amdhsa_kernarg_size 920
		.amdhsa_user_sgpr_count 2
		.amdhsa_user_sgpr_dispatch_ptr 0
		.amdhsa_user_sgpr_queue_ptr 0
		.amdhsa_user_sgpr_kernarg_segment_ptr 1
		.amdhsa_user_sgpr_dispatch_id 0
		.amdhsa_user_sgpr_private_segment_size 0
		.amdhsa_wavefront_size32 1
		.amdhsa_uses_dynamic_stack 0
		.amdhsa_enable_private_segment 0
		.amdhsa_system_sgpr_workgroup_id_x 1
		.amdhsa_system_sgpr_workgroup_id_y 1
		.amdhsa_system_sgpr_workgroup_id_z 1
		.amdhsa_system_sgpr_workgroup_info 0
		.amdhsa_system_vgpr_workitem_id 0
		.amdhsa_next_free_vgpr 63
		.amdhsa_next_free_sgpr 87
		.amdhsa_reserve_vcc 1
		.amdhsa_float_round_mode_32 0
		.amdhsa_float_round_mode_16_64 0
		.amdhsa_float_denorm_mode_32 3
		.amdhsa_float_denorm_mode_16_64 3
		.amdhsa_fp16_overflow 0
		.amdhsa_workgroup_processor_mode 1
		.amdhsa_memory_ordered 1
		.amdhsa_forward_progress 1
		.amdhsa_inst_pref_size 109
		.amdhsa_round_robin_scheduling 0
		.amdhsa_exception_fp_ieee_invalid_op 0
		.amdhsa_exception_fp_denorm_src 0
		.amdhsa_exception_fp_ieee_div_zero 0
		.amdhsa_exception_fp_ieee_overflow 0
		.amdhsa_exception_fp_ieee_underflow 0
		.amdhsa_exception_fp_ieee_inexact 0
		.amdhsa_exception_int_div_zero 0
	.end_amdhsa_kernel
	.section	.text._ZN2at6native12_GLOBAL__N_112gatherMedianIN3c104HalfEjLi2EEEvNS_4cuda6detail10TensorInfoIT_T0_EENS7_IlS9_EENS7_IKS8_S9_EES9_S9_S9_b,"axG",@progbits,_ZN2at6native12_GLOBAL__N_112gatherMedianIN3c104HalfEjLi2EEEvNS_4cuda6detail10TensorInfoIT_T0_EENS7_IlS9_EENS7_IKS8_S9_EES9_S9_S9_b,comdat
.Lfunc_end129:
	.size	_ZN2at6native12_GLOBAL__N_112gatherMedianIN3c104HalfEjLi2EEEvNS_4cuda6detail10TensorInfoIT_T0_EENS7_IlS9_EENS7_IKS8_S9_EES9_S9_S9_b, .Lfunc_end129-_ZN2at6native12_GLOBAL__N_112gatherMedianIN3c104HalfEjLi2EEEvNS_4cuda6detail10TensorInfoIT_T0_EENS7_IlS9_EENS7_IKS8_S9_EES9_S9_S9_b
                                        ; -- End function
	.set _ZN2at6native12_GLOBAL__N_112gatherMedianIN3c104HalfEjLi2EEEvNS_4cuda6detail10TensorInfoIT_T0_EENS7_IlS9_EENS7_IKS8_S9_EES9_S9_S9_b.num_vgpr, 63
	.set _ZN2at6native12_GLOBAL__N_112gatherMedianIN3c104HalfEjLi2EEEvNS_4cuda6detail10TensorInfoIT_T0_EENS7_IlS9_EENS7_IKS8_S9_EES9_S9_S9_b.num_agpr, 0
	.set _ZN2at6native12_GLOBAL__N_112gatherMedianIN3c104HalfEjLi2EEEvNS_4cuda6detail10TensorInfoIT_T0_EENS7_IlS9_EENS7_IKS8_S9_EES9_S9_S9_b.numbered_sgpr, 87
	.set _ZN2at6native12_GLOBAL__N_112gatherMedianIN3c104HalfEjLi2EEEvNS_4cuda6detail10TensorInfoIT_T0_EENS7_IlS9_EENS7_IKS8_S9_EES9_S9_S9_b.num_named_barrier, 0
	.set _ZN2at6native12_GLOBAL__N_112gatherMedianIN3c104HalfEjLi2EEEvNS_4cuda6detail10TensorInfoIT_T0_EENS7_IlS9_EENS7_IKS8_S9_EES9_S9_S9_b.private_seg_size, 0
	.set _ZN2at6native12_GLOBAL__N_112gatherMedianIN3c104HalfEjLi2EEEvNS_4cuda6detail10TensorInfoIT_T0_EENS7_IlS9_EENS7_IKS8_S9_EES9_S9_S9_b.uses_vcc, 1
	.set _ZN2at6native12_GLOBAL__N_112gatherMedianIN3c104HalfEjLi2EEEvNS_4cuda6detail10TensorInfoIT_T0_EENS7_IlS9_EENS7_IKS8_S9_EES9_S9_S9_b.uses_flat_scratch, 0
	.set _ZN2at6native12_GLOBAL__N_112gatherMedianIN3c104HalfEjLi2EEEvNS_4cuda6detail10TensorInfoIT_T0_EENS7_IlS9_EENS7_IKS8_S9_EES9_S9_S9_b.has_dyn_sized_stack, 0
	.set _ZN2at6native12_GLOBAL__N_112gatherMedianIN3c104HalfEjLi2EEEvNS_4cuda6detail10TensorInfoIT_T0_EENS7_IlS9_EENS7_IKS8_S9_EES9_S9_S9_b.has_recursion, 0
	.set _ZN2at6native12_GLOBAL__N_112gatherMedianIN3c104HalfEjLi2EEEvNS_4cuda6detail10TensorInfoIT_T0_EENS7_IlS9_EENS7_IKS8_S9_EES9_S9_S9_b.has_indirect_call, 0
	.section	.AMDGPU.csdata,"",@progbits
; Kernel info:
; codeLenInByte = 13888
; TotalNumSgprs: 89
; NumVgprs: 63
; ScratchSize: 0
; MemoryBound: 0
; FloatMode: 240
; IeeeMode: 1
; LDSByteSize: 4120 bytes/workgroup (compile time only)
; SGPRBlocks: 0
; VGPRBlocks: 7
; NumSGPRsForWavesPerEU: 89
; NumVGPRsForWavesPerEU: 63
; Occupancy: 16
; WaveLimiterHint : 1
; COMPUTE_PGM_RSRC2:SCRATCH_EN: 0
; COMPUTE_PGM_RSRC2:USER_SGPR: 2
; COMPUTE_PGM_RSRC2:TRAP_HANDLER: 0
; COMPUTE_PGM_RSRC2:TGID_X_EN: 1
; COMPUTE_PGM_RSRC2:TGID_Y_EN: 1
; COMPUTE_PGM_RSRC2:TGID_Z_EN: 1
; COMPUTE_PGM_RSRC2:TIDIG_COMP_CNT: 0
	.section	.text._ZN2at6native12_GLOBAL__N_112gatherMedianIN3c104HalfEjLi3EEEvNS_4cuda6detail10TensorInfoIT_T0_EENS7_IlS9_EENS7_IKS8_S9_EES9_S9_S9_b,"axG",@progbits,_ZN2at6native12_GLOBAL__N_112gatherMedianIN3c104HalfEjLi3EEEvNS_4cuda6detail10TensorInfoIT_T0_EENS7_IlS9_EENS7_IKS8_S9_EES9_S9_S9_b,comdat
	.globl	_ZN2at6native12_GLOBAL__N_112gatherMedianIN3c104HalfEjLi3EEEvNS_4cuda6detail10TensorInfoIT_T0_EENS7_IlS9_EENS7_IKS8_S9_EES9_S9_S9_b ; -- Begin function _ZN2at6native12_GLOBAL__N_112gatherMedianIN3c104HalfEjLi3EEEvNS_4cuda6detail10TensorInfoIT_T0_EENS7_IlS9_EENS7_IKS8_S9_EES9_S9_S9_b
	.p2align	8
	.type	_ZN2at6native12_GLOBAL__N_112gatherMedianIN3c104HalfEjLi3EEEvNS_4cuda6detail10TensorInfoIT_T0_EENS7_IlS9_EENS7_IKS8_S9_EES9_S9_S9_b,@function
_ZN2at6native12_GLOBAL__N_112gatherMedianIN3c104HalfEjLi3EEEvNS_4cuda6detail10TensorInfoIT_T0_EENS7_IlS9_EENS7_IKS8_S9_EES9_S9_S9_b: ; @_ZN2at6native12_GLOBAL__N_112gatherMedianIN3c104HalfEjLi3EEEvNS_4cuda6detail10TensorInfoIT_T0_EENS7_IlS9_EENS7_IKS8_S9_EES9_S9_S9_b
; %bb.0:
	s_clause 0x1
	s_load_b64 s[6:7], s[0:1], 0x298
	s_load_b128 s[28:31], s[0:1], 0x288
	s_lshr_b32 s2, ttmp7, 16
	s_and_b32 s3, ttmp7, 0xffff
	s_wait_kmcnt 0x0
	s_mul_i32 s2, s7, s2
	s_delay_alu instid0(SALU_CYCLE_1) | instskip(NEXT) | instid1(SALU_CYCLE_1)
	s_add_co_i32 s2, s2, s3
	s_mul_i32 s33, s2, s6
	s_delay_alu instid0(SALU_CYCLE_1) | instskip(NEXT) | instid1(SALU_CYCLE_1)
	s_add_co_i32 s33, s33, ttmp9
	s_cmp_ge_u32 s33, s29
	s_cbranch_scc1 .LBB130_267
; %bb.1:
	s_clause 0x2
	s_load_b64 s[34:35], s[0:1], 0xc
	s_load_b64 s[26:27], s[0:1], 0xe4
	;; [unrolled: 1-line block ×3, first 2 shown]
	s_mov_b32 s49, 0
	s_load_b96 s[16:18], s[0:1], 0x21c
	s_mov_b32 s45, s49
	s_wait_kmcnt 0x0
	s_cvt_f32_u32 s4, s35
	s_cvt_f32_u32 s7, s34
	;; [unrolled: 1-line block ×4, first 2 shown]
	v_rcp_iflag_f32_e32 v1, s4
	s_cvt_f32_u32 s11, s3
	v_rcp_iflag_f32_e32 v2, s9
	s_sub_co_i32 s9, 0, s35
	v_rcp_iflag_f32_e32 v3, s10
	v_rcp_iflag_f32_e32 v4, s11
	s_load_b64 s[4:5], s[0:1], 0x1b0
	v_readfirstlane_b32 s8, v1
	v_rcp_iflag_f32_e32 v1, s7
	v_readfirstlane_b32 s10, v2
	s_delay_alu instid0(TRANS32_DEP_2)
	v_readfirstlane_b32 s11, v4
	s_mul_f32 s7, s8, 0x4f7ffffe
	s_cvt_f32_u32 s8, s2
	s_mul_f32 s10, s10, 0x4f7ffffe
	s_wait_alu 0xfffe
	s_cvt_u32_f32 s7, s7
	v_rcp_iflag_f32_e32 v5, s8
	s_delay_alu instid0(TRANS32_DEP_2)
	v_readfirstlane_b32 s8, v1
	s_cvt_u32_f32 s10, s10
	s_wait_alu 0xfffe
	s_mul_i32 s9, s9, s7
	s_mul_f32 s11, s11, 0x4f7ffffe
	s_wait_alu 0xfffe
	s_mul_hi_u32 s9, s7, s9
	s_mul_f32 s8, s8, 0x4f7ffffe
	s_wait_alu 0xfffe
	s_add_co_i32 s7, s7, s9
	v_readfirstlane_b32 s9, v3
	s_wait_alu 0xfffe
	s_mul_hi_u32 s7, s33, s7
	s_cvt_u32_f32 s8, s8
	s_wait_alu 0xfffe
	s_mul_i32 s12, s7, s35
	s_add_co_i32 s13, s7, 1
	s_sub_co_i32 s12, s33, s12
	s_mul_f32 s9, s9, 0x4f7ffffe
	s_sub_co_i32 s14, s12, s35
	s_cmp_ge_u32 s12, s35
	v_mov_b32_e32 v3, 0
	s_cselect_b32 s7, s13, s7
	s_cselect_b32 s12, s14, s12
	s_wait_alu 0xfffe
	s_add_co_i32 s13, s7, 1
	s_cmp_ge_u32 s12, s35
	s_cvt_u32_f32 s9, s9
	s_cselect_b32 s48, s13, s7
	s_sub_co_i32 s7, 0, s27
	s_sub_co_i32 s12, 0, s34
	s_wait_alu 0xfffe
	s_mul_i32 s7, s7, s10
	s_mul_i32 s12, s12, s8
	s_wait_alu 0xfffe
	s_mul_hi_u32 s7, s10, s7
	s_wait_alu 0xfffe
	s_add_co_i32 s10, s10, s7
	s_wait_alu 0xfffe
	s_mul_hi_u32 s7, s33, s10
	s_mul_hi_u32 s10, s8, s12
	s_wait_alu 0xfffe
	s_mul_i32 s12, s7, s27
	s_add_co_i32 s8, s8, s10
	s_sub_co_i32 s10, s33, s12
	s_add_co_i32 s12, s7, 1
	s_wait_alu 0xfffe
	s_sub_co_i32 s13, s10, s27
	s_cmp_ge_u32 s10, s27
	s_cselect_b32 s7, s12, s7
	s_cselect_b32 s10, s13, s10
	s_wait_alu 0xfffe
	s_add_co_i32 s12, s7, 1
	s_cmp_ge_u32 s10, s27
	s_cvt_u32_f32 s10, s11
	s_cselect_b32 s44, s12, s7
	s_sub_co_i32 s7, 0, s3
	s_sub_co_i32 s12, 0, s26
	s_wait_alu 0xfffe
	s_mul_i32 s7, s7, s10
	s_mul_i32 s12, s12, s9
	s_wait_alu 0xfffe
	s_mul_hi_u32 s7, s10, s7
	v_readfirstlane_b32 s11, v5
	s_wait_alu 0xfffe
	s_add_co_i32 s10, s10, s7
	s_wait_alu 0xfffe
	s_mul_hi_u32 s7, s33, s10
	s_mul_hi_u32 s10, s9, s12
	s_wait_alu 0xfffe
	s_mul_i32 s12, s7, s3
	s_add_co_i32 s10, s9, s10
	s_sub_co_i32 s9, s33, s12
	s_add_co_i32 s12, s7, 1
	s_wait_alu 0xfffe
	s_sub_co_i32 s13, s9, s3
	s_cmp_ge_u32 s9, s3
	s_mul_f32 s11, s11, 0x4f7ffffe
	s_cselect_b32 s7, s12, s7
	s_cselect_b32 s9, s13, s9
	s_wait_alu 0xfffe
	s_add_co_i32 s12, s7, 1
	s_cmp_ge_u32 s9, s3
	s_cvt_u32_f32 s9, s11
	s_cselect_b32 s7, s12, s7
	s_sub_co_i32 s11, 0, s2
	s_wait_alu 0xfffe
	s_mul_i32 s3, s7, s3
	s_mul_i32 s11, s11, s9
	s_sub_co_i32 s3, s33, s3
	s_wait_alu 0xfffe
	s_mul_hi_u32 s11, s9, s11
	s_mul_i32 s3, s3, s18
	s_wait_alu 0xfffe
	s_add_co_i32 s9, s9, s11
	s_add_nc_u64 s[12:13], s[0:1], 0x298
	s_wait_alu 0xfffe
	s_mul_hi_u32 s9, s7, s9
	s_wait_alu 0xfffe
	s_mul_i32 s11, s9, s2
	s_add_co_i32 s14, s9, 1
	s_wait_alu 0xfffe
	s_sub_co_i32 s11, s7, s11
	s_wait_alu 0xfffe
	s_sub_co_i32 s15, s11, s2
	s_cmp_ge_u32 s11, s2
	s_cselect_b32 s9, s14, s9
	s_cselect_b32 s11, s15, s11
	s_wait_alu 0xfffe
	s_add_co_i32 s14, s9, 1
	s_cmp_ge_u32 s11, s2
	s_mov_b32 s15, s49
	s_cselect_b32 s11, s14, s9
	s_mov_b32 s9, s49
	s_wait_alu 0xfffe
	s_mul_i32 s2, s11, s2
	s_mul_i32 s11, s11, s16
	s_sub_co_i32 s2, s7, s2
	s_delay_alu instid0(SALU_CYCLE_1) | instskip(NEXT) | instid1(SALU_CYCLE_1)
	s_mul_i32 s2, s2, s17
	s_add_co_i32 s2, s2, s3
	s_wait_alu 0xfffe
	s_add_co_i32 s14, s2, s11
	v_cmp_gt_u32_e64 s2, s28, v0
	s_lshl_b64 s[14:15], s[14:15], 1
	s_mov_b32 s11, s49
	s_wait_kmcnt 0x0
	s_add_nc_u64 s[46:47], s[4:5], s[14:15]
	s_and_saveexec_b32 s4, s2
	s_cbranch_execz .LBB130_5
; %bb.2:
	s_load_b32 s3, s[12:13], 0xc
	v_mov_b32_e32 v2, 0
	v_mul_lo_u32 v1, v0, s30
	v_mov_b32_e32 v4, v0
	s_mov_b32 s7, s49
	s_delay_alu instid0(VALU_DEP_3)
	v_mov_b32_e32 v3, v2
	s_wait_kmcnt 0x0
	s_and_b32 s5, s3, 0xffff
	s_wait_alu 0xfffe
	s_mul_i32 s14, s30, s5
.LBB130_3:                              ; =>This Inner Loop Header: Depth=1
	v_lshlrev_b64_e32 v[5:6], 1, v[1:2]
	v_add_nc_u32_e32 v4, s5, v4
	v_add_nc_u32_e32 v1, s14, v1
	s_delay_alu instid0(VALU_DEP_3) | instskip(SKIP_1) | instid1(VALU_DEP_4)
	v_add_co_u32 v5, vcc_lo, s46, v5
	s_wait_alu 0xfffd
	v_add_co_ci_u32_e64 v6, null, s47, v6, vcc_lo
	v_cmp_le_u32_e32 vcc_lo, s28, v4
	global_load_u16 v5, v[5:6], off
	s_or_b32 s7, vcc_lo, s7
	s_wait_loadcnt 0x0
	v_cmp_u_f16_e64 s3, v5, v5
	s_wait_alu 0xf1ff
	s_delay_alu instid0(VALU_DEP_1)
	v_add_co_ci_u32_e64 v3, null, 0, v3, s3
	s_wait_alu 0xfffe
	s_and_not1_b32 exec_lo, exec_lo, s7
	s_cbranch_execnz .LBB130_3
; %bb.4:
	s_or_b32 exec_lo, exec_lo, s7
.LBB130_5:
	s_wait_alu 0xfffe
	s_or_b32 exec_lo, exec_lo, s4
	s_clause 0x3
	s_load_b96 s[36:38], s[0:1], 0x144
	s_load_b64 s[50:51], s[0:1], 0xd8
	s_load_b96 s[40:42], s[0:1], 0x6c
	s_load_b64 s[52:53], s[0:1], 0x0
	v_cmp_eq_u32_e64 s0, 0, v0
	s_mul_u64 s[54:55], s[48:49], s[8:9]
	s_mul_u64 s[24:25], s[44:45], s[10:11]
	s_and_saveexec_b32 s1, s0
; %bb.6:
	v_mov_b32_e32 v1, 0
	s_delay_alu instid0(VALU_DEP_1)
	v_mov_b32_e32 v2, v1
	ds_store_b64 v1, v[1:2] offset:4096
; %bb.7:
	s_or_b32 exec_lo, exec_lo, s1
	s_delay_alu instid0(SALU_CYCLE_1)
	s_mov_b32 s1, exec_lo
	s_wait_dscnt 0x0
	s_barrier_signal -1
	s_barrier_wait -1
	global_inv scope:SCOPE_SE
	v_cmpx_ne_u32_e32 0, v3
	s_cbranch_execz .LBB130_12
; %bb.8:
	v_mov_b32_e32 v1, 0
	s_mov_b32 s3, exec_lo
	s_mov_b64 s[4:5], 0
.LBB130_9:                              ; =>This Inner Loop Header: Depth=1
	s_wait_alu 0xfffe
	s_ctz_i32_b32 s7, s3
	s_wait_alu 0xfffe
	v_readlane_b32 s9, v1, s7
	v_readlane_b32 s8, v3, s7
	s_lshl_b32 s7, 1, s7
	s_wait_alu 0xfffe
	s_and_not1_b32 s3, s3, s7
	s_wait_alu 0xfffe
	s_cmp_lg_u32 s3, 0
	s_add_nc_u64 s[4:5], s[4:5], s[8:9]
	s_cbranch_scc1 .LBB130_9
; %bb.10:
	v_mbcnt_lo_u32_b32 v1, exec_lo, 0
	s_mov_b32 s3, exec_lo
	s_delay_alu instid0(VALU_DEP_1)
	v_cmpx_eq_u32_e32 0, v1
	s_wait_alu 0xfffe
	s_xor_b32 s3, exec_lo, s3
; %bb.11:
	v_mov_b32_e32 v1, s4
	v_dual_mov_b32 v3, 0 :: v_dual_mov_b32 v2, s5
	ds_add_u64 v3, v[1:2] offset:4096
.LBB130_12:
	s_or_b32 exec_lo, exec_lo, s1
	v_mov_b32_e32 v1, 0
	s_wait_loadcnt_dscnt 0x0
	s_barrier_signal -1
	s_barrier_wait -1
	global_inv scope:SCOPE_SE
	ds_load_b64 v[1:2], v1 offset:4096
	s_bitcmp1_b32 s31, 0
	s_mov_b32 s11, s28
	s_cselect_b32 s3, -1, 0
	s_wait_dscnt 0x0
	v_readfirstlane_b32 s4, v1
	v_readfirstlane_b32 s5, v2
	s_wait_alu 0xf1ff
	s_delay_alu instid0(VALU_DEP_1) | instskip(SKIP_2) | instid1(SALU_CYCLE_1)
	v_cmp_lt_i64_e64 s1, s[4:5], 1
	s_wait_alu 0xfffe
	s_or_b32 s1, s3, s1
	s_and_not1_b32 vcc_lo, exec_lo, s1
	s_wait_alu 0xfffe
	s_cbranch_vccnz .LBB130_14
; %bb.13:
	s_not_b64 s[4:5], s[4:5]
	s_mov_b32 s29, 0
	s_wait_alu 0xfffe
	s_add_nc_u64 s[4:5], s[4:5], s[28:29]
	s_mov_b32 s9, s29
	s_wait_alu 0xfffe
	s_lshr_b32 s8, s5, 31
	s_wait_alu 0xfffe
	s_add_nc_u64 s[4:5], s[4:5], s[8:9]
	s_wait_alu 0xfffe
	s_lshr_b64 s[4:5], s[4:5], 1
	s_wait_alu 0xfffe
	s_add_co_i32 s11, s4, 1
.LBB130_14:
	s_and_saveexec_b32 s1, s0
	s_cbranch_execz .LBB130_16
; %bb.15:
	v_dual_mov_b32 v1, 0 :: v_dual_mov_b32 v2, s28
	ds_store_b32 v1, v1 offset:4112
	ds_store_b64 v1, v[1:2] offset:4104
.LBB130_16:
	s_or_b32 exec_lo, exec_lo, s1
	s_wait_loadcnt_dscnt 0x0
	s_barrier_signal -1
	s_barrier_wait -1
	global_inv scope:SCOPE_SE
	s_load_b32 s5, s[12:13], 0xc
	v_dual_mov_b32 v7, 0 :: v_dual_lshlrev_b32 v14, 2, v0
	v_mbcnt_lo_u32_b32 v15, -1, 0
	v_mul_lo_u32 v5, s30, v0
	v_cmp_gt_u32_e32 vcc_lo, 32, v0
	v_dual_mov_b32 v35, s11 :: v_dual_lshlrev_b32 v16, 1, v0
	s_delay_alu instid0(VALU_DEP_4) | instskip(SKIP_2) | instid1(VALU_DEP_4)
	v_cmp_gt_i32_e64 s4, 4, v15
	v_mov_b32_e32 v6, v7
	v_lshlrev_b64_e64 v[3:4], v15, -1
	v_dual_mov_b32 v34, 0 :: v_dual_add_nc_u32 v17, 0xc00, v16
	s_and_b32 s39, vcc_lo, s4
	s_delay_alu instid0(VALU_DEP_3) | instskip(SKIP_1) | instid1(VALU_DEP_3)
	v_lshlrev_b64_e32 v[1:2], 1, v[5:6]
	s_mov_b32 s31, s30
	v_not_b32_e32 v18, v3
	s_wait_alu 0xfffe
	v_mad_co_u64_u32 v[12:13], null, s30, v14, s[30:31]
	v_cmp_gt_u32_e64 s1, 2, v0
	s_wait_kmcnt 0x0
	s_and_b32 s29, s5, 0xffff
	s_bfe_u32 s4, s5, 0xb0005
	s_wait_alu 0xfffe
	s_lshl_b32 s45, s29, 2
	s_add_co_i32 s43, s29, -1
	s_cvt_f32_u32 s5, s45
	s_add_co_i32 s10, s43, s28
	v_add_co_u32 v8, vcc_lo, s46, v1
	s_wait_alu 0xfffe
	v_rcp_iflag_f32_e32 v3, s5
	s_cmp_gt_u32 s28, 0x600
	s_wait_alu 0xfffd
	v_add_co_ci_u32_e64 v9, null, s47, v2, vcc_lo
	v_lshrrev_b32_e32 v2, 1, v0
	s_cselect_b32 s49, -1, 0
	s_cmp_gt_u32 s29, 31
	s_movk_i32 s5, 0x1f0
	s_cselect_b32 s64, -1, 0
	s_cmp_lt_u32 ttmp9, s6
	s_wait_alu 0xfffe
	v_and_or_b32 v19, v2, s5, 0xc00
	s_cselect_b32 s56, 12, 18
	s_add_co_i32 s5, s4, -1
	v_readfirstlane_b32 s6, v3
	s_wait_alu 0xfffe
	s_and_b32 s5, s5, 0xffff
	s_bfe_u32 s65, s29, 0x30005
	s_wait_alu 0xfffe
	s_cmp_gt_u32 s5, 6
	s_cvt_f32_u32 s5, s29
	s_cselect_b32 s66, -1, 0
	s_and_b32 s67, s4, 0x7f8
	s_mul_f32 s4, s6, 0x4f7ffffe
	s_cmp_lg_u32 s65, 0
	s_wait_alu 0xfffe
	v_rcp_iflag_f32_e32 v4, s5
	s_cselect_b32 s68, -1, 0
	s_cvt_u32_f32 s4, s4
	s_sub_co_i32 s6, 0, s45
	v_add_nc_u32_e32 v1, 2, v0
	v_mov_b32_e32 v31, 0x8000
	s_wait_alu 0xfffe
	s_mul_i32 s6, s6, s4
	v_mov_b32_e32 v13, 0
	s_wait_alu 0xfffe
	s_mul_hi_u32 s5, s4, s6
	v_max_u32_e32 v1, s28, v1
	s_wait_alu 0xfffe
	s_add_co_i32 s58, s4, s5
	v_readfirstlane_b32 s6, v4
	s_mul_hi_u32 s5, s28, s58
	v_mov_b32_e32 v32, 0
	s_wait_alu 0xfffe
	s_mul_i32 s5, s5, s45
	v_xad_u32 v1, v0, -1, v1
	s_wait_alu 0xfffe
	s_sub_co_i32 s5, s28, s5
	s_mul_f32 s6, s6, 0x4f7ffffe
	s_wait_alu 0xfffe
	s_sub_co_i32 s7, s5, s45
	s_cmp_ge_u32 s5, s45
	v_add_nc_u32_e32 v2, -2, v1
	s_wait_alu 0xfffe
	s_cselect_b32 s7, s7, s5
	s_cvt_u32_f32 s6, s6
	s_wait_alu 0xfffe
	s_sub_co_i32 s8, s7, s45
	s_cmp_ge_u32 s7, s45
	v_and_b32_e32 v20, -2, v1
	s_wait_alu 0xfffe
	s_cselect_b32 s14, s8, s7
	s_sub_co_i32 s7, 0, s29
	s_wait_alu 0xfffe
	s_sub_co_i32 s69, s28, s14
	s_mul_i32 s7, s7, s6
	v_add_nc_u32_e32 v22, s69, v0
	s_wait_alu 0xfffe
	s_mul_hi_u32 s7, s6, s7
	v_lshrrev_b32_e32 v3, 1, v2
	s_wait_alu 0xfffe
	s_add_co_i32 s60, s6, s7
	v_cmp_lt_u32_e64 s4, 31, v1
	v_mul_lo_u32 v6, v22, s30
	s_mul_hi_u32 s7, s10, s60
	v_cmp_lt_u32_e64 s5, 13, v2
	s_wait_alu 0xfffe
	s_mul_i32 s8, s7, s29
	v_cmp_ne_u32_e64 s7, v1, v20
	s_wait_alu 0xfffe
	s_sub_co_i32 s9, s10, s8
	v_add_nc_u32_e32 v3, 1, v3
	s_wait_alu 0xfffe
	s_sub_co_i32 s15, s9, s29
	v_lshlrev_b64_e32 v[1:2], 1, v[6:7]
	s_cmp_ge_u32 s9, s29
	v_cmp_eq_u32_e64 s3, 0, v15
	s_wait_alu 0xfffe
	s_cselect_b32 s15, s15, s9
	v_dual_mov_b32 v33, 0 :: v_dual_and_b32 v4, 7, v3
	v_add_co_u32 v10, vcc_lo, s46, v1
	v_add3_u32 v1, s29, s28, v0
	v_and_b32_e32 v23, -8, v3
	s_wait_alu 0xfffd
	v_add_co_ci_u32_e64 v11, null, s47, v2, vcc_lo
	v_or_b32_e32 v2, 2, v14
	v_or_b32_e32 v3, 3, v14
	v_subrev_nc_u32_e32 v1, s14, v1
	s_wait_alu 0xfffe
	s_sub_co_i32 s16, s15, s29
	s_cmp_ge_u32 s15, s29
	v_mul_lo_u32 v25, s30, v2
	s_cselect_b32 s15, s16, s15
	v_mul_lo_u32 v26, s30, v3
	v_mul_lo_u32 v28, s30, v1
	s_wait_alu 0xfffe
	s_sub_co_i32 s70, s10, s15
	v_add_nc_u32_e32 v21, v0, v20
	v_cmp_ne_u32_e64 s6, 0, v4
	v_cmp_gt_u32_e64 s8, s69, v14
	v_cmp_gt_u32_e64 s9, s28, v22
	;; [unrolled: 1-line block ×3, first 2 shown]
	v_lshlrev_b32_e32 v24, 2, v4
	v_lshlrev_b32_e32 v27, 2, v5
	;; [unrolled: 1-line block ×3, first 2 shown]
	v_lshl_or_b32 v30, v15, 2, 0xc00
	s_mov_b32 s57, 0
	s_mul_i32 s54, s30, s29
	s_mov_b32 s59, s57
	s_mov_b32 s61, s57
	s_lshl_b32 s71, s54, 2
	s_lshl_b32 s72, s29, 3
	;; [unrolled: 1-line block ×3, first 2 shown]
	s_mov_b32 s82, 14
	s_add_nc_u64 s[62:63], s[12:13], s[56:57]
	s_movk_i32 s75, 0x3c00
	s_mov_b32 s74, 0
                                        ; implicit-def: $sgpr79
                                        ; implicit-def: $sgpr81
                                        ; implicit-def: $sgpr76
                                        ; implicit-def: $sgpr78
                                        ; implicit-def: $sgpr80
                                        ; implicit-def: $sgpr77
	s_branch .LBB130_20
.LBB130_17:                             ;   in Loop: Header=BB130_20 Depth=1
	s_wait_alu 0xfffe
	s_or_b32 exec_lo, exec_lo, s15
	s_delay_alu instid0(SALU_CYCLE_1)
	s_and_b32 s12, s12, exec_lo
	s_and_not1_b32 s17, s17, exec_lo
	s_and_not1_b32 s16, s16, exec_lo
	s_or_not1_b32 s14, s14, exec_lo
.LBB130_18:                             ;   in Loop: Header=BB130_20 Depth=1
	s_wait_alu 0xfffe
	s_or_b32 exec_lo, exec_lo, s11
	s_delay_alu instid0(SALU_CYCLE_1)
	s_and_not1_b32 s11, s77, exec_lo
	s_and_b32 s12, s12, exec_lo
	s_and_not1_b32 s15, s78, exec_lo
	s_wait_alu 0xfffe
	s_or_b32 s77, s11, s12
	s_and_not1_b32 s11, s80, exec_lo
	s_and_b32 s12, s17, exec_lo
	s_and_b32 s16, s16, exec_lo
	s_wait_alu 0xfffe
	s_or_b32 s80, s11, s12
	s_or_b32 s78, s15, s16
	s_or_not1_b32 s15, s14, exec_lo
.LBB130_19:                             ;   in Loop: Header=BB130_20 Depth=1
	s_wait_alu 0xfffe
	s_or_b32 exec_lo, exec_lo, s13
	s_delay_alu instid0(SALU_CYCLE_1)
	s_and_b32 s11, exec_lo, s15
	v_mov_b32_e32 v35, v2
	s_wait_alu 0xfffe
	s_or_b32 s74, s11, s74
	s_and_not1_b32 s11, s76, exec_lo
	s_and_b32 s12, s77, exec_lo
	s_and_not1_b32 s13, s81, exec_lo
	s_wait_alu 0xfffe
	s_or_b32 s76, s11, s12
	s_and_b32 s11, s80, exec_lo
	s_and_not1_b32 s12, s79, exec_lo
	s_and_b32 s14, s78, exec_lo
	s_wait_alu 0xfffe
	s_or_b32 s81, s13, s11
	s_or_b32 s79, s12, s14
	s_mov_b32 s82, s22
	s_and_not1_b32 exec_lo, exec_lo, s74
	s_cbranch_execz .LBB130_263
.LBB130_20:                             ; =>This Loop Header: Depth=1
                                        ;     Child Loop BB130_25 Depth 2
                                        ;     Child Loop BB130_46 Depth 2
	;; [unrolled: 1-line block ×18, first 2 shown]
	ds_load_b64 v[1:2], v7 offset:4104
	s_wait_dscnt 0x0
	v_readfirstlane_b32 s56, v1
	s_cmp_lg_u32 s56, 0
	s_cbranch_scc1 .LBB130_65
; %bb.21:                               ;   in Loop: Header=BB130_20 Depth=1
	s_and_b32 vcc_lo, exec_lo, s49
	s_wait_alu 0xfffe
	s_cbranch_vccz .LBB130_33
; %bb.22:                               ;   in Loop: Header=BB130_20 Depth=1
	v_cmp_gt_u32_e32 vcc_lo, 0x601, v2
	s_mov_b32 s13, 0
	s_mov_b32 s11, 0
	s_cbranch_vccz .LBB130_34
; %bb.23:                               ;   in Loop: Header=BB130_20 Depth=1
	global_load_u16 v1, v[8:9], off
	s_load_u16 s14, s[62:63], 0x0
	s_mov_b32 s15, 0
	s_wait_kmcnt 0x0
	v_add_nc_u32_e32 v2, s14, v0
	s_mul_i32 s16, s30, s14
	s_delay_alu instid0(VALU_DEP_1)
	v_mul_lo_u32 v6, s30, v2
	v_mov_b32_e32 v2, v0
	s_branch .LBB130_25
.LBB130_24:                             ;   in Loop: Header=BB130_25 Depth=2
	s_wait_alu 0xfffe
	s_or_b32 exec_lo, exec_lo, s12
	v_dual_mov_b32 v1, v3 :: v_dual_add_nc_u32 v6, s16, v6
	s_and_not1_b32 exec_lo, exec_lo, s15
	s_cbranch_execz .LBB130_40
.LBB130_25:                             ;   Parent Loop BB130_20 Depth=1
                                        ; =>  This Inner Loop Header: Depth=2
	s_delay_alu instid0(VALU_DEP_1) | instskip(SKIP_3) | instid1(VALU_DEP_2)
	v_dual_mov_b32 v3, 0 :: v_dual_add_nc_u32 v2, s14, v2
	s_wait_dscnt 0x0
	v_mov_b32_e32 v4, 0
	s_mov_b32 s12, exec_lo
	v_cmp_le_u32_e32 vcc_lo, s28, v2
	v_cmpx_gt_u32_e64 s28, v2
	s_cbranch_execz .LBB130_27
; %bb.26:                               ;   in Loop: Header=BB130_25 Depth=2
	v_lshlrev_b64_e32 v[36:37], 1, v[6:7]
	s_delay_alu instid0(VALU_DEP_1) | instskip(SKIP_1) | instid1(VALU_DEP_2)
	v_add_co_u32 v36, s11, s46, v36
	s_wait_alu 0xf1ff
	v_add_co_ci_u32_e64 v37, null, s47, v37, s11
	global_load_u16 v3, v[36:37], off
.LBB130_27:                             ;   in Loop: Header=BB130_25 Depth=2
	s_wait_alu 0xfffe
	s_or_b32 exec_lo, exec_lo, s12
	s_wait_loadcnt 0x0
	v_cmp_lt_i16_e64 s11, -1, v1
	v_and_b32_e32 v36, 0xffff, v1
	s_wait_alu 0xf1ff
	s_delay_alu instid0(VALU_DEP_2) | instskip(SKIP_1) | instid1(VALU_DEP_2)
	v_cndmask_b32_e64 v37, 0xffff, v31, s11
	v_cmp_o_f16_e64 s11, v1, v1
	v_xor_b32_e32 v36, v37, v36
	s_wait_alu 0xf1ff
	s_delay_alu instid0(VALU_DEP_1) | instskip(NEXT) | instid1(VALU_DEP_1)
	v_cndmask_b32_e64 v36, 0xffff, v36, s11
	v_and_b32_e32 v36, v36, v33
	s_delay_alu instid0(VALU_DEP_1)
	v_cmp_eq_u32_e64 s11, v36, v13
	s_cmp_lg_u32 s11, 0
	s_cselect_b32 s12, -1, 0
	s_wait_alu 0xfffe
	s_and_b32 s12, s3, s12
	s_wait_alu 0xfffe
	s_and_saveexec_b32 s17, s12
	s_cbranch_execz .LBB130_31
; %bb.28:                               ;   in Loop: Header=BB130_25 Depth=2
	s_mov_b32 s20, exec_lo
	s_bcnt1_i32_b32 s18, s11
	s_wait_alu 0xfffe
	v_mbcnt_lo_u32_b32 v4, s20, 0
	s_mov_b32 s19, exec_lo
                                        ; implicit-def: $vgpr36
	s_delay_alu instid0(VALU_DEP_1)
	v_cmpx_eq_u32_e32 0, v4
; %bb.29:                               ;   in Loop: Header=BB130_25 Depth=2
	s_bcnt1_i32_b32 s12, s20
	s_wait_alu 0xfffe
	s_mul_i32 s12, s18, s12
	s_wait_alu 0xfffe
	v_mov_b32_e32 v36, s12
	ds_add_rtn_u32 v36, v7, v36 offset:4112
; %bb.30:                               ;   in Loop: Header=BB130_25 Depth=2
	s_or_b32 exec_lo, exec_lo, s19
	s_wait_dscnt 0x0
	v_readfirstlane_b32 s12, v36
	s_wait_alu 0xf1ff
	s_delay_alu instid0(VALU_DEP_1)
	v_mad_u32_u24 v4, s18, v4, s12
.LBB130_31:                             ;   in Loop: Header=BB130_25 Depth=2
	s_wait_alu 0xfffe
	s_or_b32 exec_lo, exec_lo, s17
	ds_bpermute_b32 v4, v7, v4
	s_and_b32 s12, exec_lo, vcc_lo
	s_wait_alu 0xfffe
	s_or_b32 s15, s12, s15
	s_and_saveexec_b32 s12, s11
	s_cbranch_execz .LBB130_24
; %bb.32:                               ;   in Loop: Header=BB130_25 Depth=2
	v_and_b32_e32 v36, s11, v18
	s_delay_alu instid0(VALU_DEP_1) | instskip(NEXT) | instid1(VALU_DEP_1)
	v_bcnt_u32_b32 v36, v36, 0
	v_lshlrev_b32_e32 v36, 1, v36
	s_wait_dscnt 0x0
	s_delay_alu instid0(VALU_DEP_1)
	v_lshl_add_u32 v4, v4, 1, v36
	ds_store_b16 v4, v1
	s_branch .LBB130_24
.LBB130_33:                             ;   in Loop: Header=BB130_20 Depth=1
	s_mov_b32 s13, -1
	s_mov_b32 s11, 0
.LBB130_34:                             ;   in Loop: Header=BB130_20 Depth=1
	s_wait_alu 0xfffe
	s_and_b32 vcc_lo, exec_lo, s13
	s_wait_alu 0xfffe
	s_cbranch_vccz .LBB130_63
.LBB130_35:                             ;   in Loop: Header=BB130_20 Depth=1
	s_and_saveexec_b32 s12, s2
	s_cbranch_execz .LBB130_60
; %bb.36:                               ;   in Loop: Header=BB130_20 Depth=1
	global_load_u16 v36, v[8:9], off
	s_load_u16 s14, s[62:63], 0x0
	v_mov_b32_e32 v3, v0
	s_mov_b32 s13, exec_lo
	s_wait_kmcnt 0x0
	v_add_nc_u32_e32 v1, s14, v0
	s_delay_alu instid0(VALU_DEP_1)
	v_cmpx_gt_u32_e64 s28, v1
	s_cbranch_execz .LBB130_59
; %bb.37:                               ;   in Loop: Header=BB130_20 Depth=1
	s_mov_b32 s11, 0
	s_mul_i32 s15, s30, s14
                                        ; implicit-def: $vgpr3
                                        ; implicit-def: $vgpr2
                                        ; implicit-def: $vgpr4
	s_and_saveexec_b32 s16, s4
	s_wait_alu 0xfffe
	s_xor_b32 s16, exec_lo, s16
	s_cbranch_execnz .LBB130_43
; %bb.38:                               ;   in Loop: Header=BB130_20 Depth=1
	s_wait_alu 0xfffe
	s_and_not1_saveexec_b32 s16, s16
	s_cbranch_execnz .LBB130_54
.LBB130_39:                             ;   in Loop: Header=BB130_20 Depth=1
	s_wait_alu 0xfffe
	s_or_b32 exec_lo, exec_lo, s16
	s_and_saveexec_b32 s15, s11
	s_cbranch_execnz .LBB130_55
	s_branch .LBB130_58
.LBB130_40:                             ;   in Loop: Header=BB130_20 Depth=1
	s_or_b32 exec_lo, exec_lo, s15
	s_wait_dscnt 0x0
	s_barrier_signal -1
	s_barrier_wait -1
	global_inv scope:SCOPE_SE
	s_and_saveexec_b32 s11, s0
	s_cbranch_execz .LBB130_42
; %bb.41:                               ;   in Loop: Header=BB130_20 Depth=1
	ds_load_b32 v1, v7 offset:4112
	s_wait_dscnt 0x0
	ds_store_b32 v7, v1 offset:4104
.LBB130_42:                             ;   in Loop: Header=BB130_20 Depth=1
	s_wait_alu 0xfffe
	s_or_b32 exec_lo, exec_lo, s11
	s_wait_loadcnt_dscnt 0x0
	s_barrier_signal -1
	s_mov_b32 s11, -1
	s_barrier_wait -1
	s_and_b32 vcc_lo, exec_lo, s13
	s_wait_alu 0xfffe
	s_cbranch_vccnz .LBB130_35
	s_branch .LBB130_63
.LBB130_43:                             ;   in Loop: Header=BB130_20 Depth=1
	v_add_nc_u32_e32 v2, s14, v1
	s_cvt_f32_u32 s11, s14
	s_wait_alu 0xfffe
	s_delay_alu instid0(SALU_CYCLE_2) | instskip(NEXT) | instid1(VALU_DEP_1)
	v_rcp_iflag_f32_e32 v3, s11
	v_max_u32_e32 v2, s28, v2
	s_lshl_b32 s11, s14, 1
	s_delay_alu instid0(VALU_DEP_1) | instskip(NEXT) | instid1(TRANS32_DEP_1)
	v_sub_nc_u32_e32 v2, v2, v0
	v_readfirstlane_b32 s17, v3
	s_wait_alu 0xfffe
	s_delay_alu instid0(VALU_DEP_2) | instskip(SKIP_3) | instid1(VALU_DEP_1)
	v_cmp_ne_u32_e32 vcc_lo, s11, v2
	s_mul_f32 s17, s17, 0x4f7ffffe
	s_wait_alu 0xfffd
	v_cndmask_b32_e64 v3, 0, 1, vcc_lo
	v_or_b32_e32 v3, s11, v3
	s_wait_alu 0xfffe
	s_cvt_u32_f32 s11, s17
	s_sub_co_i32 s17, 0, s14
	s_wait_alu 0xfffe
	s_delay_alu instid0(SALU_CYCLE_1)
	s_mul_i32 s17, s17, s11
	v_sub_nc_u32_e32 v2, v2, v3
	s_wait_alu 0xfffe
	s_mul_hi_u32 s17, s11, s17
	s_wait_alu 0xfffe
	s_add_co_i32 s11, s11, s17
	s_not_b32 s17, s15
	s_wait_alu 0xfffe
	v_mul_hi_u32 v3, v2, s11
	s_delay_alu instid0(VALU_DEP_1) | instskip(NEXT) | instid1(VALU_DEP_1)
	v_mul_lo_u32 v4, v3, s14
	v_sub_nc_u32_e32 v2, v2, v4
	v_add_nc_u32_e32 v4, 1, v3
	s_delay_alu instid0(VALU_DEP_2) | instskip(SKIP_2) | instid1(VALU_DEP_1)
	v_subrev_nc_u32_e32 v6, s14, v2
	v_cmp_le_u32_e64 s11, s14, v2
	s_wait_alu 0xf1ff
	v_cndmask_b32_e64 v3, v3, v4, s11
	s_delay_alu instid0(VALU_DEP_3) | instskip(NEXT) | instid1(VALU_DEP_2)
	v_cndmask_b32_e64 v2, v2, v6, s11
	v_add_nc_u32_e32 v4, 1, v3
	s_delay_alu instid0(VALU_DEP_2) | instskip(SKIP_1) | instid1(VALU_DEP_1)
	v_cmp_le_u32_e64 s11, s14, v2
	s_wait_alu 0xf1ff
	v_cndmask_b32_e64 v2, v3, v4, s11
	v_mul_lo_u32 v3, s30, v1
	s_abs_i32 s11, s15
	s_delay_alu instid0(VALU_DEP_2) | instskip(SKIP_1) | instid1(VALU_DEP_1)
	v_add_co_ci_u32_e64 v2, null, 0, v2, vcc_lo
	s_wait_alu 0xfffe
	v_mul_hi_u32 v4, s11, v2
	v_mul_lo_u32 v2, s11, v2
	s_ashr_i32 s11, s17, 31
	s_cmp_eq_u32 s14, 1
	s_wait_alu 0xfffe
	v_xor_b32_e32 v3, s11, v3
	s_cselect_b32 s17, -1, 0
	s_delay_alu instid0(VALU_DEP_3) | instskip(NEXT) | instid1(VALU_DEP_2)
	v_cmp_eq_u32_e32 vcc_lo, 0, v4
	v_cmp_le_u32_e64 s11, v2, v3
	v_mov_b32_e32 v2, v0
                                        ; implicit-def: $vgpr3
	s_wait_alu 0xfffe
	s_and_b32 s17, vcc_lo, s17
	s_wait_alu 0xfffe
	s_and_b32 s18, s17, s11
	s_mov_b32 s17, -1
	s_wait_alu 0xfffe
	s_and_saveexec_b32 s11, s18
	s_cbranch_execz .LBB130_53
; %bb.44:                               ;   in Loop: Header=BB130_20 Depth=1
	v_add_nc_u32_e32 v2, 1, v1
	s_wait_loadcnt 0x0
	v_dual_mov_b32 v6, 0 :: v_dual_lshlrev_b32 v39, 16, v36
                                        ; implicit-def: $vgpr36
	s_delay_alu instid0(VALU_DEP_2)
	v_dual_mov_b32 v4, v2 :: v_dual_mov_b32 v3, v1
	s_and_saveexec_b32 s17, s5
	s_cbranch_execz .LBB130_48
; %bb.45:                               ;   in Loop: Header=BB130_20 Depth=1
	v_dual_mov_b32 v37, v23 :: v_dual_mov_b32 v38, v16
	v_dual_mov_b32 v4, v2 :: v_dual_mov_b32 v3, v1
	s_mov_b32 s18, 0
	s_mov_b32 s19, 0
.LBB130_46:                             ;   Parent Loop BB130_20 Depth=1
                                        ; =>  This Inner Loop Header: Depth=2
	s_delay_alu instid0(VALU_DEP_1) | instskip(NEXT) | instid1(VALU_DEP_2)
	v_add_nc_u32_e32 v2, 2, v4
	v_mul_lo_u32 v6, v3, s30
	v_add_nc_u32_e32 v36, 4, v4
	v_mul_lo_u32 v41, v4, s31
	v_mov_b32_e32 v42, v7
	v_lshrrev_b32_e32 v40, 16, v39
	v_add_nc_u32_e32 v39, 6, v4
	v_mul_lo_u32 v43, v2, s31
	v_dual_mov_b32 v44, v7 :: v_dual_add_nc_u32 v49, 8, v4
	v_mul_lo_u32 v45, v36, s31
	v_dual_mov_b32 v46, v7 :: v_dual_add_nc_u32 v51, 10, v4
	v_mul_lo_u32 v47, v39, s31
	v_lshlrev_b64_e32 v[53:54], 1, v[6:7]
	v_mul_lo_u32 v49, v49, s31
	v_lshlrev_b64_e32 v[41:42], 1, v[41:42]
	v_dual_mov_b32 v48, v7 :: v_dual_add_nc_u32 v39, 6, v3
	v_mul_lo_u32 v51, v51, s31
	v_lshlrev_b64_e32 v[43:44], 1, v[43:44]
	v_dual_mov_b32 v50, v7 :: v_dual_add_nc_u32 v55, 8, v3
	v_lshlrev_b64_e32 v[45:46], 1, v[45:46]
	v_add_co_u32 v53, vcc_lo, s46, v53
	v_dual_mov_b32 v52, v7 :: v_dual_add_nc_u32 v57, 10, v3
	v_lshlrev_b64_e32 v[47:48], 1, v[47:48]
	s_wait_alu 0xfffd
	v_add_co_ci_u32_e64 v54, null, s47, v54, vcc_lo
	v_add_co_u32 v41, vcc_lo, s46, v41
	v_lshlrev_b64_e32 v[49:50], 1, v[49:50]
	s_wait_alu 0xfffd
	v_add_co_ci_u32_e64 v42, null, s47, v42, vcc_lo
	v_add_co_u32 v43, vcc_lo, s46, v43
	;; [unrolled: 4-line block ×3, first 2 shown]
	s_wait_alu 0xfffd
	v_add_co_ci_u32_e64 v46, null, s47, v46, vcc_lo
	v_add_co_u32 v47, vcc_lo, s46, v47
	s_wait_alu 0xfffd
	v_add_co_ci_u32_e64 v48, null, s47, v48, vcc_lo
	v_add_co_u32 v49, vcc_lo, s46, v49
	s_wait_alu 0xfffd
	v_add_co_ci_u32_e64 v50, null, s47, v50, vcc_lo
	v_add_co_u32 v51, vcc_lo, s46, v51
	s_wait_alu 0xfffd
	v_add_co_ci_u32_e64 v52, null, s47, v52, vcc_lo
	s_clause 0x6
	global_load_d16_hi_b16 v40, v[53:54], off
	global_load_u16 v41, v[41:42], off
	global_load_u16 v42, v[43:44], off
	;; [unrolled: 1-line block ×6, first 2 shown]
	v_add_nc_u32_e32 v2, 2, v3
	v_add_nc_u32_e32 v6, 12, v4
	v_dual_mov_b32 v50, v7 :: v_dual_add_nc_u32 v49, 14, v4
	v_add_nc_u32_e32 v36, 4, v3
	v_dual_mov_b32 v48, v7 :: v_dual_add_nc_u32 v59, 12, v3
	s_delay_alu instid0(VALU_DEP_4)
	v_mul_lo_u32 v47, v6, s31
	v_mul_lo_u32 v6, v2, s30
	v_mul_lo_u32 v49, v49, s31
	s_wait_alu 0xfffe
	s_add_co_i32 s19, s19, 16
	v_add_nc_u32_e32 v61, 14, v3
	v_add_nc_u32_e32 v37, -8, v37
	v_add_nc_u32_e32 v4, 16, v4
	v_add_nc_u32_e32 v3, 16, v3
	v_lshlrev_b64_e32 v[47:48], 1, v[47:48]
	v_lshlrev_b64_e32 v[51:52], 1, v[6:7]
	v_mul_lo_u32 v6, v36, s30
	v_lshlrev_b64_e32 v[49:50], 1, v[49:50]
	s_delay_alu instid0(VALU_DEP_4) | instskip(SKIP_2) | instid1(VALU_DEP_4)
	v_add_co_u32 v47, vcc_lo, s46, v47
	s_wait_alu 0xfffd
	v_add_co_ci_u32_e64 v48, null, s47, v48, vcc_lo
	v_lshlrev_b64_e32 v[53:54], 1, v[6:7]
	v_mul_lo_u32 v6, v39, s30
	v_add_co_u32 v49, vcc_lo, s46, v49
	s_wait_alu 0xfffd
	v_add_co_ci_u32_e64 v50, null, s47, v50, vcc_lo
	v_add_co_u32 v51, vcc_lo, s46, v51
	s_wait_alu 0xfffd
	v_add_co_ci_u32_e64 v52, null, s47, v52, vcc_lo
	global_load_u16 v2, v[47:48], off
	v_add_co_u32 v47, vcc_lo, s46, v53
	s_wait_alu 0xfffd
	v_add_co_ci_u32_e64 v48, null, s47, v54, vcc_lo
	v_lshlrev_b64_e32 v[53:54], 1, v[6:7]
	v_mul_lo_u32 v6, v55, s30
	s_delay_alu instid0(VALU_DEP_2) | instskip(SKIP_1) | instid1(VALU_DEP_3)
	v_add_co_u32 v53, vcc_lo, s46, v53
	s_wait_alu 0xfffd
	v_add_co_ci_u32_e64 v54, null, s47, v54, vcc_lo
	s_delay_alu instid0(VALU_DEP_3) | instskip(SKIP_1) | instid1(VALU_DEP_2)
	v_lshlrev_b64_e32 v[55:56], 1, v[6:7]
	v_mul_lo_u32 v6, v57, s30
	v_add_co_u32 v55, vcc_lo, s46, v55
	s_wait_alu 0xfffd
	s_delay_alu instid0(VALU_DEP_3) | instskip(NEXT) | instid1(VALU_DEP_3)
	v_add_co_ci_u32_e64 v56, null, s47, v56, vcc_lo
	v_lshlrev_b64_e32 v[57:58], 1, v[6:7]
	v_mul_lo_u32 v6, v59, s30
	s_delay_alu instid0(VALU_DEP_2) | instskip(SKIP_1) | instid1(VALU_DEP_3)
	v_add_co_u32 v57, vcc_lo, s46, v57
	s_wait_alu 0xfffd
	v_add_co_ci_u32_e64 v58, null, s47, v58, vcc_lo
	s_delay_alu instid0(VALU_DEP_3) | instskip(SKIP_1) | instid1(VALU_DEP_2)
	v_lshlrev_b64_e32 v[59:60], 1, v[6:7]
	v_mul_lo_u32 v6, v61, s30
	v_add_co_u32 v59, vcc_lo, s46, v59
	s_wait_alu 0xfffd
	s_delay_alu instid0(VALU_DEP_3) | instskip(NEXT) | instid1(VALU_DEP_3)
	v_add_co_ci_u32_e64 v60, null, s47, v60, vcc_lo
	v_lshlrev_b64_e32 v[61:62], 1, v[6:7]
	s_wait_alu 0xfffe
	v_mov_b32_e32 v6, s19
	s_delay_alu instid0(VALU_DEP_2) | instskip(SKIP_1) | instid1(VALU_DEP_3)
	v_add_co_u32 v61, vcc_lo, s46, v61
	s_wait_alu 0xfffd
	v_add_co_ci_u32_e64 v62, null, s47, v62, vcc_lo
	v_cmp_eq_u32_e32 vcc_lo, 0, v37
	s_wait_loadcnt 0x6
	global_load_d16_hi_b16 v41, v[51:52], off
	s_wait_loadcnt 0x6
	global_load_d16_hi_b16 v42, v[47:48], off
	;; [unrolled: 2-line block ×3, first 2 shown]
	s_wait_loadcnt 0x6
	s_clause 0x1
	global_load_d16_hi_b16 v44, v[55:56], off
	global_load_u16 v39, v[61:62], off
	s_wait_loadcnt 0x7
	global_load_d16_hi_b16 v45, v[57:58], off
	s_wait_loadcnt 0x7
	s_clause 0x1
	global_load_d16_hi_b16 v46, v[59:60], off
	global_load_u16 v36, v[49:50], off
	s_or_b32 s18, vcc_lo, s18
	s_wait_loadcnt 0x3
	v_perm_b32 v47, v39, v2, 0x5040100
	ds_store_b128 v38, v[40:43]
	s_wait_loadcnt 0x1
	ds_store_b128 v38, v[44:47] offset:16
	s_wait_loadcnt 0x0
	v_perm_b32 v39, v36, v39, 0x5040100
	v_add_nc_u32_e32 v38, 32, v38
	s_wait_alu 0xfffe
	s_and_not1_b32 exec_lo, exec_lo, s18
	s_cbranch_execnz .LBB130_46
; %bb.47:                               ;   in Loop: Header=BB130_20 Depth=1
	s_or_b32 exec_lo, exec_lo, s18
.LBB130_48:                             ;   in Loop: Header=BB130_20 Depth=1
	s_wait_alu 0xfffe
	s_or_b32 exec_lo, exec_lo, s17
	s_and_saveexec_b32 s17, s6
	s_cbranch_execz .LBB130_52
; %bb.49:                               ;   in Loop: Header=BB130_20 Depth=1
	v_lshl_add_u32 v2, v6, 1, v16
	v_mov_b32_e32 v37, v24
	s_mov_b32 s18, 0
.LBB130_50:                             ;   Parent Loop BB130_20 Depth=1
                                        ; =>  This Inner Loop Header: Depth=2
	v_mul_lo_u32 v6, v3, s30
	v_mul_lo_u32 v40, v4, s31
	v_dual_mov_b32 v41, v7 :: v_dual_add_nc_u32 v4, 2, v4
	v_add_nc_u32_e32 v37, -4, v37
	v_add_nc_u32_e32 v3, 2, v3
	v_lshlrev_b64_e32 v[42:43], 1, v[6:7]
	s_delay_alu instid0(VALU_DEP_4) | instskip(NEXT) | instid1(VALU_DEP_2)
	v_lshlrev_b64_e32 v[40:41], 1, v[40:41]
	v_add_co_u32 v42, vcc_lo, s46, v42
	s_wait_alu 0xfffd
	s_delay_alu instid0(VALU_DEP_3) | instskip(NEXT) | instid1(VALU_DEP_3)
	v_add_co_ci_u32_e64 v43, null, s47, v43, vcc_lo
	v_add_co_u32 v40, vcc_lo, s46, v40
	s_wait_alu 0xfffd
	v_add_co_ci_u32_e64 v41, null, s47, v41, vcc_lo
	s_clause 0x1
	global_load_u16 v6, v[42:43], off
	global_load_u16 v36, v[40:41], off
	v_cmp_eq_u32_e32 vcc_lo, 0, v37
	s_wait_alu 0xfffe
	s_or_b32 s18, vcc_lo, s18
	s_wait_loadcnt 0x1
	v_alignbit_b32 v38, v6, v39, 16
	s_wait_loadcnt 0x0
	v_perm_b32 v39, v36, v6, 0x5040100
	ds_store_b32 v2, v38
	v_add_nc_u32_e32 v2, 4, v2
	s_wait_alu 0xfffe
	s_and_not1_b32 exec_lo, exec_lo, s18
	s_cbranch_execnz .LBB130_50
; %bb.51:                               ;   in Loop: Header=BB130_20 Depth=1
	s_or_b32 exec_lo, exec_lo, s18
.LBB130_52:                             ;   in Loop: Header=BB130_20 Depth=1
	s_wait_alu 0xfffe
	s_or_b32 exec_lo, exec_lo, s17
	v_add_nc_u32_e32 v1, v1, v20
	s_or_not1_b32 s17, s7, exec_lo
	s_delay_alu instid0(VALU_DEP_1)
	v_dual_mov_b32 v2, v21 :: v_dual_add_nc_u32 v3, -1, v1
.LBB130_53:                             ;   in Loop: Header=BB130_20 Depth=1
	s_wait_alu 0xfffe
	s_or_b32 exec_lo, exec_lo, s11
	v_mov_b32_e32 v4, s15
	s_and_b32 s11, s17, exec_lo
	s_and_not1_saveexec_b32 s16, s16
	s_cbranch_execz .LBB130_39
.LBB130_54:                             ;   in Loop: Header=BB130_20 Depth=1
	s_wait_alu 0xfffe
	v_mov_b32_e32 v4, s15
	v_mov_b32_e32 v2, v0
	s_or_b32 s11, s11, exec_lo
	s_or_b32 exec_lo, exec_lo, s16
	s_wait_alu 0xfffe
	s_and_saveexec_b32 s15, s11
	s_cbranch_execz .LBB130_58
.LBB130_55:                             ;   in Loop: Header=BB130_20 Depth=1
	v_mul_lo_u32 v6, s30, v1
	s_mov_b32 s16, 0
	s_sub_co_i32 s11, 0, s14
.LBB130_56:                             ;   Parent Loop BB130_20 Depth=1
                                        ; =>  This Inner Loop Header: Depth=2
	s_delay_alu instid0(VALU_DEP_1) | instskip(SKIP_2) | instid1(VALU_DEP_2)
	v_lshlrev_b64_e32 v[37:38], 1, v[6:7]
	s_wait_loadcnt 0x0
	v_dual_mov_b32 v3, v36 :: v_dual_add_nc_u32 v6, v6, v4
	v_add_co_u32 v37, vcc_lo, s46, v37
	s_wait_alu 0xfffd
	s_delay_alu instid0(VALU_DEP_3) | instskip(SKIP_2) | instid1(VALU_DEP_1)
	v_add_co_ci_u32_e64 v38, null, s47, v38, vcc_lo
	global_load_u16 v36, v[37:38], off
	v_dual_mov_b32 v37, v1 :: v_dual_lshlrev_b32 v38, 1, v2
	v_dual_mov_b32 v2, v37 :: v_dual_add_nc_u32 v1, s14, v37
	ds_store_b16 v38, v3
	v_cmp_le_u32_e32 vcc_lo, s28, v1
	s_wait_alu 0xfffe
	s_or_b32 s16, vcc_lo, s16
	s_wait_alu 0xfffe
	s_and_not1_b32 exec_lo, exec_lo, s16
	s_cbranch_execnz .LBB130_56
; %bb.57:                               ;   in Loop: Header=BB130_20 Depth=1
	s_or_b32 exec_lo, exec_lo, s16
	v_add_nc_u32_e32 v3, s11, v1
.LBB130_58:                             ;   in Loop: Header=BB130_20 Depth=1
	s_wait_alu 0xfffe
	s_or_b32 exec_lo, exec_lo, s15
.LBB130_59:                             ;   in Loop: Header=BB130_20 Depth=1
	s_wait_alu 0xfffe
	s_or_b32 exec_lo, exec_lo, s13
	v_lshlrev_b32_e32 v1, 1, v3
	s_wait_loadcnt 0x0
	ds_store_b16 v1, v36
.LBB130_60:                             ;   in Loop: Header=BB130_20 Depth=1
	s_wait_alu 0xfffe
	s_or_b32 exec_lo, exec_lo, s12
	s_wait_loadcnt_dscnt 0x0
	s_barrier_signal -1
	s_barrier_wait -1
	global_inv scope:SCOPE_SE
	s_and_saveexec_b32 s11, s0
; %bb.61:                               ;   in Loop: Header=BB130_20 Depth=1
	v_mov_b32_e32 v1, s28
	ds_store_b32 v7, v1 offset:4104
; %bb.62:                               ;   in Loop: Header=BB130_20 Depth=1
	s_wait_alu 0xfffe
	s_or_b32 exec_lo, exec_lo, s11
	s_mov_b32 s11, -1
	s_wait_loadcnt_dscnt 0x0
	s_barrier_signal -1
	s_barrier_wait -1
.LBB130_63:                             ;   in Loop: Header=BB130_20 Depth=1
	s_wait_alu 0xfffe
	s_and_b32 vcc_lo, exec_lo, s11
	s_mov_b32 s56, 0
	s_wait_alu 0xfffe
	s_cbranch_vccz .LBB130_65
; %bb.64:                               ;   in Loop: Header=BB130_20 Depth=1
	s_wait_loadcnt 0x0
	global_inv scope:SCOPE_SE
	ds_load_b32 v1, v7 offset:4104
	s_wait_dscnt 0x0
	v_readfirstlane_b32 s56, v1
.LBB130_65:                             ;   in Loop: Header=BB130_20 Depth=1
	s_delay_alu instid0(VALU_DEP_1)
	s_cmp_lt_i32 s56, 1
	s_mov_b32 s11, -1
                                        ; implicit-def: $vgpr1
	s_cbranch_scc1 .LBB130_75
; %bb.66:                               ;   in Loop: Header=BB130_20 Depth=1
	s_wait_alu 0xfffe
	s_and_b32 vcc_lo, exec_lo, s11
	s_wait_alu 0xfffe
	s_cbranch_vccnz .LBB130_86
.LBB130_67:                             ;   in Loop: Header=BB130_20 Depth=1
	v_lshlrev_b32_e32 v6, 7, v32
	s_and_saveexec_b32 s11, s3
.LBB130_68:                             ;   in Loop: Header=BB130_20 Depth=1
	s_delay_alu instid0(VALU_DEP_1)
	v_lshl_add_u32 v36, v6, 2, v19
	ds_store_b128 v36, v[1:4]
.LBB130_69:                             ;   in Loop: Header=BB130_20 Depth=1
	s_wait_alu 0xfffe
	s_or_b32 exec_lo, exec_lo, s11
	s_wait_loadcnt_dscnt 0x0
	s_barrier_signal -1
	s_barrier_wait -1
	global_inv scope:SCOPE_SE
	s_and_saveexec_b32 s11, s39
	s_cbranch_execz .LBB130_99
; %bb.70:                               ;   in Loop: Header=BB130_20 Depth=1
	v_mov_b32_e32 v1, 0
	s_and_not1_b32 vcc_lo, exec_lo, s64
	s_wait_alu 0xfffe
	s_cbranch_vccnz .LBB130_98
; %bb.71:                               ;   in Loop: Header=BB130_20 Depth=1
	s_and_not1_b32 vcc_lo, exec_lo, s66
	s_wait_alu 0xfffe
	s_cbranch_vccnz .LBB130_95
; %bb.72:                               ;   in Loop: Header=BB130_20 Depth=1
	v_lshl_add_u32 v2, v32, 9, v30
	v_mov_b32_e32 v1, 0
	s_mov_b32 s12, 0
.LBB130_73:                             ;   Parent Loop BB130_20 Depth=1
                                        ; =>  This Inner Loop Header: Depth=2
	ds_load_2addr_b32 v[3:4], v2 offset1:4
	ds_load_2addr_b32 v[36:37], v2 offset0:8 offset1:12
	ds_load_2addr_b32 v[38:39], v2 offset0:16 offset1:20
	;; [unrolled: 1-line block ×3, first 2 shown]
	v_add_nc_u32_e32 v2, 0x80, v2
	s_wait_alu 0xfffe
	s_add_co_i32 s12, s12, 8
	s_wait_alu 0xfffe
	s_cmp_eq_u32 s67, s12
	s_wait_dscnt 0x3
	v_add3_u32 v1, v3, v1, v4
	s_wait_dscnt 0x2
	s_delay_alu instid0(VALU_DEP_1) | instskip(SKIP_1) | instid1(VALU_DEP_1)
	v_add3_u32 v1, v36, v1, v37
	s_wait_dscnt 0x1
	v_add3_u32 v1, v38, v1, v39
	s_wait_dscnt 0x0
	s_delay_alu instid0(VALU_DEP_1)
	v_add3_u32 v1, v40, v1, v41
	s_cbranch_scc0 .LBB130_73
; %bb.74:                               ;   in Loop: Header=BB130_20 Depth=1
	s_mov_b32 s12, s67
	s_and_not1_b32 vcc_lo, exec_lo, s68
	s_wait_alu 0xfffe
	s_cbranch_vccz .LBB130_96
	s_branch .LBB130_98
.LBB130_75:                             ;   in Loop: Header=BB130_20 Depth=1
	v_dual_mov_b32 v1, 0 :: v_dual_mov_b32 v2, 0
	v_dual_mov_b32 v3, 0 :: v_dual_mov_b32 v4, 0
	s_and_saveexec_b32 s22, s8
	s_cbranch_execz .LBB130_79
; %bb.76:                               ;   in Loop: Header=BB130_20 Depth=1
	v_mov_b32_e32 v36, v14
	s_mov_b32 s23, 0
	s_mov_b32 s24, 0
	;; [unrolled: 1-line block ×6, first 2 shown]
.LBB130_77:                             ;   Parent Loop BB130_20 Depth=1
                                        ; =>  This Inner Loop Header: Depth=2
	s_wait_alu 0xfffe
	v_add_nc_u32_e32 v6, s24, v27
	v_add_nc_u32_e32 v36, s45, v36
	s_delay_alu instid0(VALU_DEP_2) | instskip(SKIP_1) | instid1(VALU_DEP_1)
	v_lshlrev_b64_e32 v[1:2], 1, v[6:7]
	v_add_nc_u32_e32 v6, s24, v12
	v_lshlrev_b64_e32 v[3:4], 1, v[6:7]
	s_delay_alu instid0(VALU_DEP_3) | instskip(SKIP_3) | instid1(VALU_DEP_4)
	v_add_co_u32 v1, vcc_lo, s46, v1
	v_add_nc_u32_e32 v6, s24, v25
	s_wait_alu 0xfffd
	v_add_co_ci_u32_e64 v2, null, s47, v2, vcc_lo
	v_add_co_u32 v3, vcc_lo, s46, v3
	s_delay_alu instid0(VALU_DEP_3)
	v_lshlrev_b64_e32 v[37:38], 1, v[6:7]
	v_add_nc_u32_e32 v6, s24, v26
	s_wait_alu 0xfffd
	v_add_co_ci_u32_e64 v4, null, s47, v4, vcc_lo
	global_load_u16 v39, v[1:2], off
	s_add_co_i32 s24, s24, s71
	v_lshlrev_b64_e32 v[1:2], 1, v[6:7]
	global_load_u16 v6, v[3:4], off
	v_add_co_u32 v3, vcc_lo, s46, v37
	s_wait_alu 0xfffd
	v_add_co_ci_u32_e64 v4, null, s47, v38, vcc_lo
	v_add_co_u32 v1, vcc_lo, s46, v1
	s_wait_alu 0xfffd
	v_add_co_ci_u32_e64 v2, null, s47, v2, vcc_lo
	global_load_u16 v3, v[3:4], off
	v_cmp_le_u32_e32 vcc_lo, s69, v36
	global_load_u16 v1, v[1:2], off
	s_wait_loadcnt 0x3
	v_cmp_lt_i16_e64 s11, -1, v39
	v_and_b32_e32 v2, 0xffff, v39
	s_wait_loadcnt 0x2
	v_and_b32_e32 v37, 0xffff, v6
	s_wait_alu 0xf1ff
	v_cndmask_b32_e64 v4, 0xffff, v31, s11
	v_cmp_lt_i16_e64 s11, -1, v6
	s_delay_alu instid0(VALU_DEP_2) | instskip(SKIP_1) | instid1(VALU_DEP_2)
	v_xor_b32_e32 v2, v4, v2
	s_wait_alu 0xf1ff
	v_cndmask_b32_e64 v38, 0xffff, v31, s11
	v_cmp_o_f16_e64 s11, v39, v39
	s_wait_loadcnt 0x1
	v_cmp_lt_i16_e64 s12, -1, v3
	s_wait_loadcnt 0x0
	v_cmp_o_f16_e64 s16, v1, v1
	v_xor_b32_e32 v4, v38, v37
	s_wait_alu 0xf1ff
	v_cndmask_b32_e64 v2, 0xffff, v2, s11
	v_cmp_o_f16_e64 s11, v6, v6
	v_and_b32_e32 v37, 0xffff, v3
	v_cndmask_b32_e64 v38, 0xffff, v31, s12
	s_delay_alu instid0(VALU_DEP_4)
	v_and_b32_e32 v39, v2, v33
	s_wait_alu 0xf1ff
	v_cndmask_b32_e64 v4, 0xffff, v4, s11
	v_cmp_lt_i16_e64 s11, -1, v1
	v_xor_b32_e32 v6, v38, v37
	v_bfe_u32 v2, v2, s82, 2
	v_and_b32_e32 v37, 0xffff, v1
	s_wait_alu 0xf1ff
	v_cndmask_b32_e64 v38, 0xffff, v31, s11
	v_cmp_o_f16_e64 s11, v3, v3
	v_cmp_eq_u32_e64 s12, 0, v2
	v_cmp_eq_u32_e64 s13, 1, v2
	;; [unrolled: 1-line block ×4, first 2 shown]
	s_wait_alu 0xf1ff
	v_cndmask_b32_e64 v3, 0xffff, v6, s11
	v_cmp_eq_u32_e64 s11, v39, v13
	v_xor_b32_e32 v6, v38, v37
	v_and_b32_e32 v37, v4, v33
	v_bfe_u32 v4, v4, s82, 2
	v_and_b32_e32 v2, v3, v33
	s_and_b32 s12, s11, s12
	v_cndmask_b32_e64 v1, 0xffff, v6, s16
	v_cmp_eq_u32_e64 s16, v37, v13
	v_cmp_eq_u32_e64 s17, 0, v4
	s_wait_alu 0xfffe
	v_cndmask_b32_e64 v6, 0, 1, s12
	v_cmp_eq_u32_e64 s12, 1, v4
	s_and_b32 s13, s11, s13
	v_bfe_u32 v3, v3, s82, 2
	s_wait_alu 0xfffe
	v_cndmask_b32_e64 v37, 0, 1, s13
	v_cmp_eq_u32_e64 s13, 2, v4
	s_and_b32 s14, s11, s14
	s_and_b32 s11, s11, s15
	s_wait_alu 0xfffe
	v_cndmask_b32_e64 v38, 0, 1, s14
	s_and_b32 s17, s16, s17
	s_and_b32 s12, s16, s12
	v_cmp_eq_u32_e64 s14, 3, v4
	v_cndmask_b32_e64 v4, 0, 1, s11
	v_cmp_eq_u32_e64 s11, v2, v13
	v_cmp_eq_u32_e64 s15, 0, v3
	v_cmp_ne_u32_e64 s18, 0, v6
	s_wait_alu 0xfffe
	v_cndmask_b32_e64 v6, 0, 1, s17
	v_cmp_eq_u32_e64 s17, 1, v3
	v_cmp_ne_u32_e64 s19, 0, v37
	v_cndmask_b32_e64 v37, 0, 1, s12
	v_cmp_eq_u32_e64 s12, 2, v3
	s_and_b32 s13, s16, s13
	v_and_b32_e32 v2, v1, v33
	v_bfe_u32 v1, v1, s82, 2
	v_cmp_ne_u32_e64 s20, 0, v38
	s_wait_alu 0xfffe
	v_cndmask_b32_e64 v38, 0, 1, s13
	v_cmp_eq_u32_e64 s13, 3, v3
	s_and_b32 s14, s16, s14
	s_and_b32 s15, s11, s15
	;; [unrolled: 1-line block ×4, first 2 shown]
	v_cmp_ne_u32_e64 s21, 0, v4
	s_wait_alu 0xfffe
	v_cndmask_b32_e64 v3, 0, 1, s14
	v_cmp_eq_u32_e64 s14, v2, v13
	v_cmp_eq_u32_e64 s16, 0, v1
	s_bcnt1_i32_b32 s87, s18
	v_cmp_ne_u32_e64 s18, 0, v6
	v_cndmask_b32_e64 v2, 0, 1, s15
	v_cmp_eq_u32_e64 s15, 1, v1
	v_cndmask_b32_e64 v4, 0, 1, s17
	v_cmp_eq_u32_e64 s17, 2, v1
	;; [unrolled: 2-line block ×3, first 2 shown]
	s_and_b32 s11, s11, s13
	s_bcnt1_i32_b32 s90, s21
	s_wait_alu 0xfffe
	v_cndmask_b32_e64 v1, 0, 1, s11
	v_cmp_ne_u32_e64 s21, 0, v3
	s_and_b32 s13, s14, s16
	s_and_b32 s15, s14, s15
	s_and_b32 s16, s14, s17
	s_and_b32 s12, s14, s12
	v_cmp_ne_u32_e64 s11, 0, v2
	s_wait_alu 0xfffe
	v_cndmask_b32_e64 v2, 0, 1, s13
	v_cmp_ne_u32_e64 s13, 0, v4
	v_cndmask_b32_e64 v3, 0, 1, s15
	v_cndmask_b32_e64 v4, 0, 1, s16
	v_cmp_ne_u32_e64 s16, 0, v1
	v_cndmask_b32_e64 v1, 0, 1, s12
	s_bcnt1_i32_b32 s88, s19
	v_cmp_ne_u32_e64 s19, 0, v37
	s_bcnt1_i32_b32 s89, s20
	v_cmp_ne_u32_e64 s20, 0, v38
	s_add_co_i32 s83, s90, s83
	v_cmp_ne_u32_e64 s15, 0, v6
	s_bcnt1_i32_b32 s17, s21
	s_bcnt1_i32_b32 s21, s11
	s_wait_alu 0xfffe
	s_add_co_i32 s17, s83, s17
	v_cmp_ne_u32_e64 s11, 0, v2
	s_bcnt1_i32_b32 s83, s13
	v_cmp_ne_u32_e64 s12, 0, v3
	v_cmp_ne_u32_e64 s13, 0, v4
	;; [unrolled: 1-line block ×3, first 2 shown]
	s_add_co_i32 s86, s87, s86
	s_add_co_i32 s85, s88, s85
	;; [unrolled: 1-line block ×3, first 2 shown]
	s_bcnt1_i32_b32 s18, s18
	s_bcnt1_i32_b32 s19, s19
	;; [unrolled: 1-line block ×3, first 2 shown]
	s_wait_alu 0xfffe
	s_add_co_i32 s18, s86, s18
	s_add_co_i32 s19, s85, s19
	;; [unrolled: 1-line block ×3, first 2 shown]
	s_bcnt1_i32_b32 s15, s15
	s_bcnt1_i32_b32 s16, s16
	s_wait_alu 0xfffe
	s_add_co_i32 s18, s18, s21
	s_add_co_i32 s19, s19, s83
	;; [unrolled: 1-line block ×4, first 2 shown]
	s_bcnt1_i32_b32 s11, s11
	s_bcnt1_i32_b32 s12, s12
	;; [unrolled: 1-line block ×4, first 2 shown]
	s_wait_alu 0xfffe
	s_add_co_i32 s86, s18, s11
	s_add_co_i32 s85, s19, s12
	;; [unrolled: 1-line block ×4, first 2 shown]
	s_wait_alu 0xfffe
	v_dual_mov_b32 v1, s86 :: v_dual_mov_b32 v2, s85
	v_dual_mov_b32 v3, s84 :: v_dual_mov_b32 v4, s83
	s_or_b32 s23, vcc_lo, s23
	s_wait_alu 0xfffe
	s_and_not1_b32 exec_lo, exec_lo, s23
	s_cbranch_execnz .LBB130_77
; %bb.78:                               ;   in Loop: Header=BB130_20 Depth=1
	s_or_b32 exec_lo, exec_lo, s23
.LBB130_79:                             ;   in Loop: Header=BB130_20 Depth=1
	s_wait_alu 0xfffe
	s_or_b32 exec_lo, exec_lo, s22
	s_and_saveexec_b32 s15, s9
	s_cbranch_execz .LBB130_85
; %bb.80:                               ;   in Loop: Header=BB130_20 Depth=1
	global_load_u16 v38, v[10:11], off
	v_mov_b32_e32 v6, v28
	v_mov_b32_e32 v36, v22
	s_mov_b32 s16, 0
	s_branch .LBB130_82
.LBB130_81:                             ;   in Loop: Header=BB130_82 Depth=2
	s_wait_alu 0xfffe
	s_or_b32 exec_lo, exec_lo, s12
	s_wait_loadcnt 0x0
	v_cmp_lt_i16_e64 s11, -1, v38
	v_and_b32_e32 v39, 0xffff, v38
	s_and_b32 s12, exec_lo, vcc_lo
	v_add_nc_u32_e32 v6, s54, v6
	s_wait_alu 0xfffe
	s_or_b32 s16, s12, s16
	v_cndmask_b32_e64 v40, 0xffff, v31, s11
	v_cmp_o_f16_e64 s11, v38, v38
	s_delay_alu instid0(VALU_DEP_2) | instskip(SKIP_1) | instid1(VALU_DEP_1)
	v_xor_b32_e32 v39, v40, v39
	s_wait_alu 0xf1ff
	v_cndmask_b32_e64 v38, 0xffff, v39, s11
	s_delay_alu instid0(VALU_DEP_1) | instskip(SKIP_1) | instid1(VALU_DEP_2)
	v_and_b32_e32 v39, v38, v33
	v_bfe_u32 v38, v38, s82, 2
	v_cmp_eq_u32_e32 vcc_lo, v39, v13
	s_delay_alu instid0(VALU_DEP_2)
	v_cmp_eq_u32_e64 s11, 0, v38
	v_cmp_eq_u32_e64 s12, 1, v38
	;; [unrolled: 1-line block ×4, first 2 shown]
	s_and_b32 s11, vcc_lo, s11
	s_wait_alu 0xfffe
	v_cndmask_b32_e64 v38, 0, 1, s11
	s_and_b32 s11, vcc_lo, s12
	s_wait_alu 0xfffe
	v_cndmask_b32_e64 v39, 0, 1, s11
	s_and_b32 s11, vcc_lo, s13
	s_wait_alu 0xfffe
	v_cndmask_b32_e64 v40, 0, 1, s11
	s_and_b32 s11, vcc_lo, s14
	v_cmp_ne_u32_e32 vcc_lo, 0, v38
	s_wait_alu 0xfffe
	v_cndmask_b32_e64 v41, 0, 1, s11
	v_cmp_ne_u32_e64 s11, 0, v39
	v_cmp_ne_u32_e64 s12, 0, v40
	v_mov_b32_e32 v38, v37
	s_bcnt1_i32_b32 s14, vcc_lo
	v_cmp_ne_u32_e64 s13, 0, v41
	s_bcnt1_i32_b32 s11, s11
	s_bcnt1_i32_b32 s12, s12
	s_wait_alu 0xfffe
	v_add_nc_u32_e32 v1, s14, v1
	v_add_nc_u32_e32 v2, s11, v2
	s_bcnt1_i32_b32 s13, s13
	v_add_nc_u32_e32 v3, s12, v3
	s_wait_alu 0xfffe
	v_add_nc_u32_e32 v4, s13, v4
	s_and_not1_b32 exec_lo, exec_lo, s16
	s_cbranch_execz .LBB130_84
.LBB130_82:                             ;   Parent Loop BB130_20 Depth=1
                                        ; =>  This Inner Loop Header: Depth=2
	s_delay_alu instid0(VALU_DEP_1) | instskip(SKIP_1) | instid1(VALU_DEP_1)
	v_dual_mov_b32 v37, 0 :: v_dual_add_nc_u32 v36, s29, v36
	s_mov_b32 s12, exec_lo
	v_cmp_le_u32_e32 vcc_lo, s28, v36
	v_cmpx_gt_u32_e64 s28, v36
	s_cbranch_execz .LBB130_81
; %bb.83:                               ;   in Loop: Header=BB130_82 Depth=2
	v_lshlrev_b64_e32 v[39:40], 1, v[6:7]
	s_delay_alu instid0(VALU_DEP_1) | instskip(SKIP_1) | instid1(VALU_DEP_2)
	v_add_co_u32 v39, s11, s46, v39
	s_wait_alu 0xf1fe
	v_add_co_ci_u32_e64 v40, null, s47, v40, s11
	global_load_u16 v37, v[39:40], off
	s_branch .LBB130_81
.LBB130_84:                             ;   in Loop: Header=BB130_20 Depth=1
	s_or_b32 exec_lo, exec_lo, s16
.LBB130_85:                             ;   in Loop: Header=BB130_20 Depth=1
	s_wait_alu 0xfffe
	s_or_b32 exec_lo, exec_lo, s15
	s_branch .LBB130_67
.LBB130_86:                             ;   in Loop: Header=BB130_20 Depth=1
	s_mul_u64 s[12:13], s[56:57], s[58:59]
	v_dual_mov_b32 v1, 0 :: v_dual_mov_b32 v2, 0
	s_wait_alu 0xfffe
	s_mul_i32 s11, s13, s45
	v_dual_mov_b32 v3, 0 :: v_dual_mov_b32 v4, 0
	s_wait_alu 0xfffe
	s_sub_co_i32 s11, s56, s11
	s_mov_b32 s84, exec_lo
	s_wait_alu 0xfffe
	s_sub_co_i32 s12, s11, s45
	s_cmp_ge_u32 s11, s45
	s_wait_alu 0xfffe
	s_cselect_b32 s11, s12, s11
	s_wait_alu 0xfffe
	s_sub_co_i32 s12, s11, s45
	s_cmp_ge_u32 s11, s45
	s_wait_alu 0xfffe
	s_cselect_b32 s11, s12, s11
	s_wait_alu 0xfffe
	s_sub_co_i32 s83, s56, s11
	s_wait_alu 0xfffe
	v_cmpx_gt_u32_e64 s83, v14
	s_cbranch_execz .LBB130_90
; %bb.87:                               ;   in Loop: Header=BB130_20 Depth=1
	v_mov_b32_e32 v6, v29
	v_mov_b32_e32 v36, v14
	s_mov_b32 s85, 0
	s_mov_b32 s86, 0
	;; [unrolled: 1-line block ×5, first 2 shown]
.LBB130_88:                             ;   Parent Loop BB130_20 Depth=1
                                        ; =>  This Inner Loop Header: Depth=2
	ds_load_b64 v[1:2], v6
	s_wait_dscnt 0x0
	v_cmp_lt_i16_e64 s11, -1, v1
	v_lshrrev_b32_e32 v3, 16, v1
	v_lshrrev_b32_e32 v40, 16, v2
	v_and_b32_e32 v4, 0xffff, v1
	v_and_b32_e32 v38, 0xffff, v2
	s_wait_alu 0xf1ff
	v_cndmask_b32_e64 v37, 0xffff, v31, s11
	v_cmp_lt_i16_e64 s11, -1, v2
	v_cmp_lt_i16_e64 s12, -1, v40
	s_delay_alu instid0(VALU_DEP_3) | instskip(SKIP_1) | instid1(VALU_DEP_3)
	v_xor_b32_e32 v4, v37, v4
	s_wait_alu 0xf1ff
	v_cndmask_b32_e64 v39, 0xffff, v31, s11
	v_cmp_lt_i16_e64 s11, -1, v3
	s_delay_alu instid0(VALU_DEP_2) | instskip(SKIP_1) | instid1(VALU_DEP_2)
	v_xor_b32_e32 v38, v39, v38
	s_wait_alu 0xf1ff
	v_cndmask_b32_e64 v37, 0xffff, v31, s11
	v_cmp_o_f16_e64 s11, v2, v2
	v_cndmask_b32_e64 v2, 0xffff, v31, s12
	v_cmp_o_f16_e64 s12, v1, v1
	s_delay_alu instid0(VALU_DEP_2) | instskip(SKIP_1) | instid1(VALU_DEP_2)
	v_xor_b32_e32 v2, v2, v40
	s_wait_alu 0xf1ff
	v_cndmask_b32_e64 v1, 0xffff, v4, s12
	v_xor_b32_e32 v4, v37, v3
	v_cmp_o_f16_e64 s12, v3, v3
	v_cndmask_b32_e64 v37, 0xffff, v38, s11
	v_cmp_o_f16_e64 s11, v40, v40
	s_wait_alu 0xf1ff
	s_delay_alu instid0(VALU_DEP_3)
	v_cndmask_b32_e64 v3, 0xffff, v4, s12
	v_and_b32_e32 v4, v1, v33
	v_bfe_u32 v1, v1, s82, 2
	v_and_b32_e32 v38, v37, v33
	v_bfe_u32 v37, v37, s82, 2
	v_cndmask_b32_e64 v2, 0xffff, v2, s11
	v_cmp_eq_u32_e64 s11, v4, v13
	v_and_b32_e32 v4, v3, v33
	v_bfe_u32 v3, v3, s82, 2
	v_cmp_eq_u32_e64 s13, 0, v1
	v_cmp_eq_u32_e64 s15, 1, v1
	v_cmp_eq_u32_e64 s17, 2, v1
	v_cmp_eq_u32_e64 s12, v38, v13
	v_cmp_eq_u32_e64 s14, 0, v37
	v_cmp_eq_u32_e64 s16, 1, v37
	v_cmp_eq_u32_e64 s18, 2, v37
	v_cmp_eq_u32_e64 s19, 3, v1
	v_and_b32_e32 v38, v2, v33
	v_bfe_u32 v2, v2, s82, 2
	v_cmp_eq_u32_e64 s20, 3, v37
	v_cmp_eq_u32_e64 s21, v4, v13
	;; [unrolled: 1-line block ×3, first 2 shown]
	s_and_b32 s13, s11, s13
	s_and_b32 s15, s11, s15
	;; [unrolled: 1-line block ×3, first 2 shown]
	s_wait_alu 0xfffe
	v_cndmask_b32_e64 v1, 0, 1, s13
	s_and_b32 s13, s12, s14
	v_cndmask_b32_e64 v37, 0, 1, s15
	s_and_b32 s15, s12, s16
	;; [unrolled: 2-line block ×3, first 2 shown]
	s_and_b32 s11, s11, s19
	v_cmp_eq_u32_e64 s22, v38, v13
	v_cmp_eq_u32_e64 s24, 0, v2
	s_wait_alu 0xfffe
	v_cndmask_b32_e64 v4, 0, 1, s13
	v_cmp_eq_u32_e64 s13, 1, v3
	v_cmp_eq_u32_e64 s14, 1, v2
	v_cndmask_b32_e64 v38, 0, 1, s15
	v_cmp_eq_u32_e64 s15, 2, v3
	v_cmp_eq_u32_e64 s16, 2, v2
	;; [unrolled: 3-line block ×3, first 2 shown]
	v_cndmask_b32_e64 v2, 0, 1, s11
	s_and_b32 s11, s12, s20
	s_and_b32 s12, s21, s23
	s_wait_alu 0xfffe
	v_cndmask_b32_e64 v3, 0, 1, s11
	v_cmp_ne_u32_e64 s11, 0, v1
	v_cndmask_b32_e64 v1, 0, 1, s12
	s_and_b32 s19, s22, s24
	s_and_b32 s13, s21, s13
	s_and_b32 s14, s22, s14
	s_and_b32 s15, s21, s15
	s_and_b32 s16, s22, s16
	s_and_b32 s17, s21, s17
	v_cmp_ne_u32_e64 s12, 0, v4
	s_wait_alu 0xfffe
	v_cndmask_b32_e64 v4, 0, 1, s19
	v_cmp_ne_u32_e64 s19, 0, v37
	v_cndmask_b32_e64 v37, 0, 1, s13
	v_cmp_ne_u32_e64 s13, 0, v38
	;; [unrolled: 2-line block ×5, first 2 shown]
	v_cndmask_b32_e64 v2, 0, 1, s17
	s_bcnt1_i32_b32 s20, s11
	v_cmp_ne_u32_e64 s11, 0, v1
	s_and_b32 s18, s22, s18
	v_cmp_ne_u32_e64 s17, 0, v3
	s_wait_alu 0xfffe
	v_cndmask_b32_e64 v3, 0, 1, s18
	s_bcnt1_i32_b32 s21, s12
	v_cmp_ne_u32_e64 s12, 0, v4
	v_cmp_ne_u32_e64 s18, 0, v37
	s_bcnt1_i32_b32 s23, s14
	v_cmp_ne_u32_e64 s14, 0, v39
	s_bcnt1_i32_b32 s90, s16
	v_cmp_ne_u32_e64 s16, 0, v2
	s_add_co_i32 s20, s20, s89
	s_bcnt1_i32_b32 s11, s11
	s_bcnt1_i32_b32 s19, s19
	s_wait_alu 0xfffe
	s_add_co_i32 s11, s20, s11
	s_bcnt1_i32_b32 s22, s13
	v_cmp_ne_u32_e64 s13, 0, v38
	s_bcnt1_i32_b32 s24, s15
	v_cmp_ne_u32_e64 s15, 0, v40
	;; [unrolled: 2-line block ×3, first 2 shown]
	s_bcnt1_i32_b32 s12, s12
	s_wait_alu 0xfffe
	s_add_co_i32 s11, s11, s21
	s_add_co_i32 s19, s19, s88
	;; [unrolled: 1-line block ×4, first 2 shown]
	s_bcnt1_i32_b32 s18, s18
	s_bcnt1_i32_b32 s14, s14
	;; [unrolled: 1-line block ×3, first 2 shown]
	s_wait_alu 0xfffe
	s_add_co_i32 s89, s11, s12
	s_wait_alu 0xfffe
	v_dual_mov_b32 v1, s89 :: v_dual_add_nc_u32 v36, s45, v36
	s_add_co_i32 s18, s19, s18
	s_add_co_i32 s14, s23, s14
	;; [unrolled: 1-line block ×3, first 2 shown]
	s_bcnt1_i32_b32 s13, s13
	s_bcnt1_i32_b32 s15, s15
	;; [unrolled: 1-line block ×3, first 2 shown]
	s_wait_alu 0xfffe
	s_add_co_i32 s18, s18, s22
	s_add_co_i32 s14, s14, s24
	s_add_co_i32 s16, s16, s91
	v_cmp_le_u32_e32 vcc_lo, s83, v36
	s_wait_alu 0xfffe
	s_add_co_i32 s88, s18, s13
	s_add_co_i32 s87, s14, s15
	;; [unrolled: 1-line block ×3, first 2 shown]
	s_wait_alu 0xfffe
	v_dual_mov_b32 v3, s87 :: v_dual_add_nc_u32 v6, s72, v6
	v_mov_b32_e32 v2, s88
	v_mov_b32_e32 v4, s86
	s_or_b32 s85, vcc_lo, s85
	s_wait_alu 0xfffe
	s_and_not1_b32 exec_lo, exec_lo, s85
	s_cbranch_execnz .LBB130_88
; %bb.89:                               ;   in Loop: Header=BB130_20 Depth=1
	s_or_b32 exec_lo, exec_lo, s85
.LBB130_90:                             ;   in Loop: Header=BB130_20 Depth=1
	s_delay_alu instid0(SALU_CYCLE_1) | instskip(SKIP_2) | instid1(VALU_DEP_1)
	s_or_b32 exec_lo, exec_lo, s84
	v_add_nc_u32_e32 v6, s83, v0
	s_mov_b32 s16, exec_lo
	v_cmpx_gt_u32_e64 s56, v6
	s_cbranch_execz .LBB130_94
; %bb.91:                               ;   in Loop: Header=BB130_20 Depth=1
	v_lshlrev_b32_e32 v36, 1, v6
	s_mov_b32 s17, 0
.LBB130_92:                             ;   Parent Loop BB130_20 Depth=1
                                        ; =>  This Inner Loop Header: Depth=2
	ds_load_u16 v37, v36
	v_add_nc_u32_e32 v6, s29, v6
	v_add_nc_u32_e32 v36, s73, v36
	s_delay_alu instid0(VALU_DEP_2) | instskip(SKIP_4) | instid1(VALU_DEP_2)
	v_cmp_le_u32_e32 vcc_lo, s56, v6
	s_wait_dscnt 0x0
	v_cmp_lt_i16_e64 s11, -1, v37
	v_and_b32_e32 v38, 0xffff, v37
	s_wait_alu 0xf1ff
	v_cndmask_b32_e64 v39, 0xffff, v31, s11
	v_cmp_o_f16_e64 s11, v37, v37
	s_delay_alu instid0(VALU_DEP_2) | instskip(SKIP_1) | instid1(VALU_DEP_1)
	v_xor_b32_e32 v38, v39, v38
	s_wait_alu 0xf1ff
	v_cndmask_b32_e64 v37, 0xffff, v38, s11
	s_delay_alu instid0(VALU_DEP_1) | instskip(SKIP_1) | instid1(VALU_DEP_2)
	v_and_b32_e32 v38, v37, v33
	v_bfe_u32 v37, v37, s82, 2
	v_cmp_eq_u32_e64 s11, v38, v13
	s_delay_alu instid0(VALU_DEP_2)
	v_cmp_eq_u32_e64 s12, 0, v37
	v_cmp_eq_u32_e64 s13, 1, v37
	;; [unrolled: 1-line block ×4, first 2 shown]
	s_and_b32 s12, s11, s12
	s_wait_alu 0xfffe
	v_cndmask_b32_e64 v37, 0, 1, s12
	s_and_b32 s12, s11, s13
	s_wait_alu 0xfffe
	v_cndmask_b32_e64 v38, 0, 1, s12
	s_and_b32 s12, s11, s14
	s_and_b32 s11, s11, s15
	s_wait_alu 0xfffe
	v_cndmask_b32_e64 v39, 0, 1, s12
	v_cndmask_b32_e64 v40, 0, 1, s11
	v_cmp_ne_u32_e64 s11, 0, v37
	v_cmp_ne_u32_e64 s12, 0, v38
	s_delay_alu instid0(VALU_DEP_4) | instskip(NEXT) | instid1(VALU_DEP_4)
	v_cmp_ne_u32_e64 s13, 0, v39
	v_cmp_ne_u32_e64 s14, 0, v40
	s_bcnt1_i32_b32 s11, s11
	s_bcnt1_i32_b32 s12, s12
	s_wait_alu 0xfffe
	v_add_nc_u32_e32 v1, s11, v1
	s_bcnt1_i32_b32 s13, s13
	s_bcnt1_i32_b32 s14, s14
	v_add_nc_u32_e32 v2, s12, v2
	s_wait_alu 0xfffe
	v_add_nc_u32_e32 v3, s13, v3
	v_add_nc_u32_e32 v4, s14, v4
	s_or_b32 s17, vcc_lo, s17
	s_wait_alu 0xfffe
	s_and_not1_b32 exec_lo, exec_lo, s17
	s_cbranch_execnz .LBB130_92
; %bb.93:                               ;   in Loop: Header=BB130_20 Depth=1
	s_or_b32 exec_lo, exec_lo, s17
.LBB130_94:                             ;   in Loop: Header=BB130_20 Depth=1
	s_wait_alu 0xfffe
	s_or_b32 exec_lo, exec_lo, s16
	v_lshlrev_b32_e32 v6, 7, v32
	s_and_saveexec_b32 s11, s3
	s_cbranch_execnz .LBB130_68
	s_branch .LBB130_69
.LBB130_95:                             ;   in Loop: Header=BB130_20 Depth=1
	v_mov_b32_e32 v1, 0
	s_mov_b32 s12, 0
	s_and_not1_b32 vcc_lo, exec_lo, s68
	s_wait_alu 0xfffe
	s_cbranch_vccnz .LBB130_98
.LBB130_96:                             ;   in Loop: Header=BB130_20 Depth=1
	v_lshlrev_b32_e32 v2, 9, v32
	s_lshl_b32 s12, s12, 4
	s_wait_alu 0xfffe
	s_delay_alu instid0(VALU_DEP_1)
	v_add3_u32 v2, v2, s12, v30
	s_mov_b32 s12, s65
.LBB130_97:                             ;   Parent Loop BB130_20 Depth=1
                                        ; =>  This Inner Loop Header: Depth=2
	ds_load_b32 v3, v2
	v_add_nc_u32_e32 v2, 16, v2
	s_wait_alu 0xfffe
	s_add_co_i32 s12, s12, -1
	s_wait_alu 0xfffe
	s_cmp_lg_u32 s12, 0
	s_wait_dscnt 0x0
	v_add_nc_u32_e32 v1, v3, v1
	s_cbranch_scc1 .LBB130_97
.LBB130_98:                             ;   in Loop: Header=BB130_20 Depth=1
	v_add_lshl_u32 v2, v6, v15, 2
	ds_store_b32 v2, v1 offset:3072
.LBB130_99:                             ;   in Loop: Header=BB130_20 Depth=1
	s_wait_alu 0xfffe
	s_or_b32 exec_lo, exec_lo, s11
	v_lshlrev_b32_e32 v1, 2, v6
	s_wait_loadcnt_dscnt 0x0
	s_barrier_signal -1
	s_barrier_wait -1
	global_inv scope:SCOPE_SE
	ds_load_b128 v[1:4], v1 offset:3072
	s_lshl_b32 s12, 3, s82
	v_cmp_eq_u32_e32 vcc_lo, 1, v35
	s_wait_alu 0xfffe
	s_not_b32 s19, s12
	s_mov_b32 s15, -1
	s_mov_b32 s23, -1
                                        ; implicit-def: $sgpr20
                                        ; implicit-def: $sgpr17
	s_wait_dscnt 0x0
	v_readfirstlane_b32 s14, v1
	v_readfirstlane_b32 s21, v2
	;; [unrolled: 1-line block ×4, first 2 shown]
	s_cmp_eq_u32 s14, 1
	s_cselect_b32 s13, -1, 0
	s_wait_alu 0xfffe
	s_and_b32 s16, s13, vcc_lo
	s_wait_alu 0xfffe
	s_and_saveexec_b32 s13, s16
	s_cbranch_execz .LBB130_127
; %bb.100:                              ;   in Loop: Header=BB130_20 Depth=1
	ds_load_b32 v1, v7 offset:4104
	s_wait_loadcnt_dscnt 0x0
	s_barrier_signal -1
	s_barrier_wait -1
	global_inv scope:SCOPE_SE
	v_readfirstlane_b32 s23, v1
	s_and_saveexec_b32 s17, s1
; %bb.101:                              ;   in Loop: Header=BB130_20 Depth=1
	ds_store_b16 v17, v7
; %bb.102:                              ;   in Loop: Header=BB130_20 Depth=1
	s_wait_alu 0xfffe
	s_or_b32 exec_lo, exec_lo, s17
	v_and_b32_e32 v13, s19, v13
	v_or_b32_e32 v33, s12, v33
	s_mov_b32 s17, -1
	s_mov_b32 s20, 0
	s_cmp_eq_u32 s23, 0
	s_mov_b32 s22, 0
	s_mov_b32 s24, -1
	s_wait_loadcnt_dscnt 0x0
	s_barrier_signal -1
	s_barrier_wait -1
	global_inv scope:SCOPE_SE
                                        ; implicit-def: $vgpr34
	s_cbranch_scc1 .LBB130_114
; %bb.103:                              ;   in Loop: Header=BB130_20 Depth=1
	s_add_co_i32 s56, s23, s43
                                        ; implicit-def: $vgpr34
	s_wait_alu 0xfffe
	s_mul_u64 s[84:85], s[56:57], s[60:61]
	s_wait_alu 0xfffe
	s_mul_i32 s22, s85, s29
	s_wait_alu 0xfffe
	s_sub_co_i32 s22, s56, s22
	s_wait_alu 0xfffe
	s_sub_co_i32 s24, s22, s29
	s_cmp_ge_u32 s22, s29
	s_wait_alu 0xfffe
	s_cselect_b32 s22, s24, s22
	s_wait_alu 0xfffe
	s_sub_co_i32 s24, s22, s29
	s_cmp_ge_u32 s22, s29
	s_wait_alu 0xfffe
	s_cselect_b32 s22, s24, s22
	s_mov_b32 s24, 0
	s_wait_alu 0xfffe
	s_sub_co_i32 s83, s56, s22
	s_mov_b32 s22, 0
	s_mov_b32 s56, exec_lo
	s_wait_alu 0xfffe
	v_cmpx_gt_u32_e64 s83, v0
	s_cbranch_execz .LBB130_113
; %bb.104:                              ;   in Loop: Header=BB130_20 Depth=1
	v_dual_mov_b32 v1, v16 :: v_dual_mov_b32 v2, v0
                                        ; implicit-def: $sgpr84
	s_branch .LBB130_108
.LBB130_105:                            ;   in Loop: Header=BB130_108 Depth=2
	s_wait_alu 0xfffe
	s_or_b32 exec_lo, exec_lo, s85
	s_wait_loadcnt_dscnt 0x0
	s_barrier_signal -1
	s_barrier_wait -1
	global_inv scope:SCOPE_SE
	ds_load_b32 v3, v7 offset:3072
	s_wait_loadcnt_dscnt 0x0
	s_barrier_signal -1
	s_barrier_wait -1
	global_inv scope:SCOPE_SE
	v_cmp_neq_f16_e32 vcc_lo, 0, v3
	s_cbranch_vccnz .LBB130_111
; %bb.106:                              ;   in Loop: Header=BB130_108 Depth=2
	v_add_nc_u32_e32 v2, s29, v2
	v_add_nc_u32_e32 v1, s73, v1
	s_mov_b32 s85, 0
	s_delay_alu instid0(VALU_DEP_2)
	v_cmp_le_u32_e32 vcc_lo, s83, v2
	s_or_not1_b32 s86, vcc_lo, exec_lo
.LBB130_107:                            ;   in Loop: Header=BB130_108 Depth=2
	s_wait_alu 0xfffe
	s_and_b32 s86, exec_lo, s86
	s_wait_alu 0xfffe
	s_or_b32 s22, s86, s22
	s_and_not1_b32 s84, s84, exec_lo
	s_and_b32 s85, s85, exec_lo
	s_wait_alu 0xfffe
	s_or_b32 s84, s84, s85
	s_and_not1_b32 exec_lo, exec_lo, s22
	s_cbranch_execz .LBB130_112
.LBB130_108:                            ;   Parent Loop BB130_20 Depth=1
                                        ; =>  This Inner Loop Header: Depth=2
	s_mov_b32 s85, exec_lo
	s_delay_alu instid0(VALU_DEP_1)
	v_cmpx_gt_u32_e64 s23, v2
	s_cbranch_execz .LBB130_105
; %bb.109:                              ;   in Loop: Header=BB130_108 Depth=2
	ds_load_u16 v3, v1
	s_wait_dscnt 0x0
	v_cmp_lt_i16_e32 vcc_lo, -1, v3
	v_and_b32_e32 v4, 0xffff, v3
	s_wait_alu 0xfffd
	v_cndmask_b32_e32 v6, 0xffff, v31, vcc_lo
	v_cmp_o_f16_e32 vcc_lo, v3, v3
	s_delay_alu instid0(VALU_DEP_2) | instskip(SKIP_1) | instid1(VALU_DEP_1)
	v_xor_b32_e32 v4, v6, v4
	s_wait_alu 0xfffd
	v_cndmask_b32_e32 v4, 0xffff, v4, vcc_lo
	s_delay_alu instid0(VALU_DEP_1) | instskip(NEXT) | instid1(VALU_DEP_1)
	v_and_b32_e32 v4, v4, v33
	v_cmp_eq_u32_e32 vcc_lo, v4, v13
	s_and_b32 exec_lo, exec_lo, vcc_lo
	s_cbranch_execz .LBB130_105
; %bb.110:                              ;   in Loop: Header=BB130_108 Depth=2
	v_perm_b32 v3, v3, s75, 0x5040100
	ds_store_b32 v7, v3 offset:3072
	s_branch .LBB130_105
.LBB130_111:                            ;   in Loop: Header=BB130_108 Depth=2
	s_mov_b32 s86, -1
	s_mov_b32 s85, -1
                                        ; implicit-def: $vgpr2
                                        ; implicit-def: $vgpr1
	s_branch .LBB130_107
.LBB130_112:                            ;   in Loop: Header=BB130_20 Depth=1
	s_or_b32 exec_lo, exec_lo, s22
	v_lshrrev_b32_e32 v34, 16, v3
	s_wait_alu 0xfffe
	s_and_b32 s22, s84, exec_lo
.LBB130_113:                            ;   in Loop: Header=BB130_20 Depth=1
	s_or_b32 exec_lo, exec_lo, s56
.LBB130_114:                            ;   in Loop: Header=BB130_20 Depth=1
	s_wait_alu 0xfffe
	s_and_b32 vcc_lo, exec_lo, s24
	s_wait_alu 0xfffe
	s_cbranch_vccz .LBB130_126
; %bb.115:                              ;   in Loop: Header=BB130_20 Depth=1
                                        ; implicit-def: $vgpr34
	s_and_saveexec_b32 s17, s10
	s_cbranch_execz .LBB130_125
; %bb.116:                              ;   in Loop: Header=BB130_20 Depth=1
	v_dual_mov_b32 v6, v5 :: v_dual_mov_b32 v1, v0
	s_mov_b32 s20, 0
                                        ; implicit-def: $sgpr23
	s_branch .LBB130_120
.LBB130_117:                            ;   in Loop: Header=BB130_120 Depth=2
	s_wait_alu 0xfffe
	s_or_b32 exec_lo, exec_lo, s24
	s_wait_loadcnt_dscnt 0x0
	s_barrier_signal -1
	s_barrier_wait -1
	global_inv scope:SCOPE_SE
	ds_load_b32 v2, v7 offset:3072
	s_wait_loadcnt_dscnt 0x0
	s_barrier_signal -1
	s_barrier_wait -1
	global_inv scope:SCOPE_SE
	v_cmp_neq_f16_e32 vcc_lo, 0, v2
	s_cbranch_vccnz .LBB130_123
; %bb.118:                              ;   in Loop: Header=BB130_120 Depth=2
	v_add_nc_u32_e32 v1, s29, v1
	v_add_nc_u32_e32 v6, s54, v6
	s_mov_b32 s24, 0
	s_delay_alu instid0(VALU_DEP_2)
	v_cmp_le_u32_e32 vcc_lo, s70, v1
	s_or_not1_b32 s56, vcc_lo, exec_lo
.LBB130_119:                            ;   in Loop: Header=BB130_120 Depth=2
	s_wait_alu 0xfffe
	s_and_b32 s56, exec_lo, s56
	s_wait_alu 0xfffe
	s_or_b32 s20, s56, s20
	s_and_not1_b32 s23, s23, exec_lo
	s_and_b32 s24, s24, exec_lo
	s_wait_alu 0xfffe
	s_or_b32 s23, s23, s24
	s_and_not1_b32 exec_lo, exec_lo, s20
	s_cbranch_execz .LBB130_124
.LBB130_120:                            ;   Parent Loop BB130_20 Depth=1
                                        ; =>  This Inner Loop Header: Depth=2
	s_mov_b32 s24, exec_lo
	s_delay_alu instid0(VALU_DEP_1)
	v_cmpx_gt_u32_e64 s28, v1
	s_cbranch_execz .LBB130_117
; %bb.121:                              ;   in Loop: Header=BB130_120 Depth=2
	v_lshlrev_b64_e32 v[2:3], 1, v[6:7]
	s_delay_alu instid0(VALU_DEP_1) | instskip(SKIP_1) | instid1(VALU_DEP_2)
	v_add_co_u32 v2, vcc_lo, s46, v2
	s_wait_alu 0xfffd
	v_add_co_ci_u32_e64 v3, null, s47, v3, vcc_lo
	global_load_u16 v2, v[2:3], off
	s_wait_loadcnt 0x0
	v_cmp_lt_i16_e32 vcc_lo, -1, v2
	s_wait_alu 0xfffd
	v_dual_cndmask_b32 v4, 0xffff, v31 :: v_dual_and_b32 v3, 0xffff, v2
	v_cmp_o_f16_e32 vcc_lo, v2, v2
	s_delay_alu instid0(VALU_DEP_2) | instskip(SKIP_1) | instid1(VALU_DEP_1)
	v_xor_b32_e32 v3, v4, v3
	s_wait_alu 0xfffd
	v_cndmask_b32_e32 v3, 0xffff, v3, vcc_lo
	s_delay_alu instid0(VALU_DEP_1) | instskip(NEXT) | instid1(VALU_DEP_1)
	v_and_b32_e32 v3, v3, v33
	v_cmp_eq_u32_e32 vcc_lo, v3, v13
	s_and_b32 exec_lo, exec_lo, vcc_lo
	s_cbranch_execz .LBB130_117
; %bb.122:                              ;   in Loop: Header=BB130_120 Depth=2
	v_perm_b32 v2, v2, s75, 0x5040100
	ds_store_b32 v7, v2 offset:3072
	s_branch .LBB130_117
.LBB130_123:                            ;   in Loop: Header=BB130_120 Depth=2
	s_mov_b32 s56, -1
	s_mov_b32 s24, -1
                                        ; implicit-def: $vgpr1
	s_branch .LBB130_119
.LBB130_124:                            ;   in Loop: Header=BB130_20 Depth=1
	s_or_b32 exec_lo, exec_lo, s20
	v_lshrrev_b32_e32 v34, 16, v2
	s_and_not1_b32 s20, s22, exec_lo
	s_wait_alu 0xfffe
	s_and_b32 s22, s23, exec_lo
	s_wait_alu 0xfffe
	s_or_b32 s22, s20, s22
.LBB130_125:                            ;   in Loop: Header=BB130_20 Depth=1
	s_wait_alu 0xfffe
	s_or_b32 exec_lo, exec_lo, s17
	s_mov_b32 s17, 0
	s_mov_b32 s20, -1
.LBB130_126:                            ;   in Loop: Header=BB130_20 Depth=1
	s_or_not1_b32 s23, s22, exec_lo
.LBB130_127:                            ;   in Loop: Header=BB130_20 Depth=1
	s_wait_alu 0xfffe
	s_or_b32 exec_lo, exec_lo, s13
	v_readfirstlane_b32 s22, v0
	s_and_not1_b32 s13, s80, exec_lo
	s_and_b32 s20, s20, exec_lo
	s_and_not1_b32 s24, s78, exec_lo
	s_and_b32 s17, s17, exec_lo
	s_and_not1_b32 s77, s77, exec_lo
	s_wait_alu 0xfffe
	s_or_b32 s80, s13, s20
	s_or_b32 s78, s24, s17
                                        ; implicit-def: $vgpr2
	s_and_saveexec_b32 s13, s23
	s_cbranch_execz .LBB130_19
; %bb.128:                              ;   in Loop: Header=BB130_20 Depth=1
	v_dual_mov_b32 v2, 1 :: v_dual_mov_b32 v1, 1
	s_xor_b32 s16, s16, -1
	s_mov_b32 s22, 0
	s_wait_alu 0xfffe
	s_and_saveexec_b32 s15, s16
	s_cbranch_execz .LBB130_137
; %bb.129:                              ;   in Loop: Header=BB130_20 Depth=1
	s_mov_b32 s16, exec_lo
	v_cmpx_ge_u32_e64 s14, v35
	s_wait_alu 0xfffe
	s_xor_b32 s16, exec_lo, s16
	s_cbranch_execz .LBB130_134
; %bb.130:                              ;   in Loop: Header=BB130_20 Depth=1
	ds_load_b32 v1, v7 offset:4104
	v_and_b32_e32 v13, s19, v13
	v_or_b32_e32 v33, s12, v33
	s_wait_dscnt 0x0
	v_cmp_ne_u32_e32 vcc_lo, 0, v1
	s_cbranch_vccnz .LBB130_134
; %bb.131:                              ;   in Loop: Header=BB130_20 Depth=1
	s_and_saveexec_b32 s17, s0
; %bb.132:                              ;   in Loop: Header=BB130_20 Depth=1
	v_mov_b32_e32 v1, s14
	ds_store_b32 v7, v1 offset:4108
; %bb.133:                              ;   in Loop: Header=BB130_20 Depth=1
	s_wait_alu 0xfffe
	s_or_b32 exec_lo, exec_lo, s17
	s_wait_loadcnt_dscnt 0x0
	s_barrier_signal -1
	s_barrier_wait -1
	global_inv scope:SCOPE_SE
.LBB130_134:                            ;   in Loop: Header=BB130_20 Depth=1
	s_wait_alu 0xfffe
	s_or_saveexec_b32 s16, s16
	v_mov_b32_e32 v1, 8
	s_mov_b32 s17, 0
	s_wait_alu 0xfffe
	s_xor_b32 exec_lo, exec_lo, s16
; %bb.135:                              ;   in Loop: Header=BB130_20 Depth=1
	v_subrev_nc_u32_e32 v35, s14, v35
	v_mov_b32_e32 v1, 0
	s_mov_b32 s17, exec_lo
; %bb.136:                              ;   in Loop: Header=BB130_20 Depth=1
	s_or_b32 exec_lo, exec_lo, s16
	s_delay_alu instid0(VALU_DEP_2)
	v_mov_b32_e32 v2, v35
	s_wait_alu 0xfffe
	s_and_b32 s22, s17, exec_lo
.LBB130_137:                            ;   in Loop: Header=BB130_20 Depth=1
	s_wait_alu 0xfffe
	s_or_b32 exec_lo, exec_lo, s15
	s_mov_b32 s14, -1
	s_mov_b32 s20, -1
                                        ; implicit-def: $sgpr16
                                        ; implicit-def: $sgpr17
	s_and_saveexec_b32 s15, s22
	s_wait_alu 0xfffe
	s_xor_b32 s15, exec_lo, s15
	s_cbranch_execz .LBB130_260
; %bb.138:                              ;   in Loop: Header=BB130_20 Depth=1
	v_cmp_eq_u32_e32 vcc_lo, 1, v2
	s_cmp_eq_u32 s21, 1
	s_mov_b32 s23, -1
	s_cselect_b32 s16, -1, 0
                                        ; implicit-def: $sgpr17
	s_wait_alu 0xfffe
	s_and_b32 s22, s16, vcc_lo
                                        ; implicit-def: $sgpr16
	s_wait_alu 0xfffe
	s_and_saveexec_b32 s20, s22
	s_cbranch_execz .LBB130_166
; %bb.139:                              ;   in Loop: Header=BB130_20 Depth=1
	ds_load_b32 v3, v7 offset:4104
	s_wait_loadcnt_dscnt 0x0
	s_barrier_signal -1
	s_barrier_wait -1
	global_inv scope:SCOPE_SE
	v_readfirstlane_b32 s24, v3
	s_and_saveexec_b32 s16, s1
; %bb.140:                              ;   in Loop: Header=BB130_20 Depth=1
	ds_store_b16 v17, v7
; %bb.141:                              ;   in Loop: Header=BB130_20 Depth=1
	s_wait_alu 0xfffe
	s_or_b32 exec_lo, exec_lo, s16
	s_lshl_b32 s16, 1, s82
	v_or_b32_e32 v33, s12, v33
	s_wait_alu 0xfffe
	v_and_or_b32 v13, v13, s19, s16
	s_mov_b32 s16, -1
	s_mov_b32 s17, 0
	s_cmp_eq_u32 s24, 0
	s_mov_b32 s23, 0
	s_mov_b32 s56, -1
	s_wait_loadcnt_dscnt 0x0
	s_barrier_signal -1
	s_barrier_wait -1
	global_inv scope:SCOPE_SE
                                        ; implicit-def: $vgpr34
	s_cbranch_scc1 .LBB130_153
; %bb.142:                              ;   in Loop: Header=BB130_20 Depth=1
	s_add_co_i32 s56, s24, s43
                                        ; implicit-def: $vgpr34
	s_wait_alu 0xfffe
	s_mul_u64 s[84:85], s[56:57], s[60:61]
	s_wait_alu 0xfffe
	s_mul_i32 s23, s85, s29
	s_wait_alu 0xfffe
	s_sub_co_i32 s23, s56, s23
	s_wait_alu 0xfffe
	s_sub_co_i32 s83, s23, s29
	s_cmp_ge_u32 s23, s29
	s_wait_alu 0xfffe
	s_cselect_b32 s23, s83, s23
	s_wait_alu 0xfffe
	s_sub_co_i32 s83, s23, s29
	s_cmp_ge_u32 s23, s29
	s_wait_alu 0xfffe
	s_cselect_b32 s23, s83, s23
	s_mov_b32 s83, exec_lo
	s_wait_alu 0xfffe
	s_sub_co_i32 s84, s56, s23
	s_mov_b32 s56, 0
	s_mov_b32 s23, 0
	s_wait_alu 0xfffe
	v_cmpx_gt_u32_e64 s84, v0
	s_cbranch_execz .LBB130_152
; %bb.143:                              ;   in Loop: Header=BB130_20 Depth=1
	v_dual_mov_b32 v3, v16 :: v_dual_mov_b32 v4, v0
                                        ; implicit-def: $sgpr85
	s_branch .LBB130_147
.LBB130_144:                            ;   in Loop: Header=BB130_147 Depth=2
	s_wait_alu 0xfffe
	s_or_b32 exec_lo, exec_lo, s86
	s_wait_loadcnt_dscnt 0x0
	s_barrier_signal -1
	s_barrier_wait -1
	global_inv scope:SCOPE_SE
	ds_load_b32 v6, v7 offset:3072
	s_wait_loadcnt_dscnt 0x0
	s_barrier_signal -1
	s_barrier_wait -1
	global_inv scope:SCOPE_SE
	v_cmp_neq_f16_e32 vcc_lo, 0, v6
	s_cbranch_vccnz .LBB130_150
; %bb.145:                              ;   in Loop: Header=BB130_147 Depth=2
	v_add_nc_u32_e32 v4, s29, v4
	v_add_nc_u32_e32 v3, s73, v3
	s_mov_b32 s86, 0
	s_delay_alu instid0(VALU_DEP_2)
	v_cmp_le_u32_e32 vcc_lo, s84, v4
	s_or_not1_b32 s87, vcc_lo, exec_lo
.LBB130_146:                            ;   in Loop: Header=BB130_147 Depth=2
	s_wait_alu 0xfffe
	s_and_b32 s87, exec_lo, s87
	s_wait_alu 0xfffe
	s_or_b32 s23, s87, s23
	s_and_not1_b32 s85, s85, exec_lo
	s_and_b32 s86, s86, exec_lo
	s_wait_alu 0xfffe
	s_or_b32 s85, s85, s86
	s_and_not1_b32 exec_lo, exec_lo, s23
	s_cbranch_execz .LBB130_151
.LBB130_147:                            ;   Parent Loop BB130_20 Depth=1
                                        ; =>  This Inner Loop Header: Depth=2
	s_mov_b32 s86, exec_lo
	s_delay_alu instid0(VALU_DEP_1)
	v_cmpx_gt_u32_e64 s24, v4
	s_cbranch_execz .LBB130_144
; %bb.148:                              ;   in Loop: Header=BB130_147 Depth=2
	ds_load_u16 v6, v3
	s_wait_dscnt 0x0
	v_cmp_lt_i16_e32 vcc_lo, -1, v6
	s_wait_alu 0xfffd
	v_dual_cndmask_b32 v35, 0xffff, v31 :: v_dual_and_b32 v34, 0xffff, v6
	v_cmp_o_f16_e32 vcc_lo, v6, v6
	s_delay_alu instid0(VALU_DEP_2) | instskip(SKIP_1) | instid1(VALU_DEP_1)
	v_xor_b32_e32 v34, v35, v34
	s_wait_alu 0xfffd
	v_cndmask_b32_e32 v34, 0xffff, v34, vcc_lo
	s_delay_alu instid0(VALU_DEP_1) | instskip(NEXT) | instid1(VALU_DEP_1)
	v_and_b32_e32 v34, v34, v33
	v_cmp_eq_u32_e32 vcc_lo, v34, v13
	s_and_b32 exec_lo, exec_lo, vcc_lo
	s_cbranch_execz .LBB130_144
; %bb.149:                              ;   in Loop: Header=BB130_147 Depth=2
	v_perm_b32 v6, v6, s75, 0x5040100
	ds_store_b32 v7, v6 offset:3072
	s_branch .LBB130_144
.LBB130_150:                            ;   in Loop: Header=BB130_147 Depth=2
	s_mov_b32 s87, -1
	s_mov_b32 s86, -1
                                        ; implicit-def: $vgpr4
                                        ; implicit-def: $vgpr3
	s_branch .LBB130_146
.LBB130_151:                            ;   in Loop: Header=BB130_20 Depth=1
	s_or_b32 exec_lo, exec_lo, s23
	v_lshrrev_b32_e32 v34, 16, v6
	s_wait_alu 0xfffe
	s_and_b32 s23, s85, exec_lo
.LBB130_152:                            ;   in Loop: Header=BB130_20 Depth=1
	s_or_b32 exec_lo, exec_lo, s83
.LBB130_153:                            ;   in Loop: Header=BB130_20 Depth=1
	s_wait_alu 0xfffe
	s_and_b32 vcc_lo, exec_lo, s56
	s_wait_alu 0xfffe
	s_cbranch_vccz .LBB130_165
; %bb.154:                              ;   in Loop: Header=BB130_20 Depth=1
                                        ; implicit-def: $vgpr34
	s_and_saveexec_b32 s16, s10
	s_cbranch_execz .LBB130_164
; %bb.155:                              ;   in Loop: Header=BB130_20 Depth=1
	v_dual_mov_b32 v6, v5 :: v_dual_mov_b32 v3, v0
	s_mov_b32 s17, 0
                                        ; implicit-def: $sgpr24
	s_branch .LBB130_159
.LBB130_156:                            ;   in Loop: Header=BB130_159 Depth=2
	s_wait_alu 0xfffe
	s_or_b32 exec_lo, exec_lo, s56
	s_wait_loadcnt_dscnt 0x0
	s_barrier_signal -1
	s_barrier_wait -1
	global_inv scope:SCOPE_SE
	ds_load_b32 v4, v7 offset:3072
	s_wait_loadcnt_dscnt 0x0
	s_barrier_signal -1
	s_barrier_wait -1
	global_inv scope:SCOPE_SE
	v_cmp_eq_f16_e32 vcc_lo, 0, v4
	s_cbranch_vccz .LBB130_162
; %bb.157:                              ;   in Loop: Header=BB130_159 Depth=2
	v_add_nc_u32_e32 v3, s29, v3
	v_add_nc_u32_e32 v6, s54, v6
	s_mov_b32 s56, 0
	s_delay_alu instid0(VALU_DEP_2)
	v_cmp_le_u32_e32 vcc_lo, s70, v3
	s_or_not1_b32 s83, vcc_lo, exec_lo
.LBB130_158:                            ;   in Loop: Header=BB130_159 Depth=2
	s_wait_alu 0xfffe
	s_and_b32 s83, exec_lo, s83
	s_wait_alu 0xfffe
	s_or_b32 s17, s83, s17
	s_and_not1_b32 s24, s24, exec_lo
	s_and_b32 s56, s56, exec_lo
	s_wait_alu 0xfffe
	s_or_b32 s24, s24, s56
	s_and_not1_b32 exec_lo, exec_lo, s17
	s_cbranch_execz .LBB130_163
.LBB130_159:                            ;   Parent Loop BB130_20 Depth=1
                                        ; =>  This Inner Loop Header: Depth=2
	s_mov_b32 s56, exec_lo
	s_delay_alu instid0(VALU_DEP_1)
	v_cmpx_gt_u32_e64 s28, v3
	s_cbranch_execz .LBB130_156
; %bb.160:                              ;   in Loop: Header=BB130_159 Depth=2
	v_lshlrev_b64_e32 v[34:35], 1, v[6:7]
	s_delay_alu instid0(VALU_DEP_1) | instskip(SKIP_1) | instid1(VALU_DEP_2)
	v_add_co_u32 v34, vcc_lo, s46, v34
	s_wait_alu 0xfffd
	v_add_co_ci_u32_e64 v35, null, s47, v35, vcc_lo
	global_load_u16 v4, v[34:35], off
	s_wait_loadcnt 0x0
	v_cmp_lt_i16_e32 vcc_lo, -1, v4
	s_wait_alu 0xfffd
	v_dual_cndmask_b32 v35, 0xffff, v31 :: v_dual_and_b32 v34, 0xffff, v4
	v_cmp_o_f16_e32 vcc_lo, v4, v4
	s_delay_alu instid0(VALU_DEP_2) | instskip(SKIP_1) | instid1(VALU_DEP_1)
	v_xor_b32_e32 v34, v35, v34
	s_wait_alu 0xfffd
	v_cndmask_b32_e32 v34, 0xffff, v34, vcc_lo
	s_delay_alu instid0(VALU_DEP_1) | instskip(NEXT) | instid1(VALU_DEP_1)
	v_and_b32_e32 v34, v34, v33
	v_cmp_eq_u32_e32 vcc_lo, v34, v13
	s_and_b32 exec_lo, exec_lo, vcc_lo
	s_cbranch_execz .LBB130_156
; %bb.161:                              ;   in Loop: Header=BB130_159 Depth=2
	v_perm_b32 v4, v4, s75, 0x5040100
	ds_store_b32 v7, v4 offset:3072
	s_branch .LBB130_156
.LBB130_162:                            ;   in Loop: Header=BB130_159 Depth=2
	s_mov_b32 s83, -1
	s_mov_b32 s56, -1
                                        ; implicit-def: $vgpr3
	s_branch .LBB130_158
.LBB130_163:                            ;   in Loop: Header=BB130_20 Depth=1
	s_or_b32 exec_lo, exec_lo, s17
	v_lshrrev_b32_e32 v34, 16, v4
	s_and_not1_b32 s17, s23, exec_lo
	s_wait_alu 0xfffe
	s_and_b32 s23, s24, exec_lo
	s_wait_alu 0xfffe
	s_or_b32 s23, s17, s23
.LBB130_164:                            ;   in Loop: Header=BB130_20 Depth=1
	s_wait_alu 0xfffe
	s_or_b32 exec_lo, exec_lo, s16
	s_mov_b32 s16, 0
	s_mov_b32 s17, -1
.LBB130_165:                            ;   in Loop: Header=BB130_20 Depth=1
	s_or_not1_b32 s23, s23, exec_lo
.LBB130_166:                            ;   in Loop: Header=BB130_20 Depth=1
	s_wait_alu 0xfffe
	s_or_b32 exec_lo, exec_lo, s20
	s_mov_b32 s24, 0
	s_and_saveexec_b32 s20, s23
	s_cbranch_execz .LBB130_259
; %bb.167:                              ;   in Loop: Header=BB130_20 Depth=1
	v_mov_b32_e32 v3, 1
	v_mov_b32_e32 v1, 1
	s_xor_b32 s23, s22, -1
	s_mov_b32 s56, 0
	s_wait_alu 0xfffe
	s_and_saveexec_b32 s22, s23
	s_cbranch_execz .LBB130_176
; %bb.168:                              ;   in Loop: Header=BB130_20 Depth=1
	s_mov_b32 s23, exec_lo
	v_cmpx_ge_u32_e64 s21, v2
	s_wait_alu 0xfffe
	s_xor_b32 s23, exec_lo, s23
	s_cbranch_execz .LBB130_173
; %bb.169:                              ;   in Loop: Header=BB130_20 Depth=1
	ds_load_b32 v1, v7 offset:4104
	s_lshl_b32 s24, 1, s82
	v_or_b32_e32 v33, s12, v33
	s_wait_alu 0xfffe
	v_and_or_b32 v13, v13, s19, s24
	s_wait_dscnt 0x0
	v_cmp_ne_u32_e32 vcc_lo, 0, v1
	s_cbranch_vccnz .LBB130_173
; %bb.170:                              ;   in Loop: Header=BB130_20 Depth=1
	s_and_saveexec_b32 s24, s0
; %bb.171:                              ;   in Loop: Header=BB130_20 Depth=1
	v_mov_b32_e32 v1, s21
	ds_store_b32 v7, v1 offset:4108
; %bb.172:                              ;   in Loop: Header=BB130_20 Depth=1
	s_wait_alu 0xfffe
	s_or_b32 exec_lo, exec_lo, s24
	s_wait_loadcnt_dscnt 0x0
	s_barrier_signal -1
	s_barrier_wait -1
	global_inv scope:SCOPE_SE
.LBB130_173:                            ;   in Loop: Header=BB130_20 Depth=1
	s_wait_alu 0xfffe
	s_or_saveexec_b32 s23, s23
	v_mov_b32_e32 v1, 8
	s_mov_b32 s24, 0
	s_wait_alu 0xfffe
	s_xor_b32 exec_lo, exec_lo, s23
; %bb.174:                              ;   in Loop: Header=BB130_20 Depth=1
	v_subrev_nc_u32_e32 v2, s21, v2
	v_mov_b32_e32 v1, 0
	s_mov_b32 s24, exec_lo
; %bb.175:                              ;   in Loop: Header=BB130_20 Depth=1
	s_or_b32 exec_lo, exec_lo, s23
	s_delay_alu instid0(VALU_DEP_2)
	v_mov_b32_e32 v3, v2
	s_wait_alu 0xfffe
	s_and_b32 s56, s24, exec_lo
.LBB130_176:                            ;   in Loop: Header=BB130_20 Depth=1
	s_wait_alu 0xfffe
	s_or_b32 exec_lo, exec_lo, s22
	s_mov_b32 s24, -1
                                        ; implicit-def: $sgpr22
                                        ; implicit-def: $sgpr23
	s_and_saveexec_b32 s21, s56
	s_cbranch_execz .LBB130_258
; %bb.177:                              ;   in Loop: Header=BB130_20 Depth=1
	v_cmp_eq_u32_e32 vcc_lo, 1, v3
	s_cmp_eq_u32 s18, 1
	s_mov_b32 s56, -1
	s_cselect_b32 s22, -1, 0
                                        ; implicit-def: $sgpr23
	s_wait_alu 0xfffe
	s_and_b32 s83, s22, vcc_lo
                                        ; implicit-def: $sgpr22
	s_wait_alu 0xfffe
	s_and_saveexec_b32 s24, s83
	s_cbranch_execz .LBB130_205
; %bb.178:                              ;   in Loop: Header=BB130_20 Depth=1
	ds_load_b32 v2, v7 offset:4104
	s_wait_loadcnt_dscnt 0x0
	s_barrier_signal -1
	s_barrier_wait -1
	global_inv scope:SCOPE_SE
	v_readfirstlane_b32 s84, v2
	s_and_saveexec_b32 s22, s1
; %bb.179:                              ;   in Loop: Header=BB130_20 Depth=1
	ds_store_b16 v17, v7
; %bb.180:                              ;   in Loop: Header=BB130_20 Depth=1
	s_wait_alu 0xfffe
	s_or_b32 exec_lo, exec_lo, s22
	s_lshl_b32 s22, 2, s82
	v_or_b32_e32 v33, s12, v33
	s_wait_alu 0xfffe
	v_and_or_b32 v13, v13, s19, s22
	s_mov_b32 s22, -1
	s_mov_b32 s23, 0
	s_cmp_eq_u32 s84, 0
	s_mov_b32 s56, 0
	s_mov_b32 s85, -1
	s_wait_loadcnt_dscnt 0x0
	s_barrier_signal -1
	s_barrier_wait -1
	global_inv scope:SCOPE_SE
                                        ; implicit-def: $vgpr34
	s_cbranch_scc1 .LBB130_192
; %bb.181:                              ;   in Loop: Header=BB130_20 Depth=1
	s_add_co_i32 s56, s84, s43
                                        ; implicit-def: $vgpr34
	s_wait_alu 0xfffe
	s_mul_u64 s[86:87], s[56:57], s[60:61]
	s_wait_alu 0xfffe
	s_mul_i32 s85, s87, s29
	s_wait_alu 0xfffe
	s_sub_co_i32 s85, s56, s85
	s_wait_alu 0xfffe
	s_sub_co_i32 s86, s85, s29
	s_cmp_ge_u32 s85, s29
	s_wait_alu 0xfffe
	s_cselect_b32 s85, s86, s85
	s_wait_alu 0xfffe
	s_sub_co_i32 s86, s85, s29
	s_cmp_ge_u32 s85, s29
	s_wait_alu 0xfffe
	s_cselect_b32 s85, s86, s85
	s_mov_b32 s86, exec_lo
	s_wait_alu 0xfffe
	s_sub_co_i32 s87, s56, s85
	s_mov_b32 s85, 0
	s_mov_b32 s56, 0
	s_wait_alu 0xfffe
	v_cmpx_gt_u32_e64 s87, v0
	s_cbranch_execz .LBB130_191
; %bb.182:                              ;   in Loop: Header=BB130_20 Depth=1
	v_mov_b32_e32 v2, v16
	v_mov_b32_e32 v4, v0
                                        ; implicit-def: $sgpr88
	s_branch .LBB130_186
.LBB130_183:                            ;   in Loop: Header=BB130_186 Depth=2
	s_wait_alu 0xfffe
	s_or_b32 exec_lo, exec_lo, s89
	s_wait_loadcnt_dscnt 0x0
	s_barrier_signal -1
	s_barrier_wait -1
	global_inv scope:SCOPE_SE
	ds_load_b32 v6, v7 offset:3072
	s_wait_loadcnt_dscnt 0x0
	s_barrier_signal -1
	s_barrier_wait -1
	global_inv scope:SCOPE_SE
	v_cmp_neq_f16_e32 vcc_lo, 0, v6
	s_cbranch_vccnz .LBB130_189
; %bb.184:                              ;   in Loop: Header=BB130_186 Depth=2
	v_add_nc_u32_e32 v4, s29, v4
	v_add_nc_u32_e32 v2, s73, v2
	s_mov_b32 s89, 0
	s_delay_alu instid0(VALU_DEP_2)
	v_cmp_le_u32_e32 vcc_lo, s87, v4
	s_or_not1_b32 s90, vcc_lo, exec_lo
.LBB130_185:                            ;   in Loop: Header=BB130_186 Depth=2
	s_delay_alu instid0(SALU_CYCLE_1) | instskip(NEXT) | instid1(SALU_CYCLE_1)
	s_and_b32 s90, exec_lo, s90
	s_or_b32 s56, s90, s56
	s_and_not1_b32 s88, s88, exec_lo
	s_wait_alu 0xfffe
	s_and_b32 s89, s89, exec_lo
	s_wait_alu 0xfffe
	s_or_b32 s88, s88, s89
	s_and_not1_b32 exec_lo, exec_lo, s56
	s_cbranch_execz .LBB130_190
.LBB130_186:                            ;   Parent Loop BB130_20 Depth=1
                                        ; =>  This Inner Loop Header: Depth=2
	s_mov_b32 s89, exec_lo
	s_delay_alu instid0(VALU_DEP_1)
	v_cmpx_gt_u32_e64 s84, v4
	s_cbranch_execz .LBB130_183
; %bb.187:                              ;   in Loop: Header=BB130_186 Depth=2
	ds_load_u16 v6, v2
	s_wait_dscnt 0x0
	v_cmp_lt_i16_e32 vcc_lo, -1, v6
	s_wait_alu 0xfffd
	v_dual_cndmask_b32 v35, 0xffff, v31 :: v_dual_and_b32 v34, 0xffff, v6
	v_cmp_o_f16_e32 vcc_lo, v6, v6
	s_delay_alu instid0(VALU_DEP_2) | instskip(SKIP_1) | instid1(VALU_DEP_1)
	v_xor_b32_e32 v34, v35, v34
	s_wait_alu 0xfffd
	v_cndmask_b32_e32 v34, 0xffff, v34, vcc_lo
	s_delay_alu instid0(VALU_DEP_1) | instskip(NEXT) | instid1(VALU_DEP_1)
	v_and_b32_e32 v34, v34, v33
	v_cmp_eq_u32_e32 vcc_lo, v34, v13
	s_and_b32 exec_lo, exec_lo, vcc_lo
	s_cbranch_execz .LBB130_183
; %bb.188:                              ;   in Loop: Header=BB130_186 Depth=2
	v_perm_b32 v6, v6, s75, 0x5040100
	ds_store_b32 v7, v6 offset:3072
	s_branch .LBB130_183
.LBB130_189:                            ;   in Loop: Header=BB130_186 Depth=2
	s_mov_b32 s90, -1
	s_mov_b32 s89, -1
                                        ; implicit-def: $vgpr4
                                        ; implicit-def: $vgpr2
	s_branch .LBB130_185
.LBB130_190:                            ;   in Loop: Header=BB130_20 Depth=1
	s_or_b32 exec_lo, exec_lo, s56
	v_lshrrev_b32_e32 v34, 16, v6
	s_wait_alu 0xfffe
	s_and_b32 s56, s88, exec_lo
.LBB130_191:                            ;   in Loop: Header=BB130_20 Depth=1
	s_or_b32 exec_lo, exec_lo, s86
.LBB130_192:                            ;   in Loop: Header=BB130_20 Depth=1
	s_wait_alu 0xfffe
	s_and_b32 vcc_lo, exec_lo, s85
	s_wait_alu 0xfffe
	s_cbranch_vccz .LBB130_204
; %bb.193:                              ;   in Loop: Header=BB130_20 Depth=1
                                        ; implicit-def: $vgpr34
	s_and_saveexec_b32 s22, s10
	s_cbranch_execz .LBB130_203
; %bb.194:                              ;   in Loop: Header=BB130_20 Depth=1
	v_mov_b32_e32 v6, v5
	v_mov_b32_e32 v2, v0
	s_mov_b32 s23, 0
                                        ; implicit-def: $sgpr84
	s_branch .LBB130_198
.LBB130_195:                            ;   in Loop: Header=BB130_198 Depth=2
	s_wait_alu 0xfffe
	s_or_b32 exec_lo, exec_lo, s85
	s_wait_loadcnt_dscnt 0x0
	s_barrier_signal -1
	s_barrier_wait -1
	global_inv scope:SCOPE_SE
	ds_load_b32 v4, v7 offset:3072
	s_wait_loadcnt_dscnt 0x0
	s_barrier_signal -1
	s_barrier_wait -1
	global_inv scope:SCOPE_SE
	v_cmp_eq_f16_e32 vcc_lo, 0, v4
	s_cbranch_vccz .LBB130_201
; %bb.196:                              ;   in Loop: Header=BB130_198 Depth=2
	v_add_nc_u32_e32 v2, s29, v2
	v_add_nc_u32_e32 v6, s54, v6
	s_mov_b32 s85, 0
	s_delay_alu instid0(VALU_DEP_2)
	v_cmp_le_u32_e32 vcc_lo, s70, v2
	s_or_not1_b32 s86, vcc_lo, exec_lo
.LBB130_197:                            ;   in Loop: Header=BB130_198 Depth=2
	s_wait_alu 0xfffe
	s_and_b32 s86, exec_lo, s86
	s_wait_alu 0xfffe
	s_or_b32 s23, s86, s23
	s_and_not1_b32 s84, s84, exec_lo
	s_and_b32 s85, s85, exec_lo
	s_wait_alu 0xfffe
	s_or_b32 s84, s84, s85
	s_and_not1_b32 exec_lo, exec_lo, s23
	s_cbranch_execz .LBB130_202
.LBB130_198:                            ;   Parent Loop BB130_20 Depth=1
                                        ; =>  This Inner Loop Header: Depth=2
	s_mov_b32 s85, exec_lo
	s_delay_alu instid0(VALU_DEP_1)
	v_cmpx_gt_u32_e64 s28, v2
	s_cbranch_execz .LBB130_195
; %bb.199:                              ;   in Loop: Header=BB130_198 Depth=2
	v_lshlrev_b64_e32 v[34:35], 1, v[6:7]
	s_delay_alu instid0(VALU_DEP_1) | instskip(SKIP_1) | instid1(VALU_DEP_2)
	v_add_co_u32 v34, vcc_lo, s46, v34
	s_wait_alu 0xfffd
	v_add_co_ci_u32_e64 v35, null, s47, v35, vcc_lo
	global_load_u16 v4, v[34:35], off
	s_wait_loadcnt 0x0
	v_cmp_lt_i16_e32 vcc_lo, -1, v4
	s_wait_alu 0xfffd
	v_dual_cndmask_b32 v35, 0xffff, v31 :: v_dual_and_b32 v34, 0xffff, v4
	v_cmp_o_f16_e32 vcc_lo, v4, v4
	s_delay_alu instid0(VALU_DEP_2) | instskip(SKIP_1) | instid1(VALU_DEP_1)
	v_xor_b32_e32 v34, v35, v34
	s_wait_alu 0xfffd
	v_cndmask_b32_e32 v34, 0xffff, v34, vcc_lo
	s_delay_alu instid0(VALU_DEP_1) | instskip(NEXT) | instid1(VALU_DEP_1)
	v_and_b32_e32 v34, v34, v33
	v_cmp_eq_u32_e32 vcc_lo, v34, v13
	s_and_b32 exec_lo, exec_lo, vcc_lo
	s_cbranch_execz .LBB130_195
; %bb.200:                              ;   in Loop: Header=BB130_198 Depth=2
	v_perm_b32 v4, v4, s75, 0x5040100
	ds_store_b32 v7, v4 offset:3072
	s_branch .LBB130_195
.LBB130_201:                            ;   in Loop: Header=BB130_198 Depth=2
	s_mov_b32 s86, -1
	s_mov_b32 s85, -1
                                        ; implicit-def: $vgpr2
	s_branch .LBB130_197
.LBB130_202:                            ;   in Loop: Header=BB130_20 Depth=1
	s_or_b32 exec_lo, exec_lo, s23
	v_lshrrev_b32_e32 v34, 16, v4
	s_and_not1_b32 s23, s56, exec_lo
	s_wait_alu 0xfffe
	s_and_b32 s56, s84, exec_lo
	s_wait_alu 0xfffe
	s_or_b32 s56, s23, s56
.LBB130_203:                            ;   in Loop: Header=BB130_20 Depth=1
	s_wait_alu 0xfffe
	s_or_b32 exec_lo, exec_lo, s22
	s_mov_b32 s22, 0
	s_mov_b32 s23, -1
.LBB130_204:                            ;   in Loop: Header=BB130_20 Depth=1
	s_or_not1_b32 s56, s56, exec_lo
.LBB130_205:                            ;   in Loop: Header=BB130_20 Depth=1
	s_wait_alu 0xfffe
	s_or_b32 exec_lo, exec_lo, s24
	s_mov_b32 s84, 0
	s_and_saveexec_b32 s24, s56
	s_cbranch_execz .LBB130_257
; %bb.206:                              ;   in Loop: Header=BB130_20 Depth=1
	v_dual_mov_b32 v2, 1 :: v_dual_mov_b32 v1, 1
	s_xor_b32 s83, s83, -1
	s_mov_b32 s85, 0
	s_wait_alu 0xfffe
	s_and_saveexec_b32 s56, s83
	s_cbranch_execz .LBB130_215
; %bb.207:                              ;   in Loop: Header=BB130_20 Depth=1
	s_mov_b32 s83, exec_lo
	v_cmpx_ge_u32_e64 s18, v3
	s_wait_alu 0xfffe
	s_xor_b32 s83, exec_lo, s83
	s_cbranch_execz .LBB130_212
; %bb.208:                              ;   in Loop: Header=BB130_20 Depth=1
	ds_load_b32 v1, v7 offset:4104
	s_lshl_b32 s84, 2, s82
	v_or_b32_e32 v33, s12, v33
	s_wait_alu 0xfffe
	v_and_or_b32 v13, v13, s19, s84
	s_wait_dscnt 0x0
	v_cmp_ne_u32_e32 vcc_lo, 0, v1
	s_cbranch_vccnz .LBB130_212
; %bb.209:                              ;   in Loop: Header=BB130_20 Depth=1
	s_and_saveexec_b32 s19, s0
; %bb.210:                              ;   in Loop: Header=BB130_20 Depth=1
	v_mov_b32_e32 v1, s18
	ds_store_b32 v7, v1 offset:4108
; %bb.211:                              ;   in Loop: Header=BB130_20 Depth=1
	s_wait_alu 0xfffe
	s_or_b32 exec_lo, exec_lo, s19
	s_wait_loadcnt_dscnt 0x0
	s_barrier_signal -1
	s_barrier_wait -1
	global_inv scope:SCOPE_SE
.LBB130_212:                            ;   in Loop: Header=BB130_20 Depth=1
	s_wait_alu 0xfffe
	s_or_saveexec_b32 s19, s83
	v_mov_b32_e32 v1, 8
	s_mov_b32 s83, 0
	s_wait_alu 0xfffe
	s_xor_b32 exec_lo, exec_lo, s19
; %bb.213:                              ;   in Loop: Header=BB130_20 Depth=1
	v_subrev_nc_u32_e32 v3, s18, v3
	v_mov_b32_e32 v1, 0
	s_mov_b32 s83, exec_lo
; %bb.214:                              ;   in Loop: Header=BB130_20 Depth=1
	s_or_b32 exec_lo, exec_lo, s19
	s_delay_alu instid0(VALU_DEP_2)
	v_mov_b32_e32 v2, v3
	s_wait_alu 0xfffe
	s_and_b32 s85, s83, exec_lo
.LBB130_215:                            ;   in Loop: Header=BB130_20 Depth=1
	s_wait_alu 0xfffe
	s_or_b32 exec_lo, exec_lo, s56
	s_mov_b32 s19, -1
                                        ; implicit-def: $sgpr84
                                        ; implicit-def: $sgpr83
	s_and_saveexec_b32 s18, s85
	s_cbranch_execz .LBB130_256
; %bb.216:                              ;   in Loop: Header=BB130_20 Depth=1
	v_cmp_eq_u32_e32 vcc_lo, 1, v2
	s_cmp_eq_u32 s11, 1
	s_mov_b32 s86, -1
	s_cselect_b32 s19, -1, 0
                                        ; implicit-def: $sgpr84
                                        ; implicit-def: $sgpr83
	s_wait_alu 0xfffe
	s_and_b32 s19, s19, vcc_lo
	s_wait_alu 0xfffe
	s_and_saveexec_b32 s85, s19
	s_cbranch_execz .LBB130_244
; %bb.217:                              ;   in Loop: Header=BB130_20 Depth=1
	ds_load_b32 v3, v7 offset:4104
	s_wait_loadcnt_dscnt 0x0
	s_barrier_signal -1
	s_barrier_wait -1
	global_inv scope:SCOPE_SE
	v_readfirstlane_b32 s86, v3
	s_and_saveexec_b32 s56, s1
; %bb.218:                              ;   in Loop: Header=BB130_20 Depth=1
	ds_store_b16 v17, v7
; %bb.219:                              ;   in Loop: Header=BB130_20 Depth=1
	s_wait_alu 0xfffe
	s_or_b32 exec_lo, exec_lo, s56
	v_or_b32_e32 v13, s12, v13
	v_or_b32_e32 v33, s12, v33
	s_mov_b32 s83, -1
	s_mov_b32 s84, 0
	s_cmp_eq_u32 s86, 0
	s_mov_b32 s56, 0
	s_mov_b32 s87, -1
	s_wait_loadcnt_dscnt 0x0
	s_barrier_signal -1
	s_barrier_wait -1
	global_inv scope:SCOPE_SE
                                        ; implicit-def: $vgpr34
	s_cbranch_scc1 .LBB130_231
; %bb.220:                              ;   in Loop: Header=BB130_20 Depth=1
	s_add_co_i32 s56, s86, s43
                                        ; implicit-def: $vgpr34
	s_wait_alu 0xfffe
	s_mul_u64 s[88:89], s[56:57], s[60:61]
	s_wait_alu 0xfffe
	s_mul_i32 s87, s89, s29
	s_wait_alu 0xfffe
	s_sub_co_i32 s87, s56, s87
	s_wait_alu 0xfffe
	s_sub_co_i32 s88, s87, s29
	s_cmp_ge_u32 s87, s29
	s_wait_alu 0xfffe
	s_cselect_b32 s87, s88, s87
	s_wait_alu 0xfffe
	s_sub_co_i32 s88, s87, s29
	s_cmp_ge_u32 s87, s29
	s_wait_alu 0xfffe
	s_cselect_b32 s87, s88, s87
	s_mov_b32 s88, exec_lo
	s_wait_alu 0xfffe
	s_sub_co_i32 s89, s56, s87
	s_mov_b32 s87, 0
	s_mov_b32 s56, 0
	s_wait_alu 0xfffe
	v_cmpx_gt_u32_e64 s89, v0
	s_cbranch_execz .LBB130_230
; %bb.221:                              ;   in Loop: Header=BB130_20 Depth=1
	v_dual_mov_b32 v3, v16 :: v_dual_mov_b32 v4, v0
                                        ; implicit-def: $sgpr90
	s_branch .LBB130_225
.LBB130_222:                            ;   in Loop: Header=BB130_225 Depth=2
	s_or_b32 exec_lo, exec_lo, s91
	s_wait_loadcnt_dscnt 0x0
	s_barrier_signal -1
	s_barrier_wait -1
	global_inv scope:SCOPE_SE
	ds_load_b32 v6, v7 offset:3072
	s_wait_loadcnt_dscnt 0x0
	s_barrier_signal -1
	s_barrier_wait -1
	global_inv scope:SCOPE_SE
	v_cmp_neq_f16_e32 vcc_lo, 0, v6
	s_cbranch_vccnz .LBB130_228
; %bb.223:                              ;   in Loop: Header=BB130_225 Depth=2
	v_add_nc_u32_e32 v4, s29, v4
	v_add_nc_u32_e32 v3, s73, v3
	s_mov_b32 s91, 0
	s_delay_alu instid0(VALU_DEP_2)
	v_cmp_le_u32_e32 vcc_lo, s89, v4
	s_or_not1_b32 s92, vcc_lo, exec_lo
.LBB130_224:                            ;   in Loop: Header=BB130_225 Depth=2
	s_delay_alu instid0(SALU_CYCLE_1) | instskip(NEXT) | instid1(SALU_CYCLE_1)
	s_and_b32 s92, exec_lo, s92
	s_or_b32 s56, s92, s56
	s_and_not1_b32 s90, s90, exec_lo
	s_and_b32 s91, s91, exec_lo
	s_delay_alu instid0(SALU_CYCLE_1)
	s_or_b32 s90, s90, s91
	s_wait_alu 0xfffe
	s_and_not1_b32 exec_lo, exec_lo, s56
	s_cbranch_execz .LBB130_229
.LBB130_225:                            ;   Parent Loop BB130_20 Depth=1
                                        ; =>  This Inner Loop Header: Depth=2
	s_mov_b32 s91, exec_lo
	s_delay_alu instid0(VALU_DEP_1)
	v_cmpx_gt_u32_e64 s86, v4
	s_cbranch_execz .LBB130_222
; %bb.226:                              ;   in Loop: Header=BB130_225 Depth=2
	ds_load_u16 v6, v3
	s_wait_dscnt 0x0
	v_cmp_lt_i16_e32 vcc_lo, -1, v6
	s_wait_alu 0xfffd
	v_dual_cndmask_b32 v35, 0xffff, v31 :: v_dual_and_b32 v34, 0xffff, v6
	v_cmp_o_f16_e32 vcc_lo, v6, v6
	s_delay_alu instid0(VALU_DEP_2) | instskip(SKIP_1) | instid1(VALU_DEP_1)
	v_xor_b32_e32 v34, v35, v34
	s_wait_alu 0xfffd
	v_cndmask_b32_e32 v34, 0xffff, v34, vcc_lo
	s_delay_alu instid0(VALU_DEP_1) | instskip(NEXT) | instid1(VALU_DEP_1)
	v_and_b32_e32 v34, v34, v33
	v_cmp_eq_u32_e32 vcc_lo, v34, v13
	s_and_b32 exec_lo, exec_lo, vcc_lo
	s_cbranch_execz .LBB130_222
; %bb.227:                              ;   in Loop: Header=BB130_225 Depth=2
	v_perm_b32 v6, v6, s75, 0x5040100
	ds_store_b32 v7, v6 offset:3072
	s_branch .LBB130_222
.LBB130_228:                            ;   in Loop: Header=BB130_225 Depth=2
	s_mov_b32 s92, -1
	s_mov_b32 s91, -1
                                        ; implicit-def: $vgpr4
                                        ; implicit-def: $vgpr3
	s_branch .LBB130_224
.LBB130_229:                            ;   in Loop: Header=BB130_20 Depth=1
	s_or_b32 exec_lo, exec_lo, s56
	v_lshrrev_b32_e32 v34, 16, v6
	s_and_b32 s56, s90, exec_lo
.LBB130_230:                            ;   in Loop: Header=BB130_20 Depth=1
	s_or_b32 exec_lo, exec_lo, s88
.LBB130_231:                            ;   in Loop: Header=BB130_20 Depth=1
	s_wait_alu 0xfffe
	s_and_b32 vcc_lo, exec_lo, s87
	s_wait_alu 0xfffe
	s_cbranch_vccz .LBB130_243
; %bb.232:                              ;   in Loop: Header=BB130_20 Depth=1
                                        ; implicit-def: $vgpr34
	s_and_saveexec_b32 s83, s10
	s_cbranch_execz .LBB130_242
; %bb.233:                              ;   in Loop: Header=BB130_20 Depth=1
	v_dual_mov_b32 v6, v5 :: v_dual_mov_b32 v3, v0
	s_mov_b32 s84, 0
                                        ; implicit-def: $sgpr86
	s_branch .LBB130_237
.LBB130_234:                            ;   in Loop: Header=BB130_237 Depth=2
	s_wait_alu 0xfffe
	s_or_b32 exec_lo, exec_lo, s87
	s_wait_loadcnt_dscnt 0x0
	s_barrier_signal -1
	s_barrier_wait -1
	global_inv scope:SCOPE_SE
	ds_load_b32 v4, v7 offset:3072
	s_wait_loadcnt_dscnt 0x0
	s_barrier_signal -1
	s_barrier_wait -1
	global_inv scope:SCOPE_SE
	v_cmp_eq_f16_e32 vcc_lo, 0, v4
	s_cbranch_vccz .LBB130_240
; %bb.235:                              ;   in Loop: Header=BB130_237 Depth=2
	v_add_nc_u32_e32 v3, s29, v3
	v_add_nc_u32_e32 v6, s54, v6
	s_mov_b32 s87, 0
	s_delay_alu instid0(VALU_DEP_2)
	v_cmp_le_u32_e32 vcc_lo, s70, v3
	s_or_not1_b32 s88, vcc_lo, exec_lo
.LBB130_236:                            ;   in Loop: Header=BB130_237 Depth=2
	s_wait_alu 0xfffe
	s_and_b32 s88, exec_lo, s88
	s_wait_alu 0xfffe
	s_or_b32 s84, s88, s84
	s_and_not1_b32 s86, s86, exec_lo
	s_and_b32 s87, s87, exec_lo
	s_wait_alu 0xfffe
	s_or_b32 s86, s86, s87
	s_and_not1_b32 exec_lo, exec_lo, s84
	s_cbranch_execz .LBB130_241
.LBB130_237:                            ;   Parent Loop BB130_20 Depth=1
                                        ; =>  This Inner Loop Header: Depth=2
	s_mov_b32 s87, exec_lo
	s_delay_alu instid0(VALU_DEP_1)
	v_cmpx_gt_u32_e64 s28, v3
	s_cbranch_execz .LBB130_234
; %bb.238:                              ;   in Loop: Header=BB130_237 Depth=2
	v_lshlrev_b64_e32 v[34:35], 1, v[6:7]
	s_delay_alu instid0(VALU_DEP_1) | instskip(SKIP_1) | instid1(VALU_DEP_2)
	v_add_co_u32 v34, vcc_lo, s46, v34
	s_wait_alu 0xfffd
	v_add_co_ci_u32_e64 v35, null, s47, v35, vcc_lo
	global_load_u16 v4, v[34:35], off
	s_wait_loadcnt 0x0
	v_cmp_lt_i16_e32 vcc_lo, -1, v4
	s_wait_alu 0xfffd
	v_dual_cndmask_b32 v35, 0xffff, v31 :: v_dual_and_b32 v34, 0xffff, v4
	v_cmp_o_f16_e32 vcc_lo, v4, v4
	s_delay_alu instid0(VALU_DEP_2) | instskip(SKIP_1) | instid1(VALU_DEP_1)
	v_xor_b32_e32 v34, v35, v34
	s_wait_alu 0xfffd
	v_cndmask_b32_e32 v34, 0xffff, v34, vcc_lo
	s_delay_alu instid0(VALU_DEP_1) | instskip(NEXT) | instid1(VALU_DEP_1)
	v_and_b32_e32 v34, v34, v33
	v_cmp_eq_u32_e32 vcc_lo, v34, v13
	s_and_b32 exec_lo, exec_lo, vcc_lo
	s_cbranch_execz .LBB130_234
; %bb.239:                              ;   in Loop: Header=BB130_237 Depth=2
	v_perm_b32 v4, v4, s75, 0x5040100
	ds_store_b32 v7, v4 offset:3072
	s_branch .LBB130_234
.LBB130_240:                            ;   in Loop: Header=BB130_237 Depth=2
	s_mov_b32 s88, -1
	s_mov_b32 s87, -1
                                        ; implicit-def: $vgpr3
	s_branch .LBB130_236
.LBB130_241:                            ;   in Loop: Header=BB130_20 Depth=1
	s_or_b32 exec_lo, exec_lo, s84
	v_lshrrev_b32_e32 v34, 16, v4
	s_and_not1_b32 s56, s56, exec_lo
	s_wait_alu 0xfffe
	s_and_b32 s84, s86, exec_lo
	s_wait_alu 0xfffe
	s_or_b32 s56, s56, s84
.LBB130_242:                            ;   in Loop: Header=BB130_20 Depth=1
	s_wait_alu 0xfffe
	s_or_b32 exec_lo, exec_lo, s83
	s_mov_b32 s83, 0
	s_mov_b32 s84, -1
.LBB130_243:                            ;   in Loop: Header=BB130_20 Depth=1
	s_or_not1_b32 s86, s56, exec_lo
.LBB130_244:                            ;   in Loop: Header=BB130_20 Depth=1
	s_wait_alu 0xfffe
	s_or_b32 exec_lo, exec_lo, s85
	s_mov_b32 s85, 0
	s_and_saveexec_b32 s56, s86
	s_cbranch_execz .LBB130_255
; %bb.245:                              ;   in Loop: Header=BB130_20 Depth=1
	v_mov_b32_e32 v1, 1
	v_mov_b32_e32 v3, 1
	s_xor_b32 s85, s19, -1
	s_wait_alu 0xfffe
	s_and_saveexec_b32 s19, s85
	s_cbranch_execz .LBB130_254
; %bb.246:                              ;   in Loop: Header=BB130_20 Depth=1
	s_mov_b32 s85, exec_lo
	v_cmpx_ge_u32_e64 s11, v2
	s_wait_alu 0xfffe
	s_xor_b32 s85, exec_lo, s85
	s_cbranch_execz .LBB130_251
; %bb.247:                              ;   in Loop: Header=BB130_20 Depth=1
	ds_load_b32 v1, v7 offset:4104
	v_or_b32_e32 v13, s12, v13
	v_or_b32_e32 v33, s12, v33
	s_wait_dscnt 0x0
	v_cmp_ne_u32_e32 vcc_lo, 0, v1
	s_cbranch_vccnz .LBB130_251
; %bb.248:                              ;   in Loop: Header=BB130_20 Depth=1
	s_and_saveexec_b32 s12, s0
; %bb.249:                              ;   in Loop: Header=BB130_20 Depth=1
	v_mov_b32_e32 v1, s11
	ds_store_b32 v7, v1 offset:4108
; %bb.250:                              ;   in Loop: Header=BB130_20 Depth=1
	s_wait_alu 0xfffe
	s_or_b32 exec_lo, exec_lo, s12
	s_wait_loadcnt_dscnt 0x0
	s_barrier_signal -1
	s_barrier_wait -1
	global_inv scope:SCOPE_SE
.LBB130_251:                            ;   in Loop: Header=BB130_20 Depth=1
	s_wait_alu 0xfffe
	s_and_not1_saveexec_b32 s12, s85
; %bb.252:                              ;   in Loop: Header=BB130_20 Depth=1
	v_subrev_nc_u32_e32 v2, s11, v2
; %bb.253:                              ;   in Loop: Header=BB130_20 Depth=1
	s_wait_alu 0xfffe
	s_or_b32 exec_lo, exec_lo, s12
	v_mov_b32_e32 v1, 8
	s_delay_alu instid0(VALU_DEP_2)
	v_mov_b32_e32 v3, v2
.LBB130_254:                            ;   in Loop: Header=BB130_20 Depth=1
	s_wait_alu 0xfffe
	s_or_b32 exec_lo, exec_lo, s19
	s_delay_alu instid0(VALU_DEP_1)
	v_mov_b32_e32 v2, v3
	s_mov_b32 s85, exec_lo
.LBB130_255:                            ;   in Loop: Header=BB130_20 Depth=1
	s_wait_alu 0xfffe
	s_or_b32 exec_lo, exec_lo, s56
	s_delay_alu instid0(SALU_CYCLE_1)
	s_or_not1_b32 s19, s85, exec_lo
.LBB130_256:                            ;   in Loop: Header=BB130_20 Depth=1
	s_wait_alu 0xfffe
	s_or_b32 exec_lo, exec_lo, s18
	v_mov_b32_e32 v3, v2
	s_and_not1_b32 s11, s23, exec_lo
	s_and_b32 s12, s84, exec_lo
	s_and_not1_b32 s18, s22, exec_lo
	s_and_b32 s22, s83, exec_lo
	s_wait_alu 0xfffe
	s_or_b32 s23, s11, s12
	s_or_b32 s22, s18, s22
	s_and_b32 s84, s19, exec_lo
.LBB130_257:                            ;   in Loop: Header=BB130_20 Depth=1
	s_wait_alu 0xfffe
	s_or_b32 exec_lo, exec_lo, s24
	s_delay_alu instid0(SALU_CYCLE_1)
	s_or_not1_b32 s24, s84, exec_lo
.LBB130_258:                            ;   in Loop: Header=BB130_20 Depth=1
	s_wait_alu 0xfffe
	s_or_b32 exec_lo, exec_lo, s21
	v_mov_b32_e32 v2, v3
	s_and_not1_b32 s11, s17, exec_lo
	s_and_b32 s12, s23, exec_lo
	s_and_not1_b32 s16, s16, exec_lo
	s_and_b32 s18, s22, exec_lo
	s_wait_alu 0xfffe
	s_or_b32 s17, s11, s12
	s_or_b32 s16, s16, s18
	s_and_b32 s24, s24, exec_lo
.LBB130_259:                            ;   in Loop: Header=BB130_20 Depth=1
	s_wait_alu 0xfffe
	s_or_b32 exec_lo, exec_lo, s20
	s_delay_alu instid0(SALU_CYCLE_1)
	s_or_not1_b32 s20, s24, exec_lo
.LBB130_260:                            ;   in Loop: Header=BB130_20 Depth=1
	s_wait_alu 0xfffe
	s_or_b32 exec_lo, exec_lo, s15
	s_mov_b32 s12, 0
                                        ; implicit-def: $sgpr22
	s_and_saveexec_b32 s11, s20
	s_wait_alu 0xfffe
	s_xor_b32 s11, exec_lo, s11
	s_cbranch_execz .LBB130_18
; %bb.261:                              ;   in Loop: Header=BB130_20 Depth=1
	v_and_b32_e32 v1, 7, v1
	s_mov_b32 s14, -1
	s_mov_b32 s12, -1
	s_mov_b32 s15, exec_lo
                                        ; implicit-def: $sgpr22
	s_delay_alu instid0(VALU_DEP_1)
	v_cmpx_eq_u32_e32 0, v1
	s_cbranch_execz .LBB130_17
; %bb.262:                              ;   in Loop: Header=BB130_20 Depth=1
	s_add_co_i32 s22, s82, -2
	s_cmp_eq_u32 s82, 0
	v_xor_b32_e32 v32, 1, v32
	s_cselect_b32 s14, -1, 0
	s_xor_b32 s12, exec_lo, -1
	s_wait_alu 0xfffe
	s_or_not1_b32 s14, s14, exec_lo
	s_branch .LBB130_17
.LBB130_263:
	s_or_b32 exec_lo, exec_lo, s74
	s_xor_b32 s4, s81, -1
	s_xor_b32 s3, s79, -1
	;; [unrolled: 1-line block ×3, first 2 shown]
	s_mov_b32 s0, 0
	s_wait_alu 0xfffe
	s_and_saveexec_b32 s5, s3
	s_wait_alu 0xfffe
	s_xor_b32 s3, exec_lo, s5
	s_cbranch_execnz .LBB130_268
; %bb.264:
	s_wait_alu 0xfffe
	s_and_not1_saveexec_b32 s1, s3
	s_cbranch_execnz .LBB130_281
.LBB130_265:
	s_or_b32 exec_lo, exec_lo, s1
	s_and_saveexec_b32 s1, s0
.LBB130_266:
	; divergent unreachable
.LBB130_267:
	s_endpgm
.LBB130_268:
	s_and_saveexec_b32 s0, s4
	s_delay_alu instid0(SALU_CYCLE_1)
	s_xor_b32 s4, exec_lo, s0
	s_cbranch_execz .LBB130_279
; %bb.269:
	s_and_saveexec_b32 s0, s1
	s_delay_alu instid0(SALU_CYCLE_1)
	s_xor_b32 s0, exec_lo, s0
; %bb.270:
	v_and_b32_e32 v1, 0x8000, v13
	v_mov_b32_e32 v2, 0xffff
	s_delay_alu instid0(VALU_DEP_2) | instskip(SKIP_1) | instid1(VALU_DEP_2)
	v_cmp_eq_u32_e32 vcc_lo, 0, v1
	s_wait_alu 0xfffd
	v_cndmask_b32_e32 v1, 0x8000, v2, vcc_lo
	s_delay_alu instid0(VALU_DEP_1)
	v_xor_b32_e32 v34, v1, v13
; %bb.271:
	s_or_b32 exec_lo, exec_lo, s0
	s_mul_i32 s1, s55, s34
	s_mul_i32 s0, s48, s35
	s_sub_co_i32 s1, s48, s1
	s_sub_co_i32 s0, s33, s0
	s_add_co_i32 s5, s55, 1
	s_sub_co_i32 s6, s1, s34
	s_cmp_ge_u32 s1, s34
	s_mul_i32 s0, s0, s42
	s_wait_alu 0xfffe
	s_cselect_b32 s5, s5, s55
	s_cselect_b32 s1, s6, s1
	s_wait_alu 0xfffe
	s_add_co_i32 s6, s5, 1
	s_cmp_ge_u32 s1, s34
	v_mov_b32_e32 v6, 0
	s_wait_alu 0xfffe
	s_cselect_b32 s1, s6, s5
	s_delay_alu instid0(SALU_CYCLE_1)
	s_mul_i32 s5, s1, s34
	s_mul_i32 s1, s1, s40
	s_wait_alu 0xfffe
	s_sub_co_i32 s5, s48, s5
	s_wait_alu 0xfffe
	s_mul_i32 s5, s5, s41
	s_wait_alu 0xfffe
	s_add_co_i32 s0, s5, s0
	s_delay_alu instid0(SALU_CYCLE_1) | instskip(SKIP_1) | instid1(SALU_CYCLE_1)
	s_add_co_i32 s0, s0, s1
	s_mov_b32 s1, 0
	s_lshl_b64 s[6:7], s[0:1], 1
	s_wait_alu 0xfffe
	s_add_nc_u64 s[6:7], s[52:53], s[6:7]
	global_store_b16 v6, v34, s[6:7]
	s_and_saveexec_b32 s5, s2
	s_cbranch_execz .LBB130_278
; %bb.272:
	v_cmp_u_f16_e32 vcc_lo, v34, v34
                                        ; implicit-def: $sgpr2
                                        ; implicit-def: $sgpr8
                                        ; implicit-def: $sgpr7
	s_xor_b32 s6, vcc_lo, -1
	s_branch .LBB130_274
.LBB130_273:                            ;   in Loop: Header=BB130_274 Depth=1
	s_or_b32 exec_lo, exec_lo, s0
	s_wait_alu 0xfffe
	s_and_b32 s0, exec_lo, s8
	s_delay_alu instid0(SALU_CYCLE_1)
	s_or_b32 s1, s0, s1
	s_and_not1_b32 s0, s2, exec_lo
	s_and_b32 s2, s7, exec_lo
	s_wait_alu 0xfffe
	s_or_b32 s2, s0, s2
	s_and_not1_b32 exec_lo, exec_lo, s1
	s_cbranch_execz .LBB130_276
.LBB130_274:                            ; =>This Inner Loop Header: Depth=1
	v_lshlrev_b64_e32 v[1:2], 1, v[5:6]
	s_wait_alu 0xfffe
	s_or_b32 s7, s7, exec_lo
	s_or_b32 s8, s8, exec_lo
	s_delay_alu instid0(VALU_DEP_1)
	v_add_co_u32 v1, vcc_lo, s46, v1
	s_wait_alu 0xfffd
	v_add_co_ci_u32_e64 v2, null, s47, v2, vcc_lo
	global_load_u16 v1, v[1:2], off
	s_wait_loadcnt 0x0
	v_cmp_o_f16_e32 vcc_lo, v1, v1
	v_cmp_neq_f16_e64 s0, v1, v34
	v_mov_b32_e32 v1, v0
                                        ; implicit-def: $vgpr0
	s_or_b32 s9, s6, vcc_lo
	s_wait_alu 0xfffe
	s_and_b32 s9, s0, s9
	s_wait_alu 0xfffe
	s_and_saveexec_b32 s0, s9
	s_cbranch_execz .LBB130_273
; %bb.275:                              ;   in Loop: Header=BB130_274 Depth=1
	v_add_nc_u32_e32 v0, s29, v1
	v_add_nc_u32_e32 v5, s54, v5
	s_and_not1_b32 s8, s8, exec_lo
	s_and_not1_b32 s7, s7, exec_lo
	s_delay_alu instid0(VALU_DEP_2)
	v_cmp_le_u32_e32 vcc_lo, s28, v0
	s_and_b32 s9, vcc_lo, exec_lo
	s_wait_alu 0xfffe
	s_or_b32 s8, s8, s9
	s_branch .LBB130_273
.LBB130_276:
	s_or_b32 exec_lo, exec_lo, s1
	s_wait_alu 0xfffe
	s_and_saveexec_b32 s0, s2
	s_delay_alu instid0(SALU_CYCLE_1)
	s_xor_b32 s0, exec_lo, s0
	s_cbranch_execz .LBB130_278
; %bb.277:
	s_mul_i32 s1, s25, s26
	s_mul_i32 s0, s44, s27
	s_sub_co_i32 s1, s44, s1
	s_sub_co_i32 s0, s33, s0
	s_add_co_i32 s2, s25, 1
	s_sub_co_i32 s6, s1, s26
	s_cmp_ge_u32 s1, s26
	s_mul_i32 s0, s0, s38
	s_wait_alu 0xfffe
	s_cselect_b32 s2, s2, s25
	s_cselect_b32 s1, s6, s1
	s_wait_alu 0xfffe
	s_add_co_i32 s6, s2, 1
	s_cmp_ge_u32 s1, s26
	v_mov_b32_e32 v2, 0
	s_wait_alu 0xfffe
	s_cselect_b32 s1, s6, s2
	s_delay_alu instid0(SALU_CYCLE_1)
	s_mul_i32 s2, s1, s26
	s_mul_i32 s1, s1, s36
	s_wait_alu 0xfffe
	s_sub_co_i32 s2, s44, s2
	s_wait_alu 0xfffe
	s_mul_i32 s2, s2, s37
	s_wait_alu 0xfffe
	s_add_co_i32 s0, s2, s0
	s_delay_alu instid0(SALU_CYCLE_1) | instskip(SKIP_1) | instid1(SALU_CYCLE_1)
	s_add_co_i32 s0, s0, s1
	s_mov_b32 s1, 0
	s_lshl_b64 s[0:1], s[0:1], 3
	s_delay_alu instid0(SALU_CYCLE_1)
	s_add_nc_u64 s[0:1], s[50:51], s[0:1]
	global_store_b64 v2, v[1:2], s[0:1]
.LBB130_278:
	s_wait_alu 0xfffe
	s_or_b32 exec_lo, exec_lo, s5
.LBB130_279:
	s_wait_alu 0xfffe
	s_or_saveexec_b32 s0, s4
	s_mov_b32 s1, 0
	s_xor_b32 exec_lo, exec_lo, s0
	s_cbranch_execnz .LBB130_282
.LBB130_280:
	s_or_b32 exec_lo, exec_lo, s0
	s_delay_alu instid0(SALU_CYCLE_1)
	s_and_b32 s0, s1, exec_lo
	s_and_not1_saveexec_b32 s1, s3
	s_cbranch_execz .LBB130_265
.LBB130_281:
	s_or_b32 s0, s0, exec_lo
	s_trap 2
	s_or_b32 exec_lo, exec_lo, s1
	s_and_saveexec_b32 s1, s0
	s_cbranch_execnz .LBB130_266
	s_branch .LBB130_267
.LBB130_282:
	s_mov_b32 s1, exec_lo
	s_trap 2
	s_branch .LBB130_280
	.section	.rodata,"a",@progbits
	.p2align	6, 0x0
	.amdhsa_kernel _ZN2at6native12_GLOBAL__N_112gatherMedianIN3c104HalfEjLi3EEEvNS_4cuda6detail10TensorInfoIT_T0_EENS7_IlS9_EENS7_IKS8_S9_EES9_S9_S9_b
		.amdhsa_group_segment_fixed_size 4120
		.amdhsa_private_segment_fixed_size 0
		.amdhsa_kernarg_size 920
		.amdhsa_user_sgpr_count 2
		.amdhsa_user_sgpr_dispatch_ptr 0
		.amdhsa_user_sgpr_queue_ptr 0
		.amdhsa_user_sgpr_kernarg_segment_ptr 1
		.amdhsa_user_sgpr_dispatch_id 0
		.amdhsa_user_sgpr_private_segment_size 0
		.amdhsa_wavefront_size32 1
		.amdhsa_uses_dynamic_stack 0
		.amdhsa_enable_private_segment 0
		.amdhsa_system_sgpr_workgroup_id_x 1
		.amdhsa_system_sgpr_workgroup_id_y 1
		.amdhsa_system_sgpr_workgroup_id_z 1
		.amdhsa_system_sgpr_workgroup_info 0
		.amdhsa_system_vgpr_workitem_id 0
		.amdhsa_next_free_vgpr 63
		.amdhsa_next_free_sgpr 93
		.amdhsa_reserve_vcc 1
		.amdhsa_float_round_mode_32 0
		.amdhsa_float_round_mode_16_64 0
		.amdhsa_float_denorm_mode_32 3
		.amdhsa_float_denorm_mode_16_64 3
		.amdhsa_fp16_overflow 0
		.amdhsa_workgroup_processor_mode 1
		.amdhsa_memory_ordered 1
		.amdhsa_forward_progress 1
		.amdhsa_inst_pref_size 113
		.amdhsa_round_robin_scheduling 0
		.amdhsa_exception_fp_ieee_invalid_op 0
		.amdhsa_exception_fp_denorm_src 0
		.amdhsa_exception_fp_ieee_div_zero 0
		.amdhsa_exception_fp_ieee_overflow 0
		.amdhsa_exception_fp_ieee_underflow 0
		.amdhsa_exception_fp_ieee_inexact 0
		.amdhsa_exception_int_div_zero 0
	.end_amdhsa_kernel
	.section	.text._ZN2at6native12_GLOBAL__N_112gatherMedianIN3c104HalfEjLi3EEEvNS_4cuda6detail10TensorInfoIT_T0_EENS7_IlS9_EENS7_IKS8_S9_EES9_S9_S9_b,"axG",@progbits,_ZN2at6native12_GLOBAL__N_112gatherMedianIN3c104HalfEjLi3EEEvNS_4cuda6detail10TensorInfoIT_T0_EENS7_IlS9_EENS7_IKS8_S9_EES9_S9_S9_b,comdat
.Lfunc_end130:
	.size	_ZN2at6native12_GLOBAL__N_112gatherMedianIN3c104HalfEjLi3EEEvNS_4cuda6detail10TensorInfoIT_T0_EENS7_IlS9_EENS7_IKS8_S9_EES9_S9_S9_b, .Lfunc_end130-_ZN2at6native12_GLOBAL__N_112gatherMedianIN3c104HalfEjLi3EEEvNS_4cuda6detail10TensorInfoIT_T0_EENS7_IlS9_EENS7_IKS8_S9_EES9_S9_S9_b
                                        ; -- End function
	.set _ZN2at6native12_GLOBAL__N_112gatherMedianIN3c104HalfEjLi3EEEvNS_4cuda6detail10TensorInfoIT_T0_EENS7_IlS9_EENS7_IKS8_S9_EES9_S9_S9_b.num_vgpr, 63
	.set _ZN2at6native12_GLOBAL__N_112gatherMedianIN3c104HalfEjLi3EEEvNS_4cuda6detail10TensorInfoIT_T0_EENS7_IlS9_EENS7_IKS8_S9_EES9_S9_S9_b.num_agpr, 0
	.set _ZN2at6native12_GLOBAL__N_112gatherMedianIN3c104HalfEjLi3EEEvNS_4cuda6detail10TensorInfoIT_T0_EENS7_IlS9_EENS7_IKS8_S9_EES9_S9_S9_b.numbered_sgpr, 93
	.set _ZN2at6native12_GLOBAL__N_112gatherMedianIN3c104HalfEjLi3EEEvNS_4cuda6detail10TensorInfoIT_T0_EENS7_IlS9_EENS7_IKS8_S9_EES9_S9_S9_b.num_named_barrier, 0
	.set _ZN2at6native12_GLOBAL__N_112gatherMedianIN3c104HalfEjLi3EEEvNS_4cuda6detail10TensorInfoIT_T0_EENS7_IlS9_EENS7_IKS8_S9_EES9_S9_S9_b.private_seg_size, 0
	.set _ZN2at6native12_GLOBAL__N_112gatherMedianIN3c104HalfEjLi3EEEvNS_4cuda6detail10TensorInfoIT_T0_EENS7_IlS9_EENS7_IKS8_S9_EES9_S9_S9_b.uses_vcc, 1
	.set _ZN2at6native12_GLOBAL__N_112gatherMedianIN3c104HalfEjLi3EEEvNS_4cuda6detail10TensorInfoIT_T0_EENS7_IlS9_EENS7_IKS8_S9_EES9_S9_S9_b.uses_flat_scratch, 0
	.set _ZN2at6native12_GLOBAL__N_112gatherMedianIN3c104HalfEjLi3EEEvNS_4cuda6detail10TensorInfoIT_T0_EENS7_IlS9_EENS7_IKS8_S9_EES9_S9_S9_b.has_dyn_sized_stack, 0
	.set _ZN2at6native12_GLOBAL__N_112gatherMedianIN3c104HalfEjLi3EEEvNS_4cuda6detail10TensorInfoIT_T0_EENS7_IlS9_EENS7_IKS8_S9_EES9_S9_S9_b.has_recursion, 0
	.set _ZN2at6native12_GLOBAL__N_112gatherMedianIN3c104HalfEjLi3EEEvNS_4cuda6detail10TensorInfoIT_T0_EENS7_IlS9_EENS7_IKS8_S9_EES9_S9_S9_b.has_indirect_call, 0
	.section	.AMDGPU.csdata,"",@progbits
; Kernel info:
; codeLenInByte = 14356
; TotalNumSgprs: 95
; NumVgprs: 63
; ScratchSize: 0
; MemoryBound: 0
; FloatMode: 240
; IeeeMode: 1
; LDSByteSize: 4120 bytes/workgroup (compile time only)
; SGPRBlocks: 0
; VGPRBlocks: 7
; NumSGPRsForWavesPerEU: 95
; NumVGPRsForWavesPerEU: 63
; Occupancy: 16
; WaveLimiterHint : 1
; COMPUTE_PGM_RSRC2:SCRATCH_EN: 0
; COMPUTE_PGM_RSRC2:USER_SGPR: 2
; COMPUTE_PGM_RSRC2:TRAP_HANDLER: 0
; COMPUTE_PGM_RSRC2:TGID_X_EN: 1
; COMPUTE_PGM_RSRC2:TGID_Y_EN: 1
; COMPUTE_PGM_RSRC2:TGID_Z_EN: 1
; COMPUTE_PGM_RSRC2:TIDIG_COMP_CNT: 0
	.section	.text._ZN2at6native12_GLOBAL__N_112gatherMedianIN3c104HalfEjLin1EEEvNS_4cuda6detail10TensorInfoIT_T0_EENS7_IlS9_EENS7_IKS8_S9_EES9_S9_S9_b,"axG",@progbits,_ZN2at6native12_GLOBAL__N_112gatherMedianIN3c104HalfEjLin1EEEvNS_4cuda6detail10TensorInfoIT_T0_EENS7_IlS9_EENS7_IKS8_S9_EES9_S9_S9_b,comdat
	.globl	_ZN2at6native12_GLOBAL__N_112gatherMedianIN3c104HalfEjLin1EEEvNS_4cuda6detail10TensorInfoIT_T0_EENS7_IlS9_EENS7_IKS8_S9_EES9_S9_S9_b ; -- Begin function _ZN2at6native12_GLOBAL__N_112gatherMedianIN3c104HalfEjLin1EEEvNS_4cuda6detail10TensorInfoIT_T0_EENS7_IlS9_EENS7_IKS8_S9_EES9_S9_S9_b
	.p2align	8
	.type	_ZN2at6native12_GLOBAL__N_112gatherMedianIN3c104HalfEjLin1EEEvNS_4cuda6detail10TensorInfoIT_T0_EENS7_IlS9_EENS7_IKS8_S9_EES9_S9_S9_b,@function
_ZN2at6native12_GLOBAL__N_112gatherMedianIN3c104HalfEjLin1EEEvNS_4cuda6detail10TensorInfoIT_T0_EENS7_IlS9_EENS7_IKS8_S9_EES9_S9_S9_b: ; @_ZN2at6native12_GLOBAL__N_112gatherMedianIN3c104HalfEjLin1EEEvNS_4cuda6detail10TensorInfoIT_T0_EENS7_IlS9_EENS7_IKS8_S9_EES9_S9_S9_b
; %bb.0:
	s_clause 0x1
	s_load_b64 s[6:7], s[0:1], 0x298
	s_load_b128 s[28:31], s[0:1], 0x288
	s_lshr_b32 s2, ttmp7, 16
	s_and_b32 s3, ttmp7, 0xffff
	s_wait_kmcnt 0x0
	s_mul_i32 s2, s7, s2
	s_delay_alu instid0(SALU_CYCLE_1) | instskip(NEXT) | instid1(SALU_CYCLE_1)
	s_add_co_i32 s2, s2, s3
	s_mul_i32 s2, s2, s6
	s_delay_alu instid0(SALU_CYCLE_1) | instskip(NEXT) | instid1(SALU_CYCLE_1)
	s_add_co_i32 s7, s2, ttmp9
	s_cmp_ge_u32 s7, s29
	s_cbranch_scc1 .LBB131_276
; %bb.1:
	s_load_b32 s2, s[0:1], 0xd0
	s_mov_b32 s27, 0
	s_mov_b32 s33, s7
	s_wait_kmcnt 0x0
	s_cmp_lt_i32 s2, 2
	s_cbranch_scc1 .LBB131_4
; %bb.2:
	s_add_co_i32 s26, s2, -1
	s_mov_b32 s33, s7
	s_lshl_b64 s[4:5], s[26:27], 2
	s_delay_alu instid0(SALU_CYCLE_1)
	s_add_nc_u64 s[8:9], s[0:1], s[4:5]
	s_add_co_i32 s4, s2, 1
	s_add_nc_u64 s[2:3], s[8:9], 8
.LBB131_3:                              ; =>This Inner Loop Header: Depth=1
	s_clause 0x1
	s_load_b32 s5, s[2:3], 0x0
	s_load_b32 s8, s[2:3], 0x64
	s_mov_b32 s11, s33
	s_add_nc_u64 s[2:3], s[2:3], -4
	s_wait_kmcnt 0x0
	s_cvt_f32_u32 s9, s5
	s_sub_co_i32 s10, 0, s5
	s_wait_alu 0xfffe
	s_delay_alu instid0(SALU_CYCLE_1) | instskip(NEXT) | instid1(TRANS32_DEP_1)
	v_rcp_iflag_f32_e32 v1, s9
	v_readfirstlane_b32 s9, v1
	s_mul_f32 s9, s9, 0x4f7ffffe
	s_wait_alu 0xfffe
	s_delay_alu instid0(SALU_CYCLE_2) | instskip(SKIP_1) | instid1(SALU_CYCLE_2)
	s_cvt_u32_f32 s9, s9
	s_wait_alu 0xfffe
	s_mul_i32 s10, s10, s9
	s_delay_alu instid0(SALU_CYCLE_1) | instskip(NEXT) | instid1(SALU_CYCLE_1)
	s_mul_hi_u32 s10, s9, s10
	s_add_co_i32 s9, s9, s10
	s_wait_alu 0xfffe
	s_mul_hi_u32 s9, s33, s9
	s_wait_alu 0xfffe
	s_mul_i32 s10, s9, s5
	s_add_co_i32 s12, s9, 1
	s_sub_co_i32 s10, s33, s10
	s_delay_alu instid0(SALU_CYCLE_1)
	s_sub_co_i32 s13, s10, s5
	s_cmp_ge_u32 s10, s5
	s_cselect_b32 s9, s12, s9
	s_cselect_b32 s10, s13, s10
	s_wait_alu 0xfffe
	s_add_co_i32 s12, s9, 1
	s_cmp_ge_u32 s10, s5
	s_cselect_b32 s33, s12, s9
	s_add_co_i32 s4, s4, -1
	s_mul_i32 s5, s33, s5
	s_delay_alu instid0(SALU_CYCLE_1) | instskip(NEXT) | instid1(SALU_CYCLE_1)
	s_sub_co_i32 s5, s11, s5
	s_mul_i32 s5, s8, s5
	s_delay_alu instid0(SALU_CYCLE_1)
	s_add_co_i32 s27, s5, s27
	s_cmp_gt_u32 s4, 2
	s_cbranch_scc1 .LBB131_3
.LBB131_4:
	s_load_b32 s4, s[0:1], 0x1a8
	s_add_nc_u64 s[12:13], s[0:1], 0x298
	s_add_nc_u64 s[2:3], s[0:1], 0xd8
	s_mov_b32 s25, 0
	s_mov_b32 s26, s7
	s_wait_kmcnt 0x0
	s_cmp_lt_i32 s4, 2
	s_cbranch_scc1 .LBB131_7
; %bb.5:
	s_add_co_i32 s24, s4, -1
	s_mov_b32 s26, s7
	s_lshl_b64 s[8:9], s[24:25], 2
	s_wait_alu 0xfffe
	s_add_nc_u64 s[10:11], s[2:3], s[8:9]
	s_add_co_i32 s8, s4, 1
	s_add_nc_u64 s[4:5], s[10:11], 8
.LBB131_6:                              ; =>This Inner Loop Header: Depth=1
	s_clause 0x1
	s_load_b32 s9, s[4:5], 0x0
	s_load_b32 s10, s[4:5], 0x64
	s_mov_b32 s15, s26
	s_add_nc_u64 s[4:5], s[4:5], -4
	s_wait_kmcnt 0x0
	s_cvt_f32_u32 s11, s9
	s_sub_co_i32 s14, 0, s9
	s_wait_alu 0xfffe
	s_delay_alu instid0(SALU_CYCLE_1) | instskip(NEXT) | instid1(TRANS32_DEP_1)
	v_rcp_iflag_f32_e32 v1, s11
	v_readfirstlane_b32 s11, v1
	s_mul_f32 s11, s11, 0x4f7ffffe
	s_wait_alu 0xfffe
	s_delay_alu instid0(SALU_CYCLE_2) | instskip(SKIP_1) | instid1(SALU_CYCLE_2)
	s_cvt_u32_f32 s11, s11
	s_wait_alu 0xfffe
	s_mul_i32 s14, s14, s11
	s_delay_alu instid0(SALU_CYCLE_1) | instskip(NEXT) | instid1(SALU_CYCLE_1)
	s_mul_hi_u32 s14, s11, s14
	s_add_co_i32 s11, s11, s14
	s_wait_alu 0xfffe
	s_mul_hi_u32 s11, s26, s11
	s_wait_alu 0xfffe
	s_mul_i32 s14, s11, s9
	s_add_co_i32 s16, s11, 1
	s_sub_co_i32 s14, s26, s14
	s_delay_alu instid0(SALU_CYCLE_1)
	s_sub_co_i32 s17, s14, s9
	s_cmp_ge_u32 s14, s9
	s_cselect_b32 s11, s16, s11
	s_cselect_b32 s14, s17, s14
	s_wait_alu 0xfffe
	s_add_co_i32 s16, s11, 1
	s_cmp_ge_u32 s14, s9
	s_cselect_b32 s26, s16, s11
	s_add_co_i32 s8, s8, -1
	s_mul_i32 s9, s26, s9
	s_wait_alu 0xfffe
	s_sub_co_i32 s9, s15, s9
	s_wait_alu 0xfffe
	s_mul_i32 s9, s10, s9
	s_wait_alu 0xfffe
	s_add_co_i32 s25, s9, s25
	s_cmp_gt_u32 s8, 2
	s_cbranch_scc1 .LBB131_6
.LBB131_7:
	s_clause 0x1
	s_load_b32 s49, s[0:1], 0x6c
	s_load_b32 s8, s[0:1], 0x280
	s_mov_b32 s5, 0
	s_wait_kmcnt 0x0
	s_cmp_lt_i32 s8, 2
	s_cbranch_scc1 .LBB131_10
; %bb.8:
	s_add_co_i32 s4, s8, -1
	s_add_nc_u64 s[10:11], s[0:1], 0x1b0
	s_lshl_b64 s[14:15], s[4:5], 2
	s_add_co_i32 s4, s8, 1
	s_wait_alu 0xfffe
	s_add_nc_u64 s[10:11], s[10:11], s[14:15]
	s_wait_alu 0xfffe
	s_add_nc_u64 s[8:9], s[10:11], 8
.LBB131_9:                              ; =>This Inner Loop Header: Depth=1
	s_clause 0x1
	s_load_b32 s10, s[8:9], 0x0
	s_load_b32 s11, s[8:9], 0x64
	s_mov_b32 s16, s7
	s_add_nc_u64 s[8:9], s[8:9], -4
	s_wait_kmcnt 0x0
	s_cvt_f32_u32 s14, s10
	s_sub_co_i32 s15, 0, s10
	s_wait_alu 0xfffe
	s_delay_alu instid0(SALU_CYCLE_1) | instskip(NEXT) | instid1(TRANS32_DEP_1)
	v_rcp_iflag_f32_e32 v1, s14
	v_readfirstlane_b32 s14, v1
	s_mul_f32 s14, s14, 0x4f7ffffe
	s_wait_alu 0xfffe
	s_delay_alu instid0(SALU_CYCLE_2) | instskip(SKIP_1) | instid1(SALU_CYCLE_2)
	s_cvt_u32_f32 s14, s14
	s_wait_alu 0xfffe
	s_mul_i32 s15, s15, s14
	s_wait_alu 0xfffe
	s_mul_hi_u32 s15, s14, s15
	s_wait_alu 0xfffe
	s_add_co_i32 s14, s14, s15
	s_wait_alu 0xfffe
	s_mul_hi_u32 s7, s7, s14
	s_delay_alu instid0(SALU_CYCLE_1)
	s_mul_i32 s14, s7, s10
	s_add_co_i32 s15, s7, 1
	s_wait_alu 0xfffe
	s_sub_co_i32 s14, s16, s14
	s_wait_alu 0xfffe
	s_sub_co_i32 s17, s14, s10
	s_cmp_ge_u32 s14, s10
	s_cselect_b32 s7, s15, s7
	s_cselect_b32 s14, s17, s14
	s_add_co_i32 s15, s7, 1
	s_wait_alu 0xfffe
	s_cmp_ge_u32 s14, s10
	s_cselect_b32 s7, s15, s7
	s_add_co_i32 s4, s4, -1
	s_mul_i32 s10, s7, s10
	s_wait_alu 0xfffe
	s_sub_co_i32 s10, s16, s10
	s_wait_alu 0xfffe
	s_mul_i32 s10, s11, s10
	s_wait_alu 0xfffe
	s_add_co_i32 s5, s10, s5
	s_cmp_gt_u32 s4, 2
	s_cbranch_scc1 .LBB131_9
.LBB131_10:
	s_clause 0x2
	s_load_b32 s48, s[2:3], 0x6c
	s_load_b32 s2, s[0:1], 0x21c
	s_load_b64 s[10:11], s[0:1], 0x1b0
	s_mov_b32 s9, 0
	v_mov_b32_e32 v3, 0
	s_wait_kmcnt 0x0
	s_mul_i32 s2, s2, s7
	s_delay_alu instid0(SALU_CYCLE_1) | instskip(SKIP_3) | instid1(SALU_CYCLE_1)
	s_add_co_i32 s8, s2, s5
	v_cmp_gt_u32_e64 s2, s28, v0
	s_wait_alu 0xfffe
	s_lshl_b64 s[4:5], s[8:9], 1
	s_add_nc_u64 s[34:35], s[10:11], s[4:5]
	s_and_saveexec_b32 s4, s2
	s_cbranch_execz .LBB131_14
; %bb.11:
	s_load_b32 s3, s[12:13], 0xc
	v_mov_b32_e32 v2, 0
	v_mul_lo_u32 v1, v0, s30
	s_delay_alu instid0(VALU_DEP_2) | instskip(SKIP_2) | instid1(SALU_CYCLE_1)
	v_dual_mov_b32 v4, v0 :: v_dual_mov_b32 v3, v2
	s_wait_kmcnt 0x0
	s_and_b32 s5, s3, 0xffff
	s_mul_i32 s7, s30, s5
.LBB131_12:                             ; =>This Inner Loop Header: Depth=1
	s_delay_alu instid0(VALU_DEP_2) | instskip(SKIP_2) | instid1(VALU_DEP_3)
	v_lshlrev_b64_e32 v[5:6], 1, v[1:2]
	v_add_nc_u32_e32 v4, s5, v4
	v_add_nc_u32_e32 v1, s7, v1
	v_add_co_u32 v5, vcc_lo, s34, v5
	s_wait_alu 0xfffd
	s_delay_alu instid0(VALU_DEP_4)
	v_add_co_ci_u32_e64 v6, null, s35, v6, vcc_lo
	v_cmp_le_u32_e32 vcc_lo, s28, v4
	global_load_u16 v5, v[5:6], off
	s_or_b32 s9, vcc_lo, s9
	s_wait_loadcnt 0x0
	v_cmp_u_f16_e64 s3, v5, v5
	s_wait_alu 0xf1ff
	s_delay_alu instid0(VALU_DEP_1)
	v_add_co_ci_u32_e64 v3, null, 0, v3, s3
	s_wait_alu 0xfffe
	s_and_not1_b32 exec_lo, exec_lo, s9
	s_cbranch_execnz .LBB131_12
; %bb.13:
	s_or_b32 exec_lo, exec_lo, s9
.LBB131_14:
	s_delay_alu instid0(SALU_CYCLE_1)
	s_or_b32 exec_lo, exec_lo, s4
	s_clause 0x1
	s_load_b64 s[38:39], s[0:1], 0x0
	s_load_b64 s[36:37], s[0:1], 0xd8
	v_cmp_eq_u32_e64 s0, 0, v0
	s_and_saveexec_b32 s1, s0
; %bb.15:
	v_mov_b32_e32 v1, 0
	s_delay_alu instid0(VALU_DEP_1)
	v_mov_b32_e32 v2, v1
	ds_store_b64 v1, v[1:2] offset:4096
; %bb.16:
	s_or_b32 exec_lo, exec_lo, s1
	s_delay_alu instid0(SALU_CYCLE_1)
	s_mov_b32 s1, exec_lo
	s_wait_dscnt 0x0
	s_barrier_signal -1
	s_barrier_wait -1
	global_inv scope:SCOPE_SE
	v_cmpx_ne_u32_e32 0, v3
	s_cbranch_execz .LBB131_21
; %bb.17:
	v_mov_b32_e32 v1, 0
	s_mov_b32 s3, exec_lo
	s_mov_b64 s[4:5], 0
.LBB131_18:                             ; =>This Inner Loop Header: Depth=1
	s_wait_alu 0xfffe
	s_ctz_i32_b32 s7, s3
	s_wait_alu 0xfffe
	v_readlane_b32 s9, v1, s7
	v_readlane_b32 s8, v3, s7
	s_lshl_b32 s7, 1, s7
	s_wait_alu 0xfffe
	s_and_not1_b32 s3, s3, s7
	s_wait_alu 0xfffe
	s_cmp_lg_u32 s3, 0
	s_add_nc_u64 s[4:5], s[4:5], s[8:9]
	s_cbranch_scc1 .LBB131_18
; %bb.19:
	v_mbcnt_lo_u32_b32 v1, exec_lo, 0
	s_mov_b32 s3, exec_lo
	s_delay_alu instid0(VALU_DEP_1)
	v_cmpx_eq_u32_e32 0, v1
	s_wait_alu 0xfffe
	s_xor_b32 s3, exec_lo, s3
; %bb.20:
	v_mov_b32_e32 v1, s4
	v_dual_mov_b32 v3, 0 :: v_dual_mov_b32 v2, s5
	ds_add_u64 v3, v[1:2] offset:4096
.LBB131_21:
	s_or_b32 exec_lo, exec_lo, s1
	v_mov_b32_e32 v1, 0
	s_wait_loadcnt_dscnt 0x0
	s_barrier_signal -1
	s_barrier_wait -1
	global_inv scope:SCOPE_SE
	ds_load_b64 v[1:2], v1 offset:4096
	s_bitcmp1_b32 s31, 0
	s_mov_b32 s11, s28
	s_cselect_b32 s3, -1, 0
	s_wait_dscnt 0x0
	v_readfirstlane_b32 s4, v1
	v_readfirstlane_b32 s5, v2
	s_wait_alu 0xf1ff
	s_delay_alu instid0(VALU_DEP_1) | instskip(SKIP_2) | instid1(SALU_CYCLE_1)
	v_cmp_lt_i64_e64 s1, s[4:5], 1
	s_wait_alu 0xfffe
	s_or_b32 s1, s3, s1
	s_and_not1_b32 vcc_lo, exec_lo, s1
	s_wait_alu 0xfffe
	s_cbranch_vccnz .LBB131_23
; %bb.22:
	s_not_b64 s[4:5], s[4:5]
	s_mov_b32 s29, 0
	s_wait_alu 0xfffe
	s_add_nc_u64 s[4:5], s[4:5], s[28:29]
	s_mov_b32 s9, s29
	s_wait_alu 0xfffe
	s_lshr_b32 s8, s5, 31
	s_wait_alu 0xfffe
	s_add_nc_u64 s[4:5], s[4:5], s[8:9]
	s_wait_alu 0xfffe
	s_lshr_b64 s[4:5], s[4:5], 1
	s_wait_alu 0xfffe
	s_add_co_i32 s11, s4, 1
.LBB131_23:
	s_and_saveexec_b32 s1, s0
	s_cbranch_execz .LBB131_25
; %bb.24:
	v_dual_mov_b32 v1, 0 :: v_dual_mov_b32 v2, s28
	ds_store_b32 v1, v1 offset:4112
	ds_store_b64 v1, v[1:2] offset:4104
.LBB131_25:
	s_or_b32 exec_lo, exec_lo, s1
	s_wait_loadcnt_dscnt 0x0
	s_barrier_signal -1
	s_barrier_wait -1
	global_inv scope:SCOPE_SE
	s_load_b32 s5, s[12:13], 0xc
	v_dual_mov_b32 v7, 0 :: v_dual_lshlrev_b32 v14, 2, v0
	v_mbcnt_lo_u32_b32 v15, -1, 0
	v_mul_lo_u32 v5, s30, v0
	v_cmp_gt_u32_e32 vcc_lo, 32, v0
	v_dual_mov_b32 v35, s11 :: v_dual_lshlrev_b32 v16, 1, v0
	s_delay_alu instid0(VALU_DEP_4) | instskip(SKIP_2) | instid1(VALU_DEP_4)
	v_cmp_gt_i32_e64 s4, 4, v15
	v_mov_b32_e32 v6, v7
	v_lshlrev_b64_e64 v[3:4], v15, -1
	v_dual_mov_b32 v34, 0 :: v_dual_add_nc_u32 v17, 0xc00, v16
	s_and_b32 s50, vcc_lo, s4
	s_delay_alu instid0(VALU_DEP_3) | instskip(SKIP_1) | instid1(VALU_DEP_3)
	v_lshlrev_b64_e32 v[1:2], 1, v[5:6]
	s_mov_b32 s31, s30
	v_not_b32_e32 v18, v3
	s_wait_alu 0xfffe
	v_mad_co_u64_u32 v[12:13], null, s30, v14, s[30:31]
	v_cmp_gt_u32_e64 s1, 2, v0
	s_wait_kmcnt 0x0
	s_and_b32 s29, s5, 0xffff
	s_bfe_u32 s4, s5, 0xb0005
	s_wait_alu 0xfffe
	s_lshl_b32 s52, s29, 2
	s_add_co_i32 s51, s29, -1
	s_cvt_f32_u32 s5, s52
	s_add_co_i32 s10, s51, s28
	v_add_co_u32 v8, vcc_lo, s34, v1
	s_wait_alu 0xfffe
	v_rcp_iflag_f32_e32 v3, s5
	s_cmp_gt_u32 s28, 0x600
	s_wait_alu 0xfffd
	v_add_co_ci_u32_e64 v9, null, s35, v2, vcc_lo
	v_lshrrev_b32_e32 v2, 1, v0
	s_cselect_b32 s53, -1, 0
	s_cmp_gt_u32 s29, 31
	s_movk_i32 s5, 0x1f0
	s_cselect_b32 s55, -1, 0
	s_cmp_lt_u32 ttmp9, s6
	s_wait_alu 0xfffe
	v_and_or_b32 v19, v2, s5, 0xc00
	s_cselect_b32 s40, 12, 18
	s_add_co_i32 s5, s4, -1
	v_readfirstlane_b32 s6, v3
	s_wait_alu 0xfffe
	s_and_b32 s5, s5, 0xffff
	s_bfe_u32 s56, s29, 0x30005
	s_wait_alu 0xfffe
	s_cmp_gt_u32 s5, 6
	s_cvt_f32_u32 s5, s29
	s_cselect_b32 s57, -1, 0
	s_and_b32 s58, s4, 0x7f8
	s_mul_f32 s4, s6, 0x4f7ffffe
	s_cmp_lg_u32 s56, 0
	s_wait_alu 0xfffe
	v_rcp_iflag_f32_e32 v4, s5
	s_cselect_b32 s59, -1, 0
	s_cvt_u32_f32 s4, s4
	s_sub_co_i32 s6, 0, s52
	v_add_nc_u32_e32 v1, 2, v0
	v_mov_b32_e32 v31, 0x8000
	s_wait_alu 0xfffe
	s_mul_i32 s6, s6, s4
	v_mov_b32_e32 v13, 0
	s_wait_alu 0xfffe
	s_mul_hi_u32 s5, s4, s6
	v_max_u32_e32 v1, s28, v1
	s_wait_alu 0xfffe
	s_add_co_i32 s42, s4, s5
	v_readfirstlane_b32 s6, v4
	s_mul_hi_u32 s5, s28, s42
	v_mov_b32_e32 v32, 0
	s_wait_alu 0xfffe
	s_mul_i32 s5, s5, s52
	v_xad_u32 v1, v0, -1, v1
	s_wait_alu 0xfffe
	s_sub_co_i32 s5, s28, s5
	s_mul_f32 s6, s6, 0x4f7ffffe
	s_wait_alu 0xfffe
	s_sub_co_i32 s7, s5, s52
	s_cmp_ge_u32 s5, s52
	v_add_nc_u32_e32 v2, -2, v1
	s_wait_alu 0xfffe
	s_cselect_b32 s7, s7, s5
	s_cvt_u32_f32 s6, s6
	s_wait_alu 0xfffe
	s_sub_co_i32 s8, s7, s52
	s_cmp_ge_u32 s7, s52
	v_and_b32_e32 v20, -2, v1
	s_wait_alu 0xfffe
	s_cselect_b32 s14, s8, s7
	s_sub_co_i32 s7, 0, s29
	s_wait_alu 0xfffe
	s_sub_co_i32 s60, s28, s14
	s_mul_i32 s7, s7, s6
	v_add_nc_u32_e32 v22, s60, v0
	s_wait_alu 0xfffe
	s_mul_hi_u32 s7, s6, s7
	v_lshrrev_b32_e32 v3, 1, v2
	s_wait_alu 0xfffe
	s_add_co_i32 s44, s6, s7
	v_cmp_lt_u32_e64 s4, 31, v1
	v_mul_lo_u32 v6, v22, s30
	s_mul_hi_u32 s7, s10, s44
	v_cmp_lt_u32_e64 s5, 13, v2
	s_wait_alu 0xfffe
	s_mul_i32 s8, s7, s29
	v_cmp_ne_u32_e64 s7, v1, v20
	s_wait_alu 0xfffe
	s_sub_co_i32 s9, s10, s8
	v_add_nc_u32_e32 v3, 1, v3
	s_wait_alu 0xfffe
	s_sub_co_i32 s15, s9, s29
	v_lshlrev_b64_e32 v[1:2], 1, v[6:7]
	s_cmp_ge_u32 s9, s29
	v_cmp_eq_u32_e64 s3, 0, v15
	s_wait_alu 0xfffe
	s_cselect_b32 s15, s15, s9
	v_dual_mov_b32 v33, 0 :: v_dual_and_b32 v4, 7, v3
	v_add_co_u32 v10, vcc_lo, s34, v1
	v_add3_u32 v1, s29, s28, v0
	v_and_b32_e32 v23, -8, v3
	s_wait_alu 0xfffd
	v_add_co_ci_u32_e64 v11, null, s35, v2, vcc_lo
	v_or_b32_e32 v2, 2, v14
	v_or_b32_e32 v3, 3, v14
	v_subrev_nc_u32_e32 v1, s14, v1
	s_wait_alu 0xfffe
	s_sub_co_i32 s16, s15, s29
	s_cmp_ge_u32 s15, s29
	v_mul_lo_u32 v25, s30, v2
	s_cselect_b32 s15, s16, s15
	v_mul_lo_u32 v26, s30, v3
	v_mul_lo_u32 v28, s30, v1
	s_wait_alu 0xfffe
	s_sub_co_i32 s61, s10, s15
	v_add_nc_u32_e32 v21, v0, v20
	v_cmp_ne_u32_e64 s6, 0, v4
	v_cmp_gt_u32_e64 s8, s60, v14
	v_cmp_gt_u32_e64 s9, s28, v22
	s_wait_alu 0xfffe
	v_cmp_gt_u32_e64 s10, s61, v0
	v_lshlrev_b32_e32 v24, 2, v4
	v_lshlrev_b32_e32 v27, 2, v5
	;; [unrolled: 1-line block ×3, first 2 shown]
	v_lshl_or_b32 v30, v15, 2, 0xc00
	s_mov_b32 s41, 0
	s_mul_i32 s54, s30, s29
	s_mov_b32 s43, s41
	s_mov_b32 s45, s41
	s_lshl_b32 s62, s54, 2
	s_lshl_b32 s63, s29, 3
	;; [unrolled: 1-line block ×3, first 2 shown]
	s_mov_b32 s73, 14
	s_add_nc_u64 s[46:47], s[12:13], s[40:41]
	s_movk_i32 s66, 0x3c00
	s_mov_b32 s65, 0
                                        ; implicit-def: $sgpr70
                                        ; implicit-def: $sgpr72
                                        ; implicit-def: $sgpr67
                                        ; implicit-def: $sgpr69
                                        ; implicit-def: $sgpr71
                                        ; implicit-def: $sgpr68
	s_branch .LBB131_29
.LBB131_26:                             ;   in Loop: Header=BB131_29 Depth=1
	s_wait_alu 0xfffe
	s_or_b32 exec_lo, exec_lo, s15
	s_delay_alu instid0(SALU_CYCLE_1)
	s_and_b32 s12, s12, exec_lo
	s_and_not1_b32 s17, s17, exec_lo
	s_and_not1_b32 s16, s16, exec_lo
	s_or_not1_b32 s14, s14, exec_lo
.LBB131_27:                             ;   in Loop: Header=BB131_29 Depth=1
	s_wait_alu 0xfffe
	s_or_b32 exec_lo, exec_lo, s11
	s_delay_alu instid0(SALU_CYCLE_1)
	s_and_not1_b32 s11, s68, exec_lo
	s_and_b32 s12, s12, exec_lo
	s_and_not1_b32 s15, s69, exec_lo
	s_wait_alu 0xfffe
	s_or_b32 s68, s11, s12
	s_and_not1_b32 s11, s71, exec_lo
	s_and_b32 s12, s17, exec_lo
	s_and_b32 s16, s16, exec_lo
	s_wait_alu 0xfffe
	s_or_b32 s71, s11, s12
	s_or_b32 s69, s15, s16
	s_or_not1_b32 s15, s14, exec_lo
.LBB131_28:                             ;   in Loop: Header=BB131_29 Depth=1
	s_wait_alu 0xfffe
	s_or_b32 exec_lo, exec_lo, s13
	s_delay_alu instid0(SALU_CYCLE_1)
	s_and_b32 s11, exec_lo, s15
	v_mov_b32_e32 v35, v2
	s_wait_alu 0xfffe
	s_or_b32 s65, s11, s65
	s_and_not1_b32 s11, s67, exec_lo
	s_and_b32 s12, s68, exec_lo
	s_and_not1_b32 s13, s72, exec_lo
	s_wait_alu 0xfffe
	s_or_b32 s67, s11, s12
	s_and_b32 s11, s71, exec_lo
	s_and_not1_b32 s12, s70, exec_lo
	s_and_b32 s14, s69, exec_lo
	s_wait_alu 0xfffe
	s_or_b32 s72, s13, s11
	s_or_b32 s70, s12, s14
	s_mov_b32 s73, s22
	s_and_not1_b32 exec_lo, exec_lo, s65
	s_cbranch_execz .LBB131_272
.LBB131_29:                             ; =>This Loop Header: Depth=1
                                        ;     Child Loop BB131_34 Depth 2
                                        ;     Child Loop BB131_55 Depth 2
	;; [unrolled: 1-line block ×18, first 2 shown]
	ds_load_b64 v[1:2], v7 offset:4104
	s_wait_dscnt 0x0
	v_readfirstlane_b32 s40, v1
	s_cmp_lg_u32 s40, 0
	s_cbranch_scc1 .LBB131_74
; %bb.30:                               ;   in Loop: Header=BB131_29 Depth=1
	s_and_b32 vcc_lo, exec_lo, s53
	s_wait_alu 0xfffe
	s_cbranch_vccz .LBB131_42
; %bb.31:                               ;   in Loop: Header=BB131_29 Depth=1
	v_cmp_gt_u32_e32 vcc_lo, 0x601, v2
	s_mov_b32 s13, 0
	s_mov_b32 s11, 0
	s_cbranch_vccz .LBB131_43
; %bb.32:                               ;   in Loop: Header=BB131_29 Depth=1
	global_load_u16 v1, v[8:9], off
	s_load_u16 s14, s[46:47], 0x0
	s_mov_b32 s15, 0
	s_wait_kmcnt 0x0
	v_add_nc_u32_e32 v2, s14, v0
	s_mul_i32 s16, s30, s14
	s_delay_alu instid0(VALU_DEP_1)
	v_mul_lo_u32 v6, s30, v2
	v_mov_b32_e32 v2, v0
	s_branch .LBB131_34
.LBB131_33:                             ;   in Loop: Header=BB131_34 Depth=2
	s_wait_alu 0xfffe
	s_or_b32 exec_lo, exec_lo, s12
	v_dual_mov_b32 v1, v3 :: v_dual_add_nc_u32 v6, s16, v6
	s_and_not1_b32 exec_lo, exec_lo, s15
	s_cbranch_execz .LBB131_49
.LBB131_34:                             ;   Parent Loop BB131_29 Depth=1
                                        ; =>  This Inner Loop Header: Depth=2
	s_delay_alu instid0(VALU_DEP_1) | instskip(SKIP_3) | instid1(VALU_DEP_2)
	v_dual_mov_b32 v3, 0 :: v_dual_add_nc_u32 v2, s14, v2
	s_wait_dscnt 0x0
	v_mov_b32_e32 v4, 0
	s_mov_b32 s12, exec_lo
	v_cmp_le_u32_e32 vcc_lo, s28, v2
	v_cmpx_gt_u32_e64 s28, v2
	s_cbranch_execz .LBB131_36
; %bb.35:                               ;   in Loop: Header=BB131_34 Depth=2
	v_lshlrev_b64_e32 v[36:37], 1, v[6:7]
	s_delay_alu instid0(VALU_DEP_1) | instskip(SKIP_1) | instid1(VALU_DEP_2)
	v_add_co_u32 v36, s11, s34, v36
	s_wait_alu 0xf1ff
	v_add_co_ci_u32_e64 v37, null, s35, v37, s11
	global_load_u16 v3, v[36:37], off
.LBB131_36:                             ;   in Loop: Header=BB131_34 Depth=2
	s_wait_alu 0xfffe
	s_or_b32 exec_lo, exec_lo, s12
	s_wait_loadcnt 0x0
	v_cmp_lt_i16_e64 s11, -1, v1
	v_and_b32_e32 v36, 0xffff, v1
	s_wait_alu 0xf1ff
	s_delay_alu instid0(VALU_DEP_2) | instskip(SKIP_1) | instid1(VALU_DEP_2)
	v_cndmask_b32_e64 v37, 0xffff, v31, s11
	v_cmp_o_f16_e64 s11, v1, v1
	v_xor_b32_e32 v36, v37, v36
	s_wait_alu 0xf1ff
	s_delay_alu instid0(VALU_DEP_1) | instskip(NEXT) | instid1(VALU_DEP_1)
	v_cndmask_b32_e64 v36, 0xffff, v36, s11
	v_and_b32_e32 v36, v36, v33
	s_delay_alu instid0(VALU_DEP_1)
	v_cmp_eq_u32_e64 s11, v36, v13
	s_cmp_lg_u32 s11, 0
	s_cselect_b32 s12, -1, 0
	s_wait_alu 0xfffe
	s_and_b32 s12, s3, s12
	s_wait_alu 0xfffe
	s_and_saveexec_b32 s17, s12
	s_cbranch_execz .LBB131_40
; %bb.37:                               ;   in Loop: Header=BB131_34 Depth=2
	s_mov_b32 s20, exec_lo
	s_bcnt1_i32_b32 s18, s11
	s_wait_alu 0xfffe
	v_mbcnt_lo_u32_b32 v4, s20, 0
	s_mov_b32 s19, exec_lo
                                        ; implicit-def: $vgpr36
	s_delay_alu instid0(VALU_DEP_1)
	v_cmpx_eq_u32_e32 0, v4
; %bb.38:                               ;   in Loop: Header=BB131_34 Depth=2
	s_bcnt1_i32_b32 s12, s20
	s_wait_alu 0xfffe
	s_mul_i32 s12, s18, s12
	s_wait_alu 0xfffe
	v_mov_b32_e32 v36, s12
	ds_add_rtn_u32 v36, v7, v36 offset:4112
; %bb.39:                               ;   in Loop: Header=BB131_34 Depth=2
	s_or_b32 exec_lo, exec_lo, s19
	s_wait_dscnt 0x0
	v_readfirstlane_b32 s12, v36
	s_wait_alu 0xf1ff
	s_delay_alu instid0(VALU_DEP_1)
	v_mad_u32_u24 v4, s18, v4, s12
.LBB131_40:                             ;   in Loop: Header=BB131_34 Depth=2
	s_wait_alu 0xfffe
	s_or_b32 exec_lo, exec_lo, s17
	ds_bpermute_b32 v4, v7, v4
	s_and_b32 s12, exec_lo, vcc_lo
	s_wait_alu 0xfffe
	s_or_b32 s15, s12, s15
	s_and_saveexec_b32 s12, s11
	s_cbranch_execz .LBB131_33
; %bb.41:                               ;   in Loop: Header=BB131_34 Depth=2
	v_and_b32_e32 v36, s11, v18
	s_delay_alu instid0(VALU_DEP_1) | instskip(NEXT) | instid1(VALU_DEP_1)
	v_bcnt_u32_b32 v36, v36, 0
	v_lshlrev_b32_e32 v36, 1, v36
	s_wait_dscnt 0x0
	s_delay_alu instid0(VALU_DEP_1)
	v_lshl_add_u32 v4, v4, 1, v36
	ds_store_b16 v4, v1
	s_branch .LBB131_33
.LBB131_42:                             ;   in Loop: Header=BB131_29 Depth=1
	s_mov_b32 s13, -1
	s_mov_b32 s11, 0
.LBB131_43:                             ;   in Loop: Header=BB131_29 Depth=1
	s_wait_alu 0xfffe
	s_and_b32 vcc_lo, exec_lo, s13
	s_wait_alu 0xfffe
	s_cbranch_vccz .LBB131_72
.LBB131_44:                             ;   in Loop: Header=BB131_29 Depth=1
	s_and_saveexec_b32 s12, s2
	s_cbranch_execz .LBB131_69
; %bb.45:                               ;   in Loop: Header=BB131_29 Depth=1
	global_load_u16 v36, v[8:9], off
	s_load_u16 s14, s[46:47], 0x0
	v_mov_b32_e32 v3, v0
	s_mov_b32 s13, exec_lo
	s_wait_kmcnt 0x0
	v_add_nc_u32_e32 v1, s14, v0
	s_delay_alu instid0(VALU_DEP_1)
	v_cmpx_gt_u32_e64 s28, v1
	s_cbranch_execz .LBB131_68
; %bb.46:                               ;   in Loop: Header=BB131_29 Depth=1
	s_mov_b32 s11, 0
	s_mul_i32 s15, s30, s14
                                        ; implicit-def: $vgpr3
                                        ; implicit-def: $vgpr2
                                        ; implicit-def: $vgpr4
	s_and_saveexec_b32 s16, s4
	s_wait_alu 0xfffe
	s_xor_b32 s16, exec_lo, s16
	s_cbranch_execnz .LBB131_52
; %bb.47:                               ;   in Loop: Header=BB131_29 Depth=1
	s_wait_alu 0xfffe
	s_and_not1_saveexec_b32 s16, s16
	s_cbranch_execnz .LBB131_63
.LBB131_48:                             ;   in Loop: Header=BB131_29 Depth=1
	s_wait_alu 0xfffe
	s_or_b32 exec_lo, exec_lo, s16
	s_and_saveexec_b32 s15, s11
	s_cbranch_execnz .LBB131_64
	s_branch .LBB131_67
.LBB131_49:                             ;   in Loop: Header=BB131_29 Depth=1
	s_or_b32 exec_lo, exec_lo, s15
	s_wait_dscnt 0x0
	s_barrier_signal -1
	s_barrier_wait -1
	global_inv scope:SCOPE_SE
	s_and_saveexec_b32 s11, s0
	s_cbranch_execz .LBB131_51
; %bb.50:                               ;   in Loop: Header=BB131_29 Depth=1
	ds_load_b32 v1, v7 offset:4112
	s_wait_dscnt 0x0
	ds_store_b32 v7, v1 offset:4104
.LBB131_51:                             ;   in Loop: Header=BB131_29 Depth=1
	s_wait_alu 0xfffe
	s_or_b32 exec_lo, exec_lo, s11
	s_wait_loadcnt_dscnt 0x0
	s_barrier_signal -1
	s_mov_b32 s11, -1
	s_barrier_wait -1
	s_and_b32 vcc_lo, exec_lo, s13
	s_wait_alu 0xfffe
	s_cbranch_vccnz .LBB131_44
	s_branch .LBB131_72
.LBB131_52:                             ;   in Loop: Header=BB131_29 Depth=1
	v_add_nc_u32_e32 v2, s14, v1
	s_cvt_f32_u32 s11, s14
	s_wait_alu 0xfffe
	s_delay_alu instid0(SALU_CYCLE_2) | instskip(NEXT) | instid1(VALU_DEP_1)
	v_rcp_iflag_f32_e32 v3, s11
	v_max_u32_e32 v2, s28, v2
	s_lshl_b32 s11, s14, 1
	s_delay_alu instid0(VALU_DEP_1) | instskip(NEXT) | instid1(TRANS32_DEP_1)
	v_sub_nc_u32_e32 v2, v2, v0
	v_readfirstlane_b32 s17, v3
	s_wait_alu 0xfffe
	s_delay_alu instid0(VALU_DEP_2) | instskip(SKIP_3) | instid1(VALU_DEP_1)
	v_cmp_ne_u32_e32 vcc_lo, s11, v2
	s_mul_f32 s17, s17, 0x4f7ffffe
	s_wait_alu 0xfffd
	v_cndmask_b32_e64 v3, 0, 1, vcc_lo
	v_or_b32_e32 v3, s11, v3
	s_wait_alu 0xfffe
	s_cvt_u32_f32 s11, s17
	s_sub_co_i32 s17, 0, s14
	s_wait_alu 0xfffe
	s_delay_alu instid0(SALU_CYCLE_1)
	s_mul_i32 s17, s17, s11
	v_sub_nc_u32_e32 v2, v2, v3
	s_wait_alu 0xfffe
	s_mul_hi_u32 s17, s11, s17
	s_wait_alu 0xfffe
	s_add_co_i32 s11, s11, s17
	s_not_b32 s17, s15
	s_wait_alu 0xfffe
	v_mul_hi_u32 v3, v2, s11
	s_delay_alu instid0(VALU_DEP_1) | instskip(NEXT) | instid1(VALU_DEP_1)
	v_mul_lo_u32 v4, v3, s14
	v_sub_nc_u32_e32 v2, v2, v4
	v_add_nc_u32_e32 v4, 1, v3
	s_delay_alu instid0(VALU_DEP_2) | instskip(SKIP_2) | instid1(VALU_DEP_1)
	v_subrev_nc_u32_e32 v6, s14, v2
	v_cmp_le_u32_e64 s11, s14, v2
	s_wait_alu 0xf1ff
	v_cndmask_b32_e64 v3, v3, v4, s11
	s_delay_alu instid0(VALU_DEP_3) | instskip(NEXT) | instid1(VALU_DEP_2)
	v_cndmask_b32_e64 v2, v2, v6, s11
	v_add_nc_u32_e32 v4, 1, v3
	s_delay_alu instid0(VALU_DEP_2) | instskip(SKIP_1) | instid1(VALU_DEP_1)
	v_cmp_le_u32_e64 s11, s14, v2
	s_wait_alu 0xf1ff
	v_cndmask_b32_e64 v2, v3, v4, s11
	v_mul_lo_u32 v3, s30, v1
	s_abs_i32 s11, s15
	s_delay_alu instid0(VALU_DEP_2) | instskip(SKIP_1) | instid1(VALU_DEP_1)
	v_add_co_ci_u32_e64 v2, null, 0, v2, vcc_lo
	s_wait_alu 0xfffe
	v_mul_hi_u32 v4, s11, v2
	v_mul_lo_u32 v2, s11, v2
	s_ashr_i32 s11, s17, 31
	s_cmp_eq_u32 s14, 1
	s_wait_alu 0xfffe
	v_xor_b32_e32 v3, s11, v3
	s_cselect_b32 s17, -1, 0
	s_delay_alu instid0(VALU_DEP_3) | instskip(NEXT) | instid1(VALU_DEP_2)
	v_cmp_eq_u32_e32 vcc_lo, 0, v4
	v_cmp_le_u32_e64 s11, v2, v3
	v_mov_b32_e32 v2, v0
                                        ; implicit-def: $vgpr3
	s_wait_alu 0xfffe
	s_and_b32 s17, vcc_lo, s17
	s_wait_alu 0xfffe
	s_and_b32 s18, s17, s11
	s_mov_b32 s17, -1
	s_wait_alu 0xfffe
	s_and_saveexec_b32 s11, s18
	s_cbranch_execz .LBB131_62
; %bb.53:                               ;   in Loop: Header=BB131_29 Depth=1
	v_add_nc_u32_e32 v2, 1, v1
	s_wait_loadcnt 0x0
	v_dual_mov_b32 v6, 0 :: v_dual_lshlrev_b32 v39, 16, v36
                                        ; implicit-def: $vgpr36
	s_delay_alu instid0(VALU_DEP_2)
	v_dual_mov_b32 v4, v2 :: v_dual_mov_b32 v3, v1
	s_and_saveexec_b32 s17, s5
	s_cbranch_execz .LBB131_57
; %bb.54:                               ;   in Loop: Header=BB131_29 Depth=1
	v_dual_mov_b32 v37, v23 :: v_dual_mov_b32 v38, v16
	v_dual_mov_b32 v4, v2 :: v_dual_mov_b32 v3, v1
	s_mov_b32 s18, 0
	s_mov_b32 s19, 0
.LBB131_55:                             ;   Parent Loop BB131_29 Depth=1
                                        ; =>  This Inner Loop Header: Depth=2
	s_delay_alu instid0(VALU_DEP_1) | instskip(NEXT) | instid1(VALU_DEP_2)
	v_add_nc_u32_e32 v2, 2, v4
	v_mul_lo_u32 v6, v3, s30
	v_add_nc_u32_e32 v36, 4, v4
	v_mul_lo_u32 v41, v4, s31
	v_mov_b32_e32 v42, v7
	v_lshrrev_b32_e32 v40, 16, v39
	v_add_nc_u32_e32 v39, 6, v4
	v_mul_lo_u32 v43, v2, s31
	v_dual_mov_b32 v44, v7 :: v_dual_add_nc_u32 v49, 8, v4
	v_mul_lo_u32 v45, v36, s31
	v_dual_mov_b32 v46, v7 :: v_dual_add_nc_u32 v51, 10, v4
	v_mul_lo_u32 v47, v39, s31
	v_lshlrev_b64_e32 v[53:54], 1, v[6:7]
	v_mul_lo_u32 v49, v49, s31
	v_lshlrev_b64_e32 v[41:42], 1, v[41:42]
	v_dual_mov_b32 v48, v7 :: v_dual_add_nc_u32 v39, 6, v3
	v_mul_lo_u32 v51, v51, s31
	v_lshlrev_b64_e32 v[43:44], 1, v[43:44]
	v_dual_mov_b32 v50, v7 :: v_dual_add_nc_u32 v55, 8, v3
	v_lshlrev_b64_e32 v[45:46], 1, v[45:46]
	v_add_co_u32 v53, vcc_lo, s34, v53
	v_dual_mov_b32 v52, v7 :: v_dual_add_nc_u32 v57, 10, v3
	v_lshlrev_b64_e32 v[47:48], 1, v[47:48]
	s_wait_alu 0xfffd
	v_add_co_ci_u32_e64 v54, null, s35, v54, vcc_lo
	v_add_co_u32 v41, vcc_lo, s34, v41
	v_lshlrev_b64_e32 v[49:50], 1, v[49:50]
	s_wait_alu 0xfffd
	v_add_co_ci_u32_e64 v42, null, s35, v42, vcc_lo
	v_add_co_u32 v43, vcc_lo, s34, v43
	;; [unrolled: 4-line block ×3, first 2 shown]
	s_wait_alu 0xfffd
	v_add_co_ci_u32_e64 v46, null, s35, v46, vcc_lo
	v_add_co_u32 v47, vcc_lo, s34, v47
	s_wait_alu 0xfffd
	v_add_co_ci_u32_e64 v48, null, s35, v48, vcc_lo
	v_add_co_u32 v49, vcc_lo, s34, v49
	;; [unrolled: 3-line block ×3, first 2 shown]
	s_wait_alu 0xfffd
	v_add_co_ci_u32_e64 v52, null, s35, v52, vcc_lo
	s_clause 0x6
	global_load_d16_hi_b16 v40, v[53:54], off
	global_load_u16 v41, v[41:42], off
	global_load_u16 v42, v[43:44], off
	;; [unrolled: 1-line block ×6, first 2 shown]
	v_add_nc_u32_e32 v2, 2, v3
	v_add_nc_u32_e32 v6, 12, v4
	v_dual_mov_b32 v50, v7 :: v_dual_add_nc_u32 v49, 14, v4
	v_add_nc_u32_e32 v36, 4, v3
	v_dual_mov_b32 v48, v7 :: v_dual_add_nc_u32 v59, 12, v3
	s_delay_alu instid0(VALU_DEP_4)
	v_mul_lo_u32 v47, v6, s31
	v_mul_lo_u32 v6, v2, s30
	;; [unrolled: 1-line block ×3, first 2 shown]
	s_wait_alu 0xfffe
	s_add_co_i32 s19, s19, 16
	v_add_nc_u32_e32 v61, 14, v3
	v_add_nc_u32_e32 v37, -8, v37
	v_add_nc_u32_e32 v4, 16, v4
	v_add_nc_u32_e32 v3, 16, v3
	v_lshlrev_b64_e32 v[47:48], 1, v[47:48]
	v_lshlrev_b64_e32 v[51:52], 1, v[6:7]
	v_mul_lo_u32 v6, v36, s30
	v_lshlrev_b64_e32 v[49:50], 1, v[49:50]
	s_delay_alu instid0(VALU_DEP_4) | instskip(SKIP_2) | instid1(VALU_DEP_4)
	v_add_co_u32 v47, vcc_lo, s34, v47
	s_wait_alu 0xfffd
	v_add_co_ci_u32_e64 v48, null, s35, v48, vcc_lo
	v_lshlrev_b64_e32 v[53:54], 1, v[6:7]
	v_mul_lo_u32 v6, v39, s30
	v_add_co_u32 v49, vcc_lo, s34, v49
	s_wait_alu 0xfffd
	v_add_co_ci_u32_e64 v50, null, s35, v50, vcc_lo
	v_add_co_u32 v51, vcc_lo, s34, v51
	s_wait_alu 0xfffd
	v_add_co_ci_u32_e64 v52, null, s35, v52, vcc_lo
	global_load_u16 v2, v[47:48], off
	v_add_co_u32 v47, vcc_lo, s34, v53
	s_wait_alu 0xfffd
	v_add_co_ci_u32_e64 v48, null, s35, v54, vcc_lo
	v_lshlrev_b64_e32 v[53:54], 1, v[6:7]
	v_mul_lo_u32 v6, v55, s30
	s_delay_alu instid0(VALU_DEP_2) | instskip(SKIP_1) | instid1(VALU_DEP_3)
	v_add_co_u32 v53, vcc_lo, s34, v53
	s_wait_alu 0xfffd
	v_add_co_ci_u32_e64 v54, null, s35, v54, vcc_lo
	s_delay_alu instid0(VALU_DEP_3) | instskip(SKIP_1) | instid1(VALU_DEP_2)
	v_lshlrev_b64_e32 v[55:56], 1, v[6:7]
	v_mul_lo_u32 v6, v57, s30
	v_add_co_u32 v55, vcc_lo, s34, v55
	s_wait_alu 0xfffd
	s_delay_alu instid0(VALU_DEP_3) | instskip(NEXT) | instid1(VALU_DEP_3)
	v_add_co_ci_u32_e64 v56, null, s35, v56, vcc_lo
	v_lshlrev_b64_e32 v[57:58], 1, v[6:7]
	v_mul_lo_u32 v6, v59, s30
	s_delay_alu instid0(VALU_DEP_2) | instskip(SKIP_1) | instid1(VALU_DEP_3)
	v_add_co_u32 v57, vcc_lo, s34, v57
	s_wait_alu 0xfffd
	v_add_co_ci_u32_e64 v58, null, s35, v58, vcc_lo
	s_delay_alu instid0(VALU_DEP_3) | instskip(SKIP_1) | instid1(VALU_DEP_2)
	v_lshlrev_b64_e32 v[59:60], 1, v[6:7]
	v_mul_lo_u32 v6, v61, s30
	v_add_co_u32 v59, vcc_lo, s34, v59
	s_wait_alu 0xfffd
	s_delay_alu instid0(VALU_DEP_3) | instskip(NEXT) | instid1(VALU_DEP_3)
	v_add_co_ci_u32_e64 v60, null, s35, v60, vcc_lo
	v_lshlrev_b64_e32 v[61:62], 1, v[6:7]
	s_wait_alu 0xfffe
	v_mov_b32_e32 v6, s19
	s_delay_alu instid0(VALU_DEP_2) | instskip(SKIP_1) | instid1(VALU_DEP_3)
	v_add_co_u32 v61, vcc_lo, s34, v61
	s_wait_alu 0xfffd
	v_add_co_ci_u32_e64 v62, null, s35, v62, vcc_lo
	v_cmp_eq_u32_e32 vcc_lo, 0, v37
	s_wait_loadcnt 0x6
	global_load_d16_hi_b16 v41, v[51:52], off
	s_wait_loadcnt 0x6
	global_load_d16_hi_b16 v42, v[47:48], off
	;; [unrolled: 2-line block ×3, first 2 shown]
	s_wait_loadcnt 0x6
	s_clause 0x1
	global_load_d16_hi_b16 v44, v[55:56], off
	global_load_u16 v39, v[61:62], off
	s_wait_loadcnt 0x7
	global_load_d16_hi_b16 v45, v[57:58], off
	s_wait_loadcnt 0x7
	s_clause 0x1
	global_load_d16_hi_b16 v46, v[59:60], off
	global_load_u16 v36, v[49:50], off
	s_or_b32 s18, vcc_lo, s18
	s_wait_loadcnt 0x3
	v_perm_b32 v47, v39, v2, 0x5040100
	ds_store_b128 v38, v[40:43]
	s_wait_loadcnt 0x1
	ds_store_b128 v38, v[44:47] offset:16
	s_wait_loadcnt 0x0
	v_perm_b32 v39, v36, v39, 0x5040100
	v_add_nc_u32_e32 v38, 32, v38
	s_wait_alu 0xfffe
	s_and_not1_b32 exec_lo, exec_lo, s18
	s_cbranch_execnz .LBB131_55
; %bb.56:                               ;   in Loop: Header=BB131_29 Depth=1
	s_or_b32 exec_lo, exec_lo, s18
.LBB131_57:                             ;   in Loop: Header=BB131_29 Depth=1
	s_wait_alu 0xfffe
	s_or_b32 exec_lo, exec_lo, s17
	s_and_saveexec_b32 s17, s6
	s_cbranch_execz .LBB131_61
; %bb.58:                               ;   in Loop: Header=BB131_29 Depth=1
	v_lshl_add_u32 v2, v6, 1, v16
	v_mov_b32_e32 v37, v24
	s_mov_b32 s18, 0
.LBB131_59:                             ;   Parent Loop BB131_29 Depth=1
                                        ; =>  This Inner Loop Header: Depth=2
	v_mul_lo_u32 v6, v3, s30
	v_mul_lo_u32 v40, v4, s31
	v_dual_mov_b32 v41, v7 :: v_dual_add_nc_u32 v4, 2, v4
	v_add_nc_u32_e32 v37, -4, v37
	v_add_nc_u32_e32 v3, 2, v3
	v_lshlrev_b64_e32 v[42:43], 1, v[6:7]
	s_delay_alu instid0(VALU_DEP_4) | instskip(NEXT) | instid1(VALU_DEP_2)
	v_lshlrev_b64_e32 v[40:41], 1, v[40:41]
	v_add_co_u32 v42, vcc_lo, s34, v42
	s_wait_alu 0xfffd
	s_delay_alu instid0(VALU_DEP_3) | instskip(NEXT) | instid1(VALU_DEP_3)
	v_add_co_ci_u32_e64 v43, null, s35, v43, vcc_lo
	v_add_co_u32 v40, vcc_lo, s34, v40
	s_wait_alu 0xfffd
	v_add_co_ci_u32_e64 v41, null, s35, v41, vcc_lo
	s_clause 0x1
	global_load_u16 v6, v[42:43], off
	global_load_u16 v36, v[40:41], off
	v_cmp_eq_u32_e32 vcc_lo, 0, v37
	s_wait_alu 0xfffe
	s_or_b32 s18, vcc_lo, s18
	s_wait_loadcnt 0x1
	v_alignbit_b32 v38, v6, v39, 16
	s_wait_loadcnt 0x0
	v_perm_b32 v39, v36, v6, 0x5040100
	ds_store_b32 v2, v38
	v_add_nc_u32_e32 v2, 4, v2
	s_wait_alu 0xfffe
	s_and_not1_b32 exec_lo, exec_lo, s18
	s_cbranch_execnz .LBB131_59
; %bb.60:                               ;   in Loop: Header=BB131_29 Depth=1
	s_or_b32 exec_lo, exec_lo, s18
.LBB131_61:                             ;   in Loop: Header=BB131_29 Depth=1
	s_wait_alu 0xfffe
	s_or_b32 exec_lo, exec_lo, s17
	v_add_nc_u32_e32 v1, v1, v20
	s_or_not1_b32 s17, s7, exec_lo
	s_delay_alu instid0(VALU_DEP_1)
	v_dual_mov_b32 v2, v21 :: v_dual_add_nc_u32 v3, -1, v1
.LBB131_62:                             ;   in Loop: Header=BB131_29 Depth=1
	s_wait_alu 0xfffe
	s_or_b32 exec_lo, exec_lo, s11
	v_mov_b32_e32 v4, s15
	s_and_b32 s11, s17, exec_lo
	s_and_not1_saveexec_b32 s16, s16
	s_cbranch_execz .LBB131_48
.LBB131_63:                             ;   in Loop: Header=BB131_29 Depth=1
	s_wait_alu 0xfffe
	v_mov_b32_e32 v4, s15
	v_mov_b32_e32 v2, v0
	s_or_b32 s11, s11, exec_lo
	s_or_b32 exec_lo, exec_lo, s16
	s_wait_alu 0xfffe
	s_and_saveexec_b32 s15, s11
	s_cbranch_execz .LBB131_67
.LBB131_64:                             ;   in Loop: Header=BB131_29 Depth=1
	v_mul_lo_u32 v6, s30, v1
	s_mov_b32 s16, 0
	s_sub_co_i32 s11, 0, s14
.LBB131_65:                             ;   Parent Loop BB131_29 Depth=1
                                        ; =>  This Inner Loop Header: Depth=2
	s_delay_alu instid0(VALU_DEP_1) | instskip(SKIP_2) | instid1(VALU_DEP_2)
	v_lshlrev_b64_e32 v[37:38], 1, v[6:7]
	s_wait_loadcnt 0x0
	v_dual_mov_b32 v3, v36 :: v_dual_add_nc_u32 v6, v6, v4
	v_add_co_u32 v37, vcc_lo, s34, v37
	s_wait_alu 0xfffd
	s_delay_alu instid0(VALU_DEP_3) | instskip(SKIP_2) | instid1(VALU_DEP_1)
	v_add_co_ci_u32_e64 v38, null, s35, v38, vcc_lo
	global_load_u16 v36, v[37:38], off
	v_dual_mov_b32 v37, v1 :: v_dual_lshlrev_b32 v38, 1, v2
	v_dual_mov_b32 v2, v37 :: v_dual_add_nc_u32 v1, s14, v37
	ds_store_b16 v38, v3
	v_cmp_le_u32_e32 vcc_lo, s28, v1
	s_wait_alu 0xfffe
	s_or_b32 s16, vcc_lo, s16
	s_wait_alu 0xfffe
	s_and_not1_b32 exec_lo, exec_lo, s16
	s_cbranch_execnz .LBB131_65
; %bb.66:                               ;   in Loop: Header=BB131_29 Depth=1
	s_or_b32 exec_lo, exec_lo, s16
	v_add_nc_u32_e32 v3, s11, v1
.LBB131_67:                             ;   in Loop: Header=BB131_29 Depth=1
	s_wait_alu 0xfffe
	s_or_b32 exec_lo, exec_lo, s15
.LBB131_68:                             ;   in Loop: Header=BB131_29 Depth=1
	s_wait_alu 0xfffe
	s_or_b32 exec_lo, exec_lo, s13
	v_lshlrev_b32_e32 v1, 1, v3
	s_wait_loadcnt 0x0
	ds_store_b16 v1, v36
.LBB131_69:                             ;   in Loop: Header=BB131_29 Depth=1
	s_wait_alu 0xfffe
	s_or_b32 exec_lo, exec_lo, s12
	s_wait_loadcnt_dscnt 0x0
	s_barrier_signal -1
	s_barrier_wait -1
	global_inv scope:SCOPE_SE
	s_and_saveexec_b32 s11, s0
; %bb.70:                               ;   in Loop: Header=BB131_29 Depth=1
	v_mov_b32_e32 v1, s28
	ds_store_b32 v7, v1 offset:4104
; %bb.71:                               ;   in Loop: Header=BB131_29 Depth=1
	s_wait_alu 0xfffe
	s_or_b32 exec_lo, exec_lo, s11
	s_mov_b32 s11, -1
	s_wait_loadcnt_dscnt 0x0
	s_barrier_signal -1
	s_barrier_wait -1
.LBB131_72:                             ;   in Loop: Header=BB131_29 Depth=1
	s_wait_alu 0xfffe
	s_and_b32 vcc_lo, exec_lo, s11
	s_mov_b32 s40, 0
	s_wait_alu 0xfffe
	s_cbranch_vccz .LBB131_74
; %bb.73:                               ;   in Loop: Header=BB131_29 Depth=1
	s_wait_loadcnt 0x0
	global_inv scope:SCOPE_SE
	ds_load_b32 v1, v7 offset:4104
	s_wait_dscnt 0x0
	v_readfirstlane_b32 s40, v1
.LBB131_74:                             ;   in Loop: Header=BB131_29 Depth=1
	s_delay_alu instid0(VALU_DEP_1)
	s_cmp_lt_i32 s40, 1
	s_mov_b32 s11, -1
                                        ; implicit-def: $vgpr1
	s_cbranch_scc1 .LBB131_84
; %bb.75:                               ;   in Loop: Header=BB131_29 Depth=1
	s_wait_alu 0xfffe
	s_and_b32 vcc_lo, exec_lo, s11
	s_wait_alu 0xfffe
	s_cbranch_vccnz .LBB131_95
.LBB131_76:                             ;   in Loop: Header=BB131_29 Depth=1
	v_lshlrev_b32_e32 v6, 7, v32
	s_and_saveexec_b32 s11, s3
.LBB131_77:                             ;   in Loop: Header=BB131_29 Depth=1
	s_delay_alu instid0(VALU_DEP_1)
	v_lshl_add_u32 v36, v6, 2, v19
	ds_store_b128 v36, v[1:4]
.LBB131_78:                             ;   in Loop: Header=BB131_29 Depth=1
	s_wait_alu 0xfffe
	s_or_b32 exec_lo, exec_lo, s11
	s_wait_loadcnt_dscnt 0x0
	s_barrier_signal -1
	s_barrier_wait -1
	global_inv scope:SCOPE_SE
	s_and_saveexec_b32 s11, s50
	s_cbranch_execz .LBB131_108
; %bb.79:                               ;   in Loop: Header=BB131_29 Depth=1
	v_mov_b32_e32 v1, 0
	s_and_not1_b32 vcc_lo, exec_lo, s55
	s_wait_alu 0xfffe
	s_cbranch_vccnz .LBB131_107
; %bb.80:                               ;   in Loop: Header=BB131_29 Depth=1
	s_and_not1_b32 vcc_lo, exec_lo, s57
	s_wait_alu 0xfffe
	s_cbranch_vccnz .LBB131_104
; %bb.81:                               ;   in Loop: Header=BB131_29 Depth=1
	v_lshl_add_u32 v2, v32, 9, v30
	v_mov_b32_e32 v1, 0
	s_mov_b32 s12, 0
.LBB131_82:                             ;   Parent Loop BB131_29 Depth=1
                                        ; =>  This Inner Loop Header: Depth=2
	ds_load_2addr_b32 v[3:4], v2 offset1:4
	ds_load_2addr_b32 v[36:37], v2 offset0:8 offset1:12
	ds_load_2addr_b32 v[38:39], v2 offset0:16 offset1:20
	ds_load_2addr_b32 v[40:41], v2 offset0:24 offset1:28
	v_add_nc_u32_e32 v2, 0x80, v2
	s_wait_alu 0xfffe
	s_add_co_i32 s12, s12, 8
	s_wait_alu 0xfffe
	s_cmp_eq_u32 s58, s12
	s_wait_dscnt 0x3
	v_add3_u32 v1, v3, v1, v4
	s_wait_dscnt 0x2
	s_delay_alu instid0(VALU_DEP_1) | instskip(SKIP_1) | instid1(VALU_DEP_1)
	v_add3_u32 v1, v36, v1, v37
	s_wait_dscnt 0x1
	v_add3_u32 v1, v38, v1, v39
	s_wait_dscnt 0x0
	s_delay_alu instid0(VALU_DEP_1)
	v_add3_u32 v1, v40, v1, v41
	s_cbranch_scc0 .LBB131_82
; %bb.83:                               ;   in Loop: Header=BB131_29 Depth=1
	s_mov_b32 s12, s58
	s_and_not1_b32 vcc_lo, exec_lo, s59
	s_wait_alu 0xfffe
	s_cbranch_vccz .LBB131_105
	s_branch .LBB131_107
.LBB131_84:                             ;   in Loop: Header=BB131_29 Depth=1
	v_dual_mov_b32 v1, 0 :: v_dual_mov_b32 v2, 0
	v_dual_mov_b32 v3, 0 :: v_dual_mov_b32 v4, 0
	s_and_saveexec_b32 s22, s8
	s_cbranch_execz .LBB131_88
; %bb.85:                               ;   in Loop: Header=BB131_29 Depth=1
	v_mov_b32_e32 v36, v14
	s_mov_b32 s23, 0
	s_mov_b32 s24, 0
	;; [unrolled: 1-line block ×6, first 2 shown]
.LBB131_86:                             ;   Parent Loop BB131_29 Depth=1
                                        ; =>  This Inner Loop Header: Depth=2
	s_wait_alu 0xfffe
	v_add_nc_u32_e32 v6, s24, v27
	v_add_nc_u32_e32 v36, s52, v36
	s_delay_alu instid0(VALU_DEP_2) | instskip(SKIP_1) | instid1(VALU_DEP_1)
	v_lshlrev_b64_e32 v[1:2], 1, v[6:7]
	v_add_nc_u32_e32 v6, s24, v12
	v_lshlrev_b64_e32 v[3:4], 1, v[6:7]
	s_delay_alu instid0(VALU_DEP_3) | instskip(SKIP_3) | instid1(VALU_DEP_4)
	v_add_co_u32 v1, vcc_lo, s34, v1
	v_add_nc_u32_e32 v6, s24, v25
	s_wait_alu 0xfffd
	v_add_co_ci_u32_e64 v2, null, s35, v2, vcc_lo
	v_add_co_u32 v3, vcc_lo, s34, v3
	s_delay_alu instid0(VALU_DEP_3)
	v_lshlrev_b64_e32 v[37:38], 1, v[6:7]
	v_add_nc_u32_e32 v6, s24, v26
	s_wait_alu 0xfffd
	v_add_co_ci_u32_e64 v4, null, s35, v4, vcc_lo
	global_load_u16 v39, v[1:2], off
	s_add_co_i32 s24, s24, s62
	v_lshlrev_b64_e32 v[1:2], 1, v[6:7]
	global_load_u16 v6, v[3:4], off
	v_add_co_u32 v3, vcc_lo, s34, v37
	s_wait_alu 0xfffd
	v_add_co_ci_u32_e64 v4, null, s35, v38, vcc_lo
	v_add_co_u32 v1, vcc_lo, s34, v1
	s_wait_alu 0xfffd
	v_add_co_ci_u32_e64 v2, null, s35, v2, vcc_lo
	global_load_u16 v3, v[3:4], off
	v_cmp_le_u32_e32 vcc_lo, s60, v36
	global_load_u16 v1, v[1:2], off
	s_wait_loadcnt 0x3
	v_cmp_lt_i16_e64 s11, -1, v39
	v_and_b32_e32 v2, 0xffff, v39
	s_wait_loadcnt 0x2
	v_and_b32_e32 v37, 0xffff, v6
	s_wait_alu 0xf1ff
	v_cndmask_b32_e64 v4, 0xffff, v31, s11
	v_cmp_lt_i16_e64 s11, -1, v6
	s_delay_alu instid0(VALU_DEP_2) | instskip(SKIP_1) | instid1(VALU_DEP_2)
	v_xor_b32_e32 v2, v4, v2
	s_wait_alu 0xf1ff
	v_cndmask_b32_e64 v38, 0xffff, v31, s11
	v_cmp_o_f16_e64 s11, v39, v39
	s_wait_loadcnt 0x1
	v_cmp_lt_i16_e64 s12, -1, v3
	s_wait_loadcnt 0x0
	v_cmp_o_f16_e64 s16, v1, v1
	v_xor_b32_e32 v4, v38, v37
	s_wait_alu 0xf1ff
	v_cndmask_b32_e64 v2, 0xffff, v2, s11
	v_cmp_o_f16_e64 s11, v6, v6
	v_and_b32_e32 v37, 0xffff, v3
	v_cndmask_b32_e64 v38, 0xffff, v31, s12
	s_delay_alu instid0(VALU_DEP_4)
	v_and_b32_e32 v39, v2, v33
	s_wait_alu 0xf1ff
	v_cndmask_b32_e64 v4, 0xffff, v4, s11
	v_cmp_lt_i16_e64 s11, -1, v1
	v_xor_b32_e32 v6, v38, v37
	v_bfe_u32 v2, v2, s73, 2
	v_and_b32_e32 v37, 0xffff, v1
	s_wait_alu 0xf1ff
	v_cndmask_b32_e64 v38, 0xffff, v31, s11
	v_cmp_o_f16_e64 s11, v3, v3
	v_cmp_eq_u32_e64 s12, 0, v2
	v_cmp_eq_u32_e64 s13, 1, v2
	;; [unrolled: 1-line block ×4, first 2 shown]
	s_wait_alu 0xf1ff
	v_cndmask_b32_e64 v3, 0xffff, v6, s11
	v_cmp_eq_u32_e64 s11, v39, v13
	v_xor_b32_e32 v6, v38, v37
	v_and_b32_e32 v37, v4, v33
	v_bfe_u32 v4, v4, s73, 2
	v_and_b32_e32 v2, v3, v33
	s_and_b32 s12, s11, s12
	v_cndmask_b32_e64 v1, 0xffff, v6, s16
	v_cmp_eq_u32_e64 s16, v37, v13
	v_cmp_eq_u32_e64 s17, 0, v4
	s_wait_alu 0xfffe
	v_cndmask_b32_e64 v6, 0, 1, s12
	v_cmp_eq_u32_e64 s12, 1, v4
	s_and_b32 s13, s11, s13
	v_bfe_u32 v3, v3, s73, 2
	s_wait_alu 0xfffe
	v_cndmask_b32_e64 v37, 0, 1, s13
	v_cmp_eq_u32_e64 s13, 2, v4
	s_and_b32 s14, s11, s14
	s_and_b32 s11, s11, s15
	s_wait_alu 0xfffe
	v_cndmask_b32_e64 v38, 0, 1, s14
	s_and_b32 s17, s16, s17
	s_and_b32 s12, s16, s12
	v_cmp_eq_u32_e64 s14, 3, v4
	v_cndmask_b32_e64 v4, 0, 1, s11
	v_cmp_eq_u32_e64 s11, v2, v13
	v_cmp_eq_u32_e64 s15, 0, v3
	v_cmp_ne_u32_e64 s18, 0, v6
	s_wait_alu 0xfffe
	v_cndmask_b32_e64 v6, 0, 1, s17
	v_cmp_eq_u32_e64 s17, 1, v3
	v_cmp_ne_u32_e64 s19, 0, v37
	v_cndmask_b32_e64 v37, 0, 1, s12
	v_cmp_eq_u32_e64 s12, 2, v3
	s_and_b32 s13, s16, s13
	v_and_b32_e32 v2, v1, v33
	v_bfe_u32 v1, v1, s73, 2
	v_cmp_ne_u32_e64 s20, 0, v38
	s_wait_alu 0xfffe
	v_cndmask_b32_e64 v38, 0, 1, s13
	v_cmp_eq_u32_e64 s13, 3, v3
	s_and_b32 s14, s16, s14
	s_and_b32 s15, s11, s15
	;; [unrolled: 1-line block ×4, first 2 shown]
	v_cmp_ne_u32_e64 s21, 0, v4
	s_wait_alu 0xfffe
	v_cndmask_b32_e64 v3, 0, 1, s14
	v_cmp_eq_u32_e64 s14, v2, v13
	v_cmp_eq_u32_e64 s16, 0, v1
	s_bcnt1_i32_b32 s78, s18
	v_cmp_ne_u32_e64 s18, 0, v6
	v_cndmask_b32_e64 v2, 0, 1, s15
	v_cmp_eq_u32_e64 s15, 1, v1
	v_cndmask_b32_e64 v4, 0, 1, s17
	v_cmp_eq_u32_e64 s17, 2, v1
	;; [unrolled: 2-line block ×3, first 2 shown]
	s_and_b32 s11, s11, s13
	s_bcnt1_i32_b32 s81, s21
	s_wait_alu 0xfffe
	v_cndmask_b32_e64 v1, 0, 1, s11
	v_cmp_ne_u32_e64 s21, 0, v3
	s_and_b32 s13, s14, s16
	s_and_b32 s15, s14, s15
	;; [unrolled: 1-line block ×4, first 2 shown]
	v_cmp_ne_u32_e64 s11, 0, v2
	s_wait_alu 0xfffe
	v_cndmask_b32_e64 v2, 0, 1, s13
	v_cmp_ne_u32_e64 s13, 0, v4
	v_cndmask_b32_e64 v3, 0, 1, s15
	v_cndmask_b32_e64 v4, 0, 1, s16
	v_cmp_ne_u32_e64 s16, 0, v1
	v_cndmask_b32_e64 v1, 0, 1, s12
	s_bcnt1_i32_b32 s79, s19
	v_cmp_ne_u32_e64 s19, 0, v37
	s_bcnt1_i32_b32 s80, s20
	v_cmp_ne_u32_e64 s20, 0, v38
	s_add_co_i32 s74, s81, s74
	v_cmp_ne_u32_e64 s15, 0, v6
	s_bcnt1_i32_b32 s17, s21
	s_bcnt1_i32_b32 s21, s11
	s_wait_alu 0xfffe
	s_add_co_i32 s17, s74, s17
	v_cmp_ne_u32_e64 s11, 0, v2
	s_bcnt1_i32_b32 s74, s13
	v_cmp_ne_u32_e64 s12, 0, v3
	v_cmp_ne_u32_e64 s13, 0, v4
	;; [unrolled: 1-line block ×3, first 2 shown]
	s_add_co_i32 s77, s78, s77
	s_add_co_i32 s76, s79, s76
	;; [unrolled: 1-line block ×3, first 2 shown]
	s_bcnt1_i32_b32 s18, s18
	s_bcnt1_i32_b32 s19, s19
	;; [unrolled: 1-line block ×3, first 2 shown]
	s_wait_alu 0xfffe
	s_add_co_i32 s18, s77, s18
	s_add_co_i32 s19, s76, s19
	s_add_co_i32 s20, s75, s20
	s_bcnt1_i32_b32 s15, s15
	s_bcnt1_i32_b32 s16, s16
	s_wait_alu 0xfffe
	s_add_co_i32 s18, s18, s21
	s_add_co_i32 s19, s19, s74
	;; [unrolled: 1-line block ×4, first 2 shown]
	s_bcnt1_i32_b32 s11, s11
	s_bcnt1_i32_b32 s12, s12
	;; [unrolled: 1-line block ×4, first 2 shown]
	s_wait_alu 0xfffe
	s_add_co_i32 s77, s18, s11
	s_add_co_i32 s76, s19, s12
	;; [unrolled: 1-line block ×4, first 2 shown]
	s_wait_alu 0xfffe
	v_dual_mov_b32 v1, s77 :: v_dual_mov_b32 v2, s76
	v_dual_mov_b32 v3, s75 :: v_dual_mov_b32 v4, s74
	s_or_b32 s23, vcc_lo, s23
	s_wait_alu 0xfffe
	s_and_not1_b32 exec_lo, exec_lo, s23
	s_cbranch_execnz .LBB131_86
; %bb.87:                               ;   in Loop: Header=BB131_29 Depth=1
	s_or_b32 exec_lo, exec_lo, s23
.LBB131_88:                             ;   in Loop: Header=BB131_29 Depth=1
	s_wait_alu 0xfffe
	s_or_b32 exec_lo, exec_lo, s22
	s_and_saveexec_b32 s15, s9
	s_cbranch_execz .LBB131_94
; %bb.89:                               ;   in Loop: Header=BB131_29 Depth=1
	global_load_u16 v38, v[10:11], off
	v_mov_b32_e32 v6, v28
	v_mov_b32_e32 v36, v22
	s_mov_b32 s16, 0
	s_branch .LBB131_91
.LBB131_90:                             ;   in Loop: Header=BB131_91 Depth=2
	s_wait_alu 0xfffe
	s_or_b32 exec_lo, exec_lo, s12
	s_wait_loadcnt 0x0
	v_cmp_lt_i16_e64 s11, -1, v38
	v_and_b32_e32 v39, 0xffff, v38
	s_and_b32 s12, exec_lo, vcc_lo
	v_add_nc_u32_e32 v6, s54, v6
	s_wait_alu 0xfffe
	s_or_b32 s16, s12, s16
	v_cndmask_b32_e64 v40, 0xffff, v31, s11
	v_cmp_o_f16_e64 s11, v38, v38
	s_delay_alu instid0(VALU_DEP_2) | instskip(SKIP_1) | instid1(VALU_DEP_1)
	v_xor_b32_e32 v39, v40, v39
	s_wait_alu 0xf1ff
	v_cndmask_b32_e64 v38, 0xffff, v39, s11
	s_delay_alu instid0(VALU_DEP_1) | instskip(SKIP_1) | instid1(VALU_DEP_2)
	v_and_b32_e32 v39, v38, v33
	v_bfe_u32 v38, v38, s73, 2
	v_cmp_eq_u32_e32 vcc_lo, v39, v13
	s_delay_alu instid0(VALU_DEP_2)
	v_cmp_eq_u32_e64 s11, 0, v38
	v_cmp_eq_u32_e64 s12, 1, v38
	;; [unrolled: 1-line block ×4, first 2 shown]
	s_and_b32 s11, vcc_lo, s11
	s_wait_alu 0xfffe
	v_cndmask_b32_e64 v38, 0, 1, s11
	s_and_b32 s11, vcc_lo, s12
	s_wait_alu 0xfffe
	v_cndmask_b32_e64 v39, 0, 1, s11
	;; [unrolled: 3-line block ×3, first 2 shown]
	s_and_b32 s11, vcc_lo, s14
	v_cmp_ne_u32_e32 vcc_lo, 0, v38
	s_wait_alu 0xfffe
	v_cndmask_b32_e64 v41, 0, 1, s11
	v_cmp_ne_u32_e64 s11, 0, v39
	v_cmp_ne_u32_e64 s12, 0, v40
	v_mov_b32_e32 v38, v37
	s_bcnt1_i32_b32 s14, vcc_lo
	v_cmp_ne_u32_e64 s13, 0, v41
	s_bcnt1_i32_b32 s11, s11
	s_bcnt1_i32_b32 s12, s12
	s_wait_alu 0xfffe
	v_add_nc_u32_e32 v1, s14, v1
	v_add_nc_u32_e32 v2, s11, v2
	s_bcnt1_i32_b32 s13, s13
	v_add_nc_u32_e32 v3, s12, v3
	s_wait_alu 0xfffe
	v_add_nc_u32_e32 v4, s13, v4
	s_and_not1_b32 exec_lo, exec_lo, s16
	s_cbranch_execz .LBB131_93
.LBB131_91:                             ;   Parent Loop BB131_29 Depth=1
                                        ; =>  This Inner Loop Header: Depth=2
	s_delay_alu instid0(VALU_DEP_1) | instskip(SKIP_1) | instid1(VALU_DEP_1)
	v_dual_mov_b32 v37, 0 :: v_dual_add_nc_u32 v36, s29, v36
	s_mov_b32 s12, exec_lo
	v_cmp_le_u32_e32 vcc_lo, s28, v36
	v_cmpx_gt_u32_e64 s28, v36
	s_cbranch_execz .LBB131_90
; %bb.92:                               ;   in Loop: Header=BB131_91 Depth=2
	v_lshlrev_b64_e32 v[39:40], 1, v[6:7]
	s_delay_alu instid0(VALU_DEP_1) | instskip(SKIP_1) | instid1(VALU_DEP_2)
	v_add_co_u32 v39, s11, s34, v39
	s_wait_alu 0xf1fe
	v_add_co_ci_u32_e64 v40, null, s35, v40, s11
	global_load_u16 v37, v[39:40], off
	s_branch .LBB131_90
.LBB131_93:                             ;   in Loop: Header=BB131_29 Depth=1
	s_or_b32 exec_lo, exec_lo, s16
.LBB131_94:                             ;   in Loop: Header=BB131_29 Depth=1
	s_wait_alu 0xfffe
	s_or_b32 exec_lo, exec_lo, s15
	s_branch .LBB131_76
.LBB131_95:                             ;   in Loop: Header=BB131_29 Depth=1
	s_mul_u64 s[12:13], s[40:41], s[42:43]
	v_dual_mov_b32 v1, 0 :: v_dual_mov_b32 v2, 0
	s_wait_alu 0xfffe
	s_mul_i32 s11, s13, s52
	v_dual_mov_b32 v3, 0 :: v_dual_mov_b32 v4, 0
	s_wait_alu 0xfffe
	s_sub_co_i32 s11, s40, s11
	s_mov_b32 s75, exec_lo
	s_wait_alu 0xfffe
	s_sub_co_i32 s12, s11, s52
	s_cmp_ge_u32 s11, s52
	s_wait_alu 0xfffe
	s_cselect_b32 s11, s12, s11
	s_wait_alu 0xfffe
	s_sub_co_i32 s12, s11, s52
	s_cmp_ge_u32 s11, s52
	s_wait_alu 0xfffe
	s_cselect_b32 s11, s12, s11
	s_wait_alu 0xfffe
	s_sub_co_i32 s74, s40, s11
	s_wait_alu 0xfffe
	v_cmpx_gt_u32_e64 s74, v14
	s_cbranch_execz .LBB131_99
; %bb.96:                               ;   in Loop: Header=BB131_29 Depth=1
	v_mov_b32_e32 v6, v29
	v_mov_b32_e32 v36, v14
	s_mov_b32 s76, 0
	s_mov_b32 s77, 0
	;; [unrolled: 1-line block ×5, first 2 shown]
.LBB131_97:                             ;   Parent Loop BB131_29 Depth=1
                                        ; =>  This Inner Loop Header: Depth=2
	ds_load_b64 v[1:2], v6
	s_wait_dscnt 0x0
	v_cmp_lt_i16_e64 s11, -1, v1
	v_lshrrev_b32_e32 v3, 16, v1
	v_lshrrev_b32_e32 v40, 16, v2
	v_and_b32_e32 v4, 0xffff, v1
	v_and_b32_e32 v38, 0xffff, v2
	s_wait_alu 0xf1ff
	v_cndmask_b32_e64 v37, 0xffff, v31, s11
	v_cmp_lt_i16_e64 s11, -1, v2
	v_cmp_lt_i16_e64 s12, -1, v40
	s_delay_alu instid0(VALU_DEP_3) | instskip(SKIP_1) | instid1(VALU_DEP_3)
	v_xor_b32_e32 v4, v37, v4
	s_wait_alu 0xf1ff
	v_cndmask_b32_e64 v39, 0xffff, v31, s11
	v_cmp_lt_i16_e64 s11, -1, v3
	s_delay_alu instid0(VALU_DEP_2) | instskip(SKIP_1) | instid1(VALU_DEP_2)
	v_xor_b32_e32 v38, v39, v38
	s_wait_alu 0xf1ff
	v_cndmask_b32_e64 v37, 0xffff, v31, s11
	v_cmp_o_f16_e64 s11, v2, v2
	v_cndmask_b32_e64 v2, 0xffff, v31, s12
	v_cmp_o_f16_e64 s12, v1, v1
	s_delay_alu instid0(VALU_DEP_2) | instskip(SKIP_1) | instid1(VALU_DEP_2)
	v_xor_b32_e32 v2, v2, v40
	s_wait_alu 0xf1ff
	v_cndmask_b32_e64 v1, 0xffff, v4, s12
	v_xor_b32_e32 v4, v37, v3
	v_cmp_o_f16_e64 s12, v3, v3
	v_cndmask_b32_e64 v37, 0xffff, v38, s11
	v_cmp_o_f16_e64 s11, v40, v40
	s_wait_alu 0xf1ff
	s_delay_alu instid0(VALU_DEP_3)
	v_cndmask_b32_e64 v3, 0xffff, v4, s12
	v_and_b32_e32 v4, v1, v33
	v_bfe_u32 v1, v1, s73, 2
	v_and_b32_e32 v38, v37, v33
	v_bfe_u32 v37, v37, s73, 2
	v_cndmask_b32_e64 v2, 0xffff, v2, s11
	v_cmp_eq_u32_e64 s11, v4, v13
	v_and_b32_e32 v4, v3, v33
	v_bfe_u32 v3, v3, s73, 2
	v_cmp_eq_u32_e64 s13, 0, v1
	v_cmp_eq_u32_e64 s15, 1, v1
	;; [unrolled: 1-line block ×8, first 2 shown]
	v_and_b32_e32 v38, v2, v33
	v_bfe_u32 v2, v2, s73, 2
	v_cmp_eq_u32_e64 s20, 3, v37
	v_cmp_eq_u32_e64 s21, v4, v13
	;; [unrolled: 1-line block ×3, first 2 shown]
	s_and_b32 s13, s11, s13
	s_and_b32 s15, s11, s15
	;; [unrolled: 1-line block ×3, first 2 shown]
	s_wait_alu 0xfffe
	v_cndmask_b32_e64 v1, 0, 1, s13
	s_and_b32 s13, s12, s14
	v_cndmask_b32_e64 v37, 0, 1, s15
	s_and_b32 s15, s12, s16
	;; [unrolled: 2-line block ×3, first 2 shown]
	s_and_b32 s11, s11, s19
	v_cmp_eq_u32_e64 s22, v38, v13
	v_cmp_eq_u32_e64 s24, 0, v2
	s_wait_alu 0xfffe
	v_cndmask_b32_e64 v4, 0, 1, s13
	v_cmp_eq_u32_e64 s13, 1, v3
	v_cmp_eq_u32_e64 s14, 1, v2
	v_cndmask_b32_e64 v38, 0, 1, s15
	v_cmp_eq_u32_e64 s15, 2, v3
	v_cmp_eq_u32_e64 s16, 2, v2
	;; [unrolled: 3-line block ×3, first 2 shown]
	v_cndmask_b32_e64 v2, 0, 1, s11
	s_and_b32 s11, s12, s20
	s_and_b32 s12, s21, s23
	s_wait_alu 0xfffe
	v_cndmask_b32_e64 v3, 0, 1, s11
	v_cmp_ne_u32_e64 s11, 0, v1
	v_cndmask_b32_e64 v1, 0, 1, s12
	s_and_b32 s19, s22, s24
	s_and_b32 s13, s21, s13
	;; [unrolled: 1-line block ×6, first 2 shown]
	v_cmp_ne_u32_e64 s12, 0, v4
	s_wait_alu 0xfffe
	v_cndmask_b32_e64 v4, 0, 1, s19
	v_cmp_ne_u32_e64 s19, 0, v37
	v_cndmask_b32_e64 v37, 0, 1, s13
	v_cmp_ne_u32_e64 s13, 0, v38
	;; [unrolled: 2-line block ×5, first 2 shown]
	v_cndmask_b32_e64 v2, 0, 1, s17
	s_bcnt1_i32_b32 s20, s11
	v_cmp_ne_u32_e64 s11, 0, v1
	s_and_b32 s18, s22, s18
	v_cmp_ne_u32_e64 s17, 0, v3
	s_wait_alu 0xfffe
	v_cndmask_b32_e64 v3, 0, 1, s18
	s_bcnt1_i32_b32 s21, s12
	v_cmp_ne_u32_e64 s12, 0, v4
	v_cmp_ne_u32_e64 s18, 0, v37
	s_bcnt1_i32_b32 s23, s14
	v_cmp_ne_u32_e64 s14, 0, v39
	s_bcnt1_i32_b32 s81, s16
	v_cmp_ne_u32_e64 s16, 0, v2
	s_add_co_i32 s20, s20, s80
	s_bcnt1_i32_b32 s11, s11
	s_bcnt1_i32_b32 s19, s19
	s_wait_alu 0xfffe
	s_add_co_i32 s11, s20, s11
	s_bcnt1_i32_b32 s22, s13
	v_cmp_ne_u32_e64 s13, 0, v38
	s_bcnt1_i32_b32 s24, s15
	v_cmp_ne_u32_e64 s15, 0, v40
	;; [unrolled: 2-line block ×3, first 2 shown]
	s_bcnt1_i32_b32 s12, s12
	s_wait_alu 0xfffe
	s_add_co_i32 s11, s11, s21
	s_add_co_i32 s19, s19, s79
	;; [unrolled: 1-line block ×4, first 2 shown]
	s_bcnt1_i32_b32 s18, s18
	s_bcnt1_i32_b32 s14, s14
	;; [unrolled: 1-line block ×3, first 2 shown]
	s_wait_alu 0xfffe
	s_add_co_i32 s80, s11, s12
	s_wait_alu 0xfffe
	v_dual_mov_b32 v1, s80 :: v_dual_add_nc_u32 v36, s52, v36
	s_add_co_i32 s18, s19, s18
	s_add_co_i32 s14, s23, s14
	;; [unrolled: 1-line block ×3, first 2 shown]
	s_bcnt1_i32_b32 s13, s13
	s_bcnt1_i32_b32 s15, s15
	;; [unrolled: 1-line block ×3, first 2 shown]
	s_wait_alu 0xfffe
	s_add_co_i32 s18, s18, s22
	s_add_co_i32 s14, s14, s24
	;; [unrolled: 1-line block ×3, first 2 shown]
	v_cmp_le_u32_e32 vcc_lo, s74, v36
	s_wait_alu 0xfffe
	s_add_co_i32 s79, s18, s13
	s_add_co_i32 s78, s14, s15
	;; [unrolled: 1-line block ×3, first 2 shown]
	s_wait_alu 0xfffe
	v_dual_mov_b32 v3, s78 :: v_dual_add_nc_u32 v6, s63, v6
	v_mov_b32_e32 v2, s79
	v_mov_b32_e32 v4, s77
	s_or_b32 s76, vcc_lo, s76
	s_wait_alu 0xfffe
	s_and_not1_b32 exec_lo, exec_lo, s76
	s_cbranch_execnz .LBB131_97
; %bb.98:                               ;   in Loop: Header=BB131_29 Depth=1
	s_or_b32 exec_lo, exec_lo, s76
.LBB131_99:                             ;   in Loop: Header=BB131_29 Depth=1
	s_delay_alu instid0(SALU_CYCLE_1) | instskip(SKIP_2) | instid1(VALU_DEP_1)
	s_or_b32 exec_lo, exec_lo, s75
	v_add_nc_u32_e32 v6, s74, v0
	s_mov_b32 s16, exec_lo
	v_cmpx_gt_u32_e64 s40, v6
	s_cbranch_execz .LBB131_103
; %bb.100:                              ;   in Loop: Header=BB131_29 Depth=1
	v_lshlrev_b32_e32 v36, 1, v6
	s_mov_b32 s17, 0
.LBB131_101:                            ;   Parent Loop BB131_29 Depth=1
                                        ; =>  This Inner Loop Header: Depth=2
	ds_load_u16 v37, v36
	v_add_nc_u32_e32 v6, s29, v6
	v_add_nc_u32_e32 v36, s64, v36
	s_delay_alu instid0(VALU_DEP_2) | instskip(SKIP_4) | instid1(VALU_DEP_2)
	v_cmp_le_u32_e32 vcc_lo, s40, v6
	s_wait_dscnt 0x0
	v_cmp_lt_i16_e64 s11, -1, v37
	v_and_b32_e32 v38, 0xffff, v37
	s_wait_alu 0xf1ff
	v_cndmask_b32_e64 v39, 0xffff, v31, s11
	v_cmp_o_f16_e64 s11, v37, v37
	s_delay_alu instid0(VALU_DEP_2) | instskip(SKIP_1) | instid1(VALU_DEP_1)
	v_xor_b32_e32 v38, v39, v38
	s_wait_alu 0xf1ff
	v_cndmask_b32_e64 v37, 0xffff, v38, s11
	s_delay_alu instid0(VALU_DEP_1) | instskip(SKIP_1) | instid1(VALU_DEP_2)
	v_and_b32_e32 v38, v37, v33
	v_bfe_u32 v37, v37, s73, 2
	v_cmp_eq_u32_e64 s11, v38, v13
	s_delay_alu instid0(VALU_DEP_2)
	v_cmp_eq_u32_e64 s12, 0, v37
	v_cmp_eq_u32_e64 s13, 1, v37
	;; [unrolled: 1-line block ×4, first 2 shown]
	s_and_b32 s12, s11, s12
	s_wait_alu 0xfffe
	v_cndmask_b32_e64 v37, 0, 1, s12
	s_and_b32 s12, s11, s13
	s_wait_alu 0xfffe
	v_cndmask_b32_e64 v38, 0, 1, s12
	s_and_b32 s12, s11, s14
	s_and_b32 s11, s11, s15
	s_wait_alu 0xfffe
	v_cndmask_b32_e64 v39, 0, 1, s12
	v_cndmask_b32_e64 v40, 0, 1, s11
	v_cmp_ne_u32_e64 s11, 0, v37
	v_cmp_ne_u32_e64 s12, 0, v38
	s_delay_alu instid0(VALU_DEP_4) | instskip(NEXT) | instid1(VALU_DEP_4)
	v_cmp_ne_u32_e64 s13, 0, v39
	v_cmp_ne_u32_e64 s14, 0, v40
	s_bcnt1_i32_b32 s11, s11
	s_bcnt1_i32_b32 s12, s12
	s_wait_alu 0xfffe
	v_add_nc_u32_e32 v1, s11, v1
	s_bcnt1_i32_b32 s13, s13
	s_bcnt1_i32_b32 s14, s14
	v_add_nc_u32_e32 v2, s12, v2
	s_wait_alu 0xfffe
	v_add_nc_u32_e32 v3, s13, v3
	v_add_nc_u32_e32 v4, s14, v4
	s_or_b32 s17, vcc_lo, s17
	s_wait_alu 0xfffe
	s_and_not1_b32 exec_lo, exec_lo, s17
	s_cbranch_execnz .LBB131_101
; %bb.102:                              ;   in Loop: Header=BB131_29 Depth=1
	s_or_b32 exec_lo, exec_lo, s17
.LBB131_103:                            ;   in Loop: Header=BB131_29 Depth=1
	s_wait_alu 0xfffe
	s_or_b32 exec_lo, exec_lo, s16
	v_lshlrev_b32_e32 v6, 7, v32
	s_and_saveexec_b32 s11, s3
	s_cbranch_execnz .LBB131_77
	s_branch .LBB131_78
.LBB131_104:                            ;   in Loop: Header=BB131_29 Depth=1
	v_mov_b32_e32 v1, 0
	s_mov_b32 s12, 0
	s_and_not1_b32 vcc_lo, exec_lo, s59
	s_wait_alu 0xfffe
	s_cbranch_vccnz .LBB131_107
.LBB131_105:                            ;   in Loop: Header=BB131_29 Depth=1
	v_lshlrev_b32_e32 v2, 9, v32
	s_lshl_b32 s12, s12, 4
	s_wait_alu 0xfffe
	s_delay_alu instid0(VALU_DEP_1)
	v_add3_u32 v2, v2, s12, v30
	s_mov_b32 s12, s56
.LBB131_106:                            ;   Parent Loop BB131_29 Depth=1
                                        ; =>  This Inner Loop Header: Depth=2
	ds_load_b32 v3, v2
	v_add_nc_u32_e32 v2, 16, v2
	s_wait_alu 0xfffe
	s_add_co_i32 s12, s12, -1
	s_wait_alu 0xfffe
	s_cmp_lg_u32 s12, 0
	s_wait_dscnt 0x0
	v_add_nc_u32_e32 v1, v3, v1
	s_cbranch_scc1 .LBB131_106
.LBB131_107:                            ;   in Loop: Header=BB131_29 Depth=1
	v_add_lshl_u32 v2, v6, v15, 2
	ds_store_b32 v2, v1 offset:3072
.LBB131_108:                            ;   in Loop: Header=BB131_29 Depth=1
	s_wait_alu 0xfffe
	s_or_b32 exec_lo, exec_lo, s11
	v_lshlrev_b32_e32 v1, 2, v6
	s_wait_loadcnt_dscnt 0x0
	s_barrier_signal -1
	s_barrier_wait -1
	global_inv scope:SCOPE_SE
	ds_load_b128 v[1:4], v1 offset:3072
	s_lshl_b32 s12, 3, s73
	v_cmp_eq_u32_e32 vcc_lo, 1, v35
	s_wait_alu 0xfffe
	s_not_b32 s19, s12
	s_mov_b32 s15, -1
	s_mov_b32 s23, -1
                                        ; implicit-def: $sgpr20
                                        ; implicit-def: $sgpr17
	s_wait_dscnt 0x0
	v_readfirstlane_b32 s14, v1
	v_readfirstlane_b32 s21, v2
	;; [unrolled: 1-line block ×4, first 2 shown]
	s_cmp_eq_u32 s14, 1
	s_cselect_b32 s13, -1, 0
	s_wait_alu 0xfffe
	s_and_b32 s16, s13, vcc_lo
	s_wait_alu 0xfffe
	s_and_saveexec_b32 s13, s16
	s_cbranch_execz .LBB131_136
; %bb.109:                              ;   in Loop: Header=BB131_29 Depth=1
	ds_load_b32 v1, v7 offset:4104
	s_wait_loadcnt_dscnt 0x0
	s_barrier_signal -1
	s_barrier_wait -1
	global_inv scope:SCOPE_SE
	v_readfirstlane_b32 s23, v1
	s_and_saveexec_b32 s17, s1
; %bb.110:                              ;   in Loop: Header=BB131_29 Depth=1
	ds_store_b16 v17, v7
; %bb.111:                              ;   in Loop: Header=BB131_29 Depth=1
	s_wait_alu 0xfffe
	s_or_b32 exec_lo, exec_lo, s17
	v_and_b32_e32 v13, s19, v13
	v_or_b32_e32 v33, s12, v33
	s_mov_b32 s17, -1
	s_mov_b32 s20, 0
	s_cmp_eq_u32 s23, 0
	s_mov_b32 s22, 0
	s_mov_b32 s24, -1
	s_wait_loadcnt_dscnt 0x0
	s_barrier_signal -1
	s_barrier_wait -1
	global_inv scope:SCOPE_SE
                                        ; implicit-def: $vgpr34
	s_cbranch_scc1 .LBB131_123
; %bb.112:                              ;   in Loop: Header=BB131_29 Depth=1
	s_add_co_i32 s40, s23, s51
                                        ; implicit-def: $vgpr34
	s_wait_alu 0xfffe
	s_mul_u64 s[74:75], s[40:41], s[44:45]
	s_wait_alu 0xfffe
	s_mul_i32 s22, s75, s29
	s_wait_alu 0xfffe
	s_sub_co_i32 s22, s40, s22
	s_wait_alu 0xfffe
	s_sub_co_i32 s24, s22, s29
	s_cmp_ge_u32 s22, s29
	s_wait_alu 0xfffe
	s_cselect_b32 s22, s24, s22
	s_wait_alu 0xfffe
	s_sub_co_i32 s24, s22, s29
	s_cmp_ge_u32 s22, s29
	s_wait_alu 0xfffe
	s_cselect_b32 s22, s24, s22
	s_mov_b32 s24, 0
	s_wait_alu 0xfffe
	s_sub_co_i32 s74, s40, s22
	s_mov_b32 s22, 0
	s_mov_b32 s40, exec_lo
	s_wait_alu 0xfffe
	v_cmpx_gt_u32_e64 s74, v0
	s_cbranch_execz .LBB131_122
; %bb.113:                              ;   in Loop: Header=BB131_29 Depth=1
	v_dual_mov_b32 v1, v16 :: v_dual_mov_b32 v2, v0
                                        ; implicit-def: $sgpr75
	s_branch .LBB131_117
.LBB131_114:                            ;   in Loop: Header=BB131_117 Depth=2
	s_wait_alu 0xfffe
	s_or_b32 exec_lo, exec_lo, s76
	s_wait_loadcnt_dscnt 0x0
	s_barrier_signal -1
	s_barrier_wait -1
	global_inv scope:SCOPE_SE
	ds_load_b32 v3, v7 offset:3072
	s_wait_loadcnt_dscnt 0x0
	s_barrier_signal -1
	s_barrier_wait -1
	global_inv scope:SCOPE_SE
	v_cmp_neq_f16_e32 vcc_lo, 0, v3
	s_cbranch_vccnz .LBB131_120
; %bb.115:                              ;   in Loop: Header=BB131_117 Depth=2
	v_add_nc_u32_e32 v2, s29, v2
	v_add_nc_u32_e32 v1, s64, v1
	s_mov_b32 s76, 0
	s_delay_alu instid0(VALU_DEP_2)
	v_cmp_le_u32_e32 vcc_lo, s74, v2
	s_or_not1_b32 s77, vcc_lo, exec_lo
.LBB131_116:                            ;   in Loop: Header=BB131_117 Depth=2
	s_wait_alu 0xfffe
	s_and_b32 s77, exec_lo, s77
	s_wait_alu 0xfffe
	s_or_b32 s22, s77, s22
	s_and_not1_b32 s75, s75, exec_lo
	s_and_b32 s76, s76, exec_lo
	s_wait_alu 0xfffe
	s_or_b32 s75, s75, s76
	s_and_not1_b32 exec_lo, exec_lo, s22
	s_cbranch_execz .LBB131_121
.LBB131_117:                            ;   Parent Loop BB131_29 Depth=1
                                        ; =>  This Inner Loop Header: Depth=2
	s_mov_b32 s76, exec_lo
	s_delay_alu instid0(VALU_DEP_1)
	v_cmpx_gt_u32_e64 s23, v2
	s_cbranch_execz .LBB131_114
; %bb.118:                              ;   in Loop: Header=BB131_117 Depth=2
	ds_load_u16 v3, v1
	s_wait_dscnt 0x0
	v_cmp_lt_i16_e32 vcc_lo, -1, v3
	v_and_b32_e32 v4, 0xffff, v3
	s_wait_alu 0xfffd
	v_cndmask_b32_e32 v6, 0xffff, v31, vcc_lo
	v_cmp_o_f16_e32 vcc_lo, v3, v3
	s_delay_alu instid0(VALU_DEP_2) | instskip(SKIP_1) | instid1(VALU_DEP_1)
	v_xor_b32_e32 v4, v6, v4
	s_wait_alu 0xfffd
	v_cndmask_b32_e32 v4, 0xffff, v4, vcc_lo
	s_delay_alu instid0(VALU_DEP_1) | instskip(NEXT) | instid1(VALU_DEP_1)
	v_and_b32_e32 v4, v4, v33
	v_cmp_eq_u32_e32 vcc_lo, v4, v13
	s_and_b32 exec_lo, exec_lo, vcc_lo
	s_cbranch_execz .LBB131_114
; %bb.119:                              ;   in Loop: Header=BB131_117 Depth=2
	v_perm_b32 v3, v3, s66, 0x5040100
	ds_store_b32 v7, v3 offset:3072
	s_branch .LBB131_114
.LBB131_120:                            ;   in Loop: Header=BB131_117 Depth=2
	s_mov_b32 s77, -1
	s_mov_b32 s76, -1
                                        ; implicit-def: $vgpr2
                                        ; implicit-def: $vgpr1
	s_branch .LBB131_116
.LBB131_121:                            ;   in Loop: Header=BB131_29 Depth=1
	s_or_b32 exec_lo, exec_lo, s22
	v_lshrrev_b32_e32 v34, 16, v3
	s_wait_alu 0xfffe
	s_and_b32 s22, s75, exec_lo
.LBB131_122:                            ;   in Loop: Header=BB131_29 Depth=1
	s_or_b32 exec_lo, exec_lo, s40
.LBB131_123:                            ;   in Loop: Header=BB131_29 Depth=1
	s_wait_alu 0xfffe
	s_and_b32 vcc_lo, exec_lo, s24
	s_wait_alu 0xfffe
	s_cbranch_vccz .LBB131_135
; %bb.124:                              ;   in Loop: Header=BB131_29 Depth=1
                                        ; implicit-def: $vgpr34
	s_and_saveexec_b32 s17, s10
	s_cbranch_execz .LBB131_134
; %bb.125:                              ;   in Loop: Header=BB131_29 Depth=1
	v_dual_mov_b32 v6, v5 :: v_dual_mov_b32 v1, v0
	s_mov_b32 s20, 0
                                        ; implicit-def: $sgpr23
	s_branch .LBB131_129
.LBB131_126:                            ;   in Loop: Header=BB131_129 Depth=2
	s_wait_alu 0xfffe
	s_or_b32 exec_lo, exec_lo, s24
	s_wait_loadcnt_dscnt 0x0
	s_barrier_signal -1
	s_barrier_wait -1
	global_inv scope:SCOPE_SE
	ds_load_b32 v2, v7 offset:3072
	s_wait_loadcnt_dscnt 0x0
	s_barrier_signal -1
	s_barrier_wait -1
	global_inv scope:SCOPE_SE
	v_cmp_neq_f16_e32 vcc_lo, 0, v2
	s_cbranch_vccnz .LBB131_132
; %bb.127:                              ;   in Loop: Header=BB131_129 Depth=2
	v_add_nc_u32_e32 v1, s29, v1
	v_add_nc_u32_e32 v6, s54, v6
	s_mov_b32 s24, 0
	s_delay_alu instid0(VALU_DEP_2)
	v_cmp_le_u32_e32 vcc_lo, s61, v1
	s_or_not1_b32 s40, vcc_lo, exec_lo
.LBB131_128:                            ;   in Loop: Header=BB131_129 Depth=2
	s_wait_alu 0xfffe
	s_and_b32 s40, exec_lo, s40
	s_wait_alu 0xfffe
	s_or_b32 s20, s40, s20
	s_and_not1_b32 s23, s23, exec_lo
	s_and_b32 s24, s24, exec_lo
	s_wait_alu 0xfffe
	s_or_b32 s23, s23, s24
	s_and_not1_b32 exec_lo, exec_lo, s20
	s_cbranch_execz .LBB131_133
.LBB131_129:                            ;   Parent Loop BB131_29 Depth=1
                                        ; =>  This Inner Loop Header: Depth=2
	s_mov_b32 s24, exec_lo
	s_delay_alu instid0(VALU_DEP_1)
	v_cmpx_gt_u32_e64 s28, v1
	s_cbranch_execz .LBB131_126
; %bb.130:                              ;   in Loop: Header=BB131_129 Depth=2
	v_lshlrev_b64_e32 v[2:3], 1, v[6:7]
	s_delay_alu instid0(VALU_DEP_1) | instskip(SKIP_1) | instid1(VALU_DEP_2)
	v_add_co_u32 v2, vcc_lo, s34, v2
	s_wait_alu 0xfffd
	v_add_co_ci_u32_e64 v3, null, s35, v3, vcc_lo
	global_load_u16 v2, v[2:3], off
	s_wait_loadcnt 0x0
	v_cmp_lt_i16_e32 vcc_lo, -1, v2
	s_wait_alu 0xfffd
	v_dual_cndmask_b32 v4, 0xffff, v31 :: v_dual_and_b32 v3, 0xffff, v2
	v_cmp_o_f16_e32 vcc_lo, v2, v2
	s_delay_alu instid0(VALU_DEP_2) | instskip(SKIP_1) | instid1(VALU_DEP_1)
	v_xor_b32_e32 v3, v4, v3
	s_wait_alu 0xfffd
	v_cndmask_b32_e32 v3, 0xffff, v3, vcc_lo
	s_delay_alu instid0(VALU_DEP_1) | instskip(NEXT) | instid1(VALU_DEP_1)
	v_and_b32_e32 v3, v3, v33
	v_cmp_eq_u32_e32 vcc_lo, v3, v13
	s_and_b32 exec_lo, exec_lo, vcc_lo
	s_cbranch_execz .LBB131_126
; %bb.131:                              ;   in Loop: Header=BB131_129 Depth=2
	v_perm_b32 v2, v2, s66, 0x5040100
	ds_store_b32 v7, v2 offset:3072
	s_branch .LBB131_126
.LBB131_132:                            ;   in Loop: Header=BB131_129 Depth=2
	s_mov_b32 s40, -1
	s_mov_b32 s24, -1
                                        ; implicit-def: $vgpr1
	s_branch .LBB131_128
.LBB131_133:                            ;   in Loop: Header=BB131_29 Depth=1
	s_or_b32 exec_lo, exec_lo, s20
	v_lshrrev_b32_e32 v34, 16, v2
	s_and_not1_b32 s20, s22, exec_lo
	s_wait_alu 0xfffe
	s_and_b32 s22, s23, exec_lo
	s_wait_alu 0xfffe
	s_or_b32 s22, s20, s22
.LBB131_134:                            ;   in Loop: Header=BB131_29 Depth=1
	s_wait_alu 0xfffe
	s_or_b32 exec_lo, exec_lo, s17
	s_mov_b32 s17, 0
	s_mov_b32 s20, -1
.LBB131_135:                            ;   in Loop: Header=BB131_29 Depth=1
	s_or_not1_b32 s23, s22, exec_lo
.LBB131_136:                            ;   in Loop: Header=BB131_29 Depth=1
	s_wait_alu 0xfffe
	s_or_b32 exec_lo, exec_lo, s13
	v_readfirstlane_b32 s22, v0
	s_and_not1_b32 s13, s71, exec_lo
	s_and_b32 s20, s20, exec_lo
	s_and_not1_b32 s24, s69, exec_lo
	s_and_b32 s17, s17, exec_lo
	s_and_not1_b32 s68, s68, exec_lo
	s_wait_alu 0xfffe
	s_or_b32 s71, s13, s20
	s_or_b32 s69, s24, s17
                                        ; implicit-def: $vgpr2
	s_and_saveexec_b32 s13, s23
	s_cbranch_execz .LBB131_28
; %bb.137:                              ;   in Loop: Header=BB131_29 Depth=1
	v_dual_mov_b32 v2, 1 :: v_dual_mov_b32 v1, 1
	s_xor_b32 s16, s16, -1
	s_mov_b32 s22, 0
	s_wait_alu 0xfffe
	s_and_saveexec_b32 s15, s16
	s_cbranch_execz .LBB131_146
; %bb.138:                              ;   in Loop: Header=BB131_29 Depth=1
	s_mov_b32 s16, exec_lo
	v_cmpx_ge_u32_e64 s14, v35
	s_wait_alu 0xfffe
	s_xor_b32 s16, exec_lo, s16
	s_cbranch_execz .LBB131_143
; %bb.139:                              ;   in Loop: Header=BB131_29 Depth=1
	ds_load_b32 v1, v7 offset:4104
	v_and_b32_e32 v13, s19, v13
	v_or_b32_e32 v33, s12, v33
	s_wait_dscnt 0x0
	v_cmp_ne_u32_e32 vcc_lo, 0, v1
	s_cbranch_vccnz .LBB131_143
; %bb.140:                              ;   in Loop: Header=BB131_29 Depth=1
	s_and_saveexec_b32 s17, s0
; %bb.141:                              ;   in Loop: Header=BB131_29 Depth=1
	v_mov_b32_e32 v1, s14
	ds_store_b32 v7, v1 offset:4108
; %bb.142:                              ;   in Loop: Header=BB131_29 Depth=1
	s_wait_alu 0xfffe
	s_or_b32 exec_lo, exec_lo, s17
	s_wait_loadcnt_dscnt 0x0
	s_barrier_signal -1
	s_barrier_wait -1
	global_inv scope:SCOPE_SE
.LBB131_143:                            ;   in Loop: Header=BB131_29 Depth=1
	s_wait_alu 0xfffe
	s_or_saveexec_b32 s16, s16
	v_mov_b32_e32 v1, 8
	s_mov_b32 s17, 0
	s_wait_alu 0xfffe
	s_xor_b32 exec_lo, exec_lo, s16
; %bb.144:                              ;   in Loop: Header=BB131_29 Depth=1
	v_subrev_nc_u32_e32 v35, s14, v35
	v_mov_b32_e32 v1, 0
	s_mov_b32 s17, exec_lo
; %bb.145:                              ;   in Loop: Header=BB131_29 Depth=1
	s_or_b32 exec_lo, exec_lo, s16
	s_delay_alu instid0(VALU_DEP_2)
	v_mov_b32_e32 v2, v35
	s_wait_alu 0xfffe
	s_and_b32 s22, s17, exec_lo
.LBB131_146:                            ;   in Loop: Header=BB131_29 Depth=1
	s_wait_alu 0xfffe
	s_or_b32 exec_lo, exec_lo, s15
	s_mov_b32 s14, -1
	s_mov_b32 s20, -1
                                        ; implicit-def: $sgpr16
                                        ; implicit-def: $sgpr17
	s_and_saveexec_b32 s15, s22
	s_wait_alu 0xfffe
	s_xor_b32 s15, exec_lo, s15
	s_cbranch_execz .LBB131_269
; %bb.147:                              ;   in Loop: Header=BB131_29 Depth=1
	v_cmp_eq_u32_e32 vcc_lo, 1, v2
	s_cmp_eq_u32 s21, 1
	s_mov_b32 s23, -1
	s_cselect_b32 s16, -1, 0
                                        ; implicit-def: $sgpr17
	s_wait_alu 0xfffe
	s_and_b32 s22, s16, vcc_lo
                                        ; implicit-def: $sgpr16
	s_wait_alu 0xfffe
	s_and_saveexec_b32 s20, s22
	s_cbranch_execz .LBB131_175
; %bb.148:                              ;   in Loop: Header=BB131_29 Depth=1
	ds_load_b32 v3, v7 offset:4104
	s_wait_loadcnt_dscnt 0x0
	s_barrier_signal -1
	s_barrier_wait -1
	global_inv scope:SCOPE_SE
	v_readfirstlane_b32 s24, v3
	s_and_saveexec_b32 s16, s1
; %bb.149:                              ;   in Loop: Header=BB131_29 Depth=1
	ds_store_b16 v17, v7
; %bb.150:                              ;   in Loop: Header=BB131_29 Depth=1
	s_wait_alu 0xfffe
	s_or_b32 exec_lo, exec_lo, s16
	s_lshl_b32 s16, 1, s73
	v_or_b32_e32 v33, s12, v33
	s_wait_alu 0xfffe
	v_and_or_b32 v13, v13, s19, s16
	s_mov_b32 s16, -1
	s_mov_b32 s17, 0
	s_cmp_eq_u32 s24, 0
	s_mov_b32 s23, 0
	s_mov_b32 s40, -1
	s_wait_loadcnt_dscnt 0x0
	s_barrier_signal -1
	s_barrier_wait -1
	global_inv scope:SCOPE_SE
                                        ; implicit-def: $vgpr34
	s_cbranch_scc1 .LBB131_162
; %bb.151:                              ;   in Loop: Header=BB131_29 Depth=1
	s_add_co_i32 s40, s24, s51
                                        ; implicit-def: $vgpr34
	s_wait_alu 0xfffe
	s_mul_u64 s[74:75], s[40:41], s[44:45]
	s_wait_alu 0xfffe
	s_mul_i32 s23, s75, s29
	s_wait_alu 0xfffe
	s_sub_co_i32 s23, s40, s23
	s_wait_alu 0xfffe
	s_sub_co_i32 s74, s23, s29
	s_cmp_ge_u32 s23, s29
	s_wait_alu 0xfffe
	s_cselect_b32 s23, s74, s23
	s_wait_alu 0xfffe
	s_sub_co_i32 s74, s23, s29
	s_cmp_ge_u32 s23, s29
	s_wait_alu 0xfffe
	s_cselect_b32 s23, s74, s23
	s_mov_b32 s74, exec_lo
	s_wait_alu 0xfffe
	s_sub_co_i32 s75, s40, s23
	s_mov_b32 s40, 0
	s_mov_b32 s23, 0
	s_wait_alu 0xfffe
	v_cmpx_gt_u32_e64 s75, v0
	s_cbranch_execz .LBB131_161
; %bb.152:                              ;   in Loop: Header=BB131_29 Depth=1
	v_dual_mov_b32 v3, v16 :: v_dual_mov_b32 v4, v0
                                        ; implicit-def: $sgpr76
	s_branch .LBB131_156
.LBB131_153:                            ;   in Loop: Header=BB131_156 Depth=2
	s_wait_alu 0xfffe
	s_or_b32 exec_lo, exec_lo, s77
	s_wait_loadcnt_dscnt 0x0
	s_barrier_signal -1
	s_barrier_wait -1
	global_inv scope:SCOPE_SE
	ds_load_b32 v6, v7 offset:3072
	s_wait_loadcnt_dscnt 0x0
	s_barrier_signal -1
	s_barrier_wait -1
	global_inv scope:SCOPE_SE
	v_cmp_neq_f16_e32 vcc_lo, 0, v6
	s_cbranch_vccnz .LBB131_159
; %bb.154:                              ;   in Loop: Header=BB131_156 Depth=2
	v_add_nc_u32_e32 v4, s29, v4
	v_add_nc_u32_e32 v3, s64, v3
	s_mov_b32 s77, 0
	s_delay_alu instid0(VALU_DEP_2)
	v_cmp_le_u32_e32 vcc_lo, s75, v4
	s_or_not1_b32 s78, vcc_lo, exec_lo
.LBB131_155:                            ;   in Loop: Header=BB131_156 Depth=2
	s_wait_alu 0xfffe
	s_and_b32 s78, exec_lo, s78
	s_wait_alu 0xfffe
	s_or_b32 s23, s78, s23
	s_and_not1_b32 s76, s76, exec_lo
	s_and_b32 s77, s77, exec_lo
	s_wait_alu 0xfffe
	s_or_b32 s76, s76, s77
	s_and_not1_b32 exec_lo, exec_lo, s23
	s_cbranch_execz .LBB131_160
.LBB131_156:                            ;   Parent Loop BB131_29 Depth=1
                                        ; =>  This Inner Loop Header: Depth=2
	s_mov_b32 s77, exec_lo
	s_delay_alu instid0(VALU_DEP_1)
	v_cmpx_gt_u32_e64 s24, v4
	s_cbranch_execz .LBB131_153
; %bb.157:                              ;   in Loop: Header=BB131_156 Depth=2
	ds_load_u16 v6, v3
	s_wait_dscnt 0x0
	v_cmp_lt_i16_e32 vcc_lo, -1, v6
	s_wait_alu 0xfffd
	v_dual_cndmask_b32 v35, 0xffff, v31 :: v_dual_and_b32 v34, 0xffff, v6
	v_cmp_o_f16_e32 vcc_lo, v6, v6
	s_delay_alu instid0(VALU_DEP_2) | instskip(SKIP_1) | instid1(VALU_DEP_1)
	v_xor_b32_e32 v34, v35, v34
	s_wait_alu 0xfffd
	v_cndmask_b32_e32 v34, 0xffff, v34, vcc_lo
	s_delay_alu instid0(VALU_DEP_1) | instskip(NEXT) | instid1(VALU_DEP_1)
	v_and_b32_e32 v34, v34, v33
	v_cmp_eq_u32_e32 vcc_lo, v34, v13
	s_and_b32 exec_lo, exec_lo, vcc_lo
	s_cbranch_execz .LBB131_153
; %bb.158:                              ;   in Loop: Header=BB131_156 Depth=2
	v_perm_b32 v6, v6, s66, 0x5040100
	ds_store_b32 v7, v6 offset:3072
	s_branch .LBB131_153
.LBB131_159:                            ;   in Loop: Header=BB131_156 Depth=2
	s_mov_b32 s78, -1
	s_mov_b32 s77, -1
                                        ; implicit-def: $vgpr4
                                        ; implicit-def: $vgpr3
	s_branch .LBB131_155
.LBB131_160:                            ;   in Loop: Header=BB131_29 Depth=1
	s_or_b32 exec_lo, exec_lo, s23
	v_lshrrev_b32_e32 v34, 16, v6
	s_wait_alu 0xfffe
	s_and_b32 s23, s76, exec_lo
.LBB131_161:                            ;   in Loop: Header=BB131_29 Depth=1
	s_or_b32 exec_lo, exec_lo, s74
.LBB131_162:                            ;   in Loop: Header=BB131_29 Depth=1
	s_wait_alu 0xfffe
	s_and_b32 vcc_lo, exec_lo, s40
	s_wait_alu 0xfffe
	s_cbranch_vccz .LBB131_174
; %bb.163:                              ;   in Loop: Header=BB131_29 Depth=1
                                        ; implicit-def: $vgpr34
	s_and_saveexec_b32 s16, s10
	s_cbranch_execz .LBB131_173
; %bb.164:                              ;   in Loop: Header=BB131_29 Depth=1
	v_dual_mov_b32 v6, v5 :: v_dual_mov_b32 v3, v0
	s_mov_b32 s17, 0
                                        ; implicit-def: $sgpr24
	s_branch .LBB131_168
.LBB131_165:                            ;   in Loop: Header=BB131_168 Depth=2
	s_wait_alu 0xfffe
	s_or_b32 exec_lo, exec_lo, s40
	s_wait_loadcnt_dscnt 0x0
	s_barrier_signal -1
	s_barrier_wait -1
	global_inv scope:SCOPE_SE
	ds_load_b32 v4, v7 offset:3072
	s_wait_loadcnt_dscnt 0x0
	s_barrier_signal -1
	s_barrier_wait -1
	global_inv scope:SCOPE_SE
	v_cmp_eq_f16_e32 vcc_lo, 0, v4
	s_cbranch_vccz .LBB131_171
; %bb.166:                              ;   in Loop: Header=BB131_168 Depth=2
	v_add_nc_u32_e32 v3, s29, v3
	v_add_nc_u32_e32 v6, s54, v6
	s_mov_b32 s40, 0
	s_delay_alu instid0(VALU_DEP_2)
	v_cmp_le_u32_e32 vcc_lo, s61, v3
	s_or_not1_b32 s74, vcc_lo, exec_lo
.LBB131_167:                            ;   in Loop: Header=BB131_168 Depth=2
	s_wait_alu 0xfffe
	s_and_b32 s74, exec_lo, s74
	s_wait_alu 0xfffe
	s_or_b32 s17, s74, s17
	s_and_not1_b32 s24, s24, exec_lo
	s_and_b32 s40, s40, exec_lo
	s_wait_alu 0xfffe
	s_or_b32 s24, s24, s40
	s_and_not1_b32 exec_lo, exec_lo, s17
	s_cbranch_execz .LBB131_172
.LBB131_168:                            ;   Parent Loop BB131_29 Depth=1
                                        ; =>  This Inner Loop Header: Depth=2
	s_mov_b32 s40, exec_lo
	s_delay_alu instid0(VALU_DEP_1)
	v_cmpx_gt_u32_e64 s28, v3
	s_cbranch_execz .LBB131_165
; %bb.169:                              ;   in Loop: Header=BB131_168 Depth=2
	v_lshlrev_b64_e32 v[34:35], 1, v[6:7]
	s_delay_alu instid0(VALU_DEP_1) | instskip(SKIP_1) | instid1(VALU_DEP_2)
	v_add_co_u32 v34, vcc_lo, s34, v34
	s_wait_alu 0xfffd
	v_add_co_ci_u32_e64 v35, null, s35, v35, vcc_lo
	global_load_u16 v4, v[34:35], off
	s_wait_loadcnt 0x0
	v_cmp_lt_i16_e32 vcc_lo, -1, v4
	s_wait_alu 0xfffd
	v_dual_cndmask_b32 v35, 0xffff, v31 :: v_dual_and_b32 v34, 0xffff, v4
	v_cmp_o_f16_e32 vcc_lo, v4, v4
	s_delay_alu instid0(VALU_DEP_2) | instskip(SKIP_1) | instid1(VALU_DEP_1)
	v_xor_b32_e32 v34, v35, v34
	s_wait_alu 0xfffd
	v_cndmask_b32_e32 v34, 0xffff, v34, vcc_lo
	s_delay_alu instid0(VALU_DEP_1) | instskip(NEXT) | instid1(VALU_DEP_1)
	v_and_b32_e32 v34, v34, v33
	v_cmp_eq_u32_e32 vcc_lo, v34, v13
	s_and_b32 exec_lo, exec_lo, vcc_lo
	s_cbranch_execz .LBB131_165
; %bb.170:                              ;   in Loop: Header=BB131_168 Depth=2
	v_perm_b32 v4, v4, s66, 0x5040100
	ds_store_b32 v7, v4 offset:3072
	s_branch .LBB131_165
.LBB131_171:                            ;   in Loop: Header=BB131_168 Depth=2
	s_mov_b32 s74, -1
	s_mov_b32 s40, -1
                                        ; implicit-def: $vgpr3
	s_branch .LBB131_167
.LBB131_172:                            ;   in Loop: Header=BB131_29 Depth=1
	s_or_b32 exec_lo, exec_lo, s17
	v_lshrrev_b32_e32 v34, 16, v4
	s_and_not1_b32 s17, s23, exec_lo
	s_wait_alu 0xfffe
	s_and_b32 s23, s24, exec_lo
	s_wait_alu 0xfffe
	s_or_b32 s23, s17, s23
.LBB131_173:                            ;   in Loop: Header=BB131_29 Depth=1
	s_wait_alu 0xfffe
	s_or_b32 exec_lo, exec_lo, s16
	s_mov_b32 s16, 0
	s_mov_b32 s17, -1
.LBB131_174:                            ;   in Loop: Header=BB131_29 Depth=1
	s_or_not1_b32 s23, s23, exec_lo
.LBB131_175:                            ;   in Loop: Header=BB131_29 Depth=1
	s_wait_alu 0xfffe
	s_or_b32 exec_lo, exec_lo, s20
	s_mov_b32 s24, 0
	s_and_saveexec_b32 s20, s23
	s_cbranch_execz .LBB131_268
; %bb.176:                              ;   in Loop: Header=BB131_29 Depth=1
	v_mov_b32_e32 v3, 1
	v_mov_b32_e32 v1, 1
	s_xor_b32 s23, s22, -1
	s_mov_b32 s40, 0
	s_wait_alu 0xfffe
	s_and_saveexec_b32 s22, s23
	s_cbranch_execz .LBB131_185
; %bb.177:                              ;   in Loop: Header=BB131_29 Depth=1
	s_mov_b32 s23, exec_lo
	v_cmpx_ge_u32_e64 s21, v2
	s_wait_alu 0xfffe
	s_xor_b32 s23, exec_lo, s23
	s_cbranch_execz .LBB131_182
; %bb.178:                              ;   in Loop: Header=BB131_29 Depth=1
	ds_load_b32 v1, v7 offset:4104
	s_lshl_b32 s24, 1, s73
	v_or_b32_e32 v33, s12, v33
	s_wait_alu 0xfffe
	v_and_or_b32 v13, v13, s19, s24
	s_wait_dscnt 0x0
	v_cmp_ne_u32_e32 vcc_lo, 0, v1
	s_cbranch_vccnz .LBB131_182
; %bb.179:                              ;   in Loop: Header=BB131_29 Depth=1
	s_and_saveexec_b32 s24, s0
; %bb.180:                              ;   in Loop: Header=BB131_29 Depth=1
	v_mov_b32_e32 v1, s21
	ds_store_b32 v7, v1 offset:4108
; %bb.181:                              ;   in Loop: Header=BB131_29 Depth=1
	s_wait_alu 0xfffe
	s_or_b32 exec_lo, exec_lo, s24
	s_wait_loadcnt_dscnt 0x0
	s_barrier_signal -1
	s_barrier_wait -1
	global_inv scope:SCOPE_SE
.LBB131_182:                            ;   in Loop: Header=BB131_29 Depth=1
	s_wait_alu 0xfffe
	s_or_saveexec_b32 s23, s23
	v_mov_b32_e32 v1, 8
	s_mov_b32 s24, 0
	s_wait_alu 0xfffe
	s_xor_b32 exec_lo, exec_lo, s23
; %bb.183:                              ;   in Loop: Header=BB131_29 Depth=1
	v_subrev_nc_u32_e32 v2, s21, v2
	v_mov_b32_e32 v1, 0
	s_mov_b32 s24, exec_lo
; %bb.184:                              ;   in Loop: Header=BB131_29 Depth=1
	s_or_b32 exec_lo, exec_lo, s23
	s_delay_alu instid0(VALU_DEP_2)
	v_mov_b32_e32 v3, v2
	s_wait_alu 0xfffe
	s_and_b32 s40, s24, exec_lo
.LBB131_185:                            ;   in Loop: Header=BB131_29 Depth=1
	s_wait_alu 0xfffe
	s_or_b32 exec_lo, exec_lo, s22
	s_mov_b32 s24, -1
                                        ; implicit-def: $sgpr22
                                        ; implicit-def: $sgpr23
	s_and_saveexec_b32 s21, s40
	s_cbranch_execz .LBB131_267
; %bb.186:                              ;   in Loop: Header=BB131_29 Depth=1
	v_cmp_eq_u32_e32 vcc_lo, 1, v3
	s_cmp_eq_u32 s18, 1
	s_mov_b32 s40, -1
	s_cselect_b32 s22, -1, 0
                                        ; implicit-def: $sgpr23
	s_wait_alu 0xfffe
	s_and_b32 s74, s22, vcc_lo
                                        ; implicit-def: $sgpr22
	s_wait_alu 0xfffe
	s_and_saveexec_b32 s24, s74
	s_cbranch_execz .LBB131_214
; %bb.187:                              ;   in Loop: Header=BB131_29 Depth=1
	ds_load_b32 v2, v7 offset:4104
	s_wait_loadcnt_dscnt 0x0
	s_barrier_signal -1
	s_barrier_wait -1
	global_inv scope:SCOPE_SE
	v_readfirstlane_b32 s75, v2
	s_and_saveexec_b32 s22, s1
; %bb.188:                              ;   in Loop: Header=BB131_29 Depth=1
	ds_store_b16 v17, v7
; %bb.189:                              ;   in Loop: Header=BB131_29 Depth=1
	s_wait_alu 0xfffe
	s_or_b32 exec_lo, exec_lo, s22
	s_lshl_b32 s22, 2, s73
	v_or_b32_e32 v33, s12, v33
	s_wait_alu 0xfffe
	v_and_or_b32 v13, v13, s19, s22
	s_mov_b32 s22, -1
	s_mov_b32 s23, 0
	s_cmp_eq_u32 s75, 0
	s_mov_b32 s40, 0
	s_mov_b32 s76, -1
	s_wait_loadcnt_dscnt 0x0
	s_barrier_signal -1
	s_barrier_wait -1
	global_inv scope:SCOPE_SE
                                        ; implicit-def: $vgpr34
	s_cbranch_scc1 .LBB131_201
; %bb.190:                              ;   in Loop: Header=BB131_29 Depth=1
	s_add_co_i32 s40, s75, s51
                                        ; implicit-def: $vgpr34
	s_wait_alu 0xfffe
	s_mul_u64 s[76:77], s[40:41], s[44:45]
	s_wait_alu 0xfffe
	s_mul_i32 s76, s77, s29
	s_wait_alu 0xfffe
	s_sub_co_i32 s76, s40, s76
	s_wait_alu 0xfffe
	s_sub_co_i32 s77, s76, s29
	s_cmp_ge_u32 s76, s29
	s_wait_alu 0xfffe
	s_cselect_b32 s76, s77, s76
	s_wait_alu 0xfffe
	s_sub_co_i32 s77, s76, s29
	s_cmp_ge_u32 s76, s29
	s_wait_alu 0xfffe
	s_cselect_b32 s76, s77, s76
	s_mov_b32 s77, exec_lo
	s_wait_alu 0xfffe
	s_sub_co_i32 s78, s40, s76
	s_mov_b32 s76, 0
	s_mov_b32 s40, 0
	s_wait_alu 0xfffe
	v_cmpx_gt_u32_e64 s78, v0
	s_cbranch_execz .LBB131_200
; %bb.191:                              ;   in Loop: Header=BB131_29 Depth=1
	v_mov_b32_e32 v2, v16
	v_mov_b32_e32 v4, v0
                                        ; implicit-def: $sgpr79
	s_branch .LBB131_195
.LBB131_192:                            ;   in Loop: Header=BB131_195 Depth=2
	s_wait_alu 0xfffe
	s_or_b32 exec_lo, exec_lo, s80
	s_wait_loadcnt_dscnt 0x0
	s_barrier_signal -1
	s_barrier_wait -1
	global_inv scope:SCOPE_SE
	ds_load_b32 v6, v7 offset:3072
	s_wait_loadcnt_dscnt 0x0
	s_barrier_signal -1
	s_barrier_wait -1
	global_inv scope:SCOPE_SE
	v_cmp_neq_f16_e32 vcc_lo, 0, v6
	s_cbranch_vccnz .LBB131_198
; %bb.193:                              ;   in Loop: Header=BB131_195 Depth=2
	v_add_nc_u32_e32 v4, s29, v4
	v_add_nc_u32_e32 v2, s64, v2
	s_mov_b32 s80, 0
	s_delay_alu instid0(VALU_DEP_2)
	v_cmp_le_u32_e32 vcc_lo, s78, v4
	s_or_not1_b32 s81, vcc_lo, exec_lo
.LBB131_194:                            ;   in Loop: Header=BB131_195 Depth=2
	s_wait_alu 0xfffe
	s_and_b32 s81, exec_lo, s81
	s_wait_alu 0xfffe
	s_or_b32 s40, s81, s40
	s_and_not1_b32 s79, s79, exec_lo
	s_and_b32 s80, s80, exec_lo
	s_wait_alu 0xfffe
	s_or_b32 s79, s79, s80
	s_and_not1_b32 exec_lo, exec_lo, s40
	s_cbranch_execz .LBB131_199
.LBB131_195:                            ;   Parent Loop BB131_29 Depth=1
                                        ; =>  This Inner Loop Header: Depth=2
	s_mov_b32 s80, exec_lo
	s_delay_alu instid0(VALU_DEP_1)
	v_cmpx_gt_u32_e64 s75, v4
	s_cbranch_execz .LBB131_192
; %bb.196:                              ;   in Loop: Header=BB131_195 Depth=2
	ds_load_u16 v6, v2
	s_wait_dscnt 0x0
	v_cmp_lt_i16_e32 vcc_lo, -1, v6
	s_wait_alu 0xfffd
	v_dual_cndmask_b32 v35, 0xffff, v31 :: v_dual_and_b32 v34, 0xffff, v6
	v_cmp_o_f16_e32 vcc_lo, v6, v6
	s_delay_alu instid0(VALU_DEP_2) | instskip(SKIP_1) | instid1(VALU_DEP_1)
	v_xor_b32_e32 v34, v35, v34
	s_wait_alu 0xfffd
	v_cndmask_b32_e32 v34, 0xffff, v34, vcc_lo
	s_delay_alu instid0(VALU_DEP_1) | instskip(NEXT) | instid1(VALU_DEP_1)
	v_and_b32_e32 v34, v34, v33
	v_cmp_eq_u32_e32 vcc_lo, v34, v13
	s_and_b32 exec_lo, exec_lo, vcc_lo
	s_cbranch_execz .LBB131_192
; %bb.197:                              ;   in Loop: Header=BB131_195 Depth=2
	v_perm_b32 v6, v6, s66, 0x5040100
	ds_store_b32 v7, v6 offset:3072
	s_branch .LBB131_192
.LBB131_198:                            ;   in Loop: Header=BB131_195 Depth=2
	s_mov_b32 s81, -1
	s_mov_b32 s80, -1
                                        ; implicit-def: $vgpr4
                                        ; implicit-def: $vgpr2
	s_branch .LBB131_194
.LBB131_199:                            ;   in Loop: Header=BB131_29 Depth=1
	s_or_b32 exec_lo, exec_lo, s40
	v_lshrrev_b32_e32 v34, 16, v6
	s_wait_alu 0xfffe
	s_and_b32 s40, s79, exec_lo
.LBB131_200:                            ;   in Loop: Header=BB131_29 Depth=1
	s_or_b32 exec_lo, exec_lo, s77
.LBB131_201:                            ;   in Loop: Header=BB131_29 Depth=1
	s_wait_alu 0xfffe
	s_and_b32 vcc_lo, exec_lo, s76
	s_wait_alu 0xfffe
	s_cbranch_vccz .LBB131_213
; %bb.202:                              ;   in Loop: Header=BB131_29 Depth=1
                                        ; implicit-def: $vgpr34
	s_and_saveexec_b32 s22, s10
	s_cbranch_execz .LBB131_212
; %bb.203:                              ;   in Loop: Header=BB131_29 Depth=1
	v_mov_b32_e32 v6, v5
	v_mov_b32_e32 v2, v0
	s_mov_b32 s23, 0
                                        ; implicit-def: $sgpr75
	s_branch .LBB131_207
.LBB131_204:                            ;   in Loop: Header=BB131_207 Depth=2
	s_wait_alu 0xfffe
	s_or_b32 exec_lo, exec_lo, s76
	s_wait_loadcnt_dscnt 0x0
	s_barrier_signal -1
	s_barrier_wait -1
	global_inv scope:SCOPE_SE
	ds_load_b32 v4, v7 offset:3072
	s_wait_loadcnt_dscnt 0x0
	s_barrier_signal -1
	s_barrier_wait -1
	global_inv scope:SCOPE_SE
	v_cmp_eq_f16_e32 vcc_lo, 0, v4
	s_cbranch_vccz .LBB131_210
; %bb.205:                              ;   in Loop: Header=BB131_207 Depth=2
	v_add_nc_u32_e32 v2, s29, v2
	v_add_nc_u32_e32 v6, s54, v6
	s_mov_b32 s76, 0
	s_delay_alu instid0(VALU_DEP_2)
	v_cmp_le_u32_e32 vcc_lo, s61, v2
	s_or_not1_b32 s77, vcc_lo, exec_lo
.LBB131_206:                            ;   in Loop: Header=BB131_207 Depth=2
	s_wait_alu 0xfffe
	s_and_b32 s77, exec_lo, s77
	s_wait_alu 0xfffe
	s_or_b32 s23, s77, s23
	s_and_not1_b32 s75, s75, exec_lo
	s_and_b32 s76, s76, exec_lo
	s_wait_alu 0xfffe
	s_or_b32 s75, s75, s76
	s_and_not1_b32 exec_lo, exec_lo, s23
	s_cbranch_execz .LBB131_211
.LBB131_207:                            ;   Parent Loop BB131_29 Depth=1
                                        ; =>  This Inner Loop Header: Depth=2
	s_mov_b32 s76, exec_lo
	s_delay_alu instid0(VALU_DEP_1)
	v_cmpx_gt_u32_e64 s28, v2
	s_cbranch_execz .LBB131_204
; %bb.208:                              ;   in Loop: Header=BB131_207 Depth=2
	v_lshlrev_b64_e32 v[34:35], 1, v[6:7]
	s_delay_alu instid0(VALU_DEP_1) | instskip(SKIP_1) | instid1(VALU_DEP_2)
	v_add_co_u32 v34, vcc_lo, s34, v34
	s_wait_alu 0xfffd
	v_add_co_ci_u32_e64 v35, null, s35, v35, vcc_lo
	global_load_u16 v4, v[34:35], off
	s_wait_loadcnt 0x0
	v_cmp_lt_i16_e32 vcc_lo, -1, v4
	s_wait_alu 0xfffd
	v_dual_cndmask_b32 v35, 0xffff, v31 :: v_dual_and_b32 v34, 0xffff, v4
	v_cmp_o_f16_e32 vcc_lo, v4, v4
	s_delay_alu instid0(VALU_DEP_2) | instskip(SKIP_1) | instid1(VALU_DEP_1)
	v_xor_b32_e32 v34, v35, v34
	s_wait_alu 0xfffd
	v_cndmask_b32_e32 v34, 0xffff, v34, vcc_lo
	s_delay_alu instid0(VALU_DEP_1) | instskip(NEXT) | instid1(VALU_DEP_1)
	v_and_b32_e32 v34, v34, v33
	v_cmp_eq_u32_e32 vcc_lo, v34, v13
	s_and_b32 exec_lo, exec_lo, vcc_lo
	s_cbranch_execz .LBB131_204
; %bb.209:                              ;   in Loop: Header=BB131_207 Depth=2
	v_perm_b32 v4, v4, s66, 0x5040100
	ds_store_b32 v7, v4 offset:3072
	s_branch .LBB131_204
.LBB131_210:                            ;   in Loop: Header=BB131_207 Depth=2
	s_mov_b32 s77, -1
	s_mov_b32 s76, -1
                                        ; implicit-def: $vgpr2
	s_branch .LBB131_206
.LBB131_211:                            ;   in Loop: Header=BB131_29 Depth=1
	s_or_b32 exec_lo, exec_lo, s23
	v_lshrrev_b32_e32 v34, 16, v4
	s_and_not1_b32 s23, s40, exec_lo
	s_wait_alu 0xfffe
	s_and_b32 s40, s75, exec_lo
	s_wait_alu 0xfffe
	s_or_b32 s40, s23, s40
.LBB131_212:                            ;   in Loop: Header=BB131_29 Depth=1
	s_wait_alu 0xfffe
	s_or_b32 exec_lo, exec_lo, s22
	s_mov_b32 s22, 0
	s_mov_b32 s23, -1
.LBB131_213:                            ;   in Loop: Header=BB131_29 Depth=1
	s_or_not1_b32 s40, s40, exec_lo
.LBB131_214:                            ;   in Loop: Header=BB131_29 Depth=1
	s_wait_alu 0xfffe
	s_or_b32 exec_lo, exec_lo, s24
	s_mov_b32 s75, 0
	s_and_saveexec_b32 s24, s40
	s_cbranch_execz .LBB131_266
; %bb.215:                              ;   in Loop: Header=BB131_29 Depth=1
	v_dual_mov_b32 v2, 1 :: v_dual_mov_b32 v1, 1
	s_xor_b32 s74, s74, -1
	s_mov_b32 s76, 0
	s_wait_alu 0xfffe
	s_and_saveexec_b32 s40, s74
	s_cbranch_execz .LBB131_224
; %bb.216:                              ;   in Loop: Header=BB131_29 Depth=1
	s_mov_b32 s74, exec_lo
	v_cmpx_ge_u32_e64 s18, v3
	s_wait_alu 0xfffe
	s_xor_b32 s74, exec_lo, s74
	s_cbranch_execz .LBB131_221
; %bb.217:                              ;   in Loop: Header=BB131_29 Depth=1
	ds_load_b32 v1, v7 offset:4104
	s_lshl_b32 s75, 2, s73
	v_or_b32_e32 v33, s12, v33
	s_wait_alu 0xfffe
	v_and_or_b32 v13, v13, s19, s75
	s_wait_dscnt 0x0
	v_cmp_ne_u32_e32 vcc_lo, 0, v1
	s_cbranch_vccnz .LBB131_221
; %bb.218:                              ;   in Loop: Header=BB131_29 Depth=1
	s_and_saveexec_b32 s19, s0
; %bb.219:                              ;   in Loop: Header=BB131_29 Depth=1
	v_mov_b32_e32 v1, s18
	ds_store_b32 v7, v1 offset:4108
; %bb.220:                              ;   in Loop: Header=BB131_29 Depth=1
	s_wait_alu 0xfffe
	s_or_b32 exec_lo, exec_lo, s19
	s_wait_loadcnt_dscnt 0x0
	s_barrier_signal -1
	s_barrier_wait -1
	global_inv scope:SCOPE_SE
.LBB131_221:                            ;   in Loop: Header=BB131_29 Depth=1
	s_wait_alu 0xfffe
	s_or_saveexec_b32 s19, s74
	v_mov_b32_e32 v1, 8
	s_mov_b32 s74, 0
	s_wait_alu 0xfffe
	s_xor_b32 exec_lo, exec_lo, s19
; %bb.222:                              ;   in Loop: Header=BB131_29 Depth=1
	v_subrev_nc_u32_e32 v3, s18, v3
	v_mov_b32_e32 v1, 0
	s_mov_b32 s74, exec_lo
; %bb.223:                              ;   in Loop: Header=BB131_29 Depth=1
	s_or_b32 exec_lo, exec_lo, s19
	s_delay_alu instid0(VALU_DEP_2)
	v_mov_b32_e32 v2, v3
	s_wait_alu 0xfffe
	s_and_b32 s76, s74, exec_lo
.LBB131_224:                            ;   in Loop: Header=BB131_29 Depth=1
	s_wait_alu 0xfffe
	s_or_b32 exec_lo, exec_lo, s40
	s_mov_b32 s19, -1
                                        ; implicit-def: $sgpr75
                                        ; implicit-def: $sgpr74
	s_and_saveexec_b32 s18, s76
	s_cbranch_execz .LBB131_265
; %bb.225:                              ;   in Loop: Header=BB131_29 Depth=1
	v_cmp_eq_u32_e32 vcc_lo, 1, v2
	s_cmp_eq_u32 s11, 1
	s_mov_b32 s77, -1
	s_cselect_b32 s19, -1, 0
                                        ; implicit-def: $sgpr75
                                        ; implicit-def: $sgpr74
	s_wait_alu 0xfffe
	s_and_b32 s19, s19, vcc_lo
	s_wait_alu 0xfffe
	s_and_saveexec_b32 s76, s19
	s_cbranch_execz .LBB131_253
; %bb.226:                              ;   in Loop: Header=BB131_29 Depth=1
	ds_load_b32 v3, v7 offset:4104
	s_wait_loadcnt_dscnt 0x0
	s_barrier_signal -1
	s_barrier_wait -1
	global_inv scope:SCOPE_SE
	v_readfirstlane_b32 s77, v3
	s_and_saveexec_b32 s40, s1
; %bb.227:                              ;   in Loop: Header=BB131_29 Depth=1
	ds_store_b16 v17, v7
; %bb.228:                              ;   in Loop: Header=BB131_29 Depth=1
	s_wait_alu 0xfffe
	s_or_b32 exec_lo, exec_lo, s40
	v_or_b32_e32 v13, s12, v13
	v_or_b32_e32 v33, s12, v33
	s_mov_b32 s74, -1
	s_mov_b32 s75, 0
	s_cmp_eq_u32 s77, 0
	s_mov_b32 s40, 0
	s_mov_b32 s78, -1
	s_wait_loadcnt_dscnt 0x0
	s_barrier_signal -1
	s_barrier_wait -1
	global_inv scope:SCOPE_SE
                                        ; implicit-def: $vgpr34
	s_cbranch_scc1 .LBB131_240
; %bb.229:                              ;   in Loop: Header=BB131_29 Depth=1
	s_add_co_i32 s40, s77, s51
                                        ; implicit-def: $vgpr34
	s_wait_alu 0xfffe
	s_mul_u64 s[78:79], s[40:41], s[44:45]
	s_wait_alu 0xfffe
	s_mul_i32 s78, s79, s29
	s_wait_alu 0xfffe
	s_sub_co_i32 s78, s40, s78
	s_wait_alu 0xfffe
	s_sub_co_i32 s79, s78, s29
	s_cmp_ge_u32 s78, s29
	s_wait_alu 0xfffe
	s_cselect_b32 s78, s79, s78
	s_wait_alu 0xfffe
	s_sub_co_i32 s79, s78, s29
	s_cmp_ge_u32 s78, s29
	s_wait_alu 0xfffe
	s_cselect_b32 s78, s79, s78
	s_mov_b32 s79, exec_lo
	s_wait_alu 0xfffe
	s_sub_co_i32 s80, s40, s78
	s_mov_b32 s78, 0
	s_mov_b32 s40, 0
	s_wait_alu 0xfffe
	v_cmpx_gt_u32_e64 s80, v0
	s_cbranch_execz .LBB131_239
; %bb.230:                              ;   in Loop: Header=BB131_29 Depth=1
	v_dual_mov_b32 v3, v16 :: v_dual_mov_b32 v4, v0
                                        ; implicit-def: $sgpr81
	s_branch .LBB131_234
.LBB131_231:                            ;   in Loop: Header=BB131_234 Depth=2
	s_or_b32 exec_lo, exec_lo, s82
	s_wait_loadcnt_dscnt 0x0
	s_barrier_signal -1
	s_barrier_wait -1
	global_inv scope:SCOPE_SE
	ds_load_b32 v6, v7 offset:3072
	s_wait_loadcnt_dscnt 0x0
	s_barrier_signal -1
	s_barrier_wait -1
	global_inv scope:SCOPE_SE
	v_cmp_neq_f16_e32 vcc_lo, 0, v6
	s_cbranch_vccnz .LBB131_237
; %bb.232:                              ;   in Loop: Header=BB131_234 Depth=2
	v_add_nc_u32_e32 v4, s29, v4
	v_add_nc_u32_e32 v3, s64, v3
	s_mov_b32 s82, 0
	s_delay_alu instid0(VALU_DEP_2)
	v_cmp_le_u32_e32 vcc_lo, s80, v4
	s_or_not1_b32 s83, vcc_lo, exec_lo
.LBB131_233:                            ;   in Loop: Header=BB131_234 Depth=2
	s_delay_alu instid0(SALU_CYCLE_1) | instskip(NEXT) | instid1(SALU_CYCLE_1)
	s_and_b32 s83, exec_lo, s83
	s_or_b32 s40, s83, s40
	s_wait_alu 0xfffe
	s_and_not1_b32 s81, s81, exec_lo
	s_and_b32 s82, s82, exec_lo
	s_wait_alu 0xfffe
	s_or_b32 s81, s81, s82
	s_and_not1_b32 exec_lo, exec_lo, s40
	s_cbranch_execz .LBB131_238
.LBB131_234:                            ;   Parent Loop BB131_29 Depth=1
                                        ; =>  This Inner Loop Header: Depth=2
	s_mov_b32 s82, exec_lo
	s_delay_alu instid0(VALU_DEP_1)
	v_cmpx_gt_u32_e64 s77, v4
	s_cbranch_execz .LBB131_231
; %bb.235:                              ;   in Loop: Header=BB131_234 Depth=2
	ds_load_u16 v6, v3
	s_wait_dscnt 0x0
	v_cmp_lt_i16_e32 vcc_lo, -1, v6
	s_wait_alu 0xfffd
	v_dual_cndmask_b32 v35, 0xffff, v31 :: v_dual_and_b32 v34, 0xffff, v6
	v_cmp_o_f16_e32 vcc_lo, v6, v6
	s_delay_alu instid0(VALU_DEP_2) | instskip(SKIP_1) | instid1(VALU_DEP_1)
	v_xor_b32_e32 v34, v35, v34
	s_wait_alu 0xfffd
	v_cndmask_b32_e32 v34, 0xffff, v34, vcc_lo
	s_delay_alu instid0(VALU_DEP_1) | instskip(NEXT) | instid1(VALU_DEP_1)
	v_and_b32_e32 v34, v34, v33
	v_cmp_eq_u32_e32 vcc_lo, v34, v13
	s_and_b32 exec_lo, exec_lo, vcc_lo
	s_cbranch_execz .LBB131_231
; %bb.236:                              ;   in Loop: Header=BB131_234 Depth=2
	v_perm_b32 v6, v6, s66, 0x5040100
	ds_store_b32 v7, v6 offset:3072
	s_branch .LBB131_231
.LBB131_237:                            ;   in Loop: Header=BB131_234 Depth=2
	s_mov_b32 s83, -1
	s_mov_b32 s82, -1
                                        ; implicit-def: $vgpr4
                                        ; implicit-def: $vgpr3
	s_branch .LBB131_233
.LBB131_238:                            ;   in Loop: Header=BB131_29 Depth=1
	s_or_b32 exec_lo, exec_lo, s40
	v_lshrrev_b32_e32 v34, 16, v6
	s_wait_alu 0xfffe
	s_and_b32 s40, s81, exec_lo
.LBB131_239:                            ;   in Loop: Header=BB131_29 Depth=1
	s_or_b32 exec_lo, exec_lo, s79
.LBB131_240:                            ;   in Loop: Header=BB131_29 Depth=1
	s_wait_alu 0xfffe
	s_and_b32 vcc_lo, exec_lo, s78
	s_wait_alu 0xfffe
	s_cbranch_vccz .LBB131_252
; %bb.241:                              ;   in Loop: Header=BB131_29 Depth=1
                                        ; implicit-def: $vgpr34
	s_and_saveexec_b32 s74, s10
	s_cbranch_execz .LBB131_251
; %bb.242:                              ;   in Loop: Header=BB131_29 Depth=1
	v_dual_mov_b32 v6, v5 :: v_dual_mov_b32 v3, v0
	s_mov_b32 s75, 0
                                        ; implicit-def: $sgpr77
	s_branch .LBB131_246
.LBB131_243:                            ;   in Loop: Header=BB131_246 Depth=2
	s_wait_alu 0xfffe
	s_or_b32 exec_lo, exec_lo, s78
	s_wait_loadcnt_dscnt 0x0
	s_barrier_signal -1
	s_barrier_wait -1
	global_inv scope:SCOPE_SE
	ds_load_b32 v4, v7 offset:3072
	s_wait_loadcnt_dscnt 0x0
	s_barrier_signal -1
	s_barrier_wait -1
	global_inv scope:SCOPE_SE
	v_cmp_eq_f16_e32 vcc_lo, 0, v4
	s_cbranch_vccz .LBB131_249
; %bb.244:                              ;   in Loop: Header=BB131_246 Depth=2
	v_add_nc_u32_e32 v3, s29, v3
	v_add_nc_u32_e32 v6, s54, v6
	s_mov_b32 s78, 0
	s_delay_alu instid0(VALU_DEP_2)
	v_cmp_le_u32_e32 vcc_lo, s61, v3
	s_or_not1_b32 s79, vcc_lo, exec_lo
.LBB131_245:                            ;   in Loop: Header=BB131_246 Depth=2
	s_wait_alu 0xfffe
	s_and_b32 s79, exec_lo, s79
	s_wait_alu 0xfffe
	s_or_b32 s75, s79, s75
	s_and_not1_b32 s77, s77, exec_lo
	s_and_b32 s78, s78, exec_lo
	s_wait_alu 0xfffe
	s_or_b32 s77, s77, s78
	s_and_not1_b32 exec_lo, exec_lo, s75
	s_cbranch_execz .LBB131_250
.LBB131_246:                            ;   Parent Loop BB131_29 Depth=1
                                        ; =>  This Inner Loop Header: Depth=2
	s_mov_b32 s78, exec_lo
	s_delay_alu instid0(VALU_DEP_1)
	v_cmpx_gt_u32_e64 s28, v3
	s_cbranch_execz .LBB131_243
; %bb.247:                              ;   in Loop: Header=BB131_246 Depth=2
	v_lshlrev_b64_e32 v[34:35], 1, v[6:7]
	s_delay_alu instid0(VALU_DEP_1) | instskip(SKIP_1) | instid1(VALU_DEP_2)
	v_add_co_u32 v34, vcc_lo, s34, v34
	s_wait_alu 0xfffd
	v_add_co_ci_u32_e64 v35, null, s35, v35, vcc_lo
	global_load_u16 v4, v[34:35], off
	s_wait_loadcnt 0x0
	v_cmp_lt_i16_e32 vcc_lo, -1, v4
	s_wait_alu 0xfffd
	v_dual_cndmask_b32 v35, 0xffff, v31 :: v_dual_and_b32 v34, 0xffff, v4
	v_cmp_o_f16_e32 vcc_lo, v4, v4
	s_delay_alu instid0(VALU_DEP_2) | instskip(SKIP_1) | instid1(VALU_DEP_1)
	v_xor_b32_e32 v34, v35, v34
	s_wait_alu 0xfffd
	v_cndmask_b32_e32 v34, 0xffff, v34, vcc_lo
	s_delay_alu instid0(VALU_DEP_1) | instskip(NEXT) | instid1(VALU_DEP_1)
	v_and_b32_e32 v34, v34, v33
	v_cmp_eq_u32_e32 vcc_lo, v34, v13
	s_and_b32 exec_lo, exec_lo, vcc_lo
	s_cbranch_execz .LBB131_243
; %bb.248:                              ;   in Loop: Header=BB131_246 Depth=2
	v_perm_b32 v4, v4, s66, 0x5040100
	ds_store_b32 v7, v4 offset:3072
	s_branch .LBB131_243
.LBB131_249:                            ;   in Loop: Header=BB131_246 Depth=2
	s_mov_b32 s79, -1
	s_mov_b32 s78, -1
                                        ; implicit-def: $vgpr3
	s_branch .LBB131_245
.LBB131_250:                            ;   in Loop: Header=BB131_29 Depth=1
	s_or_b32 exec_lo, exec_lo, s75
	v_lshrrev_b32_e32 v34, 16, v4
	s_and_not1_b32 s40, s40, exec_lo
	s_wait_alu 0xfffe
	s_and_b32 s75, s77, exec_lo
	s_wait_alu 0xfffe
	s_or_b32 s40, s40, s75
.LBB131_251:                            ;   in Loop: Header=BB131_29 Depth=1
	s_wait_alu 0xfffe
	s_or_b32 exec_lo, exec_lo, s74
	s_mov_b32 s74, 0
	s_mov_b32 s75, -1
.LBB131_252:                            ;   in Loop: Header=BB131_29 Depth=1
	s_or_not1_b32 s77, s40, exec_lo
.LBB131_253:                            ;   in Loop: Header=BB131_29 Depth=1
	s_wait_alu 0xfffe
	s_or_b32 exec_lo, exec_lo, s76
	s_mov_b32 s76, 0
	s_and_saveexec_b32 s40, s77
	s_cbranch_execz .LBB131_264
; %bb.254:                              ;   in Loop: Header=BB131_29 Depth=1
	v_mov_b32_e32 v1, 1
	v_mov_b32_e32 v3, 1
	s_xor_b32 s76, s19, -1
	s_wait_alu 0xfffe
	s_and_saveexec_b32 s19, s76
	s_cbranch_execz .LBB131_263
; %bb.255:                              ;   in Loop: Header=BB131_29 Depth=1
	s_mov_b32 s76, exec_lo
	v_cmpx_ge_u32_e64 s11, v2
	s_wait_alu 0xfffe
	s_xor_b32 s76, exec_lo, s76
	s_cbranch_execz .LBB131_260
; %bb.256:                              ;   in Loop: Header=BB131_29 Depth=1
	ds_load_b32 v1, v7 offset:4104
	v_or_b32_e32 v13, s12, v13
	v_or_b32_e32 v33, s12, v33
	s_wait_dscnt 0x0
	v_cmp_ne_u32_e32 vcc_lo, 0, v1
	s_cbranch_vccnz .LBB131_260
; %bb.257:                              ;   in Loop: Header=BB131_29 Depth=1
	s_and_saveexec_b32 s12, s0
; %bb.258:                              ;   in Loop: Header=BB131_29 Depth=1
	v_mov_b32_e32 v1, s11
	ds_store_b32 v7, v1 offset:4108
; %bb.259:                              ;   in Loop: Header=BB131_29 Depth=1
	s_wait_alu 0xfffe
	s_or_b32 exec_lo, exec_lo, s12
	s_wait_loadcnt_dscnt 0x0
	s_barrier_signal -1
	s_barrier_wait -1
	global_inv scope:SCOPE_SE
.LBB131_260:                            ;   in Loop: Header=BB131_29 Depth=1
	s_wait_alu 0xfffe
	s_and_not1_saveexec_b32 s12, s76
; %bb.261:                              ;   in Loop: Header=BB131_29 Depth=1
	v_subrev_nc_u32_e32 v2, s11, v2
; %bb.262:                              ;   in Loop: Header=BB131_29 Depth=1
	s_wait_alu 0xfffe
	s_or_b32 exec_lo, exec_lo, s12
	v_mov_b32_e32 v1, 8
	s_delay_alu instid0(VALU_DEP_2)
	v_mov_b32_e32 v3, v2
.LBB131_263:                            ;   in Loop: Header=BB131_29 Depth=1
	s_wait_alu 0xfffe
	s_or_b32 exec_lo, exec_lo, s19
	s_delay_alu instid0(VALU_DEP_1)
	v_mov_b32_e32 v2, v3
	s_mov_b32 s76, exec_lo
.LBB131_264:                            ;   in Loop: Header=BB131_29 Depth=1
	s_wait_alu 0xfffe
	s_or_b32 exec_lo, exec_lo, s40
	s_delay_alu instid0(SALU_CYCLE_1)
	s_or_not1_b32 s19, s76, exec_lo
.LBB131_265:                            ;   in Loop: Header=BB131_29 Depth=1
	s_wait_alu 0xfffe
	s_or_b32 exec_lo, exec_lo, s18
	v_mov_b32_e32 v3, v2
	s_and_not1_b32 s11, s23, exec_lo
	s_and_b32 s12, s75, exec_lo
	s_and_not1_b32 s18, s22, exec_lo
	s_and_b32 s22, s74, exec_lo
	s_wait_alu 0xfffe
	s_or_b32 s23, s11, s12
	s_or_b32 s22, s18, s22
	s_and_b32 s75, s19, exec_lo
.LBB131_266:                            ;   in Loop: Header=BB131_29 Depth=1
	s_wait_alu 0xfffe
	s_or_b32 exec_lo, exec_lo, s24
	s_delay_alu instid0(SALU_CYCLE_1)
	s_or_not1_b32 s24, s75, exec_lo
.LBB131_267:                            ;   in Loop: Header=BB131_29 Depth=1
	s_wait_alu 0xfffe
	s_or_b32 exec_lo, exec_lo, s21
	v_mov_b32_e32 v2, v3
	s_and_not1_b32 s11, s17, exec_lo
	s_and_b32 s12, s23, exec_lo
	s_and_not1_b32 s16, s16, exec_lo
	s_and_b32 s18, s22, exec_lo
	s_wait_alu 0xfffe
	s_or_b32 s17, s11, s12
	s_or_b32 s16, s16, s18
	s_and_b32 s24, s24, exec_lo
.LBB131_268:                            ;   in Loop: Header=BB131_29 Depth=1
	s_wait_alu 0xfffe
	s_or_b32 exec_lo, exec_lo, s20
	s_delay_alu instid0(SALU_CYCLE_1)
	s_or_not1_b32 s20, s24, exec_lo
.LBB131_269:                            ;   in Loop: Header=BB131_29 Depth=1
	s_wait_alu 0xfffe
	s_or_b32 exec_lo, exec_lo, s15
	s_mov_b32 s12, 0
                                        ; implicit-def: $sgpr22
	s_and_saveexec_b32 s11, s20
	s_wait_alu 0xfffe
	s_xor_b32 s11, exec_lo, s11
	s_cbranch_execz .LBB131_27
; %bb.270:                              ;   in Loop: Header=BB131_29 Depth=1
	v_and_b32_e32 v1, 7, v1
	s_mov_b32 s14, -1
	s_mov_b32 s12, -1
	s_mov_b32 s15, exec_lo
                                        ; implicit-def: $sgpr22
	s_delay_alu instid0(VALU_DEP_1)
	v_cmpx_eq_u32_e32 0, v1
	s_cbranch_execz .LBB131_26
; %bb.271:                              ;   in Loop: Header=BB131_29 Depth=1
	s_add_co_i32 s22, s73, -2
	s_cmp_eq_u32 s73, 0
	v_xor_b32_e32 v32, 1, v32
	s_cselect_b32 s14, -1, 0
	s_xor_b32 s12, exec_lo, -1
	s_wait_alu 0xfffe
	s_or_not1_b32 s14, s14, exec_lo
	s_branch .LBB131_26
.LBB131_272:
	s_or_b32 exec_lo, exec_lo, s65
	s_wait_alu 0xfffe
	s_xor_b32 s4, s72, -1
	s_xor_b32 s3, s70, -1
	;; [unrolled: 1-line block ×3, first 2 shown]
	s_mov_b32 s0, 0
	s_wait_alu 0xfffe
	s_and_saveexec_b32 s5, s3
	s_wait_alu 0xfffe
	s_xor_b32 s3, exec_lo, s5
	s_cbranch_execnz .LBB131_277
; %bb.273:
	s_wait_alu 0xfffe
	s_and_not1_saveexec_b32 s1, s3
	s_cbranch_execnz .LBB131_290
.LBB131_274:
	s_or_b32 exec_lo, exec_lo, s1
	s_and_saveexec_b32 s1, s0
.LBB131_275:
	; divergent unreachable
.LBB131_276:
	s_endpgm
.LBB131_277:
	s_and_saveexec_b32 s0, s4
	s_delay_alu instid0(SALU_CYCLE_1)
	s_xor_b32 s4, exec_lo, s0
	s_cbranch_execz .LBB131_288
; %bb.278:
	s_and_saveexec_b32 s0, s1
	s_delay_alu instid0(SALU_CYCLE_1)
	s_xor_b32 s0, exec_lo, s0
; %bb.279:
	v_and_b32_e32 v1, 0x8000, v13
	v_mov_b32_e32 v2, 0xffff
	s_delay_alu instid0(VALU_DEP_2) | instskip(SKIP_1) | instid1(VALU_DEP_2)
	v_cmp_eq_u32_e32 vcc_lo, 0, v1
	s_wait_alu 0xfffd
	v_cndmask_b32_e32 v1, 0x8000, v2, vcc_lo
	s_delay_alu instid0(VALU_DEP_1)
	v_xor_b32_e32 v34, v1, v13
; %bb.280:
	s_or_b32 exec_lo, exec_lo, s0
	s_mul_i32 s0, s49, s33
	s_mov_b32 s1, 0
	s_add_co_i32 s0, s0, s27
	v_mov_b32_e32 v6, 0
	s_lshl_b64 s[6:7], s[0:1], 1
	s_wait_alu 0xfffe
	s_add_nc_u64 s[6:7], s[38:39], s[6:7]
	global_store_b16 v6, v34, s[6:7]
	s_and_saveexec_b32 s5, s2
	s_cbranch_execz .LBB131_287
; %bb.281:
	v_cmp_u_f16_e32 vcc_lo, v34, v34
                                        ; implicit-def: $sgpr2
                                        ; implicit-def: $sgpr8
                                        ; implicit-def: $sgpr7
	s_xor_b32 s6, vcc_lo, -1
	s_branch .LBB131_283
.LBB131_282:                            ;   in Loop: Header=BB131_283 Depth=1
	s_or_b32 exec_lo, exec_lo, s0
	s_wait_alu 0xfffe
	s_and_b32 s0, exec_lo, s8
	s_delay_alu instid0(SALU_CYCLE_1)
	s_or_b32 s1, s0, s1
	s_and_not1_b32 s0, s2, exec_lo
	s_and_b32 s2, s7, exec_lo
	s_wait_alu 0xfffe
	s_or_b32 s2, s0, s2
	s_and_not1_b32 exec_lo, exec_lo, s1
	s_cbranch_execz .LBB131_285
.LBB131_283:                            ; =>This Inner Loop Header: Depth=1
	v_lshlrev_b64_e32 v[1:2], 1, v[5:6]
	s_wait_alu 0xfffe
	s_or_b32 s7, s7, exec_lo
	s_or_b32 s8, s8, exec_lo
	s_delay_alu instid0(VALU_DEP_1)
	v_add_co_u32 v1, vcc_lo, s34, v1
	s_wait_alu 0xfffd
	v_add_co_ci_u32_e64 v2, null, s35, v2, vcc_lo
	global_load_u16 v1, v[1:2], off
	s_wait_loadcnt 0x0
	v_cmp_o_f16_e32 vcc_lo, v1, v1
	v_cmp_neq_f16_e64 s0, v1, v34
	v_mov_b32_e32 v1, v0
                                        ; implicit-def: $vgpr0
	s_or_b32 s9, s6, vcc_lo
	s_wait_alu 0xfffe
	s_and_b32 s9, s0, s9
	s_wait_alu 0xfffe
	s_and_saveexec_b32 s0, s9
	s_cbranch_execz .LBB131_282
; %bb.284:                              ;   in Loop: Header=BB131_283 Depth=1
	v_add_nc_u32_e32 v0, s29, v1
	v_add_nc_u32_e32 v5, s54, v5
	s_and_not1_b32 s8, s8, exec_lo
	s_and_not1_b32 s7, s7, exec_lo
	s_delay_alu instid0(VALU_DEP_2)
	v_cmp_le_u32_e32 vcc_lo, s28, v0
	s_and_b32 s9, vcc_lo, exec_lo
	s_wait_alu 0xfffe
	s_or_b32 s8, s8, s9
	s_branch .LBB131_282
.LBB131_285:
	s_or_b32 exec_lo, exec_lo, s1
	s_wait_alu 0xfffe
	s_and_saveexec_b32 s0, s2
	s_delay_alu instid0(SALU_CYCLE_1)
	s_xor_b32 s0, exec_lo, s0
	s_cbranch_execz .LBB131_287
; %bb.286:
	s_mul_i32 s0, s48, s26
	s_mov_b32 s1, 0
	s_add_co_i32 s0, s0, s25
	v_mov_b32_e32 v2, 0
	s_lshl_b64 s[0:1], s[0:1], 3
	s_delay_alu instid0(SALU_CYCLE_1)
	s_add_nc_u64 s[0:1], s[36:37], s[0:1]
	global_store_b64 v2, v[1:2], s[0:1]
.LBB131_287:
	s_wait_alu 0xfffe
	s_or_b32 exec_lo, exec_lo, s5
.LBB131_288:
	s_wait_alu 0xfffe
	s_or_saveexec_b32 s0, s4
	s_mov_b32 s1, 0
	s_xor_b32 exec_lo, exec_lo, s0
	s_cbranch_execnz .LBB131_291
.LBB131_289:
	s_or_b32 exec_lo, exec_lo, s0
	s_delay_alu instid0(SALU_CYCLE_1)
	s_and_b32 s0, s1, exec_lo
	s_and_not1_saveexec_b32 s1, s3
	s_cbranch_execz .LBB131_274
.LBB131_290:
	s_or_b32 s0, s0, exec_lo
	s_trap 2
	s_or_b32 exec_lo, exec_lo, s1
	s_and_saveexec_b32 s1, s0
	s_cbranch_execnz .LBB131_275
	s_branch .LBB131_276
.LBB131_291:
	s_mov_b32 s1, exec_lo
	s_trap 2
	s_branch .LBB131_289
	.section	.rodata,"a",@progbits
	.p2align	6, 0x0
	.amdhsa_kernel _ZN2at6native12_GLOBAL__N_112gatherMedianIN3c104HalfEjLin1EEEvNS_4cuda6detail10TensorInfoIT_T0_EENS7_IlS9_EENS7_IKS8_S9_EES9_S9_S9_b
		.amdhsa_group_segment_fixed_size 4120
		.amdhsa_private_segment_fixed_size 0
		.amdhsa_kernarg_size 920
		.amdhsa_user_sgpr_count 2
		.amdhsa_user_sgpr_dispatch_ptr 0
		.amdhsa_user_sgpr_queue_ptr 0
		.amdhsa_user_sgpr_kernarg_segment_ptr 1
		.amdhsa_user_sgpr_dispatch_id 0
		.amdhsa_user_sgpr_private_segment_size 0
		.amdhsa_wavefront_size32 1
		.amdhsa_uses_dynamic_stack 0
		.amdhsa_enable_private_segment 0
		.amdhsa_system_sgpr_workgroup_id_x 1
		.amdhsa_system_sgpr_workgroup_id_y 1
		.amdhsa_system_sgpr_workgroup_id_z 1
		.amdhsa_system_sgpr_workgroup_info 0
		.amdhsa_system_vgpr_workitem_id 0
		.amdhsa_next_free_vgpr 63
		.amdhsa_next_free_sgpr 84
		.amdhsa_reserve_vcc 1
		.amdhsa_float_round_mode_32 0
		.amdhsa_float_round_mode_16_64 0
		.amdhsa_float_denorm_mode_32 3
		.amdhsa_float_denorm_mode_16_64 3
		.amdhsa_fp16_overflow 0
		.amdhsa_workgroup_processor_mode 1
		.amdhsa_memory_ordered 1
		.amdhsa_forward_progress 1
		.amdhsa_inst_pref_size 112
		.amdhsa_round_robin_scheduling 0
		.amdhsa_exception_fp_ieee_invalid_op 0
		.amdhsa_exception_fp_denorm_src 0
		.amdhsa_exception_fp_ieee_div_zero 0
		.amdhsa_exception_fp_ieee_overflow 0
		.amdhsa_exception_fp_ieee_underflow 0
		.amdhsa_exception_fp_ieee_inexact 0
		.amdhsa_exception_int_div_zero 0
	.end_amdhsa_kernel
	.section	.text._ZN2at6native12_GLOBAL__N_112gatherMedianIN3c104HalfEjLin1EEEvNS_4cuda6detail10TensorInfoIT_T0_EENS7_IlS9_EENS7_IKS8_S9_EES9_S9_S9_b,"axG",@progbits,_ZN2at6native12_GLOBAL__N_112gatherMedianIN3c104HalfEjLin1EEEvNS_4cuda6detail10TensorInfoIT_T0_EENS7_IlS9_EENS7_IKS8_S9_EES9_S9_S9_b,comdat
.Lfunc_end131:
	.size	_ZN2at6native12_GLOBAL__N_112gatherMedianIN3c104HalfEjLin1EEEvNS_4cuda6detail10TensorInfoIT_T0_EENS7_IlS9_EENS7_IKS8_S9_EES9_S9_S9_b, .Lfunc_end131-_ZN2at6native12_GLOBAL__N_112gatherMedianIN3c104HalfEjLin1EEEvNS_4cuda6detail10TensorInfoIT_T0_EENS7_IlS9_EENS7_IKS8_S9_EES9_S9_S9_b
                                        ; -- End function
	.set _ZN2at6native12_GLOBAL__N_112gatherMedianIN3c104HalfEjLin1EEEvNS_4cuda6detail10TensorInfoIT_T0_EENS7_IlS9_EENS7_IKS8_S9_EES9_S9_S9_b.num_vgpr, 63
	.set _ZN2at6native12_GLOBAL__N_112gatherMedianIN3c104HalfEjLin1EEEvNS_4cuda6detail10TensorInfoIT_T0_EENS7_IlS9_EENS7_IKS8_S9_EES9_S9_S9_b.num_agpr, 0
	.set _ZN2at6native12_GLOBAL__N_112gatherMedianIN3c104HalfEjLin1EEEvNS_4cuda6detail10TensorInfoIT_T0_EENS7_IlS9_EENS7_IKS8_S9_EES9_S9_S9_b.numbered_sgpr, 84
	.set _ZN2at6native12_GLOBAL__N_112gatherMedianIN3c104HalfEjLin1EEEvNS_4cuda6detail10TensorInfoIT_T0_EENS7_IlS9_EENS7_IKS8_S9_EES9_S9_S9_b.num_named_barrier, 0
	.set _ZN2at6native12_GLOBAL__N_112gatherMedianIN3c104HalfEjLin1EEEvNS_4cuda6detail10TensorInfoIT_T0_EENS7_IlS9_EENS7_IKS8_S9_EES9_S9_S9_b.private_seg_size, 0
	.set _ZN2at6native12_GLOBAL__N_112gatherMedianIN3c104HalfEjLin1EEEvNS_4cuda6detail10TensorInfoIT_T0_EENS7_IlS9_EENS7_IKS8_S9_EES9_S9_S9_b.uses_vcc, 1
	.set _ZN2at6native12_GLOBAL__N_112gatherMedianIN3c104HalfEjLin1EEEvNS_4cuda6detail10TensorInfoIT_T0_EENS7_IlS9_EENS7_IKS8_S9_EES9_S9_S9_b.uses_flat_scratch, 0
	.set _ZN2at6native12_GLOBAL__N_112gatherMedianIN3c104HalfEjLin1EEEvNS_4cuda6detail10TensorInfoIT_T0_EENS7_IlS9_EENS7_IKS8_S9_EES9_S9_S9_b.has_dyn_sized_stack, 0
	.set _ZN2at6native12_GLOBAL__N_112gatherMedianIN3c104HalfEjLin1EEEvNS_4cuda6detail10TensorInfoIT_T0_EENS7_IlS9_EENS7_IKS8_S9_EES9_S9_S9_b.has_recursion, 0
	.set _ZN2at6native12_GLOBAL__N_112gatherMedianIN3c104HalfEjLin1EEEvNS_4cuda6detail10TensorInfoIT_T0_EENS7_IlS9_EENS7_IKS8_S9_EES9_S9_S9_b.has_indirect_call, 0
	.section	.AMDGPU.csdata,"",@progbits
; Kernel info:
; codeLenInByte = 14316
; TotalNumSgprs: 86
; NumVgprs: 63
; ScratchSize: 0
; MemoryBound: 0
; FloatMode: 240
; IeeeMode: 1
; LDSByteSize: 4120 bytes/workgroup (compile time only)
; SGPRBlocks: 0
; VGPRBlocks: 7
; NumSGPRsForWavesPerEU: 86
; NumVGPRsForWavesPerEU: 63
; Occupancy: 16
; WaveLimiterHint : 1
; COMPUTE_PGM_RSRC2:SCRATCH_EN: 0
; COMPUTE_PGM_RSRC2:USER_SGPR: 2
; COMPUTE_PGM_RSRC2:TRAP_HANDLER: 0
; COMPUTE_PGM_RSRC2:TGID_X_EN: 1
; COMPUTE_PGM_RSRC2:TGID_Y_EN: 1
; COMPUTE_PGM_RSRC2:TGID_Z_EN: 1
; COMPUTE_PGM_RSRC2:TIDIG_COMP_CNT: 0
	.section	.text._ZN2at6native12_GLOBAL__N_112gatherMedianIN3c104HalfEmLi1EEEvNS_4cuda6detail10TensorInfoIT_T0_EENS7_IlS9_EENS7_IKS8_S9_EES9_S9_S9_b,"axG",@progbits,_ZN2at6native12_GLOBAL__N_112gatherMedianIN3c104HalfEmLi1EEEvNS_4cuda6detail10TensorInfoIT_T0_EENS7_IlS9_EENS7_IKS8_S9_EES9_S9_S9_b,comdat
	.globl	_ZN2at6native12_GLOBAL__N_112gatherMedianIN3c104HalfEmLi1EEEvNS_4cuda6detail10TensorInfoIT_T0_EENS7_IlS9_EENS7_IKS8_S9_EES9_S9_S9_b ; -- Begin function _ZN2at6native12_GLOBAL__N_112gatherMedianIN3c104HalfEmLi1EEEvNS_4cuda6detail10TensorInfoIT_T0_EENS7_IlS9_EENS7_IKS8_S9_EES9_S9_S9_b
	.p2align	8
	.type	_ZN2at6native12_GLOBAL__N_112gatherMedianIN3c104HalfEmLi1EEEvNS_4cuda6detail10TensorInfoIT_T0_EENS7_IlS9_EENS7_IKS8_S9_EES9_S9_S9_b,@function
_ZN2at6native12_GLOBAL__N_112gatherMedianIN3c104HalfEmLi1EEEvNS_4cuda6detail10TensorInfoIT_T0_EENS7_IlS9_EENS7_IKS8_S9_EES9_S9_S9_b: ; @_ZN2at6native12_GLOBAL__N_112gatherMedianIN3c104HalfEmLi1EEEvNS_4cuda6detail10TensorInfoIT_T0_EENS7_IlS9_EENS7_IKS8_S9_EES9_S9_S9_b
; %bb.0:
	s_clause 0x1
	s_load_b64 s[8:9], s[0:1], 0x500
	s_load_b128 s[28:31], s[0:1], 0x4e0
	s_lshr_b32 s2, ttmp7, 16
	s_and_b32 s3, ttmp7, 0xffff
	s_mov_b32 s27, 0
	s_wait_kmcnt 0x0
	s_mul_i32 s2, s9, s2
	s_delay_alu instid0(SALU_CYCLE_1) | instskip(NEXT) | instid1(SALU_CYCLE_1)
	s_add_co_i32 s2, s2, s3
	s_mul_i32 s2, s2, s8
	s_delay_alu instid0(SALU_CYCLE_1) | instskip(NEXT) | instid1(SALU_CYCLE_1)
	s_add_co_i32 s26, s2, ttmp9
	v_cmp_le_u64_e64 s2, s[30:31], s[26:27]
	s_and_b32 vcc_lo, exec_lo, s2
	s_cbranch_vccnz .LBB132_294
; %bb.1:
	s_clause 0x2
	s_load_b64 s[10:11], s[0:1], 0x410
	s_load_b64 s[36:37], s[0:1], 0x4f0
	;; [unrolled: 1-line block ×3, first 2 shown]
	v_dual_mov_b32 v1, 0 :: v_dual_mov_b32 v2, 0
	v_mov_b32_e32 v3, 0
	s_add_nc_u64 s[6:7], s[0:1], 0x500
	s_delay_alu instid0(VALU_DEP_2)
	v_cmp_gt_u64_e64 s2, s[28:29], v[0:1]
	s_wait_kmcnt 0x0
	s_mul_u64 s[10:11], s[10:11], s[26:27]
	s_and_saveexec_b32 s9, s2
	s_cbranch_execz .LBB132_5
; %bb.2:
	v_mad_co_u64_u32 v[2:3], null, s36, v0, 0
	s_load_b32 s3, s[6:7], 0xc
	s_lshl_b64 s[14:15], s[10:11], 1
	s_mov_b32 s13, 0
	s_add_nc_u64 s[14:15], s[4:5], s[14:15]
	v_dual_mov_b32 v7, v1 :: v_dual_mov_b32 v6, v0
	v_mad_co_u64_u32 v[3:4], null, s37, v0, v[3:4]
	s_delay_alu instid0(VALU_DEP_1) | instskip(SKIP_4) | instid1(VALU_DEP_3)
	v_lshlrev_b64_e32 v[4:5], 1, v[2:3]
	v_mov_b32_e32 v2, 0
	v_mov_b32_e32 v3, 0
	s_wait_kmcnt 0x0
	s_and_b32 s12, s3, 0xffff
	v_add_co_u32 v4, vcc_lo, s14, v4
	s_delay_alu instid0(VALU_DEP_1)
	v_add_co_ci_u32_e64 v5, null, s15, v5, vcc_lo
	s_mul_u64 s[14:15], s[36:37], s[12:13]
	s_wait_alu 0xfffe
	s_lshl_b64 s[14:15], s[14:15], 1
.LBB132_3:                              ; =>This Inner Loop Header: Depth=1
	global_load_u16 v8, v[4:5], off
	v_add_co_u32 v6, vcc_lo, v6, s12
	s_wait_alu 0xfffd
	v_add_co_ci_u32_e64 v7, null, 0, v7, vcc_lo
	s_wait_alu 0xfffe
	v_add_co_u32 v4, vcc_lo, v4, s14
	s_wait_alu 0xfffd
	v_add_co_ci_u32_e64 v5, null, s15, v5, vcc_lo
	s_wait_loadcnt 0x0
	v_cmp_u_f16_e32 vcc_lo, v8, v8
	s_wait_alu 0xfffd
	v_cndmask_b32_e64 v8, 0, 1, vcc_lo
	v_cmp_le_u64_e32 vcc_lo, s[28:29], v[6:7]
	s_delay_alu instid0(VALU_DEP_2)
	v_add_co_u32 v2, s3, v2, v8
	s_wait_alu 0xf1ff
	v_add_co_ci_u32_e64 v3, null, 0, v3, s3
	s_or_b32 s13, vcc_lo, s13
	s_wait_alu 0xfffe
	s_and_not1_b32 exec_lo, exec_lo, s13
	s_cbranch_execnz .LBB132_3
; %bb.4:
	s_or_b32 exec_lo, exec_lo, s13
.LBB132_5:
	s_delay_alu instid0(SALU_CYCLE_1)
	s_or_b32 exec_lo, exec_lo, s9
	s_clause 0x3
	s_load_b64 s[34:35], s[0:1], 0x270
	s_load_b64 s[30:31], s[0:1], 0x1a0
	;; [unrolled: 1-line block ×4, first 2 shown]
	v_cmp_eq_u32_e64 s3, 0, v0
	s_and_saveexec_b32 s9, s3
; %bb.6:
	v_mov_b32_e32 v4, 0
	s_delay_alu instid0(VALU_DEP_1)
	v_mov_b32_e32 v5, v4
	ds_store_b64 v4, v[4:5] offset:5136
; %bb.7:
	s_or_b32 exec_lo, exec_lo, s9
	s_mov_b64 s[12:13], 0
	s_mov_b32 s9, exec_lo
	s_wait_dscnt 0x0
	s_barrier_signal -1
	s_barrier_wait -1
	global_inv scope:SCOPE_SE
	v_cmpx_ne_u64_e32 0, v[2:3]
	s_cbranch_execz .LBB132_12
; %bb.8:
	s_mov_b32 s14, exec_lo
.LBB132_9:                              ; =>This Inner Loop Header: Depth=1
	s_wait_alu 0xfffe
	s_ctz_i32_b32 s15, s14
	s_wait_alu 0xfffe
	v_readlane_b32 s17, v3, s15
	v_readlane_b32 s16, v2, s15
	s_lshl_b32 s15, 1, s15
	s_wait_alu 0xfffe
	s_and_not1_b32 s14, s14, s15
	s_wait_alu 0xfffe
	s_cmp_lg_u32 s14, 0
	s_add_nc_u64 s[12:13], s[12:13], s[16:17]
	s_cbranch_scc1 .LBB132_9
; %bb.10:
	v_mbcnt_lo_u32_b32 v2, exec_lo, 0
	s_mov_b32 s14, exec_lo
	s_delay_alu instid0(VALU_DEP_1)
	v_cmpx_eq_u32_e32 0, v2
	s_wait_alu 0xfffe
	s_xor_b32 s14, exec_lo, s14
; %bb.11:
	v_mov_b32_e32 v2, s12
	v_dual_mov_b32 v4, 0 :: v_dual_mov_b32 v3, s13
	ds_add_u64 v4, v[2:3] offset:5136
.LBB132_12:
	s_or_b32 exec_lo, exec_lo, s9
	v_mov_b32_e32 v2, 0
	v_mov_b32_e32 v26, s28
	s_wait_loadcnt_dscnt 0x0
	s_barrier_signal -1
	s_barrier_wait -1
	global_inv scope:SCOPE_SE
	v_mov_b32_e32 v27, s29
	ds_load_b64 v[2:3], v2 offset:5136
	s_load_b32 s0, s[0:1], 0x4f8
	s_wait_dscnt 0x0
	v_cmp_gt_i64_e32 vcc_lo, 1, v[2:3]
	s_wait_kmcnt 0x0
	s_bitcmp1_b32 s0, 0
	s_cselect_b32 s0, -1, 0
	s_delay_alu instid0(SALU_CYCLE_1) | instskip(NEXT) | instid1(SALU_CYCLE_1)
	s_or_b32 s0, s0, vcc_lo
	s_and_not1_b32 vcc_lo, exec_lo, s0
	s_wait_alu 0xfffe
	s_cbranch_vccnz .LBB132_14
; %bb.13:
	v_not_b32_e32 v2, v2
	v_not_b32_e32 v3, v3
	s_delay_alu instid0(VALU_DEP_2) | instskip(SKIP_1) | instid1(VALU_DEP_2)
	v_add_co_u32 v2, vcc_lo, s28, v2
	s_wait_alu 0xfffd
	v_add_co_ci_u32_e64 v3, null, s29, v3, vcc_lo
	s_delay_alu instid0(VALU_DEP_1) | instskip(NEXT) | instid1(VALU_DEP_1)
	v_lshrrev_b64 v[2:3], 1, v[2:3]
	v_add_co_u32 v26, vcc_lo, v2, 1
	s_wait_alu 0xfffd
	s_delay_alu instid0(VALU_DEP_2)
	v_add_co_ci_u32_e64 v27, null, 0, v3, vcc_lo
.LBB132_14:
	s_and_saveexec_b32 s0, s3
	s_cbranch_execz .LBB132_16
; %bb.15:
	v_dual_mov_b32 v2, 0 :: v_dual_mov_b32 v5, s29
	s_delay_alu instid0(VALU_DEP_1)
	v_dual_mov_b32 v4, s28 :: v_dual_mov_b32 v3, v2
	ds_store_b32 v2, v2 offset:5144
	ds_store_b128 v2, v[2:5] offset:5120
.LBB132_16:
	s_or_b32 exec_lo, exec_lo, s0
	v_mad_co_u64_u32 v[4:5], null, s36, v0, 0
	v_mbcnt_lo_u32_b32 v32, -1, 0
	s_lshl_b64 s[10:11], s[10:11], 1
	v_cmp_gt_u32_e32 vcc_lo, 32, v0
	s_add_nc_u64 s[48:49], s[4:5], s[10:11]
	v_lshlrev_b32_e32 v14, 2, v0
	v_cmp_gt_i32_e64 s4, 4, v32
	v_dual_mov_b32 v2, v5 :: v_dual_lshlrev_b32 v33, 1, v0
	v_lshlrev_b64_e64 v[8:9], v32, -1
	s_wait_loadcnt_dscnt 0x0
	s_and_b32 s74, vcc_lo, s4
	s_delay_alu instid0(VALU_DEP_2)
	v_mad_co_u64_u32 v[2:3], null, s37, v0, v[2:3]
	v_mov_b32_e32 v3, 0
	s_barrier_signal -1
	s_barrier_wait -1
	global_inv scope:SCOPE_SE
	s_load_b32 s9, s[6:7], 0xc
	v_not_b32_e32 v35, v8
	v_dual_mov_b32 v5, v2 :: v_dual_add_nc_u32 v2, 2, v0
	s_mov_b32 s45, 0
	s_movk_i32 s4, 0x3e0
	v_cmp_lt_u64_e64 s33, 0x600, s[28:29]
	s_delay_alu instid0(VALU_DEP_2)
	v_lshlrev_b64_e32 v[6:7], 1, v[4:5]
	s_mov_b32 s43, s45
	v_and_or_b32 v36, v0, s4, 0xc00
	v_cmp_gt_u32_e64 s0, 2, v0
	v_cmp_eq_u32_e64 s1, 0, v32
	v_dual_mov_b32 v15, v3 :: v_dual_add_nc_u32 v34, 0xc00, v33
	v_add_co_u32 v12, vcc_lo, s48, v6
	s_wait_alu 0xfffd
	v_add_co_ci_u32_e64 v13, null, s49, v7, vcc_lo
	v_cmp_gt_u64_e32 vcc_lo, s[28:29], v[2:3]
	v_not_b32_e32 v6, v0
	s_wait_kmcnt 0x0
	s_and_b32 s42, s9, 0xffff
	s_bfe_u32 s5, s9, 0xb0005
	s_cmp_gt_u32 s42, 31
	v_lshl_or_b32 v40, v32, 3, 0xc00
	s_wait_alu 0xfffd
	v_cndmask_b32_e64 v2, v2, s28, vcc_lo
	v_cndmask_b32_e64 v7, 0, s29, vcc_lo
	s_cselect_b32 s75, -1, 0
	s_cmp_lt_u32 ttmp9, s8
	v_mov_b32_e32 v42, 0x8000
	v_add_co_u32 v6, vcc_lo, v2, v6
	v_lshlrev_b32_e32 v2, 3, v0
	s_wait_alu 0xfffd
	v_add_co_ci_u32_e64 v7, null, -1, v7, vcc_lo
	s_delay_alu instid0(VALU_DEP_3) | instskip(SKIP_2) | instid1(VALU_DEP_3)
	v_and_b32_e32 v16, -2, v6
	s_cselect_b32 s44, 12, 18
	v_or_b32_e32 v28, 2, v2
	v_mov_b32_e32 v17, v7
	s_wait_alu 0xfffe
	s_add_co_i32 s8, s5, -1
	v_add_co_u32 v18, vcc_lo, v16, v0
	v_mad_co_u64_u32 v[23:24], null, s36, v28, 0
	s_wait_alu 0xfffd
	v_add_co_ci_u32_e64 v8, null, 0, v7, vcc_lo
	s_and_b32 s8, s8, 0xffff
	s_bfe_u32 s77, s42, 0x30005
	s_cmp_gt_u32 s8, 6
	v_cmp_lt_u64_e64 s4, 1, v[6:7]
	v_mov_b32_e32 v9, v24
	v_or_b32_e32 v25, 4, v2
	v_or_b32_e32 v10, 6, v2
	s_cselect_b32 s79, -1, 0
	s_and_b32 s80, s5, 0x7f8
	s_cmp_lg_u32 s77, 0
	v_mad_co_u64_u32 v[21:22], null, s36, v25, 0
	v_mad_co_u64_u32 v[19:20], null, s36, v10, 0
	v_lshlrev_b32_e32 v39, 3, v0
	s_cselect_b32 s81, -1, 0
	s_lshl_b64 s[54:55], s[36:37], 1
	v_cmp_ne_u64_e64 s5, v[6:7], v[16:17]
	s_delay_alu instid0(VALU_DEP_4)
	v_mov_b32_e32 v8, v22
	v_mul_lo_u32 v41, 0, s54
	v_mov_b32_e32 v44, 0
	s_add_nc_u64 s[50:51], s[42:43], -1
	s_mul_u64 s[8:9], s[36:37], s[42:43]
	v_mad_co_u64_u32 v[24:25], null, s37, v25, v[8:9]
	v_mov_b32_e32 v2, v20
	v_mov_b32_e32 v20, 0
	s_add_nc_u64 s[52:53], s[50:51], s[28:29]
	s_mov_b32 s76, s36
	s_mov_b32 s78, s37
	s_lshl_b64 s[56:57], s[36:37], 3
	s_delay_alu instid0(VALU_DEP_3)
	v_mov_b32_e32 v37, v24
	v_mad_co_u64_u32 v[10:11], null, s37, v10, v[2:3]
	v_lshlrev_b64_e32 v[24:25], 3, v[4:5]
	v_mov_b32_e32 v43, 0
	s_lshl_b32 s82, s42, 1
	s_lshl_b64 s[46:47], s[8:9], 1
	s_mov_b32 s84, 14
	s_add_nc_u64 s[58:59], s[6:7], s[44:45]
	s_delay_alu instid0(VALU_DEP_3)
	v_mad_co_u64_u32 v[8:9], null, s37, v28, v[9:10]
	v_mov_b32_e32 v22, v10
	s_mov_b32 s83, 0x4f800000
	s_movk_i32 s86, 0x3c00
	s_mov_b32 s85, 0
	s_mov_b32 s87, 0
                                        ; implicit-def: $sgpr91
                                        ; implicit-def: $sgpr93
                                        ; implicit-def: $sgpr88
                                        ; implicit-def: $sgpr90
                                        ; implicit-def: $sgpr92
                                        ; implicit-def: $sgpr89
	s_delay_alu instid0(VALU_DEP_2)
	v_mov_b32_e32 v38, v8
	s_branch .LBB132_20
.LBB132_17:                             ;   in Loop: Header=BB132_20 Depth=1
	s_wait_alu 0xfffe
	s_or_b32 exec_lo, exec_lo, s9
	s_delay_alu instid0(SALU_CYCLE_1)
	s_and_b32 s7, s7, exec_lo
	s_and_not1_b32 s22, s22, exec_lo
	s_and_not1_b32 s21, s21, exec_lo
	s_or_not1_b32 s18, s8, exec_lo
.LBB132_18:                             ;   in Loop: Header=BB132_20 Depth=1
	s_wait_alu 0xfffe
	s_or_b32 exec_lo, exec_lo, s6
	s_delay_alu instid0(SALU_CYCLE_1)
	s_and_not1_b32 s6, s89, exec_lo
	s_and_b32 s7, s7, exec_lo
	s_and_not1_b32 s8, s90, exec_lo
	s_wait_alu 0xfffe
	s_or_b32 s89, s6, s7
	s_and_not1_b32 s6, s92, exec_lo
	s_and_b32 s7, s22, exec_lo
	s_and_b32 s9, s21, exec_lo
	s_wait_alu 0xfffe
	s_or_b32 s92, s6, s7
	s_or_b32 s90, s8, s9
	s_or_not1_b32 s18, s18, exec_lo
.LBB132_19:                             ;   in Loop: Header=BB132_20 Depth=1
	s_wait_alu 0xfffe
	s_or_b32 exec_lo, exec_lo, s17
	s_delay_alu instid0(SALU_CYCLE_1)
	s_and_b32 s6, exec_lo, s18
	v_dual_mov_b32 v27, v9 :: v_dual_mov_b32 v26, v8
	s_wait_alu 0xfffe
	s_or_b32 s85, s6, s85
	s_and_not1_b32 s6, s88, exec_lo
	s_and_b32 s7, s89, exec_lo
	s_and_not1_b32 s8, s93, exec_lo
	s_wait_alu 0xfffe
	s_or_b32 s88, s6, s7
	s_and_b32 s6, s92, exec_lo
	s_and_not1_b32 s7, s91, exec_lo
	s_and_b32 s9, s90, exec_lo
	s_wait_alu 0xfffe
	s_or_b32 s93, s8, s6
	s_or_b32 s91, s7, s9
	s_and_not1_b32 exec_lo, exec_lo, s85
	s_cbranch_execz .LBB132_290
.LBB132_20:                             ; =>This Loop Header: Depth=1
                                        ;     Child Loop BB132_25 Depth 2
                                        ;     Child Loop BB132_39 Depth 2
	;; [unrolled: 1-line block ×17, first 2 shown]
	ds_load_b128 v[4:7], v3 offset:5120
	s_wait_dscnt 0x0
	v_readfirstlane_b32 s61, v5
	v_readfirstlane_b32 s60, v4
	s_cmp_lg_u64 s[60:61], 0
	s_cbranch_scc1 .LBB132_52
; %bb.21:                               ;   in Loop: Header=BB132_20 Depth=1
	s_and_b32 vcc_lo, exec_lo, s33
	s_wait_alu 0xfffe
	s_cbranch_vccz .LBB132_33
; %bb.22:                               ;   in Loop: Header=BB132_20 Depth=1
	v_cmp_gt_u64_e32 vcc_lo, 0x601, v[6:7]
	s_mov_b32 s8, 0
	s_mov_b32 s6, 0
	s_cbranch_vccz .LBB132_34
; %bb.23:                               ;   in Loop: Header=BB132_20 Depth=1
	global_load_u16 v2, v3, s[58:59]
	global_load_u16 v8, v[12:13], off
	s_mov_b32 s9, 0
	s_wait_loadcnt 0x1
	v_and_b32_e32 v2, 0xffff, v2
	s_delay_alu instid0(VALU_DEP_1) | instskip(SKIP_2) | instid1(VALU_DEP_3)
	v_add_nc_u32_e32 v6, v0, v2
	v_mul_lo_u32 v7, v2, s55
	v_mul_hi_u32 v10, v2, s54
	v_mad_co_u64_u32 v[4:5], null, s54, v6, s[48:49]
	s_delay_alu instid0(VALU_DEP_1) | instskip(NEXT) | instid1(VALU_DEP_4)
	v_mad_co_u64_u32 v[5:6], null, s55, v6, v[5:6]
	v_add_nc_u32_e32 v6, v7, v41
	s_delay_alu instid0(VALU_DEP_1)
	v_dual_mov_b32 v7, v1 :: v_dual_add_nc_u32 v10, v6, v10
	v_mul_lo_u32 v9, v2, s54
	v_mov_b32_e32 v6, v0
	s_branch .LBB132_25
.LBB132_24:                             ;   in Loop: Header=BB132_25 Depth=2
	s_wait_alu 0xfffe
	s_or_b32 exec_lo, exec_lo, s7
	v_add_co_u32 v4, vcc_lo, v4, v9
	s_wait_alu 0xfffd
	v_add_co_ci_u32_e64 v5, null, v5, v10, vcc_lo
	v_mov_b32_e32 v8, v11
	s_and_not1_b32 exec_lo, exec_lo, s9
	s_cbranch_execz .LBB132_152
.LBB132_25:                             ;   Parent Loop BB132_20 Depth=1
                                        ; =>  This Inner Loop Header: Depth=2
	s_delay_alu instid0(VALU_DEP_1)
	v_add_co_u32 v6, vcc_lo, v6, v2
	s_wait_alu 0xfffd
	v_add_co_ci_u32_e64 v7, null, 0, v7, vcc_lo
	s_wait_dscnt 0x0
	v_dual_mov_b32 v28, 0 :: v_dual_mov_b32 v11, 0
	s_mov_b32 s7, exec_lo
	s_delay_alu instid0(VALU_DEP_2)
	v_cmp_le_u64_e32 vcc_lo, s[28:29], v[6:7]
	v_cmpx_gt_u64_e64 s[28:29], v[6:7]
	s_cbranch_execz .LBB132_27
; %bb.26:                               ;   in Loop: Header=BB132_25 Depth=2
	global_load_u16 v11, v[4:5], off
.LBB132_27:                             ;   in Loop: Header=BB132_25 Depth=2
	s_wait_alu 0xfffe
	s_or_b32 exec_lo, exec_lo, s7
	s_wait_loadcnt 0x0
	v_cmp_lt_i16_e64 s6, -1, v8
	v_and_b32_e32 v29, 0xffff, v8
	s_wait_alu 0xf1ff
	s_delay_alu instid0(VALU_DEP_2) | instskip(SKIP_1) | instid1(VALU_DEP_2)
	v_cndmask_b32_e64 v30, 0xffff, v42, s6
	v_cmp_o_f16_e64 s6, v8, v8
	v_xor_b32_e32 v29, v30, v29
	s_wait_alu 0xf1ff
	s_delay_alu instid0(VALU_DEP_1) | instskip(NEXT) | instid1(VALU_DEP_1)
	v_cndmask_b32_e64 v29, 0xffff, v29, s6
	v_and_b32_e32 v29, v29, v43
	s_delay_alu instid0(VALU_DEP_1)
	v_cmp_eq_u32_e64 s6, v29, v20
	s_cmp_lg_u32 s6, 0
	s_cselect_b32 s7, -1, 0
	s_wait_alu 0xfffe
	s_and_b32 s7, s1, s7
	s_wait_alu 0xfffe
	s_and_saveexec_b32 s10, s7
	s_cbranch_execz .LBB132_31
; %bb.28:                               ;   in Loop: Header=BB132_25 Depth=2
	s_mov_b32 s13, exec_lo
	s_bcnt1_i32_b32 s11, s6
	s_wait_alu 0xfffe
	v_mbcnt_lo_u32_b32 v28, s13, 0
	s_mov_b32 s12, exec_lo
                                        ; implicit-def: $vgpr29
	s_delay_alu instid0(VALU_DEP_1)
	v_cmpx_eq_u32_e32 0, v28
; %bb.29:                               ;   in Loop: Header=BB132_25 Depth=2
	s_bcnt1_i32_b32 s7, s13
	s_wait_alu 0xfffe
	s_mul_i32 s7, s11, s7
	s_wait_alu 0xfffe
	v_mov_b32_e32 v29, s7
	ds_add_rtn_u32 v29, v3, v29 offset:5144
; %bb.30:                               ;   in Loop: Header=BB132_25 Depth=2
	s_or_b32 exec_lo, exec_lo, s12
	s_wait_dscnt 0x0
	v_readfirstlane_b32 s7, v29
	s_wait_alu 0xf1ff
	s_delay_alu instid0(VALU_DEP_1)
	v_mad_u32_u24 v28, s11, v28, s7
.LBB132_31:                             ;   in Loop: Header=BB132_25 Depth=2
	s_wait_alu 0xfffe
	s_or_b32 exec_lo, exec_lo, s10
	ds_bpermute_b32 v28, v3, v28
	s_and_b32 s7, exec_lo, vcc_lo
	s_wait_alu 0xfffe
	s_or_b32 s9, s7, s9
	s_and_saveexec_b32 s7, s6
	s_cbranch_execz .LBB132_24
; %bb.32:                               ;   in Loop: Header=BB132_25 Depth=2
	v_and_b32_e32 v29, s6, v35
	s_delay_alu instid0(VALU_DEP_1) | instskip(NEXT) | instid1(VALU_DEP_1)
	v_bcnt_u32_b32 v29, v29, 0
	v_lshlrev_b32_e32 v29, 1, v29
	s_wait_dscnt 0x0
	s_delay_alu instid0(VALU_DEP_1)
	v_lshl_add_u32 v28, v28, 1, v29
	ds_store_b16 v28, v8
	s_branch .LBB132_24
.LBB132_33:                             ;   in Loop: Header=BB132_20 Depth=1
	s_mov_b32 s8, -1
	s_mov_b32 s6, 0
.LBB132_34:                             ;   in Loop: Header=BB132_20 Depth=1
	s_wait_alu 0xfffe
	s_and_b32 vcc_lo, exec_lo, s8
	s_wait_alu 0xfffe
	s_cbranch_vccz .LBB132_50
.LBB132_35:                             ;   in Loop: Header=BB132_20 Depth=1
	s_and_saveexec_b32 s7, s2
	s_cbranch_execz .LBB132_47
; %bb.36:                               ;   in Loop: Header=BB132_20 Depth=1
	global_load_u16 v4, v3, s[58:59]
	global_load_u16 v28, v[12:13], off
	v_mov_b32_e32 v6, v0
	s_mov_b32 s12, exec_lo
	s_wait_loadcnt 0x1
	v_and_b32_e32 v2, 0xffff, v4
	v_readfirstlane_b32 s6, v4
	s_delay_alu instid0(VALU_DEP_2) | instskip(NEXT) | instid1(VALU_DEP_1)
	v_add_nc_u32_e32 v2, v2, v0
	v_cmpx_gt_u64_e64 s[28:29], v[2:3]
	s_cbranch_execz .LBB132_46
; %bb.37:                               ;   in Loop: Header=BB132_20 Depth=1
	s_and_b32 s44, s6, 0xffff
	v_dual_mov_b32 v9, v1 :: v_dual_mov_b32 v8, v0
	s_wait_alu 0xfffe
	s_cmp_eq_u32 s44, 1
	v_dual_mov_b32 v5, v3 :: v_dual_mov_b32 v4, v2
	s_cselect_b32 s6, -1, 0
                                        ; implicit-def: $vgpr6_vgpr7
	s_wait_alu 0xfffe
	s_and_b32 s9, s4, s6
	s_mov_b32 s6, -1
	s_wait_alu 0xfffe
	s_and_saveexec_b32 s8, s9
	s_cbranch_execz .LBB132_41
; %bb.38:                               ;   in Loop: Header=BB132_20 Depth=1
	v_add_co_u32 v4, s6, v2, 1
	s_wait_alu 0xf1ff
	v_add_co_ci_u32_e64 v5, null, 0, 0, s6
	s_wait_loadcnt 0x0
	v_dual_mov_b32 v8, v16 :: v_dual_lshlrev_b32 v11, 16, v28
	v_dual_mov_b32 v9, v17 :: v_dual_mov_b32 v10, v33
	s_delay_alu instid0(VALU_DEP_3)
	v_mov_b32_e32 v7, v5
	v_dual_mov_b32 v6, v4 :: v_dual_mov_b32 v5, v3
	v_mov_b32_e32 v4, v2
	s_mov_b32 s9, 0
.LBB132_39:                             ;   Parent Loop BB132_20 Depth=1
                                        ; =>  This Inner Loop Header: Depth=2
	s_delay_alu instid0(VALU_DEP_2) | instskip(NEXT) | instid1(VALU_DEP_2)
	v_mul_lo_u32 v45, v5, s36
	v_mul_lo_u32 v46, v4, s37
	v_mad_co_u64_u32 v[28:29], null, v4, s36, 0
	v_mul_lo_u32 v47, v7, s76
	v_mul_lo_u32 v48, v6, s78
	v_mad_co_u64_u32 v[30:31], null, v6, s76, 0
	s_delay_alu instid0(VALU_DEP_4) | instskip(NEXT) | instid1(VALU_DEP_2)
	v_add3_u32 v29, v29, v46, v45
	v_add3_u32 v31, v31, v48, v47
	s_delay_alu instid0(VALU_DEP_2) | instskip(NEXT) | instid1(VALU_DEP_2)
	v_lshlrev_b64_e32 v[28:29], 1, v[28:29]
	v_lshlrev_b64_e32 v[30:31], 1, v[30:31]
	s_delay_alu instid0(VALU_DEP_2) | instskip(SKIP_1) | instid1(VALU_DEP_3)
	v_add_co_u32 v28, vcc_lo, s48, v28
	s_wait_alu 0xfffd
	v_add_co_ci_u32_e64 v29, null, s49, v29, vcc_lo
	s_delay_alu instid0(VALU_DEP_3)
	v_add_co_u32 v30, vcc_lo, s48, v30
	s_wait_alu 0xfffd
	v_add_co_ci_u32_e64 v31, null, s49, v31, vcc_lo
	s_clause 0x1
	global_load_u16 v29, v[28:29], off
	global_load_u16 v28, v[30:31], off
	v_add_co_u32 v8, vcc_lo, v8, -2
	s_wait_alu 0xfffd
	v_add_co_ci_u32_e64 v9, null, -1, v9, vcc_lo
	v_add_co_u32 v6, vcc_lo, v6, 2
	s_wait_alu 0xfffd
	v_add_co_ci_u32_e64 v7, null, 0, v7, vcc_lo
	s_delay_alu instid0(VALU_DEP_3) | instskip(SKIP_4) | instid1(VALU_DEP_3)
	v_cmp_eq_u64_e64 s6, 0, v[8:9]
	v_add_co_u32 v4, vcc_lo, v4, 2
	s_wait_alu 0xfffd
	v_add_co_ci_u32_e64 v5, null, 0, v5, vcc_lo
	s_wait_alu 0xfffe
	s_or_b32 s9, s6, s9
	s_wait_loadcnt 0x1
	v_alignbit_b32 v11, v29, v11, 16
	s_wait_loadcnt 0x0
	v_perm_b32 v29, v28, v29, 0x5040100
	ds_store_b32 v10, v11
	v_dual_mov_b32 v11, v29 :: v_dual_add_nc_u32 v10, 4, v10
	s_wait_alu 0xfffe
	s_and_not1_b32 exec_lo, exec_lo, s9
	s_cbranch_execnz .LBB132_39
; %bb.40:                               ;   in Loop: Header=BB132_20 Depth=1
	s_or_b32 exec_lo, exec_lo, s9
	v_add_co_u32 v4, vcc_lo, v2, v16
	s_wait_alu 0xfffd
	v_add_co_ci_u32_e64 v5, null, 0, v17, vcc_lo
	v_dual_mov_b32 v8, v18 :: v_dual_mov_b32 v9, v19
	s_delay_alu instid0(VALU_DEP_3)
	v_add_co_u32 v6, vcc_lo, v4, -1
	s_or_not1_b32 s6, s5, exec_lo
	s_wait_alu 0xfffd
	v_add_co_ci_u32_e64 v2, null, -1, v5, vcc_lo
.LBB132_41:                             ;   in Loop: Header=BB132_20 Depth=1
	s_wait_alu 0xfffe
	s_or_b32 exec_lo, exec_lo, s8
	s_and_saveexec_b32 s13, s6
	s_cbranch_execz .LBB132_45
; %bb.42:                               ;   in Loop: Header=BB132_20 Depth=1
	v_mad_co_u64_u32 v[10:11], null, s54, v4, s[48:49]
	v_mul_lo_u32 v2, s54, v5
	v_mul_lo_u32 v6, s55, v4
	s_sub_nc_u64 s[8:9], 0, s[44:45]
	s_mul_u64 s[10:11], s[54:55], s[44:45]
	s_mov_b32 s14, 0
	s_delay_alu instid0(VALU_DEP_1)
	v_add3_u32 v11, v6, v11, v2
.LBB132_43:                             ;   Parent Loop BB132_20 Depth=1
                                        ; =>  This Inner Loop Header: Depth=2
	s_wait_loadcnt 0x0
	v_mov_b32_e32 v2, v28
	global_load_u16 v28, v[10:11], off
	v_dual_mov_b32 v30, v5 :: v_dual_lshlrev_b32 v7, 1, v8
	v_mov_b32_e32 v29, v4
	ds_store_b16 v7, v2
	v_add_co_u32 v4, vcc_lo, v29, s44
	s_wait_alu 0xfffd
	v_add_co_ci_u32_e64 v5, null, 0, v30, vcc_lo
	s_wait_alu 0xfffe
	v_add_co_u32 v10, vcc_lo, v10, s10
	s_wait_alu 0xfffd
	v_add_co_ci_u32_e64 v11, null, s11, v11, vcc_lo
	v_cmp_le_u64_e32 vcc_lo, s[28:29], v[4:5]
	v_add_co_u32 v6, s6, s8, v4
	s_wait_alu 0xf1ff
	v_add_co_ci_u32_e64 v8, null, s9, v5, s6
	v_dual_mov_b32 v8, v29 :: v_dual_mov_b32 v9, v30
	s_or_b32 s14, vcc_lo, s14
	s_wait_alu 0xfffe
	s_and_not1_b32 exec_lo, exec_lo, s14
	s_cbranch_execnz .LBB132_43
; %bb.44:                               ;   in Loop: Header=BB132_20 Depth=1
	s_or_b32 exec_lo, exec_lo, s14
.LBB132_45:                             ;   in Loop: Header=BB132_20 Depth=1
	s_wait_alu 0xfffe
	s_or_b32 exec_lo, exec_lo, s13
.LBB132_46:                             ;   in Loop: Header=BB132_20 Depth=1
	s_wait_alu 0xfffe
	s_or_b32 exec_lo, exec_lo, s12
	v_lshlrev_b32_e32 v2, 1, v6
	s_wait_loadcnt 0x0
	ds_store_b16 v2, v28
.LBB132_47:                             ;   in Loop: Header=BB132_20 Depth=1
	s_wait_alu 0xfffe
	s_or_b32 exec_lo, exec_lo, s7
	s_wait_loadcnt_dscnt 0x0
	s_barrier_signal -1
	s_barrier_wait -1
	global_inv scope:SCOPE_SE
	s_and_saveexec_b32 s6, s3
; %bb.48:                               ;   in Loop: Header=BB132_20 Depth=1
	v_dual_mov_b32 v4, s28 :: v_dual_mov_b32 v5, s29
	ds_store_b64 v3, v[4:5] offset:5120
; %bb.49:                               ;   in Loop: Header=BB132_20 Depth=1
	s_wait_alu 0xfffe
	s_or_b32 exec_lo, exec_lo, s6
	s_mov_b32 s6, -1
	s_wait_loadcnt_dscnt 0x0
	s_barrier_signal -1
	s_barrier_wait -1
.LBB132_50:                             ;   in Loop: Header=BB132_20 Depth=1
	s_wait_alu 0xfffe
	s_and_b32 vcc_lo, exec_lo, s6
	s_mov_b64 s[60:61], 0
	s_wait_alu 0xfffe
	s_cbranch_vccz .LBB132_52
; %bb.51:                               ;   in Loop: Header=BB132_20 Depth=1
	s_wait_loadcnt 0x0
	global_inv scope:SCOPE_SE
	ds_load_b64 v[4:5], v3 offset:5120
	s_wait_dscnt 0x0
	v_readfirstlane_b32 s60, v4
.LBB132_52:                             ;   in Loop: Header=BB132_20 Depth=1
	s_delay_alu instid0(VALU_DEP_1)
	s_cmp_lt_i32 s60, 1
	s_mov_b32 s6, -1
                                        ; implicit-def: $vgpr4_vgpr5
                                        ; implicit-def: $vgpr8_vgpr9
	s_cbranch_scc1 .LBB132_62
; %bb.53:                               ;   in Loop: Header=BB132_20 Depth=1
	s_wait_alu 0xfffe
	s_and_b32 vcc_lo, exec_lo, s6
	s_wait_alu 0xfffe
	s_cbranch_vccnz .LBB132_76
.LBB132_54:                             ;   in Loop: Header=BB132_20 Depth=1
	s_lshl_b32 s6, s87, 7
	s_and_saveexec_b32 s7, s1
	s_cbranch_execz .LBB132_56
.LBB132_55:                             ;   in Loop: Header=BB132_20 Depth=1
	s_wait_alu 0xfffe
	v_lshl_add_u32 v2, s6, 3, v36
	ds_store_b128 v2, v[4:7]
	ds_store_b128 v2, v[8:11] offset:16
.LBB132_56:                             ;   in Loop: Header=BB132_20 Depth=1
	s_wait_alu 0xfffe
	s_or_b32 exec_lo, exec_lo, s7
	s_wait_loadcnt_dscnt 0x0
	s_barrier_signal -1
	s_barrier_wait -1
	global_inv scope:SCOPE_SE
	s_and_saveexec_b32 s7, s74
	s_cbranch_execz .LBB132_90
; %bb.57:                               ;   in Loop: Header=BB132_20 Depth=1
	v_mov_b32_e32 v4, 0
	v_mov_b32_e32 v5, 0
	s_and_not1_b32 vcc_lo, exec_lo, s75
	s_wait_alu 0xfffe
	s_cbranch_vccnz .LBB132_89
; %bb.58:                               ;   in Loop: Header=BB132_20 Depth=1
	v_mov_b32_e32 v4, 0
	v_mov_b32_e32 v5, 0
	s_and_not1_b32 vcc_lo, exec_lo, s79
	s_wait_alu 0xfffe
	s_cbranch_vccnz .LBB132_86
; %bb.59:                               ;   in Loop: Header=BB132_20 Depth=1
	v_lshl_add_u32 v2, s87, 10, v40
	s_mov_b32 s8, 0
.LBB132_60:                             ;   Parent Loop BB132_20 Depth=1
                                        ; =>  This Inner Loop Header: Depth=2
	ds_load_2addr_b64 v[6:9], v2 offset1:4
	ds_load_2addr_b64 v[28:31], v2 offset0:8 offset1:12
	ds_load_2addr_b64 v[45:48], v2 offset0:16 offset1:20
	s_wait_alu 0xfffe
	s_add_co_i32 s8, s8, 8
	s_wait_alu 0xfffe
	s_cmp_eq_u32 s80, s8
	s_wait_dscnt 0x2
	v_add_co_u32 v4, vcc_lo, v6, v4
	s_wait_alu 0xfffd
	v_add_co_ci_u32_e64 v5, null, v7, v5, vcc_lo
	s_delay_alu instid0(VALU_DEP_2) | instskip(SKIP_1) | instid1(VALU_DEP_2)
	v_add_co_u32 v8, vcc_lo, v8, v4
	s_wait_alu 0xfffd
	v_add_co_ci_u32_e64 v9, null, v9, v5, vcc_lo
	ds_load_2addr_b64 v[4:7], v2 offset0:24 offset1:28
	s_wait_dscnt 0x2
	v_add_co_u32 v8, vcc_lo, v28, v8
	s_wait_alu 0xfffd
	v_add_co_ci_u32_e64 v9, null, v29, v9, vcc_lo
	v_add_nc_u32_e32 v2, 0x100, v2
	s_delay_alu instid0(VALU_DEP_3) | instskip(SKIP_1) | instid1(VALU_DEP_3)
	v_add_co_u32 v8, vcc_lo, v30, v8
	s_wait_alu 0xfffd
	v_add_co_ci_u32_e64 v9, null, v31, v9, vcc_lo
	s_wait_dscnt 0x1
	s_delay_alu instid0(VALU_DEP_2) | instskip(SKIP_1) | instid1(VALU_DEP_2)
	v_add_co_u32 v8, vcc_lo, v45, v8
	s_wait_alu 0xfffd
	v_add_co_ci_u32_e64 v9, null, v46, v9, vcc_lo
	s_delay_alu instid0(VALU_DEP_2) | instskip(SKIP_1) | instid1(VALU_DEP_2)
	v_add_co_u32 v8, vcc_lo, v47, v8
	s_wait_alu 0xfffd
	v_add_co_ci_u32_e64 v9, null, v48, v9, vcc_lo
	s_wait_dscnt 0x0
	s_delay_alu instid0(VALU_DEP_2) | instskip(SKIP_1) | instid1(VALU_DEP_2)
	v_add_co_u32 v4, vcc_lo, v4, v8
	s_wait_alu 0xfffd
	v_add_co_ci_u32_e64 v5, null, v5, v9, vcc_lo
	s_delay_alu instid0(VALU_DEP_2) | instskip(SKIP_1) | instid1(VALU_DEP_2)
	v_add_co_u32 v4, vcc_lo, v6, v4
	s_wait_alu 0xfffd
	v_add_co_ci_u32_e64 v5, null, v7, v5, vcc_lo
	s_cbranch_scc0 .LBB132_60
; %bb.61:                               ;   in Loop: Header=BB132_20 Depth=1
	s_mov_b32 s8, s80
	s_and_not1_b32 vcc_lo, exec_lo, s81
	s_wait_alu 0xfffe
	s_cbranch_vccz .LBB132_87
	s_branch .LBB132_89
.LBB132_62:                             ;   in Loop: Header=BB132_20 Depth=1
	global_load_u16 v2, v3, s[58:59]
	s_mov_b32 s7, s29
	s_wait_loadcnt 0x0
	v_readfirstlane_b32 s6, v2
	s_wait_alu 0xfffe
	s_and_b32 s8, 0xffff, s6
	s_mov_b32 s6, s45
	s_wait_alu 0xfffe
	s_lshl_b32 s62, s8, 2
	s_cmp_lg_u64 s[6:7], 0
	s_cbranch_scc0 .LBB132_85
; %bb.63:                               ;   in Loop: Header=BB132_20 Depth=1
	s_wait_alu 0xfffe
	s_cvt_f32_u32 s6, s62
	s_mov_b32 s63, s45
	s_wait_alu 0xfffe
	s_sub_nc_u64 s[8:9], 0, s[62:63]
	s_fmamk_f32 s6, s83, 0x0, s6
	s_wait_alu 0xfffe
	s_delay_alu instid0(SALU_CYCLE_2) | instskip(NEXT) | instid1(TRANS32_DEP_1)
	v_s_rcp_f32 s6, s6
	s_mul_f32 s6, s6, 0x5f7ffffc
	s_wait_alu 0xfffe
	s_delay_alu instid0(SALU_CYCLE_2) | instskip(SKIP_1) | instid1(SALU_CYCLE_2)
	s_mul_f32 s7, s6, 0x2f800000
	s_wait_alu 0xfffe
	s_trunc_f32 s7, s7
	s_wait_alu 0xfffe
	s_delay_alu instid0(SALU_CYCLE_2) | instskip(SKIP_2) | instid1(SALU_CYCLE_1)
	s_fmamk_f32 s6, s7, 0xcf800000, s6
	s_cvt_u32_f32 s7, s7
	s_wait_alu 0xfffe
	s_cvt_u32_f32 s6, s6
	s_wait_alu 0xfffe
	s_delay_alu instid0(SALU_CYCLE_2)
	s_mul_u64 s[10:11], s[8:9], s[6:7]
	s_wait_alu 0xfffe
	s_mul_hi_u32 s13, s6, s11
	s_mul_i32 s12, s6, s11
	s_mul_hi_u32 s44, s6, s10
	s_mul_i32 s15, s7, s10
	s_wait_alu 0xfffe
	s_add_nc_u64 s[12:13], s[44:45], s[12:13]
	s_mul_hi_u32 s14, s7, s10
	s_mul_hi_u32 s16, s7, s11
	s_mul_i32 s10, s7, s11
	s_wait_alu 0xfffe
	s_add_co_u32 s11, s12, s15
	s_add_co_ci_u32 s44, s13, s14
	s_add_co_ci_u32 s11, s16, 0
	s_wait_alu 0xfffe
	s_add_nc_u64 s[10:11], s[44:45], s[10:11]
	s_wait_alu 0xfffe
	s_add_co_u32 s6, s6, s10
	s_cselect_b32 s10, -1, 0
	s_wait_alu 0xfffe
	s_cmp_lg_u32 s10, 0
	s_add_co_ci_u32 s7, s7, s11
	s_wait_alu 0xfffe
	s_mul_u64 s[8:9], s[8:9], s[6:7]
	s_wait_alu 0xfffe
	s_mul_hi_u32 s11, s6, s9
	s_mul_i32 s10, s6, s9
	s_mul_hi_u32 s44, s6, s8
	s_mul_i32 s13, s7, s8
	s_wait_alu 0xfffe
	s_add_nc_u64 s[10:11], s[44:45], s[10:11]
	s_mul_hi_u32 s12, s7, s8
	s_mul_hi_u32 s14, s7, s9
	s_mul_i32 s8, s7, s9
	s_wait_alu 0xfffe
	s_add_co_u32 s9, s10, s13
	s_add_co_ci_u32 s44, s11, s12
	s_add_co_ci_u32 s9, s14, 0
	s_wait_alu 0xfffe
	s_add_nc_u64 s[8:9], s[44:45], s[8:9]
	s_wait_alu 0xfffe
	s_add_co_u32 s6, s6, s8
	s_cselect_b32 s8, -1, 0
	s_wait_alu 0xfffe
	s_mul_hi_u32 s44, s28, s6
	s_cmp_lg_u32 s8, 0
	s_mul_hi_u32 s10, s29, s6
	s_add_co_ci_u32 s8, s7, s9
	s_mul_i32 s9, s29, s6
	s_wait_alu 0xfffe
	s_mul_hi_u32 s7, s28, s8
	s_mul_i32 s6, s28, s8
	s_mul_hi_u32 s11, s29, s8
	s_wait_alu 0xfffe
	s_add_nc_u64 s[6:7], s[44:45], s[6:7]
	s_mul_i32 s8, s29, s8
	s_wait_alu 0xfffe
	s_add_co_u32 s6, s6, s9
	s_add_co_ci_u32 s44, s7, s10
	s_add_co_ci_u32 s9, s11, 0
	s_wait_alu 0xfffe
	s_add_nc_u64 s[6:7], s[44:45], s[8:9]
	s_wait_alu 0xfffe
	s_mul_u64 s[6:7], s[62:63], s[6:7]
	s_wait_alu 0xfffe
	s_sub_co_u32 s6, s28, s6
	s_cselect_b32 s8, -1, 0
	s_wait_alu 0xfffe
	s_cmp_lg_u32 s8, 0
	s_sub_co_ci_u32 s7, s29, s7
	s_sub_co_u32 s8, s6, s62
	s_cselect_b32 s9, -1, 0
	s_wait_alu 0xfffe
	s_cmp_lg_u32 s9, 0
	s_sub_co_ci_u32 s9, s7, 0
	;; [unrolled: 5-line block ×3, first 2 shown]
	s_cmp_ge_u32 s8, s62
	s_cselect_b32 s12, -1, 0
	s_cmp_eq_u32 s9, 0
	s_wait_alu 0xfffe
	s_cselect_b32 s12, s12, -1
	s_wait_alu 0xfffe
	s_cmp_lg_u32 s12, 0
	s_cselect_b32 s9, s11, s9
	s_cselect_b32 s8, s10, s8
	s_cmp_ge_u32 s6, s62
	s_cselect_b32 s10, -1, 0
	s_cmp_eq_u32 s7, 0
	s_wait_alu 0xfffe
	s_cselect_b32 s10, s10, -1
	s_wait_alu 0xfffe
	s_cmp_lg_u32 s10, 0
	s_cselect_b32 s7, s9, s7
	s_cselect_b32 s6, s8, s6
	s_cbranch_execnz .LBB132_65
.LBB132_64:                             ;   in Loop: Header=BB132_20 Depth=1
	s_wait_alu 0xfffe
	v_cvt_f32_u32_e32 v4, s62
	s_sub_co_i32 s7, 0, s62
	s_delay_alu instid0(VALU_DEP_1) | instskip(NEXT) | instid1(TRANS32_DEP_1)
	v_rcp_iflag_f32_e32 v4, v4
	v_mul_f32_e32 v4, 0x4f7ffffe, v4
	s_delay_alu instid0(VALU_DEP_1) | instskip(NEXT) | instid1(VALU_DEP_1)
	v_cvt_u32_f32_e32 v4, v4
	v_readfirstlane_b32 s6, v4
	s_wait_alu 0xfffe
	s_mul_i32 s7, s7, s6
	s_wait_alu 0xfffe
	s_mul_hi_u32 s7, s6, s7
	s_wait_alu 0xfffe
	s_add_co_i32 s6, s6, s7
	s_wait_alu 0xfffe
	s_mul_hi_u32 s6, s28, s6
	s_wait_alu 0xfffe
	s_mul_i32 s6, s6, s62
	s_wait_alu 0xfffe
	s_sub_co_i32 s6, s28, s6
	s_wait_alu 0xfffe
	s_sub_co_i32 s7, s6, s62
	s_cmp_ge_u32 s6, s62
	s_wait_alu 0xfffe
	s_cselect_b32 s6, s7, s6
	s_wait_alu 0xfffe
	s_sub_co_i32 s7, s6, s62
	s_cmp_ge_u32 s6, s62
	s_wait_alu 0xfffe
	s_cselect_b32 s44, s7, s6
	s_wait_alu 0xfffe
	s_mov_b64 s[6:7], s[44:45]
.LBB132_65:                             ;   in Loop: Header=BB132_20 Depth=1
	v_mov_b32_e32 v4, 0
	v_dual_mov_b32 v8, 0 :: v_dual_mov_b32 v5, 0
	v_dual_mov_b32 v6, 0 :: v_dual_mov_b32 v9, 0
	;; [unrolled: 1-line block ×3, first 2 shown]
	v_dual_mov_b32 v11, 0 :: v_dual_and_b32 v2, 0xffff, v2
	s_wait_alu 0xfffe
	s_sub_nc_u64 s[64:65], s[28:29], s[6:7]
	s_mov_b32 s61, exec_lo
	s_wait_alu 0xfffe
	v_cmpx_gt_u64_e64 s[64:65], v[14:15]
	s_cbranch_execz .LBB132_69
; %bb.66:                               ;   in Loop: Header=BB132_20 Depth=1
	v_mul_lo_u32 v4, v2, s57
	v_mul_lo_u32 v5, 0, s56
	v_mul_hi_u32 v6, v2, s56
	v_mul_lo_u32 v45, v2, s56
	v_dual_mov_b32 v28, s48 :: v_dual_mov_b32 v31, v15
	v_mov_b32_e32 v30, v14
	s_mov_b64 s[66:67], 0
	v_dual_mov_b32 v29, s49 :: v_dual_add_nc_u32 v4, v4, v5
	s_mov_b32 s63, 0
	s_mov_b64 s[68:69], 0
	s_mov_b64 s[70:71], 0
	;; [unrolled: 1-line block ×3, first 2 shown]
	v_add_nc_u32_e32 v46, v4, v6
.LBB132_67:                             ;   Parent Loop BB132_20 Depth=1
                                        ; =>  This Inner Loop Header: Depth=2
	v_add_co_u32 v4, vcc_lo, v28, v24
	s_wait_alu 0xfffd
	v_add_co_ci_u32_e64 v5, null, v29, v25, vcc_lo
	v_add_co_u32 v6, vcc_lo, v28, v23
	s_wait_alu 0xfffd
	v_add_co_ci_u32_e64 v7, null, v29, v38, vcc_lo
	;; [unrolled: 3-line block ×4, first 2 shown]
	s_clause 0x3
	global_load_u16 v4, v[4:5], off
	global_load_u16 v5, v[6:7], off
	;; [unrolled: 1-line block ×4, first 2 shown]
	v_add_co_u32 v30, vcc_lo, v30, s62
	s_wait_alu 0xfffd
	v_add_co_ci_u32_e64 v31, null, 0, v31, vcc_lo
	v_add_co_u32 v28, vcc_lo, v28, v45
	s_wait_alu 0xfffd
	v_add_co_ci_u32_e64 v29, null, v29, v46, vcc_lo
	s_delay_alu instid0(VALU_DEP_3)
	v_cmp_le_u64_e32 vcc_lo, s[64:65], v[30:31]
	s_wait_loadcnt 0x3
	v_cmp_lt_i16_e64 s6, -1, v4
	v_and_b32_e32 v8, 0xffff, v4
	s_wait_loadcnt 0x2
	v_and_b32_e32 v10, 0xffff, v5
	s_wait_loadcnt 0x1
	v_and_b32_e32 v47, 0xffff, v6
	v_cmp_o_f16_e64 s9, v4, v4
	s_wait_alu 0xf1ff
	v_cndmask_b32_e64 v9, 0xffff, v42, s6
	v_cmp_lt_i16_e64 s6, -1, v5
	s_wait_loadcnt 0x0
	v_and_b32_e32 v49, 0xffff, v7
	v_cmp_o_f16_e64 s7, v6, v6
	v_cmp_o_f16_e64 s8, v7, v7
	v_xor_b32_e32 v8, v9, v8
	s_wait_alu 0xf1ff
	v_cndmask_b32_e64 v11, 0xffff, v42, s6
	v_cmp_lt_i16_e64 s6, -1, v6
	s_delay_alu instid0(VALU_DEP_3) | instskip(NEXT) | instid1(VALU_DEP_3)
	v_cndmask_b32_e64 v4, 0xffff, v8, s9
	v_xor_b32_e32 v9, v11, v10
	s_wait_alu 0xf1ff
	s_delay_alu instid0(VALU_DEP_3) | instskip(SKIP_4) | instid1(VALU_DEP_3)
	v_cndmask_b32_e64 v48, 0xffff, v42, s6
	v_cmp_lt_i16_e64 s6, -1, v7
	v_and_b32_e32 v8, v4, v43
	v_bfe_u32 v4, v4, s84, 2
	s_wait_alu 0xf1ff
	v_cndmask_b32_e64 v50, 0xffff, v42, s6
	v_cmp_o_f16_e64 s6, v5, v5
	v_xor_b32_e32 v5, v48, v47
	v_cmp_eq_u32_e64 s10, 0, v4
	v_cmp_eq_u32_e64 s14, 1, v4
	v_xor_b32_e32 v6, v50, v49
	s_wait_alu 0xf1ff
	v_cndmask_b32_e64 v7, 0xffff, v9, s6
	v_cndmask_b32_e64 v5, 0xffff, v5, s7
	v_cmp_eq_u32_e64 s6, v8, v20
	v_cmp_eq_u32_e64 s18, 2, v4
	v_cndmask_b32_e64 v6, 0xffff, v6, s8
	v_and_b32_e32 v9, v7, v43
	v_bfe_u32 v7, v7, s84, 2
	v_and_b32_e32 v10, v5, v43
	v_bfe_u32 v5, v5, s84, 2
	;; [unrolled: 2-line block ×3, first 2 shown]
	v_cmp_eq_u32_e64 s7, v9, v20
	v_cmp_eq_u32_e64 s11, 0, v7
	;; [unrolled: 1-line block ×4, first 2 shown]
	s_and_b32 s10, s6, s10
	v_cmp_eq_u32_e64 s9, v11, v20
	v_cmp_eq_u32_e64 s13, 0, v6
	;; [unrolled: 1-line block ×3, first 2 shown]
	s_wait_alu 0xfffe
	v_cndmask_b32_e64 v4, 0, 1, s10
	s_and_b32 s10, s7, s11
	v_cmp_eq_u32_e64 s16, 1, v5
	v_cmp_eq_u32_e64 s20, 2, v5
	;; [unrolled: 1-line block ×3, first 2 shown]
	s_wait_alu 0xfffe
	v_cndmask_b32_e64 v5, 0, 1, s10
	s_and_b32 s10, s8, s12
	v_cmp_eq_u32_e64 s15, 1, v7
	v_cmp_eq_u32_e64 s17, 1, v6
	;; [unrolled: 1-line block ×4, first 2 shown]
	s_wait_alu 0xfffe
	v_cndmask_b32_e64 v6, 0, 1, s10
	s_and_b32 s10, s9, s13
	v_cmp_eq_u32_e64 s19, 2, v7
	v_cmp_eq_u32_e64 s23, 3, v7
	s_wait_alu 0xfffe
	v_cndmask_b32_e64 v7, 0, 1, s10
	s_and_b32 s10, s6, s14
	s_wait_alu 0xfffe
	v_cndmask_b32_e64 v8, 0, 1, s10
	s_and_b32 s10, s7, s15
	;; [unrolled: 3-line block ×4, first 2 shown]
	v_cmp_ne_u32_e64 s11, 0, v9
	s_wait_alu 0xfffe
	v_cndmask_b32_e64 v11, 0, 1, s10
	s_and_b32 s10, s6, s18
	s_and_b32 s6, s6, s22
	s_wait_alu 0xfffe
	v_cndmask_b32_e64 v47, 0, 1, s10
	v_cndmask_b32_e64 v51, 0, 1, s6
	s_and_b32 s6, s7, s23
	s_and_b32 s10, s7, s19
	s_wait_alu 0xfffe
	v_cndmask_b32_e64 v52, 0, 1, s6
	s_and_b32 s6, s8, s24
	v_cndmask_b32_e64 v48, 0, 1, s10
	s_and_b32 s10, s8, s20
	s_wait_alu 0xfffe
	v_cndmask_b32_e64 v53, 0, 1, s6
	s_and_b32 s6, s9, s25
	v_cndmask_b32_e64 v49, 0, 1, s10
	s_and_b32 s10, s9, s21
	s_wait_alu 0xfffe
	v_cndmask_b32_e64 v54, 0, 1, s6
	v_cmp_ne_u32_e64 s6, 0, v4
	v_cmp_ne_u32_e64 s7, 0, v5
	v_cndmask_b32_e64 v50, 0, 1, s10
	v_cmp_ne_u32_e64 s8, 0, v6
	v_cmp_ne_u32_e64 s10, 0, v8
	;; [unrolled: 1-line block ×6, first 2 shown]
	s_bcnt1_i32_b32 s6, s6
	s_bcnt1_i32_b32 s7, s7
	v_cmp_ne_u32_e64 s13, 0, v11
	v_cmp_ne_u32_e64 s16, 0, v49
	;; [unrolled: 1-line block ×4, first 2 shown]
	s_bcnt1_i32_b32 s8, s8
	s_bcnt1_i32_b32 s10, s10
	;; [unrolled: 1-line block ×3, first 2 shown]
	s_wait_alu 0xfffe
	s_add_co_i32 s6, s7, s6
	v_cmp_ne_u32_e64 s17, 0, v50
	v_cmp_ne_u32_e64 s20, 0, v53
	s_bcnt1_i32_b32 s9, s9
	s_bcnt1_i32_b32 s12, s12
	;; [unrolled: 1-line block ×4, first 2 shown]
	s_add_co_i32 s7, s11, s10
	s_wait_alu 0xfffe
	s_add_co_i32 s6, s6, s8
	v_cmp_ne_u32_e64 s21, 0, v54
	s_bcnt1_i32_b32 s13, s13
	s_bcnt1_i32_b32 s16, s16
	;; [unrolled: 1-line block ×4, first 2 shown]
	s_add_co_i32 s10, s15, s14
	s_add_co_i32 s7, s7, s12
	s_wait_alu 0xfffe
	s_add_co_i32 s44, s6, s9
	s_bcnt1_i32_b32 s17, s17
	s_bcnt1_i32_b32 s20, s20
	s_add_co_i32 s11, s19, s18
	s_add_co_i32 s8, s10, s16
	s_wait_alu 0xfffe
	s_add_nc_u64 s[72:73], s[72:73], s[44:45]
	s_add_co_i32 s44, s7, s13
	s_bcnt1_i32_b32 s21, s21
	s_add_co_i32 s10, s11, s20
	s_wait_alu 0xfffe
	s_add_nc_u64 s[70:71], s[70:71], s[44:45]
	s_add_co_i32 s44, s8, s17
	v_mov_b32_e32 v4, s72
	s_wait_alu 0xfffe
	s_add_nc_u64 s[68:69], s[68:69], s[44:45]
	s_add_co_i32 s44, s10, s21
	v_mov_b32_e32 v6, s70
	s_wait_alu 0xfffe
	s_add_nc_u64 s[66:67], s[66:67], s[44:45]
	v_mov_b32_e32 v8, s68
	s_wait_alu 0xfffe
	v_dual_mov_b32 v10, s66 :: v_dual_mov_b32 v5, s73
	v_mov_b32_e32 v7, s71
	v_mov_b32_e32 v9, s69
	;; [unrolled: 1-line block ×3, first 2 shown]
	s_or_b32 s63, vcc_lo, s63
	s_wait_alu 0xfffe
	s_and_not1_b32 exec_lo, exec_lo, s63
	s_cbranch_execnz .LBB132_67
; %bb.68:                               ;   in Loop: Header=BB132_20 Depth=1
	s_or_b32 exec_lo, exec_lo, s63
.LBB132_69:                             ;   in Loop: Header=BB132_20 Depth=1
	s_delay_alu instid0(SALU_CYCLE_1)
	s_or_b32 exec_lo, exec_lo, s61
	v_add_co_u32 v28, s6, s64, v0
	s_wait_alu 0xf1ff
	v_add_co_ci_u32_e64 v29, null, s65, 0, s6
	s_mov_b32 s10, exec_lo
	v_cmpx_gt_u64_e64 s[28:29], v[28:29]
	s_cbranch_execz .LBB132_75
; %bb.70:                               ;   in Loop: Header=BB132_20 Depth=1
	v_mul_lo_u32 v45, v29, s36
	v_mul_lo_u32 v46, v28, s37
	v_mad_co_u64_u32 v[30:31], null, v28, s36, 0
	s_mov_b32 s11, 0
	v_add3_u32 v31, v31, v46, v45
	s_delay_alu instid0(VALU_DEP_1) | instskip(NEXT) | instid1(VALU_DEP_1)
	v_lshlrev_b64_e32 v[30:31], 1, v[30:31]
	v_add_co_u32 v30, vcc_lo, s48, v30
	s_wait_alu 0xfffd
	s_delay_alu instid0(VALU_DEP_2)
	v_add_co_ci_u32_e64 v31, null, s49, v31, vcc_lo
	global_load_u16 v31, v[30:31], off
	s_branch .LBB132_72
.LBB132_71:                             ;   in Loop: Header=BB132_72 Depth=2
	s_wait_alu 0xfffe
	s_or_b32 exec_lo, exec_lo, s7
	s_wait_loadcnt 0x0
	v_cmp_lt_i16_e64 s6, -1, v31
	v_and_b32_e32 v45, 0xffff, v31
	s_and_b32 s7, exec_lo, vcc_lo
	s_wait_alu 0xfffe
	s_or_b32 s11, s7, s11
	v_cndmask_b32_e64 v46, 0xffff, v42, s6
	v_cmp_o_f16_e64 s6, v31, v31
	s_delay_alu instid0(VALU_DEP_2) | instskip(SKIP_1) | instid1(VALU_DEP_1)
	v_xor_b32_e32 v45, v46, v45
	s_wait_alu 0xf1ff
	v_cndmask_b32_e64 v31, 0xffff, v45, s6
	s_delay_alu instid0(VALU_DEP_1) | instskip(SKIP_1) | instid1(VALU_DEP_2)
	v_and_b32_e32 v45, v31, v43
	v_bfe_u32 v31, v31, s84, 2
	v_cmp_eq_u32_e32 vcc_lo, v45, v20
	s_delay_alu instid0(VALU_DEP_2)
	v_cmp_eq_u32_e64 s6, 0, v31
	v_cmp_eq_u32_e64 s7, 1, v31
	;; [unrolled: 1-line block ×4, first 2 shown]
	s_and_b32 s6, vcc_lo, s6
	s_wait_alu 0xfffe
	v_cndmask_b32_e64 v31, 0, 1, s6
	s_and_b32 s6, vcc_lo, s7
	s_wait_alu 0xfffe
	v_cndmask_b32_e64 v45, 0, 1, s6
	;; [unrolled: 3-line block ×3, first 2 shown]
	s_and_b32 s6, vcc_lo, s9
	v_cmp_ne_u32_e32 vcc_lo, 0, v31
	s_wait_alu 0xfffe
	v_cndmask_b32_e64 v47, 0, 1, s6
	v_cmp_ne_u32_e64 s6, 0, v45
	v_cmp_ne_u32_e64 s7, 0, v46
	v_mov_b32_e32 v31, v30
	s_bcnt1_i32_b32 s9, vcc_lo
	v_cmp_ne_u32_e64 s8, 0, v47
	s_bcnt1_i32_b32 s6, s6
	s_wait_alu 0xfffe
	v_add_co_u32 v4, vcc_lo, v4, s9
	s_bcnt1_i32_b32 s7, s7
	s_wait_alu 0xfffd
	v_add_co_ci_u32_e64 v5, null, 0, v5, vcc_lo
	v_add_co_u32 v6, vcc_lo, v6, s6
	s_wait_alu 0xfffd
	v_add_co_ci_u32_e64 v7, null, 0, v7, vcc_lo
	s_wait_alu 0xfffe
	v_add_co_u32 v8, vcc_lo, v8, s7
	s_bcnt1_i32_b32 s6, s8
	s_wait_alu 0xfffd
	v_add_co_ci_u32_e64 v9, null, 0, v9, vcc_lo
	s_wait_alu 0xfffe
	v_add_co_u32 v10, vcc_lo, v10, s6
	s_wait_alu 0xfffd
	v_add_co_ci_u32_e64 v11, null, 0, v11, vcc_lo
	s_and_not1_b32 exec_lo, exec_lo, s11
	s_cbranch_execz .LBB132_74
.LBB132_72:                             ;   Parent Loop BB132_20 Depth=1
                                        ; =>  This Inner Loop Header: Depth=2
	v_add_co_u32 v28, vcc_lo, v28, v2
	s_wait_alu 0xfffd
	v_add_co_ci_u32_e64 v29, null, 0, v29, vcc_lo
	v_mov_b32_e32 v30, 0
	s_mov_b32 s7, exec_lo
	s_delay_alu instid0(VALU_DEP_2)
	v_cmp_le_u64_e32 vcc_lo, s[28:29], v[28:29]
	v_cmpx_gt_u64_e64 s[28:29], v[28:29]
	s_cbranch_execz .LBB132_71
; %bb.73:                               ;   in Loop: Header=BB132_72 Depth=2
	v_mul_lo_u32 v30, v29, s36
	v_mul_lo_u32 v47, v28, s37
	v_mad_co_u64_u32 v[45:46], null, v28, s36, 0
	s_delay_alu instid0(VALU_DEP_1) | instskip(NEXT) | instid1(VALU_DEP_1)
	v_add3_u32 v46, v46, v47, v30
	v_lshlrev_b64_e32 v[45:46], 1, v[45:46]
	s_delay_alu instid0(VALU_DEP_1) | instskip(SKIP_1) | instid1(VALU_DEP_2)
	v_add_co_u32 v45, s6, s48, v45
	s_wait_alu 0xf1ff
	v_add_co_ci_u32_e64 v46, null, s49, v46, s6
	global_load_u16 v30, v[45:46], off
	s_branch .LBB132_71
.LBB132_74:                             ;   in Loop: Header=BB132_20 Depth=1
	s_or_b32 exec_lo, exec_lo, s11
.LBB132_75:                             ;   in Loop: Header=BB132_20 Depth=1
	s_wait_alu 0xfffe
	s_or_b32 exec_lo, exec_lo, s10
	s_branch .LBB132_54
.LBB132_76:                             ;   in Loop: Header=BB132_20 Depth=1
	global_load_u16 v2, v3, s[58:59]
	v_mov_b32_e32 v6, 0
	v_mov_b32_e32 v8, 0
	v_dual_mov_b32 v10, 0 :: v_dual_mov_b32 v9, 0
	v_mov_b32_e32 v11, 0
	s_mov_b32 s66, exec_lo
	v_mov_b32_e32 v7, 0
	s_wait_loadcnt 0x0
	v_readfirstlane_b32 s6, v2
	v_and_b32_e32 v2, 0xffff, v2
	s_and_b32 s61, 0xffff, s6
	s_delay_alu instid0(SALU_CYCLE_1) | instskip(SKIP_4) | instid1(SALU_CYCLE_1)
	s_lshl_b32 s65, s61, 2
	s_wait_alu 0xfffe
	s_cvt_f32_u32 s6, s65
	s_sub_co_i32 s7, 0, s65
	s_wait_alu 0xfffe
	v_rcp_iflag_f32_e32 v4, s6
	s_delay_alu instid0(TRANS32_DEP_1) | instskip(SKIP_2) | instid1(SALU_CYCLE_2)
	v_readfirstlane_b32 s6, v4
	s_mul_f32 s6, s6, 0x4f7ffffe
	s_wait_alu 0xfffe
	s_cvt_u32_f32 s6, s6
	s_wait_alu 0xfffe
	s_delay_alu instid0(SALU_CYCLE_2)
	s_mul_i32 s7, s7, s6
	s_wait_alu 0xfffe
	s_mul_hi_u32 s7, s6, s7
	s_wait_alu 0xfffe
	s_add_co_i32 s6, s6, s7
	s_wait_alu 0xfffe
	s_mul_hi_u32 s6, s60, s6
	s_wait_alu 0xfffe
	s_mul_i32 s7, s6, s65
	s_add_co_i32 s8, s6, 1
	s_wait_alu 0xfffe
	s_sub_co_i32 s7, s60, s7
	s_wait_alu 0xfffe
	s_sub_co_i32 s9, s7, s65
	s_cmp_ge_u32 s7, s65
	s_cselect_b32 s6, s8, s6
	s_wait_alu 0xfffe
	s_cselect_b32 s7, s9, s7
	s_add_co_i32 s8, s6, 1
	s_wait_alu 0xfffe
	s_cmp_ge_u32 s7, s65
	s_cselect_b32 s64, s8, s6
	s_wait_alu 0xfffe
	v_mul_hi_u32 v5, s64, v2
	v_mul_lo_u32 v4, s64, v2
	s_delay_alu instid0(VALU_DEP_1) | instskip(SKIP_2) | instid1(VALU_DEP_3)
	v_lshlrev_b64_e32 v[28:29], 2, v[4:5]
	v_mov_b32_e32 v4, 0
	v_mov_b32_e32 v5, 0
	v_cmpx_gt_u64_e64 v[28:29], v[14:15]
	s_cbranch_execz .LBB132_80
; %bb.77:                               ;   in Loop: Header=BB132_20 Depth=1
	v_mov_b32_e32 v31, v15
	v_dual_mov_b32 v45, v39 :: v_dual_mov_b32 v30, v14
	s_lshl_b32 s67, s61, 3
	s_mov_b64 s[20:21], 0
	s_mov_b32 s68, 0
	s_mov_b64 s[22:23], 0
	s_mov_b64 s[24:25], 0
	;; [unrolled: 1-line block ×3, first 2 shown]
.LBB132_78:                             ;   Parent Loop BB132_20 Depth=1
                                        ; =>  This Inner Loop Header: Depth=2
	ds_load_b64 v[4:5], v45
	v_add_co_u32 v30, vcc_lo, v30, s65
	s_wait_alu 0xfffd
	v_add_co_ci_u32_e64 v31, null, 0, v31, vcc_lo
	s_delay_alu instid0(VALU_DEP_1)
	v_cmp_ge_u64_e32 vcc_lo, v[30:31], v[28:29]
	s_wait_dscnt 0x0
	v_cmp_lt_i16_e64 s6, -1, v4
	v_lshrrev_b32_e32 v6, 16, v4
	v_lshrrev_b32_e32 v11, 16, v5
	v_and_b32_e32 v7, 0xffff, v4
	v_and_b32_e32 v9, 0xffff, v5
	s_wait_alu 0xf1ff
	v_cndmask_b32_e64 v8, 0xffff, v42, s6
	v_cmp_lt_i16_e64 s6, -1, v5
	v_cmp_lt_i16_e64 s7, -1, v11
	s_delay_alu instid0(VALU_DEP_3) | instskip(SKIP_1) | instid1(VALU_DEP_3)
	v_xor_b32_e32 v7, v8, v7
	s_wait_alu 0xf1ff
	v_cndmask_b32_e64 v10, 0xffff, v42, s6
	v_cmp_lt_i16_e64 s6, -1, v6
	s_delay_alu instid0(VALU_DEP_2) | instskip(SKIP_1) | instid1(VALU_DEP_2)
	v_xor_b32_e32 v9, v10, v9
	s_wait_alu 0xf1ff
	v_cndmask_b32_e64 v8, 0xffff, v42, s6
	v_cmp_o_f16_e64 s6, v5, v5
	v_cndmask_b32_e64 v5, 0xffff, v42, s7
	v_cmp_o_f16_e64 s7, v4, v4
	s_delay_alu instid0(VALU_DEP_2) | instskip(SKIP_1) | instid1(VALU_DEP_2)
	v_xor_b32_e32 v5, v5, v11
	s_wait_alu 0xf1ff
	v_cndmask_b32_e64 v4, 0xffff, v7, s7
	v_xor_b32_e32 v7, v8, v6
	v_cmp_o_f16_e64 s7, v6, v6
	v_cndmask_b32_e64 v8, 0xffff, v9, s6
	v_cmp_o_f16_e64 s6, v11, v11
	s_wait_alu 0xf1ff
	s_delay_alu instid0(VALU_DEP_3)
	v_cndmask_b32_e64 v6, 0xffff, v7, s7
	v_and_b32_e32 v7, v4, v43
	v_bfe_u32 v4, v4, s84, 2
	v_and_b32_e32 v9, v8, v43
	v_bfe_u32 v8, v8, s84, 2
	v_cndmask_b32_e64 v5, 0xffff, v5, s6
	v_cmp_eq_u32_e64 s6, v7, v20
	v_cmp_eq_u32_e64 s8, 0, v4
	v_and_b32_e32 v7, v6, v43
	v_cmp_eq_u32_e64 s7, v9, v20
	v_bfe_u32 v6, v6, s84, 2
	v_cmp_eq_u32_e64 s9, 0, v8
	v_cmp_eq_u32_e64 s10, 1, v4
	;; [unrolled: 1-line block ×3, first 2 shown]
	v_and_b32_e32 v9, v5, v43
	v_bfe_u32 v5, v5, s84, 2
	v_cmp_eq_u32_e64 s11, 1, v8
	v_cmp_eq_u32_e64 s13, 2, v8
	;; [unrolled: 1-line block ×3, first 2 shown]
	s_and_b32 s8, s6, s8
	v_cmp_eq_u32_e64 s15, 3, v8
	v_cmp_eq_u32_e64 s16, v7, v20
	;; [unrolled: 1-line block ×3, first 2 shown]
	s_wait_alu 0xfffe
	v_cndmask_b32_e64 v4, 0, 1, s8
	s_and_b32 s8, s7, s9
	s_and_b32 s10, s6, s10
	s_and_b32 s12, s6, s12
	v_cmp_eq_u32_e64 s17, v9, v20
	v_cmp_eq_u32_e64 s19, 0, v5
	s_wait_alu 0xfffe
	v_cndmask_b32_e64 v7, 0, 1, s8
	v_cmp_eq_u32_e64 s8, 1, v6
	v_cndmask_b32_e64 v8, 0, 1, s10
	s_and_b32 s10, s7, s11
	v_cndmask_b32_e64 v10, 0, 1, s12
	s_and_b32 s12, s7, s13
	s_and_b32 s6, s6, s14
	v_cmp_eq_u32_e64 s9, 1, v5
	s_wait_alu 0xfffe
	v_cndmask_b32_e64 v9, 0, 1, s10
	v_cmp_eq_u32_e64 s10, 2, v6
	v_cmp_eq_u32_e64 s11, 2, v5
	v_cndmask_b32_e64 v11, 0, 1, s12
	v_cmp_eq_u32_e64 s12, 3, v6
	v_cmp_eq_u32_e64 s13, 3, v5
	v_cndmask_b32_e64 v5, 0, 1, s6
	s_and_b32 s6, s7, s15
	s_and_b32 s7, s16, s18
	s_wait_alu 0xfffe
	v_cndmask_b32_e64 v6, 0, 1, s6
	v_cmp_ne_u32_e64 s6, 0, v4
	v_cndmask_b32_e64 v4, 0, 1, s7
	s_and_b32 s14, s17, s19
	s_and_b32 s8, s16, s8
	v_cmp_ne_u32_e64 s7, 0, v7
	s_wait_alu 0xfffe
	v_cndmask_b32_e64 v7, 0, 1, s14
	v_cmp_ne_u32_e64 s14, 0, v8
	v_cndmask_b32_e64 v8, 0, 1, s8
	s_and_b32 s9, s17, s9
	s_and_b32 s10, s16, s10
	;; [unrolled: 1-line block ×4, first 2 shown]
	v_cmp_ne_u32_e64 s8, 0, v9
	s_wait_alu 0xfffe
	v_cndmask_b32_e64 v9, 0, 1, s9
	v_cmp_ne_u32_e64 s9, 0, v10
	v_cndmask_b32_e64 v10, 0, 1, s10
	v_cmp_ne_u32_e64 s10, 0, v11
	;; [unrolled: 2-line block ×3, first 2 shown]
	v_cndmask_b32_e64 v5, 0, 1, s12
	s_and_b32 s13, s17, s13
	s_bcnt1_i32_b32 s15, s6
	v_cmp_ne_u32_e64 s6, 0, v4
	v_cmp_ne_u32_e64 s12, 0, v6
	s_wait_alu 0xfffe
	v_cndmask_b32_e64 v6, 0, 1, s13
	v_cmp_ne_u32_e64 s13, 0, v8
	s_bcnt1_i32_b32 s16, s7
	v_cmp_ne_u32_e64 s7, 0, v7
	s_bcnt1_i32_b32 s18, s9
	;; [unrolled: 2-line block ×4, first 2 shown]
	s_bcnt1_i32_b32 s17, s8
	v_cmp_ne_u32_e64 s8, 0, v9
	s_bcnt1_i32_b32 s14, s14
	s_bcnt1_i32_b32 s13, s13
	s_wait_alu 0xfffe
	s_add_co_i32 s6, s6, s15
	s_bcnt1_i32_b32 s19, s10
	v_cmp_ne_u32_e64 s10, 0, v11
	s_bcnt1_i32_b32 s7, s7
	s_bcnt1_i32_b32 s9, s9
	;; [unrolled: 1-line block ×3, first 2 shown]
	s_add_co_i32 s13, s13, s14
	s_wait_alu 0xfffe
	s_add_co_i32 s6, s6, s16
	s_bcnt1_i32_b32 s69, s12
	v_cmp_ne_u32_e64 s12, 0, v6
	s_bcnt1_i32_b32 s8, s8
	s_add_co_i32 s9, s9, s18
	s_add_co_i32 s11, s11, s44
	;; [unrolled: 1-line block ×3, first 2 shown]
	s_wait_alu 0xfffe
	s_add_co_i32 s44, s6, s7
	s_bcnt1_i32_b32 s10, s10
	s_add_co_i32 s9, s9, s19
	s_wait_alu 0xfffe
	s_add_nc_u64 s[62:63], s[62:63], s[44:45]
	s_add_co_i32 s44, s13, s8
	s_bcnt1_i32_b32 s12, s12
	s_add_co_i32 s11, s11, s69
	s_wait_alu 0xfffe
	s_add_nc_u64 s[24:25], s[24:25], s[44:45]
	s_add_co_i32 s44, s9, s10
	v_dual_mov_b32 v4, s62 :: v_dual_add_nc_u32 v45, s67, v45
	s_wait_alu 0xfffe
	s_add_nc_u64 s[22:23], s[22:23], s[44:45]
	s_add_co_i32 s44, s11, s12
	v_mov_b32_e32 v6, s24
	s_wait_alu 0xfffe
	s_add_nc_u64 s[20:21], s[20:21], s[44:45]
	v_mov_b32_e32 v8, s22
	s_wait_alu 0xfffe
	v_dual_mov_b32 v10, s20 :: v_dual_mov_b32 v5, s63
	v_mov_b32_e32 v7, s25
	v_mov_b32_e32 v9, s23
	v_mov_b32_e32 v11, s21
	s_or_b32 s68, vcc_lo, s68
	s_wait_alu 0xfffe
	s_and_not1_b32 exec_lo, exec_lo, s68
	s_cbranch_execnz .LBB132_78
; %bb.79:                               ;   in Loop: Header=BB132_20 Depth=1
	s_or_b32 exec_lo, exec_lo, s68
.LBB132_80:                             ;   in Loop: Header=BB132_20 Depth=1
	s_delay_alu instid0(SALU_CYCLE_1)
	s_or_b32 exec_lo, exec_lo, s66
	v_add_co_u32 v28, vcc_lo, v28, v0
	s_wait_alu 0xfffd
	v_add_co_ci_u32_e64 v29, null, 0, v29, vcc_lo
	s_and_b32 s44, s60, 0x7fffffff
	s_mov_b32 s11, exec_lo
	s_wait_alu 0xfffe
	v_cmpx_gt_u64_e64 s[44:45], v[28:29]
	s_cbranch_execz .LBB132_84
; %bb.81:                               ;   in Loop: Header=BB132_20 Depth=1
	s_mul_i32 s64, s64, s61
	s_lshl_b32 s13, s61, 1
	s_wait_alu 0xfffe
	v_lshl_add_u32 v30, s64, 3, v33
	s_mov_b32 s12, 0
.LBB132_82:                             ;   Parent Loop BB132_20 Depth=1
                                        ; =>  This Inner Loop Header: Depth=2
	ds_load_u16 v31, v30
	v_add_co_u32 v28, vcc_lo, v28, v2
	s_wait_alu 0xfffd
	v_add_co_ci_u32_e64 v29, null, 0, v29, vcc_lo
	v_add_nc_u32_e32 v30, s13, v30
	s_delay_alu instid0(VALU_DEP_2) | instskip(SKIP_4) | instid1(VALU_DEP_2)
	v_cmp_le_u64_e32 vcc_lo, s[44:45], v[28:29]
	s_wait_dscnt 0x0
	v_cmp_lt_i16_e64 s6, -1, v31
	v_and_b32_e32 v45, 0xffff, v31
	s_wait_alu 0xf1ff
	v_cndmask_b32_e64 v46, 0xffff, v42, s6
	v_cmp_o_f16_e64 s6, v31, v31
	s_delay_alu instid0(VALU_DEP_2) | instskip(SKIP_1) | instid1(VALU_DEP_1)
	v_xor_b32_e32 v45, v46, v45
	s_wait_alu 0xf1ff
	v_cndmask_b32_e64 v31, 0xffff, v45, s6
	s_delay_alu instid0(VALU_DEP_1) | instskip(SKIP_1) | instid1(VALU_DEP_2)
	v_and_b32_e32 v45, v31, v43
	v_bfe_u32 v31, v31, s84, 2
	v_cmp_eq_u32_e64 s6, v45, v20
	s_delay_alu instid0(VALU_DEP_2)
	v_cmp_eq_u32_e64 s7, 0, v31
	v_cmp_eq_u32_e64 s8, 1, v31
	;; [unrolled: 1-line block ×4, first 2 shown]
	s_and_b32 s7, s6, s7
	s_wait_alu 0xfffe
	v_cndmask_b32_e64 v31, 0, 1, s7
	s_and_b32 s7, s6, s8
	s_wait_alu 0xfffe
	v_cndmask_b32_e64 v45, 0, 1, s7
	s_and_b32 s7, s6, s9
	s_and_b32 s6, s6, s10
	s_wait_alu 0xfffe
	v_cndmask_b32_e64 v46, 0, 1, s7
	v_cndmask_b32_e64 v47, 0, 1, s6
	v_cmp_ne_u32_e64 s6, 0, v31
	v_cmp_ne_u32_e64 s7, 0, v45
	s_delay_alu instid0(VALU_DEP_4) | instskip(NEXT) | instid1(VALU_DEP_4)
	v_cmp_ne_u32_e64 s8, 0, v46
	v_cmp_ne_u32_e64 s9, 0, v47
	s_bcnt1_i32_b32 s6, s6
	s_bcnt1_i32_b32 s7, s7
	s_wait_alu 0xfffe
	v_add_co_u32 v4, s6, v4, s6
	s_bcnt1_i32_b32 s8, s8
	v_add_co_ci_u32_e64 v5, null, 0, v5, s6
	v_add_co_u32 v6, s6, v6, s7
	s_bcnt1_i32_b32 s9, s9
	v_add_co_ci_u32_e64 v7, null, 0, v7, s6
	s_wait_alu 0xfffe
	v_add_co_u32 v8, s6, v8, s8
	s_wait_alu 0xf1ff
	v_add_co_ci_u32_e64 v9, null, 0, v9, s6
	v_add_co_u32 v10, s6, v10, s9
	s_wait_alu 0xf1ff
	v_add_co_ci_u32_e64 v11, null, 0, v11, s6
	s_or_b32 s12, vcc_lo, s12
	s_wait_alu 0xfffe
	s_and_not1_b32 exec_lo, exec_lo, s12
	s_cbranch_execnz .LBB132_82
; %bb.83:                               ;   in Loop: Header=BB132_20 Depth=1
	s_or_b32 exec_lo, exec_lo, s12
.LBB132_84:                             ;   in Loop: Header=BB132_20 Depth=1
	s_delay_alu instid0(SALU_CYCLE_1)
	s_or_b32 exec_lo, exec_lo, s11
	s_lshl_b32 s6, s87, 7
	s_and_saveexec_b32 s7, s1
	s_cbranch_execnz .LBB132_55
	s_branch .LBB132_56
.LBB132_85:                             ;   in Loop: Header=BB132_20 Depth=1
                                        ; implicit-def: $sgpr6_sgpr7
	s_branch .LBB132_64
.LBB132_86:                             ;   in Loop: Header=BB132_20 Depth=1
	s_mov_b32 s8, 0
	s_and_not1_b32 vcc_lo, exec_lo, s81
	s_wait_alu 0xfffe
	s_cbranch_vccnz .LBB132_89
.LBB132_87:                             ;   in Loop: Header=BB132_20 Depth=1
	s_lshl_b32 s9, s87, 10
	s_lshl_b32 s8, s8, 5
	s_wait_alu 0xfffe
	v_add3_u32 v2, s9, s8, v40
	s_mov_b32 s8, s77
.LBB132_88:                             ;   Parent Loop BB132_20 Depth=1
                                        ; =>  This Inner Loop Header: Depth=2
	ds_load_b64 v[6:7], v2
	v_add_nc_u32_e32 v2, 32, v2
	s_wait_alu 0xfffe
	s_add_co_i32 s8, s8, -1
	s_wait_alu 0xfffe
	s_cmp_lg_u32 s8, 0
	s_wait_dscnt 0x0
	v_add_co_u32 v4, vcc_lo, v6, v4
	s_wait_alu 0xfffd
	v_add_co_ci_u32_e64 v5, null, v7, v5, vcc_lo
	s_cbranch_scc1 .LBB132_88
.LBB132_89:                             ;   in Loop: Header=BB132_20 Depth=1
	v_add_lshl_u32 v2, s6, v32, 3
	ds_store_b64 v2, v[4:5] offset:3072
.LBB132_90:                             ;   in Loop: Header=BB132_20 Depth=1
	s_wait_alu 0xfffe
	s_or_b32 exec_lo, exec_lo, s7
	s_lshl_b32 s6, s6, 3
	s_wait_loadcnt_dscnt 0x0
	s_wait_alu 0xfffe
	v_mov_b32_e32 v2, s6
	s_barrier_signal -1
	s_barrier_wait -1
	global_inv scope:SCOPE_SE
	v_cmp_eq_u64_e32 vcc_lo, 1, v[26:27]
	ds_load_b128 v[4:7], v2 offset:3072
	ds_load_b128 v[8:11], v2 offset:3088
	s_lshl_b32 s16, 3, s84
	s_mov_b32 s18, -1
	s_wait_alu 0xfffe
	s_not_b32 s20, s16
                                        ; implicit-def: $sgpr22
                                        ; implicit-def: $sgpr21
	s_wait_dscnt 0x1
	v_cmp_eq_u64_e64 s6, 1, v[4:5]
	s_wait_dscnt 0x0
	v_readfirstlane_b32 s10, v8
	v_readfirstlane_b32 s11, v9
	;; [unrolled: 1-line block ×4, first 2 shown]
	s_and_b32 s19, s6, vcc_lo
	s_mov_b32 s6, -1
	s_and_saveexec_b32 s17, s19
	s_cbranch_execz .LBB132_124
; %bb.91:                               ;   in Loop: Header=BB132_20 Depth=1
	ds_load_b64 v[8:9], v3 offset:5120
	s_wait_loadcnt_dscnt 0x0
	s_barrier_signal -1
	s_barrier_wait -1
	global_inv scope:SCOPE_SE
	v_readfirstlane_b32 s6, v8
	v_readfirstlane_b32 s7, v9
	s_and_saveexec_b32 s12, s0
; %bb.92:                               ;   in Loop: Header=BB132_20 Depth=1
	ds_store_b16 v34, v3
; %bb.93:                               ;   in Loop: Header=BB132_20 Depth=1
	s_wait_alu 0xfffe
	s_or_b32 exec_lo, exec_lo, s12
	v_and_b32_e32 v20, s20, v20
	v_or_b32_e32 v43, s16, v43
	s_mov_b32 s21, -1
	s_mov_b32 s22, 0
	s_cmp_eq_u64 s[6:7], 0
	s_mov_b32 s14, 0
	s_mov_b32 s15, -1
	s_wait_loadcnt_dscnt 0x0
	s_barrier_signal -1
	s_barrier_wait -1
	global_inv scope:SCOPE_SE
                                        ; implicit-def: $vgpr44
	s_cbranch_scc1 .LBB132_108
; %bb.94:                               ;   in Loop: Header=BB132_20 Depth=1
	s_add_nc_u64 s[12:13], s[6:7], s[50:51]
	s_mov_b32 s14, s45
	s_wait_alu 0xfffe
	s_mov_b32 s15, s13
	s_wait_alu 0xfffe
	s_cmp_lg_u64 s[14:15], 0
	s_cbranch_scc0 .LBB132_151
; %bb.95:                               ;   in Loop: Header=BB132_20 Depth=1
	s_cvt_f32_u32 s14, s42
	s_sub_nc_u64 s[24:25], 0, s[42:43]
	s_wait_alu 0xfffe
	s_delay_alu instid0(SALU_CYCLE_1) | instskip(SKIP_1) | instid1(SALU_CYCLE_2)
	s_fmamk_f32 s14, s83, 0x0, s14
	s_wait_alu 0xfffe
	v_s_rcp_f32 s14, s14
	s_delay_alu instid0(TRANS32_DEP_1) | instskip(SKIP_1) | instid1(SALU_CYCLE_2)
	s_mul_f32 s14, s14, 0x5f7ffffc
	s_wait_alu 0xfffe
	s_mul_f32 s15, s14, 0x2f800000
	s_wait_alu 0xfffe
	s_delay_alu instid0(SALU_CYCLE_2) | instskip(SKIP_1) | instid1(SALU_CYCLE_2)
	s_trunc_f32 s15, s15
	s_wait_alu 0xfffe
	s_fmamk_f32 s14, s15, 0xcf800000, s14
	s_cvt_u32_f32 s15, s15
	s_wait_alu 0xfffe
	s_delay_alu instid0(SALU_CYCLE_1) | instskip(SKIP_1) | instid1(SALU_CYCLE_2)
	s_cvt_u32_f32 s14, s14
	s_wait_alu 0xfffe
	s_mul_u64 s[60:61], s[24:25], s[14:15]
	s_delay_alu instid0(SALU_CYCLE_1)
	s_mul_hi_u32 s63, s14, s61
	s_mul_i32 s62, s14, s61
	s_mul_hi_u32 s44, s14, s60
	s_mul_i32 s64, s15, s60
	s_wait_alu 0xfffe
	s_add_nc_u64 s[62:63], s[44:45], s[62:63]
	s_mul_hi_u32 s23, s15, s60
	s_mul_hi_u32 s65, s15, s61
	s_wait_alu 0xfffe
	s_add_co_u32 s44, s62, s64
	s_add_co_ci_u32 s44, s63, s23
	s_mul_i32 s60, s15, s61
	s_add_co_ci_u32 s61, s65, 0
	s_wait_alu 0xfffe
	s_add_nc_u64 s[60:61], s[44:45], s[60:61]
	s_delay_alu instid0(SALU_CYCLE_1)
	s_add_co_u32 s14, s14, s60
	s_cselect_b32 s23, -1, 0
	s_wait_alu 0xfffe
	s_cmp_lg_u32 s23, 0
	s_add_co_ci_u32 s15, s15, s61
	s_wait_alu 0xfffe
	s_mul_u64 s[24:25], s[24:25], s[14:15]
	s_wait_alu 0xfffe
	s_mul_hi_u32 s61, s14, s25
	s_mul_i32 s60, s14, s25
	s_mul_hi_u32 s44, s14, s24
	s_mul_i32 s62, s15, s24
	s_wait_alu 0xfffe
	s_add_nc_u64 s[60:61], s[44:45], s[60:61]
	s_mul_hi_u32 s23, s15, s24
	s_mul_hi_u32 s63, s15, s25
	s_mul_i32 s24, s15, s25
	s_add_co_u32 s25, s60, s62
	s_wait_alu 0xfffe
	s_add_co_ci_u32 s44, s61, s23
	s_add_co_ci_u32 s25, s63, 0
	s_wait_alu 0xfffe
	s_add_nc_u64 s[24:25], s[44:45], s[24:25]
	s_wait_alu 0xfffe
	s_add_co_u32 s14, s14, s24
	s_cselect_b32 s23, -1, 0
	s_wait_alu 0xfffe
	s_mul_hi_u32 s44, s12, s14
	s_cmp_lg_u32 s23, 0
	s_mul_hi_u32 s23, s13, s14
	s_add_co_ci_u32 s24, s15, s25
	s_mul_i32 s25, s13, s14
	s_wait_alu 0xfffe
	s_mul_hi_u32 s15, s12, s24
	s_mul_i32 s14, s12, s24
	s_mul_hi_u32 s60, s13, s24
	s_wait_alu 0xfffe
	s_add_nc_u64 s[14:15], s[44:45], s[14:15]
	s_mul_i32 s24, s13, s24
	s_wait_alu 0xfffe
	s_add_co_u32 s14, s14, s25
	s_add_co_ci_u32 s44, s15, s23
	s_add_co_ci_u32 s25, s60, 0
	s_wait_alu 0xfffe
	s_add_nc_u64 s[14:15], s[44:45], s[24:25]
	s_wait_alu 0xfffe
	s_mul_u64 s[14:15], s[42:43], s[14:15]
	s_wait_alu 0xfffe
	s_sub_co_u32 s14, s12, s14
	s_cselect_b32 s23, -1, 0
	s_wait_alu 0xfffe
	s_cmp_lg_u32 s23, 0
	s_sub_co_ci_u32 s15, s13, s15
	s_sub_co_u32 s23, s14, s42
	s_cselect_b32 s24, -1, 0
	s_wait_alu 0xfffe
	s_cmp_lg_u32 s24, 0
	s_sub_co_ci_u32 s24, s15, 0
	;; [unrolled: 5-line block ×3, first 2 shown]
	s_cmp_ge_u32 s23, s42
	s_cselect_b32 s60, -1, 0
	s_cmp_eq_u32 s24, 0
	s_cselect_b32 s60, s60, -1
	s_delay_alu instid0(SALU_CYCLE_1)
	s_cmp_lg_u32 s60, 0
	s_wait_alu 0xfffe
	s_cselect_b32 s24, s44, s24
	s_cselect_b32 s23, s25, s23
	s_cmp_ge_u32 s14, s42
	s_cselect_b32 s25, -1, 0
	s_cmp_eq_u32 s15, 0
	s_wait_alu 0xfffe
	s_cselect_b32 s25, s25, -1
	s_wait_alu 0xfffe
	s_cmp_lg_u32 s25, 0
	s_cselect_b32 s15, s24, s15
	s_cselect_b32 s14, s23, s14
	s_cbranch_execnz .LBB132_97
.LBB132_96:                             ;   in Loop: Header=BB132_20 Depth=1
	v_cvt_f32_u32_e32 v2, s42
	s_sub_co_i32 s15, 0, s42
	s_delay_alu instid0(VALU_DEP_1) | instskip(NEXT) | instid1(TRANS32_DEP_1)
	v_rcp_iflag_f32_e32 v2, v2
	v_mul_f32_e32 v2, 0x4f7ffffe, v2
	s_delay_alu instid0(VALU_DEP_1) | instskip(NEXT) | instid1(VALU_DEP_1)
	v_cvt_u32_f32_e32 v2, v2
	v_readfirstlane_b32 s14, v2
	s_wait_alu 0xfffe
	s_mul_i32 s15, s15, s14
	s_wait_alu 0xfffe
	s_mul_hi_u32 s15, s14, s15
	s_wait_alu 0xfffe
	s_add_co_i32 s14, s14, s15
	s_wait_alu 0xfffe
	s_mul_hi_u32 s14, s12, s14
	s_wait_alu 0xfffe
	s_mul_i32 s14, s14, s42
	s_wait_alu 0xfffe
	s_sub_co_i32 s14, s12, s14
	s_wait_alu 0xfffe
	s_sub_co_i32 s15, s14, s42
	s_cmp_ge_u32 s14, s42
	s_wait_alu 0xfffe
	s_cselect_b32 s14, s15, s14
	s_wait_alu 0xfffe
	s_sub_co_i32 s15, s14, s42
	s_cmp_ge_u32 s14, s42
	s_wait_alu 0xfffe
	s_cselect_b32 s44, s15, s14
	s_wait_alu 0xfffe
	s_mov_b64 s[14:15], s[44:45]
.LBB132_97:                             ;   in Loop: Header=BB132_20 Depth=1
	s_wait_alu 0xfffe
	s_sub_nc_u64 s[12:13], s[12:13], s[14:15]
	s_mov_b32 s15, 0
	s_mov_b32 s14, 0
	s_mov_b32 s23, exec_lo
                                        ; implicit-def: $vgpr44
	s_wait_alu 0xfffe
	v_cmpx_gt_u64_e64 s[12:13], v[0:1]
	s_cbranch_execz .LBB132_107
; %bb.98:                               ;   in Loop: Header=BB132_20 Depth=1
	v_dual_mov_b32 v2, v33 :: v_dual_mov_b32 v9, v1
	v_mov_b32_e32 v8, v0
                                        ; implicit-def: $sgpr24
	s_branch .LBB132_102
.LBB132_99:                             ;   in Loop: Header=BB132_102 Depth=2
	s_wait_alu 0xfffe
	s_or_b32 exec_lo, exec_lo, s25
	s_wait_loadcnt_dscnt 0x0
	s_barrier_signal -1
	s_barrier_wait -1
	global_inv scope:SCOPE_SE
	ds_load_b32 v10, v3 offset:3072
	s_wait_loadcnt_dscnt 0x0
	s_barrier_signal -1
	s_barrier_wait -1
	global_inv scope:SCOPE_SE
	v_cmp_neq_f16_e32 vcc_lo, 0, v10
	s_cbranch_vccnz .LBB132_105
; %bb.100:                              ;   in Loop: Header=BB132_102 Depth=2
	v_add_co_u32 v8, vcc_lo, v8, s42
	s_wait_alu 0xfffd
	v_add_co_ci_u32_e64 v9, null, 0, v9, vcc_lo
	v_add_nc_u32_e32 v2, s82, v2
	s_mov_b32 s25, 0
	s_delay_alu instid0(VALU_DEP_2)
	v_cmp_le_u64_e32 vcc_lo, s[12:13], v[8:9]
	s_or_not1_b32 s44, vcc_lo, exec_lo
.LBB132_101:                            ;   in Loop: Header=BB132_102 Depth=2
	s_wait_alu 0xfffe
	s_and_b32 s44, exec_lo, s44
	s_wait_alu 0xfffe
	s_or_b32 s14, s44, s14
	s_and_not1_b32 s24, s24, exec_lo
	s_and_b32 s25, s25, exec_lo
	s_wait_alu 0xfffe
	s_or_b32 s24, s24, s25
	s_and_not1_b32 exec_lo, exec_lo, s14
	s_cbranch_execz .LBB132_106
.LBB132_102:                            ;   Parent Loop BB132_20 Depth=1
                                        ; =>  This Inner Loop Header: Depth=2
	s_mov_b32 s25, exec_lo
	s_delay_alu instid0(VALU_DEP_1)
	v_cmpx_gt_u64_e64 s[6:7], v[8:9]
	s_cbranch_execz .LBB132_99
; %bb.103:                              ;   in Loop: Header=BB132_102 Depth=2
	ds_load_u16 v10, v2
	s_wait_dscnt 0x0
	v_cmp_lt_i16_e32 vcc_lo, -1, v10
	v_and_b32_e32 v11, 0xffff, v10
	s_wait_alu 0xfffd
	v_cndmask_b32_e32 v28, 0xffff, v42, vcc_lo
	v_cmp_o_f16_e32 vcc_lo, v10, v10
	s_delay_alu instid0(VALU_DEP_2) | instskip(SKIP_1) | instid1(VALU_DEP_1)
	v_xor_b32_e32 v11, v28, v11
	s_wait_alu 0xfffd
	v_cndmask_b32_e32 v11, 0xffff, v11, vcc_lo
	s_delay_alu instid0(VALU_DEP_1) | instskip(NEXT) | instid1(VALU_DEP_1)
	v_and_b32_e32 v11, v11, v43
	v_cmp_eq_u32_e32 vcc_lo, v11, v20
	s_and_b32 exec_lo, exec_lo, vcc_lo
	s_cbranch_execz .LBB132_99
; %bb.104:                              ;   in Loop: Header=BB132_102 Depth=2
	v_perm_b32 v10, v10, s86, 0x5040100
	ds_store_b32 v3, v10 offset:3072
	s_branch .LBB132_99
.LBB132_105:                            ;   in Loop: Header=BB132_102 Depth=2
	s_mov_b32 s44, -1
	s_mov_b32 s25, -1
                                        ; implicit-def: $vgpr8_vgpr9
                                        ; implicit-def: $vgpr2
	s_branch .LBB132_101
.LBB132_106:                            ;   in Loop: Header=BB132_20 Depth=1
	s_or_b32 exec_lo, exec_lo, s14
	v_lshrrev_b32_e32 v44, 16, v10
	s_wait_alu 0xfffe
	s_and_b32 s14, s24, exec_lo
.LBB132_107:                            ;   in Loop: Header=BB132_20 Depth=1
	s_or_b32 exec_lo, exec_lo, s23
.LBB132_108:                            ;   in Loop: Header=BB132_20 Depth=1
	s_wait_alu 0xfffe
	s_and_b32 vcc_lo, exec_lo, s15
	s_wait_alu 0xfffe
	s_cbranch_vccz .LBB132_123
; %bb.109:                              ;   in Loop: Header=BB132_20 Depth=1
	s_mov_b32 s6, s45
	s_mov_b32 s7, s53
	s_wait_alu 0xfffe
	s_cmp_lg_u64 s[6:7], 0
	s_cbranch_scc0 .LBB132_155
; %bb.110:                              ;   in Loop: Header=BB132_20 Depth=1
	s_cvt_f32_u32 s6, s42
	s_sub_nc_u64 s[12:13], 0, s[42:43]
	s_wait_alu 0xfffe
	s_delay_alu instid0(SALU_CYCLE_1) | instskip(SKIP_1) | instid1(SALU_CYCLE_2)
	s_fmamk_f32 s6, s83, 0x0, s6
	s_wait_alu 0xfffe
	v_s_rcp_f32 s6, s6
	s_delay_alu instid0(TRANS32_DEP_1) | instskip(SKIP_1) | instid1(SALU_CYCLE_2)
	s_mul_f32 s6, s6, 0x5f7ffffc
	s_wait_alu 0xfffe
	s_mul_f32 s7, s6, 0x2f800000
	s_wait_alu 0xfffe
	s_delay_alu instid0(SALU_CYCLE_2) | instskip(SKIP_1) | instid1(SALU_CYCLE_2)
	s_trunc_f32 s7, s7
	s_wait_alu 0xfffe
	s_fmamk_f32 s6, s7, 0xcf800000, s6
	s_cvt_u32_f32 s7, s7
	s_wait_alu 0xfffe
	s_delay_alu instid0(SALU_CYCLE_1) | instskip(SKIP_1) | instid1(SALU_CYCLE_2)
	s_cvt_u32_f32 s6, s6
	s_wait_alu 0xfffe
	s_mul_u64 s[22:23], s[12:13], s[6:7]
	s_wait_alu 0xfffe
	s_mul_hi_u32 s25, s6, s23
	s_mul_i32 s24, s6, s23
	s_mul_hi_u32 s44, s6, s22
	s_mul_i32 s21, s7, s22
	s_wait_alu 0xfffe
	s_add_nc_u64 s[24:25], s[44:45], s[24:25]
	s_mul_hi_u32 s15, s7, s22
	s_mul_hi_u32 s60, s7, s23
	s_wait_alu 0xfffe
	s_add_co_u32 s21, s24, s21
	s_add_co_ci_u32 s44, s25, s15
	s_mul_i32 s22, s7, s23
	s_add_co_ci_u32 s23, s60, 0
	s_wait_alu 0xfffe
	s_add_nc_u64 s[22:23], s[44:45], s[22:23]
	s_wait_alu 0xfffe
	s_add_co_u32 s6, s6, s22
	s_cselect_b32 s15, -1, 0
	s_wait_alu 0xfffe
	s_cmp_lg_u32 s15, 0
	s_add_co_ci_u32 s7, s7, s23
	s_wait_alu 0xfffe
	s_mul_u64 s[12:13], s[12:13], s[6:7]
	s_wait_alu 0xfffe
	s_mul_hi_u32 s23, s6, s13
	s_mul_i32 s22, s6, s13
	s_mul_hi_u32 s44, s6, s12
	s_mul_i32 s21, s7, s12
	s_wait_alu 0xfffe
	s_add_nc_u64 s[22:23], s[44:45], s[22:23]
	s_mul_hi_u32 s15, s7, s12
	s_mul_hi_u32 s24, s7, s13
	s_mul_i32 s12, s7, s13
	s_wait_alu 0xfffe
	s_add_co_u32 s13, s22, s21
	s_add_co_ci_u32 s44, s23, s15
	s_add_co_ci_u32 s13, s24, 0
	s_wait_alu 0xfffe
	s_add_nc_u64 s[12:13], s[44:45], s[12:13]
	s_wait_alu 0xfffe
	s_add_co_u32 s6, s6, s12
	s_cselect_b32 s12, -1, 0
	s_wait_alu 0xfffe
	s_mul_hi_u32 s44, s52, s6
	s_cmp_lg_u32 s12, 0
	s_mul_hi_u32 s15, s53, s6
	s_add_co_ci_u32 s12, s7, s13
	s_mul_i32 s13, s53, s6
	s_wait_alu 0xfffe
	s_mul_hi_u32 s7, s52, s12
	s_mul_i32 s6, s52, s12
	s_mul_hi_u32 s21, s53, s12
	s_wait_alu 0xfffe
	s_add_nc_u64 s[6:7], s[44:45], s[6:7]
	s_mul_i32 s12, s53, s12
	s_wait_alu 0xfffe
	s_add_co_u32 s6, s6, s13
	s_add_co_ci_u32 s44, s7, s15
	s_add_co_ci_u32 s13, s21, 0
	s_wait_alu 0xfffe
	s_add_nc_u64 s[6:7], s[44:45], s[12:13]
	s_wait_alu 0xfffe
	s_mul_u64 s[6:7], s[42:43], s[6:7]
	s_wait_alu 0xfffe
	s_sub_co_u32 s6, s52, s6
	s_cselect_b32 s12, -1, 0
	s_wait_alu 0xfffe
	s_cmp_lg_u32 s12, 0
	s_sub_co_ci_u32 s7, s53, s7
	s_sub_co_u32 s12, s6, s42
	s_cselect_b32 s13, -1, 0
	s_wait_alu 0xfffe
	s_cmp_lg_u32 s13, 0
	s_sub_co_ci_u32 s13, s7, 0
	;; [unrolled: 5-line block ×3, first 2 shown]
	s_cmp_ge_u32 s12, s42
	s_cselect_b32 s22, -1, 0
	s_cmp_eq_u32 s13, 0
	s_wait_alu 0xfffe
	s_cselect_b32 s22, s22, -1
	s_wait_alu 0xfffe
	s_cmp_lg_u32 s22, 0
	s_cselect_b32 s13, s21, s13
	s_cselect_b32 s12, s15, s12
	s_cmp_ge_u32 s6, s42
	s_cselect_b32 s15, -1, 0
	s_cmp_eq_u32 s7, 0
	s_wait_alu 0xfffe
	s_cselect_b32 s15, s15, -1
	s_wait_alu 0xfffe
	s_cmp_lg_u32 s15, 0
	s_cselect_b32 s7, s13, s7
	s_cselect_b32 s6, s12, s6
	s_cbranch_execnz .LBB132_112
.LBB132_111:                            ;   in Loop: Header=BB132_20 Depth=1
	v_cvt_f32_u32_e32 v2, s42
	s_sub_co_i32 s7, 0, s42
	s_delay_alu instid0(VALU_DEP_1) | instskip(NEXT) | instid1(TRANS32_DEP_1)
	v_rcp_iflag_f32_e32 v2, v2
	v_mul_f32_e32 v2, 0x4f7ffffe, v2
	s_delay_alu instid0(VALU_DEP_1) | instskip(NEXT) | instid1(VALU_DEP_1)
	v_cvt_u32_f32_e32 v2, v2
	v_readfirstlane_b32 s6, v2
	s_wait_alu 0xfffe
	s_mul_i32 s7, s7, s6
	s_wait_alu 0xfffe
	s_mul_hi_u32 s7, s6, s7
	s_wait_alu 0xfffe
	s_add_co_i32 s6, s6, s7
	s_wait_alu 0xfffe
	s_mul_hi_u32 s6, s52, s6
	s_wait_alu 0xfffe
	s_mul_i32 s6, s6, s42
	s_wait_alu 0xfffe
	s_sub_co_i32 s6, s52, s6
	s_wait_alu 0xfffe
	s_sub_co_i32 s7, s6, s42
	s_cmp_ge_u32 s6, s42
	s_wait_alu 0xfffe
	s_cselect_b32 s6, s7, s6
	s_wait_alu 0xfffe
	s_sub_co_i32 s7, s6, s42
	s_cmp_ge_u32 s6, s42
	s_wait_alu 0xfffe
	s_cselect_b32 s44, s7, s6
	s_wait_alu 0xfffe
	s_mov_b64 s[6:7], s[44:45]
.LBB132_112:                            ;   in Loop: Header=BB132_20 Depth=1
	s_wait_alu 0xfffe
	s_sub_nc_u64 s[12:13], s[52:53], s[6:7]
	s_mov_b32 s7, exec_lo
                                        ; implicit-def: $vgpr44
	s_wait_alu 0xfffe
	v_cmpx_gt_u64_e64 s[12:13], v[0:1]
	s_cbranch_execz .LBB132_122
; %bb.113:                              ;   in Loop: Header=BB132_20 Depth=1
	v_dual_mov_b32 v8, v12 :: v_dual_mov_b32 v9, v13
	v_dual_mov_b32 v11, v1 :: v_dual_mov_b32 v10, v0
	s_mov_b32 s15, 0
                                        ; implicit-def: $sgpr21
	s_branch .LBB132_117
.LBB132_114:                            ;   in Loop: Header=BB132_117 Depth=2
	s_wait_alu 0xfffe
	s_or_b32 exec_lo, exec_lo, s6
	s_wait_loadcnt_dscnt 0x0
	s_barrier_signal -1
	s_barrier_wait -1
	global_inv scope:SCOPE_SE
	ds_load_b32 v2, v3 offset:3072
	s_wait_loadcnt_dscnt 0x0
	s_barrier_signal -1
	s_barrier_wait -1
	global_inv scope:SCOPE_SE
	v_cmp_neq_f16_e32 vcc_lo, 0, v2
	s_cbranch_vccnz .LBB132_120
; %bb.115:                              ;   in Loop: Header=BB132_117 Depth=2
	v_add_co_u32 v10, vcc_lo, v10, s42
	s_wait_alu 0xfffd
	v_add_co_ci_u32_e64 v11, null, 0, v11, vcc_lo
	v_add_co_u32 v8, s6, v8, s46
	s_wait_alu 0xf1ff
	v_add_co_ci_u32_e64 v9, null, s47, v9, s6
	s_delay_alu instid0(VALU_DEP_3)
	v_cmp_le_u64_e32 vcc_lo, s[12:13], v[10:11]
	s_mov_b32 s6, 0
	s_or_not1_b32 s22, vcc_lo, exec_lo
.LBB132_116:                            ;   in Loop: Header=BB132_117 Depth=2
	s_wait_alu 0xfffe
	s_and_b32 s22, exec_lo, s22
	s_wait_alu 0xfffe
	s_or_b32 s15, s22, s15
	s_and_not1_b32 s21, s21, exec_lo
	s_and_b32 s6, s6, exec_lo
	s_wait_alu 0xfffe
	s_or_b32 s21, s21, s6
	s_and_not1_b32 exec_lo, exec_lo, s15
	s_cbranch_execz .LBB132_121
.LBB132_117:                            ;   Parent Loop BB132_20 Depth=1
                                        ; =>  This Inner Loop Header: Depth=2
	s_mov_b32 s6, exec_lo
	s_delay_alu instid0(VALU_DEP_1)
	v_cmpx_gt_u64_e64 s[28:29], v[10:11]
	s_cbranch_execz .LBB132_114
; %bb.118:                              ;   in Loop: Header=BB132_117 Depth=2
	global_load_u16 v2, v[8:9], off
	s_wait_loadcnt 0x0
	v_cmp_lt_i16_e32 vcc_lo, -1, v2
	v_and_b32_e32 v28, 0xffff, v2
	s_wait_alu 0xfffd
	v_cndmask_b32_e32 v29, 0xffff, v42, vcc_lo
	v_cmp_o_f16_e32 vcc_lo, v2, v2
	s_delay_alu instid0(VALU_DEP_2) | instskip(SKIP_1) | instid1(VALU_DEP_1)
	v_xor_b32_e32 v28, v29, v28
	s_wait_alu 0xfffd
	v_cndmask_b32_e32 v28, 0xffff, v28, vcc_lo
	s_delay_alu instid0(VALU_DEP_1) | instskip(NEXT) | instid1(VALU_DEP_1)
	v_and_b32_e32 v28, v28, v43
	v_cmp_eq_u32_e32 vcc_lo, v28, v20
	s_and_b32 exec_lo, exec_lo, vcc_lo
	s_cbranch_execz .LBB132_114
; %bb.119:                              ;   in Loop: Header=BB132_117 Depth=2
	v_perm_b32 v2, v2, s86, 0x5040100
	ds_store_b32 v3, v2 offset:3072
	s_branch .LBB132_114
.LBB132_120:                            ;   in Loop: Header=BB132_117 Depth=2
	s_mov_b32 s22, -1
	s_mov_b32 s6, -1
                                        ; implicit-def: $vgpr10_vgpr11
                                        ; implicit-def: $vgpr8_vgpr9
	s_branch .LBB132_116
.LBB132_121:                            ;   in Loop: Header=BB132_20 Depth=1
	s_or_b32 exec_lo, exec_lo, s15
	v_lshrrev_b32_e32 v44, 16, v2
	s_and_not1_b32 s6, s14, exec_lo
	s_wait_alu 0xfffe
	s_and_b32 s12, s21, exec_lo
	s_wait_alu 0xfffe
	s_or_b32 s14, s6, s12
.LBB132_122:                            ;   in Loop: Header=BB132_20 Depth=1
	s_or_b32 exec_lo, exec_lo, s7
	s_mov_b32 s21, 0
	s_mov_b32 s22, -1
.LBB132_123:                            ;   in Loop: Header=BB132_20 Depth=1
	s_wait_alu 0xfffe
	s_or_not1_b32 s6, s14, exec_lo
.LBB132_124:                            ;   in Loop: Header=BB132_20 Depth=1
	s_wait_alu 0xfffe
	s_or_b32 exec_lo, exec_lo, s17
	s_delay_alu instid0(SALU_CYCLE_1)
	s_and_not1_b32 s7, s92, exec_lo
	s_and_b32 s12, s22, exec_lo
	s_and_not1_b32 s13, s90, exec_lo
	s_and_b32 s14, s21, exec_lo
	s_and_not1_b32 s89, s89, exec_lo
	s_wait_alu 0xfffe
	s_or_b32 s92, s7, s12
	s_or_b32 s90, s13, s14
                                        ; implicit-def: $vgpr8_vgpr9
	s_and_saveexec_b32 s17, s6
	s_cbranch_execz .LBB132_19
; %bb.125:                              ;   in Loop: Header=BB132_20 Depth=1
	v_mov_b32_e32 v8, 1
	v_dual_mov_b32 v9, 0 :: v_dual_mov_b32 v2, 1
	s_xor_b32 s12, s19, -1
	s_mov_b32 s7, 0
	s_wait_alu 0xfffe
	s_and_saveexec_b32 s6, s12
	s_cbranch_execz .LBB132_134
; %bb.126:                              ;   in Loop: Header=BB132_20 Depth=1
	s_mov_b32 s7, exec_lo
	v_cmpx_le_u64_e64 v[26:27], v[4:5]
	s_wait_alu 0xfffe
	s_xor_b32 s7, exec_lo, s7
	s_cbranch_execz .LBB132_131
; %bb.127:                              ;   in Loop: Header=BB132_20 Depth=1
	ds_load_b64 v[8:9], v3 offset:5120
	v_and_b32_e32 v20, s20, v20
	v_or_b32_e32 v43, s16, v43
	s_wait_dscnt 0x0
	v_cmp_ne_u64_e32 vcc_lo, 0, v[8:9]
	s_cbranch_vccnz .LBB132_131
; %bb.128:                              ;   in Loop: Header=BB132_20 Depth=1
	s_and_saveexec_b32 s12, s3
; %bb.129:                              ;   in Loop: Header=BB132_20 Depth=1
	ds_store_b64 v3, v[4:5] offset:5128
; %bb.130:                              ;   in Loop: Header=BB132_20 Depth=1
	s_wait_alu 0xfffe
	s_or_b32 exec_lo, exec_lo, s12
	s_wait_loadcnt_dscnt 0x0
	s_barrier_signal -1
	s_barrier_wait -1
	global_inv scope:SCOPE_SE
.LBB132_131:                            ;   in Loop: Header=BB132_20 Depth=1
	s_wait_alu 0xfffe
	s_or_saveexec_b32 s7, s7
	v_mov_b32_e32 v2, 8
	s_mov_b32 s12, 0
	s_wait_alu 0xfffe
	s_xor_b32 exec_lo, exec_lo, s7
; %bb.132:                              ;   in Loop: Header=BB132_20 Depth=1
	v_sub_co_u32 v26, vcc_lo, v26, v4
	s_wait_alu 0xfffd
	v_sub_co_ci_u32_e64 v27, null, v27, v5, vcc_lo
	v_mov_b32_e32 v2, 0
	s_mov_b32 s12, exec_lo
; %bb.133:                              ;   in Loop: Header=BB132_20 Depth=1
	s_or_b32 exec_lo, exec_lo, s7
	s_delay_alu instid0(VALU_DEP_2)
	v_dual_mov_b32 v8, v26 :: v_dual_mov_b32 v9, v27
	s_wait_alu 0xfffe
	s_and_b32 s7, s12, exec_lo
.LBB132_134:                            ;   in Loop: Header=BB132_20 Depth=1
	s_wait_alu 0xfffe
	s_or_b32 exec_lo, exec_lo, s6
	s_mov_b32 s18, -1
	s_mov_b32 s6, -1
                                        ; implicit-def: $sgpr21
                                        ; implicit-def: $sgpr22
	s_and_saveexec_b32 s12, s7
	s_wait_alu 0xfffe
	s_xor_b32 s19, exec_lo, s12
	s_cbranch_execz .LBB132_285
; %bb.135:                              ;   in Loop: Header=BB132_20 Depth=1
	v_cmp_eq_u64_e32 vcc_lo, 1, v[6:7]
	v_cmp_eq_u64_e64 s6, 1, v[8:9]
                                        ; implicit-def: $sgpr22
                                        ; implicit-def: $sgpr21
	s_and_b32 s24, vcc_lo, s6
	s_mov_b32 s6, -1
	s_wait_alu 0xfffe
	s_and_saveexec_b32 s23, s24
	s_cbranch_execz .LBB132_174
; %bb.136:                              ;   in Loop: Header=BB132_20 Depth=1
	ds_load_b64 v[4:5], v3 offset:5120
	s_wait_loadcnt_dscnt 0x0
	s_barrier_signal -1
	s_barrier_wait -1
	global_inv scope:SCOPE_SE
	v_readfirstlane_b32 s6, v4
	v_readfirstlane_b32 s7, v5
	s_and_saveexec_b32 s12, s0
; %bb.137:                              ;   in Loop: Header=BB132_20 Depth=1
	ds_store_b16 v34, v3
; %bb.138:                              ;   in Loop: Header=BB132_20 Depth=1
	s_wait_alu 0xfffe
	s_or_b32 exec_lo, exec_lo, s12
	s_lshl_b32 s12, 1, s84
	v_or_b32_e32 v43, s16, v43
	s_wait_alu 0xfffe
	v_and_or_b32 v20, v20, s20, s12
	s_mov_b32 s21, -1
	s_mov_b32 s22, 0
	s_cmp_eq_u64 s[6:7], 0
	s_mov_b32 s14, 0
	s_mov_b32 s15, -1
	s_wait_loadcnt_dscnt 0x0
	s_barrier_signal -1
	s_barrier_wait -1
	global_inv scope:SCOPE_SE
                                        ; implicit-def: $vgpr44
	s_cbranch_scc1 .LBB132_158
; %bb.139:                              ;   in Loop: Header=BB132_20 Depth=1
	s_add_nc_u64 s[12:13], s[6:7], s[50:51]
	s_mov_b32 s14, s45
	s_wait_alu 0xfffe
	s_mov_b32 s15, s13
	s_wait_alu 0xfffe
	s_cmp_lg_u64 s[14:15], 0
	s_cbranch_scc0 .LBB132_202
; %bb.140:                              ;   in Loop: Header=BB132_20 Depth=1
	s_cvt_f32_u32 s14, s42
	s_sub_nc_u64 s[60:61], 0, s[42:43]
	s_wait_alu 0xfffe
	s_delay_alu instid0(SALU_CYCLE_1) | instskip(SKIP_1) | instid1(SALU_CYCLE_2)
	s_fmamk_f32 s14, s83, 0x0, s14
	s_wait_alu 0xfffe
	v_s_rcp_f32 s14, s14
	s_delay_alu instid0(TRANS32_DEP_1) | instskip(SKIP_1) | instid1(SALU_CYCLE_2)
	s_mul_f32 s14, s14, 0x5f7ffffc
	s_wait_alu 0xfffe
	s_mul_f32 s15, s14, 0x2f800000
	s_wait_alu 0xfffe
	s_delay_alu instid0(SALU_CYCLE_2) | instskip(SKIP_1) | instid1(SALU_CYCLE_2)
	s_trunc_f32 s15, s15
	s_wait_alu 0xfffe
	s_fmamk_f32 s14, s15, 0xcf800000, s14
	s_cvt_u32_f32 s15, s15
	s_wait_alu 0xfffe
	s_delay_alu instid0(SALU_CYCLE_1) | instskip(SKIP_1) | instid1(SALU_CYCLE_2)
	s_cvt_u32_f32 s14, s14
	s_wait_alu 0xfffe
	s_mul_u64 s[62:63], s[60:61], s[14:15]
	s_wait_alu 0xfffe
	s_mul_hi_u32 s65, s14, s63
	s_mul_i32 s64, s14, s63
	s_mul_hi_u32 s44, s14, s62
	s_mul_i32 s66, s15, s62
	s_wait_alu 0xfffe
	s_add_nc_u64 s[64:65], s[44:45], s[64:65]
	s_mul_hi_u32 s25, s15, s62
	s_mul_hi_u32 s67, s15, s63
	s_wait_alu 0xfffe
	s_add_co_u32 s44, s64, s66
	s_add_co_ci_u32 s44, s65, s25
	s_mul_i32 s62, s15, s63
	s_add_co_ci_u32 s63, s67, 0
	s_wait_alu 0xfffe
	s_add_nc_u64 s[62:63], s[44:45], s[62:63]
	s_wait_alu 0xfffe
	s_add_co_u32 s14, s14, s62
	s_cselect_b32 s25, -1, 0
	s_wait_alu 0xfffe
	s_cmp_lg_u32 s25, 0
	s_add_co_ci_u32 s15, s15, s63
	s_wait_alu 0xfffe
	s_mul_u64 s[60:61], s[60:61], s[14:15]
	s_delay_alu instid0(SALU_CYCLE_1)
	s_mul_hi_u32 s63, s14, s61
	s_mul_i32 s62, s14, s61
	s_mul_hi_u32 s44, s14, s60
	s_mul_i32 s64, s15, s60
	s_wait_alu 0xfffe
	s_add_nc_u64 s[62:63], s[44:45], s[62:63]
	s_mul_hi_u32 s25, s15, s60
	s_mul_hi_u32 s65, s15, s61
	s_wait_alu 0xfffe
	s_add_co_u32 s44, s62, s64
	s_add_co_ci_u32 s44, s63, s25
	s_mul_i32 s60, s15, s61
	s_add_co_ci_u32 s61, s65, 0
	s_wait_alu 0xfffe
	s_add_nc_u64 s[60:61], s[44:45], s[60:61]
	s_delay_alu instid0(SALU_CYCLE_1)
	s_add_co_u32 s14, s14, s60
	s_cselect_b32 s25, -1, 0
	s_wait_alu 0xfffe
	s_mul_hi_u32 s44, s12, s14
	s_cmp_lg_u32 s25, 0
	s_mul_hi_u32 s25, s13, s14
	s_add_co_ci_u32 s60, s15, s61
	s_mul_i32 s61, s13, s14
	s_mul_hi_u32 s15, s12, s60
	s_mul_i32 s14, s12, s60
	s_mul_hi_u32 s62, s13, s60
	s_wait_alu 0xfffe
	s_add_nc_u64 s[14:15], s[44:45], s[14:15]
	s_mul_i32 s60, s13, s60
	s_wait_alu 0xfffe
	s_add_co_u32 s14, s14, s61
	s_add_co_ci_u32 s44, s15, s25
	s_add_co_ci_u32 s61, s62, 0
	s_wait_alu 0xfffe
	s_add_nc_u64 s[14:15], s[44:45], s[60:61]
	s_wait_alu 0xfffe
	s_mul_u64 s[14:15], s[42:43], s[14:15]
	s_wait_alu 0xfffe
	s_sub_co_u32 s14, s12, s14
	s_cselect_b32 s25, -1, 0
	s_wait_alu 0xfffe
	s_cmp_lg_u32 s25, 0
	s_sub_co_ci_u32 s15, s13, s15
	s_sub_co_u32 s25, s14, s42
	s_cselect_b32 s44, -1, 0
	s_wait_alu 0xfffe
	s_cmp_lg_u32 s44, 0
	s_sub_co_ci_u32 s44, s15, 0
	s_sub_co_u32 s60, s25, s42
	s_cselect_b32 s61, -1, 0
	s_delay_alu instid0(SALU_CYCLE_1)
	s_cmp_lg_u32 s61, 0
	s_wait_alu 0xfffe
	s_sub_co_ci_u32 s61, s44, 0
	s_cmp_ge_u32 s25, s42
	s_cselect_b32 s62, -1, 0
	s_cmp_eq_u32 s44, 0
	s_wait_alu 0xfffe
	s_cselect_b32 s62, s62, -1
	s_wait_alu 0xfffe
	s_cmp_lg_u32 s62, 0
	s_cselect_b32 s44, s61, s44
	s_cselect_b32 s25, s60, s25
	s_cmp_ge_u32 s14, s42
	s_cselect_b32 s60, -1, 0
	s_cmp_eq_u32 s15, 0
	s_cselect_b32 s60, s60, -1
	s_delay_alu instid0(SALU_CYCLE_1)
	s_cmp_lg_u32 s60, 0
	s_wait_alu 0xfffe
	s_cselect_b32 s15, s44, s15
	s_cselect_b32 s14, s25, s14
	s_cbranch_execnz .LBB132_142
.LBB132_141:                            ;   in Loop: Header=BB132_20 Depth=1
	v_cvt_f32_u32_e32 v4, s42
	s_sub_co_i32 s15, 0, s42
	s_delay_alu instid0(VALU_DEP_1) | instskip(NEXT) | instid1(TRANS32_DEP_1)
	v_rcp_iflag_f32_e32 v4, v4
	v_mul_f32_e32 v4, 0x4f7ffffe, v4
	s_delay_alu instid0(VALU_DEP_1) | instskip(NEXT) | instid1(VALU_DEP_1)
	v_cvt_u32_f32_e32 v4, v4
	v_readfirstlane_b32 s14, v4
	s_wait_alu 0xfffe
	s_mul_i32 s15, s15, s14
	s_wait_alu 0xfffe
	s_mul_hi_u32 s15, s14, s15
	s_wait_alu 0xfffe
	s_add_co_i32 s14, s14, s15
	s_wait_alu 0xfffe
	s_mul_hi_u32 s14, s12, s14
	s_wait_alu 0xfffe
	s_mul_i32 s14, s14, s42
	s_wait_alu 0xfffe
	s_sub_co_i32 s14, s12, s14
	s_wait_alu 0xfffe
	s_sub_co_i32 s15, s14, s42
	s_cmp_ge_u32 s14, s42
	s_wait_alu 0xfffe
	s_cselect_b32 s14, s15, s14
	s_wait_alu 0xfffe
	s_sub_co_i32 s15, s14, s42
	s_cmp_ge_u32 s14, s42
	s_wait_alu 0xfffe
	s_cselect_b32 s44, s15, s14
	s_wait_alu 0xfffe
	s_mov_b64 s[14:15], s[44:45]
.LBB132_142:                            ;   in Loop: Header=BB132_20 Depth=1
	s_wait_alu 0xfffe
	s_sub_nc_u64 s[12:13], s[12:13], s[14:15]
	s_mov_b32 s15, 0
	s_mov_b32 s14, 0
	s_mov_b32 s25, exec_lo
                                        ; implicit-def: $vgpr44
	s_wait_alu 0xfffe
	v_cmpx_gt_u64_e64 s[12:13], v[0:1]
	s_cbranch_execz .LBB132_157
; %bb.143:                              ;   in Loop: Header=BB132_20 Depth=1
	v_dual_mov_b32 v10, v33 :: v_dual_mov_b32 v5, v1
	v_mov_b32_e32 v4, v0
                                        ; implicit-def: $sgpr44
	s_branch .LBB132_147
.LBB132_144:                            ;   in Loop: Header=BB132_147 Depth=2
	s_or_b32 exec_lo, exec_lo, s60
	s_wait_loadcnt_dscnt 0x0
	s_barrier_signal -1
	s_barrier_wait -1
	global_inv scope:SCOPE_SE
	ds_load_b32 v11, v3 offset:3072
	s_wait_loadcnt_dscnt 0x0
	s_barrier_signal -1
	s_barrier_wait -1
	global_inv scope:SCOPE_SE
	v_cmp_neq_f16_e32 vcc_lo, 0, v11
	s_cbranch_vccnz .LBB132_150
; %bb.145:                              ;   in Loop: Header=BB132_147 Depth=2
	v_add_co_u32 v4, vcc_lo, v4, s42
	s_wait_alu 0xfffd
	v_add_co_ci_u32_e64 v5, null, 0, v5, vcc_lo
	v_add_nc_u32_e32 v10, s82, v10
	s_mov_b32 s60, 0
	s_delay_alu instid0(VALU_DEP_2)
	v_cmp_le_u64_e32 vcc_lo, s[12:13], v[4:5]
	s_or_not1_b32 s61, vcc_lo, exec_lo
.LBB132_146:                            ;   in Loop: Header=BB132_147 Depth=2
	s_delay_alu instid0(SALU_CYCLE_1) | instskip(NEXT) | instid1(SALU_CYCLE_1)
	s_and_b32 s61, exec_lo, s61
	s_or_b32 s14, s61, s14
	s_wait_alu 0xfffe
	s_and_not1_b32 s44, s44, exec_lo
	s_and_b32 s60, s60, exec_lo
	s_wait_alu 0xfffe
	s_or_b32 s44, s44, s60
	s_and_not1_b32 exec_lo, exec_lo, s14
	s_cbranch_execz .LBB132_156
.LBB132_147:                            ;   Parent Loop BB132_20 Depth=1
                                        ; =>  This Inner Loop Header: Depth=2
	s_mov_b32 s60, exec_lo
	s_delay_alu instid0(VALU_DEP_1)
	v_cmpx_gt_u64_e64 s[6:7], v[4:5]
	s_cbranch_execz .LBB132_144
; %bb.148:                              ;   in Loop: Header=BB132_147 Depth=2
	ds_load_u16 v11, v10
	s_wait_dscnt 0x0
	v_cmp_lt_i16_e32 vcc_lo, -1, v11
	s_wait_alu 0xfffd
	v_dual_cndmask_b32 v27, 0xffff, v42 :: v_dual_and_b32 v26, 0xffff, v11
	v_cmp_o_f16_e32 vcc_lo, v11, v11
	s_delay_alu instid0(VALU_DEP_2) | instskip(SKIP_1) | instid1(VALU_DEP_1)
	v_xor_b32_e32 v26, v27, v26
	s_wait_alu 0xfffd
	v_cndmask_b32_e32 v26, 0xffff, v26, vcc_lo
	s_delay_alu instid0(VALU_DEP_1) | instskip(NEXT) | instid1(VALU_DEP_1)
	v_and_b32_e32 v26, v26, v43
	v_cmp_eq_u32_e32 vcc_lo, v26, v20
	s_and_b32 exec_lo, exec_lo, vcc_lo
	s_cbranch_execz .LBB132_144
; %bb.149:                              ;   in Loop: Header=BB132_147 Depth=2
	v_perm_b32 v11, v11, s86, 0x5040100
	ds_store_b32 v3, v11 offset:3072
	s_branch .LBB132_144
.LBB132_150:                            ;   in Loop: Header=BB132_147 Depth=2
	s_mov_b32 s61, -1
	s_mov_b32 s60, -1
                                        ; implicit-def: $vgpr4_vgpr5
                                        ; implicit-def: $vgpr10
	s_branch .LBB132_146
.LBB132_151:                            ;   in Loop: Header=BB132_20 Depth=1
                                        ; implicit-def: $sgpr14_sgpr15
	s_branch .LBB132_96
.LBB132_152:                            ;   in Loop: Header=BB132_20 Depth=1
	s_or_b32 exec_lo, exec_lo, s9
	s_wait_dscnt 0x0
	s_barrier_signal -1
	s_barrier_wait -1
	global_inv scope:SCOPE_SE
	s_and_saveexec_b32 s6, s3
	s_cbranch_execz .LBB132_154
; %bb.153:                              ;   in Loop: Header=BB132_20 Depth=1
	ds_load_b32 v4, v3 offset:5144
	s_wait_dscnt 0x0
	v_ashrrev_i32_e32 v5, 31, v4
	ds_store_b64 v3, v[4:5] offset:5120
.LBB132_154:                            ;   in Loop: Header=BB132_20 Depth=1
	s_wait_alu 0xfffe
	s_or_b32 exec_lo, exec_lo, s6
	s_wait_loadcnt_dscnt 0x0
	s_barrier_signal -1
	s_mov_b32 s6, -1
	s_barrier_wait -1
	s_and_b32 vcc_lo, exec_lo, s8
	s_wait_alu 0xfffe
	s_cbranch_vccnz .LBB132_35
	s_branch .LBB132_50
.LBB132_155:                            ;   in Loop: Header=BB132_20 Depth=1
                                        ; implicit-def: $sgpr6_sgpr7
	s_branch .LBB132_111
.LBB132_156:                            ;   in Loop: Header=BB132_20 Depth=1
	s_or_b32 exec_lo, exec_lo, s14
	v_lshrrev_b32_e32 v44, 16, v11
	s_wait_alu 0xfffe
	s_and_b32 s14, s44, exec_lo
.LBB132_157:                            ;   in Loop: Header=BB132_20 Depth=1
	s_or_b32 exec_lo, exec_lo, s25
.LBB132_158:                            ;   in Loop: Header=BB132_20 Depth=1
	s_wait_alu 0xfffe
	s_and_b32 vcc_lo, exec_lo, s15
	s_wait_alu 0xfffe
	s_cbranch_vccz .LBB132_173
; %bb.159:                              ;   in Loop: Header=BB132_20 Depth=1
	s_mov_b32 s6, s45
	s_mov_b32 s7, s53
	s_wait_alu 0xfffe
	s_cmp_lg_u64 s[6:7], 0
	s_cbranch_scc0 .LBB132_203
; %bb.160:                              ;   in Loop: Header=BB132_20 Depth=1
	s_cvt_f32_u32 s6, s42
	s_sub_nc_u64 s[12:13], 0, s[42:43]
	s_wait_alu 0xfffe
	s_delay_alu instid0(SALU_CYCLE_1) | instskip(SKIP_1) | instid1(SALU_CYCLE_2)
	s_fmamk_f32 s6, s83, 0x0, s6
	s_wait_alu 0xfffe
	v_s_rcp_f32 s6, s6
	s_delay_alu instid0(TRANS32_DEP_1) | instskip(SKIP_1) | instid1(SALU_CYCLE_2)
	s_mul_f32 s6, s6, 0x5f7ffffc
	s_wait_alu 0xfffe
	s_mul_f32 s7, s6, 0x2f800000
	s_wait_alu 0xfffe
	s_delay_alu instid0(SALU_CYCLE_2) | instskip(SKIP_1) | instid1(SALU_CYCLE_2)
	s_trunc_f32 s7, s7
	s_wait_alu 0xfffe
	s_fmamk_f32 s6, s7, 0xcf800000, s6
	s_cvt_u32_f32 s7, s7
	s_wait_alu 0xfffe
	s_delay_alu instid0(SALU_CYCLE_1) | instskip(SKIP_1) | instid1(SALU_CYCLE_2)
	s_cvt_u32_f32 s6, s6
	s_wait_alu 0xfffe
	s_mul_u64 s[60:61], s[12:13], s[6:7]
	s_delay_alu instid0(SALU_CYCLE_1)
	s_mul_hi_u32 s63, s6, s61
	s_mul_i32 s62, s6, s61
	s_mul_hi_u32 s44, s6, s60
	s_mul_i32 s21, s7, s60
	s_wait_alu 0xfffe
	s_add_nc_u64 s[62:63], s[44:45], s[62:63]
	s_mul_hi_u32 s15, s7, s60
	s_mul_hi_u32 s22, s7, s61
	s_wait_alu 0xfffe
	s_add_co_u32 s21, s62, s21
	s_add_co_ci_u32 s44, s63, s15
	s_mul_i32 s60, s7, s61
	s_add_co_ci_u32 s61, s22, 0
	s_wait_alu 0xfffe
	s_add_nc_u64 s[60:61], s[44:45], s[60:61]
	s_delay_alu instid0(SALU_CYCLE_1)
	s_add_co_u32 s6, s6, s60
	s_cselect_b32 s15, -1, 0
	s_wait_alu 0xfffe
	s_cmp_lg_u32 s15, 0
	s_add_co_ci_u32 s7, s7, s61
	s_wait_alu 0xfffe
	s_mul_u64 s[12:13], s[12:13], s[6:7]
	s_wait_alu 0xfffe
	s_mul_hi_u32 s61, s6, s13
	s_mul_i32 s60, s6, s13
	s_mul_hi_u32 s44, s6, s12
	s_mul_i32 s21, s7, s12
	s_wait_alu 0xfffe
	s_add_nc_u64 s[60:61], s[44:45], s[60:61]
	s_mul_hi_u32 s15, s7, s12
	s_mul_hi_u32 s22, s7, s13
	s_mul_i32 s12, s7, s13
	s_add_co_u32 s13, s60, s21
	s_wait_alu 0xfffe
	s_add_co_ci_u32 s44, s61, s15
	s_add_co_ci_u32 s13, s22, 0
	s_wait_alu 0xfffe
	s_add_nc_u64 s[12:13], s[44:45], s[12:13]
	s_wait_alu 0xfffe
	s_add_co_u32 s6, s6, s12
	s_cselect_b32 s12, -1, 0
	s_wait_alu 0xfffe
	s_mul_hi_u32 s44, s52, s6
	s_cmp_lg_u32 s12, 0
	s_mul_hi_u32 s15, s53, s6
	s_add_co_ci_u32 s12, s7, s13
	s_mul_i32 s13, s53, s6
	s_wait_alu 0xfffe
	s_mul_hi_u32 s7, s52, s12
	s_mul_i32 s6, s52, s12
	s_mul_hi_u32 s21, s53, s12
	s_wait_alu 0xfffe
	s_add_nc_u64 s[6:7], s[44:45], s[6:7]
	s_mul_i32 s12, s53, s12
	s_wait_alu 0xfffe
	s_add_co_u32 s6, s6, s13
	s_add_co_ci_u32 s44, s7, s15
	s_add_co_ci_u32 s13, s21, 0
	s_wait_alu 0xfffe
	s_add_nc_u64 s[6:7], s[44:45], s[12:13]
	s_wait_alu 0xfffe
	s_mul_u64 s[6:7], s[42:43], s[6:7]
	s_wait_alu 0xfffe
	s_sub_co_u32 s6, s52, s6
	s_cselect_b32 s12, -1, 0
	s_wait_alu 0xfffe
	s_cmp_lg_u32 s12, 0
	s_sub_co_ci_u32 s7, s53, s7
	s_sub_co_u32 s12, s6, s42
	s_cselect_b32 s13, -1, 0
	s_wait_alu 0xfffe
	s_cmp_lg_u32 s13, 0
	s_sub_co_ci_u32 s13, s7, 0
	;; [unrolled: 5-line block ×3, first 2 shown]
	s_cmp_ge_u32 s12, s42
	s_cselect_b32 s22, -1, 0
	s_cmp_eq_u32 s13, 0
	s_wait_alu 0xfffe
	s_cselect_b32 s22, s22, -1
	s_wait_alu 0xfffe
	s_cmp_lg_u32 s22, 0
	s_cselect_b32 s13, s21, s13
	s_cselect_b32 s12, s15, s12
	s_cmp_ge_u32 s6, s42
	s_cselect_b32 s15, -1, 0
	s_cmp_eq_u32 s7, 0
	s_wait_alu 0xfffe
	s_cselect_b32 s15, s15, -1
	s_wait_alu 0xfffe
	s_cmp_lg_u32 s15, 0
	s_cselect_b32 s7, s13, s7
	s_cselect_b32 s6, s12, s6
	s_cbranch_execnz .LBB132_162
.LBB132_161:                            ;   in Loop: Header=BB132_20 Depth=1
	v_cvt_f32_u32_e32 v4, s42
	s_sub_co_i32 s7, 0, s42
	s_delay_alu instid0(VALU_DEP_1) | instskip(NEXT) | instid1(TRANS32_DEP_1)
	v_rcp_iflag_f32_e32 v4, v4
	v_mul_f32_e32 v4, 0x4f7ffffe, v4
	s_delay_alu instid0(VALU_DEP_1) | instskip(NEXT) | instid1(VALU_DEP_1)
	v_cvt_u32_f32_e32 v4, v4
	v_readfirstlane_b32 s6, v4
	s_wait_alu 0xfffe
	s_mul_i32 s7, s7, s6
	s_wait_alu 0xfffe
	s_mul_hi_u32 s7, s6, s7
	s_wait_alu 0xfffe
	s_add_co_i32 s6, s6, s7
	s_wait_alu 0xfffe
	s_mul_hi_u32 s6, s52, s6
	s_wait_alu 0xfffe
	s_mul_i32 s6, s6, s42
	s_wait_alu 0xfffe
	s_sub_co_i32 s6, s52, s6
	s_wait_alu 0xfffe
	s_sub_co_i32 s7, s6, s42
	s_cmp_ge_u32 s6, s42
	s_wait_alu 0xfffe
	s_cselect_b32 s6, s7, s6
	s_wait_alu 0xfffe
	s_sub_co_i32 s7, s6, s42
	s_cmp_ge_u32 s6, s42
	s_wait_alu 0xfffe
	s_cselect_b32 s44, s7, s6
	s_wait_alu 0xfffe
	s_mov_b64 s[6:7], s[44:45]
.LBB132_162:                            ;   in Loop: Header=BB132_20 Depth=1
	s_wait_alu 0xfffe
	s_sub_nc_u64 s[12:13], s[52:53], s[6:7]
	s_mov_b32 s7, exec_lo
                                        ; implicit-def: $vgpr44
	s_wait_alu 0xfffe
	v_cmpx_gt_u64_e64 s[12:13], v[0:1]
	s_cbranch_execz .LBB132_172
; %bb.163:                              ;   in Loop: Header=BB132_20 Depth=1
	v_dual_mov_b32 v4, v12 :: v_dual_mov_b32 v5, v13
	v_dual_mov_b32 v11, v1 :: v_dual_mov_b32 v10, v0
	s_mov_b32 s15, 0
                                        ; implicit-def: $sgpr21
	s_branch .LBB132_167
.LBB132_164:                            ;   in Loop: Header=BB132_167 Depth=2
	s_wait_alu 0xfffe
	s_or_b32 exec_lo, exec_lo, s6
	s_wait_loadcnt_dscnt 0x0
	s_barrier_signal -1
	s_barrier_wait -1
	global_inv scope:SCOPE_SE
	ds_load_b32 v26, v3 offset:3072
	s_wait_loadcnt_dscnt 0x0
	s_barrier_signal -1
	s_barrier_wait -1
	global_inv scope:SCOPE_SE
	v_cmp_eq_f16_e32 vcc_lo, 0, v26
	s_cbranch_vccz .LBB132_170
; %bb.165:                              ;   in Loop: Header=BB132_167 Depth=2
	v_add_co_u32 v10, vcc_lo, v10, s42
	s_wait_alu 0xfffd
	v_add_co_ci_u32_e64 v11, null, 0, v11, vcc_lo
	v_add_co_u32 v4, s6, v4, s46
	s_wait_alu 0xf1ff
	v_add_co_ci_u32_e64 v5, null, s47, v5, s6
	s_delay_alu instid0(VALU_DEP_3)
	v_cmp_le_u64_e32 vcc_lo, s[12:13], v[10:11]
	s_mov_b32 s6, 0
	s_or_not1_b32 s22, vcc_lo, exec_lo
.LBB132_166:                            ;   in Loop: Header=BB132_167 Depth=2
	s_wait_alu 0xfffe
	s_and_b32 s22, exec_lo, s22
	s_wait_alu 0xfffe
	s_or_b32 s15, s22, s15
	s_and_not1_b32 s21, s21, exec_lo
	s_and_b32 s6, s6, exec_lo
	s_wait_alu 0xfffe
	s_or_b32 s21, s21, s6
	s_and_not1_b32 exec_lo, exec_lo, s15
	s_cbranch_execz .LBB132_171
.LBB132_167:                            ;   Parent Loop BB132_20 Depth=1
                                        ; =>  This Inner Loop Header: Depth=2
	s_mov_b32 s6, exec_lo
	s_delay_alu instid0(VALU_DEP_1)
	v_cmpx_gt_u64_e64 s[28:29], v[10:11]
	s_cbranch_execz .LBB132_164
; %bb.168:                              ;   in Loop: Header=BB132_167 Depth=2
	global_load_u16 v26, v[4:5], off
	s_wait_loadcnt 0x0
	v_cmp_lt_i16_e32 vcc_lo, -1, v26
	v_and_b32_e32 v27, 0xffff, v26
	s_wait_alu 0xfffd
	v_cndmask_b32_e32 v28, 0xffff, v42, vcc_lo
	v_cmp_o_f16_e32 vcc_lo, v26, v26
	s_delay_alu instid0(VALU_DEP_2) | instskip(SKIP_1) | instid1(VALU_DEP_1)
	v_xor_b32_e32 v27, v28, v27
	s_wait_alu 0xfffd
	v_cndmask_b32_e32 v27, 0xffff, v27, vcc_lo
	s_delay_alu instid0(VALU_DEP_1) | instskip(NEXT) | instid1(VALU_DEP_1)
	v_and_b32_e32 v27, v27, v43
	v_cmp_eq_u32_e32 vcc_lo, v27, v20
	s_and_b32 exec_lo, exec_lo, vcc_lo
	s_cbranch_execz .LBB132_164
; %bb.169:                              ;   in Loop: Header=BB132_167 Depth=2
	v_perm_b32 v26, v26, s86, 0x5040100
	ds_store_b32 v3, v26 offset:3072
	s_branch .LBB132_164
.LBB132_170:                            ;   in Loop: Header=BB132_167 Depth=2
	s_mov_b32 s22, -1
	s_mov_b32 s6, -1
                                        ; implicit-def: $vgpr10_vgpr11
                                        ; implicit-def: $vgpr4_vgpr5
	s_branch .LBB132_166
.LBB132_171:                            ;   in Loop: Header=BB132_20 Depth=1
	s_or_b32 exec_lo, exec_lo, s15
	v_lshrrev_b32_e32 v44, 16, v26
	s_and_not1_b32 s6, s14, exec_lo
	s_wait_alu 0xfffe
	s_and_b32 s12, s21, exec_lo
	s_wait_alu 0xfffe
	s_or_b32 s14, s6, s12
.LBB132_172:                            ;   in Loop: Header=BB132_20 Depth=1
	s_or_b32 exec_lo, exec_lo, s7
	s_mov_b32 s21, 0
	s_mov_b32 s22, -1
.LBB132_173:                            ;   in Loop: Header=BB132_20 Depth=1
	s_wait_alu 0xfffe
	s_or_not1_b32 s6, s14, exec_lo
.LBB132_174:                            ;   in Loop: Header=BB132_20 Depth=1
	s_wait_alu 0xfffe
	s_or_b32 exec_lo, exec_lo, s23
	s_mov_b32 s7, 0
	s_and_saveexec_b32 s23, s6
	s_cbranch_execz .LBB132_284
; %bb.175:                              ;   in Loop: Header=BB132_20 Depth=1
	v_mov_b32_e32 v4, 1
	v_dual_mov_b32 v5, 0 :: v_dual_mov_b32 v2, 1
	s_xor_b32 s12, s24, -1
	s_wait_alu 0xfffe
	s_and_saveexec_b32 s6, s12
	s_cbranch_execz .LBB132_185
; %bb.176:                              ;   in Loop: Header=BB132_20 Depth=1
	s_mov_b32 s7, exec_lo
	v_cmpx_le_u64_e64 v[8:9], v[6:7]
	s_wait_alu 0xfffe
	s_xor_b32 s7, exec_lo, s7
	s_cbranch_execz .LBB132_182
; %bb.177:                              ;   in Loop: Header=BB132_20 Depth=1
	ds_load_b64 v[4:5], v3 offset:5120
	s_lshl_b32 s12, 1, s84
	v_or_b32_e32 v43, s16, v43
	s_wait_alu 0xfffe
	v_and_or_b32 v20, v20, s20, s12
	s_wait_dscnt 0x0
	v_cmp_ne_u64_e32 vcc_lo, 0, v[4:5]
	s_cbranch_vccnz .LBB132_181
; %bb.178:                              ;   in Loop: Header=BB132_20 Depth=1
	s_and_saveexec_b32 s12, s3
; %bb.179:                              ;   in Loop: Header=BB132_20 Depth=1
	ds_store_b64 v3, v[6:7] offset:5128
; %bb.180:                              ;   in Loop: Header=BB132_20 Depth=1
	s_wait_alu 0xfffe
	s_or_b32 exec_lo, exec_lo, s12
	s_wait_loadcnt_dscnt 0x0
	s_barrier_signal -1
	s_barrier_wait -1
	global_inv scope:SCOPE_SE
.LBB132_181:                            ;   in Loop: Header=BB132_20 Depth=1
                                        ; implicit-def: $vgpr4_vgpr5_vgpr6_vgpr7
.LBB132_182:                            ;   in Loop: Header=BB132_20 Depth=1
	s_wait_alu 0xfffe
	s_or_saveexec_b32 s7, s7
	v_mov_b32_e32 v2, 8
	s_mov_b32 s12, 0
	s_wait_alu 0xfffe
	s_xor_b32 exec_lo, exec_lo, s7
; %bb.183:                              ;   in Loop: Header=BB132_20 Depth=1
	v_sub_co_u32 v8, vcc_lo, v8, v6
	s_wait_alu 0xfffd
	v_sub_co_ci_u32_e64 v9, null, v9, v7, vcc_lo
	v_mov_b32_e32 v2, 0
	s_mov_b32 s12, exec_lo
; %bb.184:                              ;   in Loop: Header=BB132_20 Depth=1
	s_or_b32 exec_lo, exec_lo, s7
	s_delay_alu instid0(VALU_DEP_2)
	v_dual_mov_b32 v4, v8 :: v_dual_mov_b32 v5, v9
	s_wait_alu 0xfffe
	s_and_b32 s7, s12, exec_lo
.LBB132_185:                            ;   in Loop: Header=BB132_20 Depth=1
	s_wait_alu 0xfffe
	s_or_b32 exec_lo, exec_lo, s6
	s_mov_b32 s6, -1
                                        ; implicit-def: $sgpr25
                                        ; implicit-def: $sgpr60
	s_and_saveexec_b32 s24, s7
	s_cbranch_execz .LBB132_283
; %bb.186:                              ;   in Loop: Header=BB132_20 Depth=1
	v_cmp_eq_u64_e32 vcc_lo, 1, v[4:5]
	s_cmp_eq_u64 s[10:11], 1
                                        ; implicit-def: $sgpr60
                                        ; implicit-def: $sgpr25
	s_cselect_b32 s6, -1, 0
	s_wait_alu 0xfffe
	s_and_b32 s61, s6, vcc_lo
	s_mov_b32 s6, -1
	s_and_saveexec_b32 s62, s61
	s_cbranch_execz .LBB132_222
; %bb.187:                              ;   in Loop: Header=BB132_20 Depth=1
	ds_load_b64 v[6:7], v3 offset:5120
	s_wait_loadcnt_dscnt 0x0
	s_barrier_signal -1
	s_barrier_wait -1
	global_inv scope:SCOPE_SE
	v_readfirstlane_b32 s6, v6
	v_readfirstlane_b32 s7, v7
	s_and_saveexec_b32 s12, s0
; %bb.188:                              ;   in Loop: Header=BB132_20 Depth=1
	ds_store_b16 v34, v3
; %bb.189:                              ;   in Loop: Header=BB132_20 Depth=1
	s_wait_alu 0xfffe
	s_or_b32 exec_lo, exec_lo, s12
	s_lshl_b32 s12, 2, s84
	v_or_b32_e32 v43, s16, v43
	s_wait_alu 0xfffe
	v_and_or_b32 v20, v20, s20, s12
	s_mov_b32 s25, -1
	s_mov_b32 s60, 0
	s_cmp_eq_u64 s[6:7], 0
	s_mov_b32 s14, 0
	s_mov_b32 s15, -1
	s_wait_loadcnt_dscnt 0x0
	s_barrier_signal -1
	s_barrier_wait -1
	global_inv scope:SCOPE_SE
                                        ; implicit-def: $vgpr44
	s_cbranch_scc1 .LBB132_206
; %bb.190:                              ;   in Loop: Header=BB132_20 Depth=1
	s_add_nc_u64 s[12:13], s[6:7], s[50:51]
	s_mov_b32 s14, s45
	s_wait_alu 0xfffe
	s_mov_b32 s15, s13
	s_wait_alu 0xfffe
	s_cmp_lg_u64 s[14:15], 0
	s_cbranch_scc0 .LBB132_249
; %bb.191:                              ;   in Loop: Header=BB132_20 Depth=1
	s_cvt_f32_u32 s14, s42
	s_sub_nc_u64 s[64:65], 0, s[42:43]
	s_wait_alu 0xfffe
	s_delay_alu instid0(SALU_CYCLE_1) | instskip(SKIP_1) | instid1(SALU_CYCLE_2)
	s_fmamk_f32 s14, s83, 0x0, s14
	s_wait_alu 0xfffe
	v_s_rcp_f32 s14, s14
	s_delay_alu instid0(TRANS32_DEP_1) | instskip(SKIP_1) | instid1(SALU_CYCLE_2)
	s_mul_f32 s14, s14, 0x5f7ffffc
	s_wait_alu 0xfffe
	s_mul_f32 s15, s14, 0x2f800000
	s_wait_alu 0xfffe
	s_delay_alu instid0(SALU_CYCLE_2) | instskip(SKIP_1) | instid1(SALU_CYCLE_2)
	s_trunc_f32 s15, s15
	s_wait_alu 0xfffe
	s_fmamk_f32 s14, s15, 0xcf800000, s14
	s_cvt_u32_f32 s15, s15
	s_wait_alu 0xfffe
	s_delay_alu instid0(SALU_CYCLE_1) | instskip(SKIP_1) | instid1(SALU_CYCLE_2)
	s_cvt_u32_f32 s14, s14
	s_wait_alu 0xfffe
	s_mul_u64 s[66:67], s[64:65], s[14:15]
	s_wait_alu 0xfffe
	s_mul_hi_u32 s69, s14, s67
	s_mul_i32 s68, s14, s67
	s_mul_hi_u32 s44, s14, s66
	s_mul_i32 s70, s15, s66
	s_wait_alu 0xfffe
	s_add_nc_u64 s[68:69], s[44:45], s[68:69]
	s_mul_hi_u32 s63, s15, s66
	s_mul_hi_u32 s71, s15, s67
	s_wait_alu 0xfffe
	s_add_co_u32 s44, s68, s70
	s_add_co_ci_u32 s44, s69, s63
	s_mul_i32 s66, s15, s67
	s_add_co_ci_u32 s67, s71, 0
	s_wait_alu 0xfffe
	s_add_nc_u64 s[66:67], s[44:45], s[66:67]
	s_wait_alu 0xfffe
	s_add_co_u32 s14, s14, s66
	s_cselect_b32 s44, -1, 0
	s_wait_alu 0xfffe
	s_cmp_lg_u32 s44, 0
	s_add_co_ci_u32 s15, s15, s67
	s_wait_alu 0xfffe
	s_mul_u64 s[64:65], s[64:65], s[14:15]
	s_wait_alu 0xfffe
	s_mul_hi_u32 s67, s14, s65
	s_mul_i32 s66, s14, s65
	s_mul_hi_u32 s44, s14, s64
	s_mul_i32 s68, s15, s64
	s_wait_alu 0xfffe
	s_add_nc_u64 s[66:67], s[44:45], s[66:67]
	s_mul_hi_u32 s63, s15, s64
	s_mul_hi_u32 s69, s15, s65
	s_wait_alu 0xfffe
	s_add_co_u32 s44, s66, s68
	s_add_co_ci_u32 s44, s67, s63
	s_mul_i32 s64, s15, s65
	s_add_co_ci_u32 s65, s69, 0
	s_wait_alu 0xfffe
	s_add_nc_u64 s[64:65], s[44:45], s[64:65]
	s_wait_alu 0xfffe
	s_add_co_u32 s14, s14, s64
	s_cselect_b32 s63, -1, 0
	s_wait_alu 0xfffe
	s_mul_hi_u32 s44, s12, s14
	s_cmp_lg_u32 s63, 0
	s_mul_hi_u32 s63, s13, s14
	s_add_co_ci_u32 s64, s15, s65
	s_mul_i32 s65, s13, s14
	s_wait_alu 0xfffe
	s_mul_hi_u32 s15, s12, s64
	s_mul_i32 s14, s12, s64
	s_mul_hi_u32 s66, s13, s64
	s_wait_alu 0xfffe
	s_add_nc_u64 s[14:15], s[44:45], s[14:15]
	s_mul_i32 s64, s13, s64
	s_wait_alu 0xfffe
	s_add_co_u32 s14, s14, s65
	s_add_co_ci_u32 s44, s15, s63
	s_add_co_ci_u32 s65, s66, 0
	s_wait_alu 0xfffe
	s_add_nc_u64 s[14:15], s[44:45], s[64:65]
	s_wait_alu 0xfffe
	s_mul_u64 s[14:15], s[42:43], s[14:15]
	s_wait_alu 0xfffe
	s_sub_co_u32 s14, s12, s14
	s_cselect_b32 s44, -1, 0
	s_wait_alu 0xfffe
	s_cmp_lg_u32 s44, 0
	s_sub_co_ci_u32 s15, s13, s15
	s_sub_co_u32 s44, s14, s42
	s_cselect_b32 s63, -1, 0
	s_wait_alu 0xfffe
	s_cmp_lg_u32 s63, 0
	s_sub_co_ci_u32 s63, s15, 0
	;; [unrolled: 5-line block ×3, first 2 shown]
	s_cmp_ge_u32 s44, s42
	s_cselect_b32 s66, -1, 0
	s_cmp_eq_u32 s63, 0
	s_wait_alu 0xfffe
	s_cselect_b32 s66, s66, -1
	s_wait_alu 0xfffe
	s_cmp_lg_u32 s66, 0
	s_cselect_b32 s63, s65, s63
	s_cselect_b32 s44, s64, s44
	s_cmp_ge_u32 s14, s42
	s_cselect_b32 s64, -1, 0
	s_cmp_eq_u32 s15, 0
	s_wait_alu 0xfffe
	s_cselect_b32 s64, s64, -1
	s_wait_alu 0xfffe
	s_cmp_lg_u32 s64, 0
	s_cselect_b32 s15, s63, s15
	s_cselect_b32 s14, s44, s14
	s_cbranch_execnz .LBB132_193
.LBB132_192:                            ;   in Loop: Header=BB132_20 Depth=1
	v_cvt_f32_u32_e32 v6, s42
	s_sub_co_i32 s15, 0, s42
	s_delay_alu instid0(VALU_DEP_1) | instskip(NEXT) | instid1(TRANS32_DEP_1)
	v_rcp_iflag_f32_e32 v6, v6
	v_mul_f32_e32 v6, 0x4f7ffffe, v6
	s_delay_alu instid0(VALU_DEP_1) | instskip(NEXT) | instid1(VALU_DEP_1)
	v_cvt_u32_f32_e32 v6, v6
	v_readfirstlane_b32 s14, v6
	s_wait_alu 0xfffe
	s_mul_i32 s15, s15, s14
	s_wait_alu 0xfffe
	s_mul_hi_u32 s15, s14, s15
	s_wait_alu 0xfffe
	s_add_co_i32 s14, s14, s15
	s_wait_alu 0xfffe
	s_mul_hi_u32 s14, s12, s14
	s_wait_alu 0xfffe
	s_mul_i32 s14, s14, s42
	s_wait_alu 0xfffe
	s_sub_co_i32 s14, s12, s14
	s_wait_alu 0xfffe
	s_sub_co_i32 s15, s14, s42
	s_cmp_ge_u32 s14, s42
	s_wait_alu 0xfffe
	s_cselect_b32 s14, s15, s14
	s_wait_alu 0xfffe
	s_sub_co_i32 s15, s14, s42
	s_cmp_ge_u32 s14, s42
	s_wait_alu 0xfffe
	s_cselect_b32 s44, s15, s14
	s_wait_alu 0xfffe
	s_mov_b64 s[14:15], s[44:45]
.LBB132_193:                            ;   in Loop: Header=BB132_20 Depth=1
	s_wait_alu 0xfffe
	s_sub_nc_u64 s[12:13], s[12:13], s[14:15]
	s_mov_b32 s15, 0
	s_mov_b32 s14, 0
	s_mov_b32 s44, exec_lo
                                        ; implicit-def: $vgpr44
	s_wait_alu 0xfffe
	v_cmpx_gt_u64_e64 s[12:13], v[0:1]
	s_cbranch_execz .LBB132_205
; %bb.194:                              ;   in Loop: Header=BB132_20 Depth=1
	v_dual_mov_b32 v8, v33 :: v_dual_mov_b32 v7, v1
	v_mov_b32_e32 v6, v0
                                        ; implicit-def: $sgpr63
	s_branch .LBB132_198
.LBB132_195:                            ;   in Loop: Header=BB132_198 Depth=2
	s_wait_alu 0xfffe
	s_or_b32 exec_lo, exec_lo, s64
	s_wait_loadcnt_dscnt 0x0
	s_barrier_signal -1
	s_barrier_wait -1
	global_inv scope:SCOPE_SE
	ds_load_b32 v9, v3 offset:3072
	s_wait_loadcnt_dscnt 0x0
	s_barrier_signal -1
	s_barrier_wait -1
	global_inv scope:SCOPE_SE
	v_cmp_neq_f16_e32 vcc_lo, 0, v9
	s_cbranch_vccnz .LBB132_201
; %bb.196:                              ;   in Loop: Header=BB132_198 Depth=2
	v_add_co_u32 v6, vcc_lo, v6, s42
	s_wait_alu 0xfffd
	v_add_co_ci_u32_e64 v7, null, 0, v7, vcc_lo
	v_add_nc_u32_e32 v8, s82, v8
	s_mov_b32 s64, 0
	s_delay_alu instid0(VALU_DEP_2)
	v_cmp_le_u64_e32 vcc_lo, s[12:13], v[6:7]
	s_or_not1_b32 s65, vcc_lo, exec_lo
.LBB132_197:                            ;   in Loop: Header=BB132_198 Depth=2
	s_wait_alu 0xfffe
	s_and_b32 s65, exec_lo, s65
	s_wait_alu 0xfffe
	s_or_b32 s14, s65, s14
	s_and_not1_b32 s63, s63, exec_lo
	s_and_b32 s64, s64, exec_lo
	s_wait_alu 0xfffe
	s_or_b32 s63, s63, s64
	s_and_not1_b32 exec_lo, exec_lo, s14
	s_cbranch_execz .LBB132_204
.LBB132_198:                            ;   Parent Loop BB132_20 Depth=1
                                        ; =>  This Inner Loop Header: Depth=2
	s_mov_b32 s64, exec_lo
	s_delay_alu instid0(VALU_DEP_1)
	v_cmpx_gt_u64_e64 s[6:7], v[6:7]
	s_cbranch_execz .LBB132_195
; %bb.199:                              ;   in Loop: Header=BB132_198 Depth=2
	ds_load_u16 v9, v8
	s_wait_dscnt 0x0
	v_cmp_lt_i16_e32 vcc_lo, -1, v9
	s_wait_alu 0xfffd
	v_dual_cndmask_b32 v11, 0xffff, v42 :: v_dual_and_b32 v10, 0xffff, v9
	v_cmp_o_f16_e32 vcc_lo, v9, v9
	s_delay_alu instid0(VALU_DEP_2) | instskip(SKIP_1) | instid1(VALU_DEP_1)
	v_xor_b32_e32 v10, v11, v10
	s_wait_alu 0xfffd
	v_cndmask_b32_e32 v10, 0xffff, v10, vcc_lo
	s_delay_alu instid0(VALU_DEP_1) | instskip(NEXT) | instid1(VALU_DEP_1)
	v_and_b32_e32 v10, v10, v43
	v_cmp_eq_u32_e32 vcc_lo, v10, v20
	s_and_b32 exec_lo, exec_lo, vcc_lo
	s_cbranch_execz .LBB132_195
; %bb.200:                              ;   in Loop: Header=BB132_198 Depth=2
	v_perm_b32 v9, v9, s86, 0x5040100
	ds_store_b32 v3, v9 offset:3072
	s_branch .LBB132_195
.LBB132_201:                            ;   in Loop: Header=BB132_198 Depth=2
	s_mov_b32 s65, -1
	s_mov_b32 s64, -1
                                        ; implicit-def: $vgpr6_vgpr7
                                        ; implicit-def: $vgpr8
	s_branch .LBB132_197
.LBB132_202:                            ;   in Loop: Header=BB132_20 Depth=1
                                        ; implicit-def: $sgpr14_sgpr15
	s_branch .LBB132_141
.LBB132_203:                            ;   in Loop: Header=BB132_20 Depth=1
                                        ; implicit-def: $sgpr6_sgpr7
	s_branch .LBB132_161
.LBB132_204:                            ;   in Loop: Header=BB132_20 Depth=1
	s_or_b32 exec_lo, exec_lo, s14
	v_lshrrev_b32_e32 v44, 16, v9
	s_wait_alu 0xfffe
	s_and_b32 s14, s63, exec_lo
.LBB132_205:                            ;   in Loop: Header=BB132_20 Depth=1
	s_or_b32 exec_lo, exec_lo, s44
.LBB132_206:                            ;   in Loop: Header=BB132_20 Depth=1
	s_wait_alu 0xfffe
	s_and_b32 vcc_lo, exec_lo, s15
	s_wait_alu 0xfffe
	s_cbranch_vccz .LBB132_221
; %bb.207:                              ;   in Loop: Header=BB132_20 Depth=1
	s_mov_b32 s6, s45
	s_mov_b32 s7, s53
	s_wait_alu 0xfffe
	s_cmp_lg_u64 s[6:7], 0
	s_cbranch_scc0 .LBB132_250
; %bb.208:                              ;   in Loop: Header=BB132_20 Depth=1
	s_cvt_f32_u32 s6, s42
	s_sub_nc_u64 s[12:13], 0, s[42:43]
	s_wait_alu 0xfffe
	s_delay_alu instid0(SALU_CYCLE_1) | instskip(SKIP_1) | instid1(SALU_CYCLE_2)
	s_fmamk_f32 s6, s83, 0x0, s6
	s_wait_alu 0xfffe
	v_s_rcp_f32 s6, s6
	s_delay_alu instid0(TRANS32_DEP_1) | instskip(SKIP_1) | instid1(SALU_CYCLE_2)
	s_mul_f32 s6, s6, 0x5f7ffffc
	s_wait_alu 0xfffe
	s_mul_f32 s7, s6, 0x2f800000
	s_wait_alu 0xfffe
	s_delay_alu instid0(SALU_CYCLE_2) | instskip(SKIP_1) | instid1(SALU_CYCLE_2)
	s_trunc_f32 s7, s7
	s_wait_alu 0xfffe
	s_fmamk_f32 s6, s7, 0xcf800000, s6
	s_cvt_u32_f32 s7, s7
	s_wait_alu 0xfffe
	s_delay_alu instid0(SALU_CYCLE_1) | instskip(SKIP_1) | instid1(SALU_CYCLE_2)
	s_cvt_u32_f32 s6, s6
	s_wait_alu 0xfffe
	s_mul_u64 s[64:65], s[12:13], s[6:7]
	s_wait_alu 0xfffe
	s_mul_hi_u32 s67, s6, s65
	s_mul_i32 s66, s6, s65
	s_mul_hi_u32 s44, s6, s64
	s_mul_i32 s25, s7, s64
	s_wait_alu 0xfffe
	s_add_nc_u64 s[66:67], s[44:45], s[66:67]
	s_mul_hi_u32 s15, s7, s64
	s_mul_hi_u32 s60, s7, s65
	s_wait_alu 0xfffe
	s_add_co_u32 s25, s66, s25
	s_add_co_ci_u32 s44, s67, s15
	s_mul_i32 s64, s7, s65
	s_add_co_ci_u32 s65, s60, 0
	s_wait_alu 0xfffe
	s_add_nc_u64 s[64:65], s[44:45], s[64:65]
	s_wait_alu 0xfffe
	s_add_co_u32 s6, s6, s64
	s_cselect_b32 s15, -1, 0
	s_wait_alu 0xfffe
	s_cmp_lg_u32 s15, 0
	s_add_co_ci_u32 s7, s7, s65
	s_wait_alu 0xfffe
	s_mul_u64 s[12:13], s[12:13], s[6:7]
	s_wait_alu 0xfffe
	s_mul_hi_u32 s65, s6, s13
	s_mul_i32 s64, s6, s13
	s_mul_hi_u32 s44, s6, s12
	s_mul_i32 s25, s7, s12
	s_wait_alu 0xfffe
	s_add_nc_u64 s[64:65], s[44:45], s[64:65]
	s_mul_hi_u32 s15, s7, s12
	s_mul_hi_u32 s60, s7, s13
	s_mul_i32 s12, s7, s13
	s_wait_alu 0xfffe
	s_add_co_u32 s13, s64, s25
	s_add_co_ci_u32 s44, s65, s15
	s_add_co_ci_u32 s13, s60, 0
	s_wait_alu 0xfffe
	s_add_nc_u64 s[12:13], s[44:45], s[12:13]
	s_wait_alu 0xfffe
	s_add_co_u32 s6, s6, s12
	s_cselect_b32 s12, -1, 0
	s_wait_alu 0xfffe
	s_mul_hi_u32 s44, s52, s6
	s_cmp_lg_u32 s12, 0
	s_mul_hi_u32 s15, s53, s6
	s_add_co_ci_u32 s12, s7, s13
	s_mul_i32 s13, s53, s6
	s_wait_alu 0xfffe
	s_mul_hi_u32 s7, s52, s12
	s_mul_i32 s6, s52, s12
	s_mul_hi_u32 s25, s53, s12
	s_wait_alu 0xfffe
	s_add_nc_u64 s[6:7], s[44:45], s[6:7]
	s_mul_i32 s12, s53, s12
	s_wait_alu 0xfffe
	s_add_co_u32 s6, s6, s13
	s_add_co_ci_u32 s44, s7, s15
	s_add_co_ci_u32 s13, s25, 0
	s_wait_alu 0xfffe
	s_add_nc_u64 s[6:7], s[44:45], s[12:13]
	s_wait_alu 0xfffe
	s_mul_u64 s[6:7], s[42:43], s[6:7]
	s_wait_alu 0xfffe
	s_sub_co_u32 s6, s52, s6
	s_cselect_b32 s12, -1, 0
	s_wait_alu 0xfffe
	s_cmp_lg_u32 s12, 0
	s_sub_co_ci_u32 s7, s53, s7
	s_sub_co_u32 s12, s6, s42
	s_cselect_b32 s13, -1, 0
	s_wait_alu 0xfffe
	s_cmp_lg_u32 s13, 0
	s_sub_co_ci_u32 s13, s7, 0
	;; [unrolled: 5-line block ×3, first 2 shown]
	s_cmp_ge_u32 s12, s42
	s_cselect_b32 s44, -1, 0
	s_cmp_eq_u32 s13, 0
	s_wait_alu 0xfffe
	s_cselect_b32 s44, s44, -1
	s_wait_alu 0xfffe
	s_cmp_lg_u32 s44, 0
	s_cselect_b32 s13, s25, s13
	s_cselect_b32 s12, s15, s12
	s_cmp_ge_u32 s6, s42
	s_cselect_b32 s15, -1, 0
	s_cmp_eq_u32 s7, 0
	s_wait_alu 0xfffe
	s_cselect_b32 s15, s15, -1
	s_wait_alu 0xfffe
	s_cmp_lg_u32 s15, 0
	s_cselect_b32 s7, s13, s7
	s_cselect_b32 s6, s12, s6
	s_cbranch_execnz .LBB132_210
.LBB132_209:                            ;   in Loop: Header=BB132_20 Depth=1
	v_cvt_f32_u32_e32 v6, s42
	s_sub_co_i32 s7, 0, s42
	s_delay_alu instid0(VALU_DEP_1) | instskip(NEXT) | instid1(TRANS32_DEP_1)
	v_rcp_iflag_f32_e32 v6, v6
	v_mul_f32_e32 v6, 0x4f7ffffe, v6
	s_delay_alu instid0(VALU_DEP_1) | instskip(NEXT) | instid1(VALU_DEP_1)
	v_cvt_u32_f32_e32 v6, v6
	v_readfirstlane_b32 s6, v6
	s_wait_alu 0xfffe
	s_mul_i32 s7, s7, s6
	s_wait_alu 0xfffe
	s_mul_hi_u32 s7, s6, s7
	s_wait_alu 0xfffe
	s_add_co_i32 s6, s6, s7
	s_wait_alu 0xfffe
	s_mul_hi_u32 s6, s52, s6
	s_wait_alu 0xfffe
	s_mul_i32 s6, s6, s42
	s_wait_alu 0xfffe
	s_sub_co_i32 s6, s52, s6
	s_wait_alu 0xfffe
	s_sub_co_i32 s7, s6, s42
	s_cmp_ge_u32 s6, s42
	s_wait_alu 0xfffe
	s_cselect_b32 s6, s7, s6
	s_wait_alu 0xfffe
	s_sub_co_i32 s7, s6, s42
	s_cmp_ge_u32 s6, s42
	s_wait_alu 0xfffe
	s_cselect_b32 s44, s7, s6
	s_wait_alu 0xfffe
	s_mov_b64 s[6:7], s[44:45]
.LBB132_210:                            ;   in Loop: Header=BB132_20 Depth=1
	s_wait_alu 0xfffe
	s_sub_nc_u64 s[12:13], s[52:53], s[6:7]
	s_mov_b32 s7, exec_lo
                                        ; implicit-def: $vgpr44
	s_wait_alu 0xfffe
	v_cmpx_gt_u64_e64 s[12:13], v[0:1]
	s_cbranch_execz .LBB132_220
; %bb.211:                              ;   in Loop: Header=BB132_20 Depth=1
	v_dual_mov_b32 v6, v12 :: v_dual_mov_b32 v7, v13
	v_dual_mov_b32 v9, v1 :: v_dual_mov_b32 v8, v0
	s_mov_b32 s15, 0
                                        ; implicit-def: $sgpr25
	s_branch .LBB132_215
.LBB132_212:                            ;   in Loop: Header=BB132_215 Depth=2
	s_wait_alu 0xfffe
	s_or_b32 exec_lo, exec_lo, s6
	s_wait_loadcnt_dscnt 0x0
	s_barrier_signal -1
	s_barrier_wait -1
	global_inv scope:SCOPE_SE
	ds_load_b32 v10, v3 offset:3072
	s_wait_loadcnt_dscnt 0x0
	s_barrier_signal -1
	s_barrier_wait -1
	global_inv scope:SCOPE_SE
	v_cmp_eq_f16_e32 vcc_lo, 0, v10
	s_cbranch_vccz .LBB132_218
; %bb.213:                              ;   in Loop: Header=BB132_215 Depth=2
	v_add_co_u32 v8, vcc_lo, v8, s42
	s_wait_alu 0xfffd
	v_add_co_ci_u32_e64 v9, null, 0, v9, vcc_lo
	v_add_co_u32 v6, s6, v6, s46
	s_wait_alu 0xf1ff
	v_add_co_ci_u32_e64 v7, null, s47, v7, s6
	s_delay_alu instid0(VALU_DEP_3)
	v_cmp_le_u64_e32 vcc_lo, s[12:13], v[8:9]
	s_mov_b32 s6, 0
	s_or_not1_b32 s44, vcc_lo, exec_lo
.LBB132_214:                            ;   in Loop: Header=BB132_215 Depth=2
	s_wait_alu 0xfffe
	s_and_b32 s44, exec_lo, s44
	s_wait_alu 0xfffe
	s_or_b32 s15, s44, s15
	s_and_not1_b32 s25, s25, exec_lo
	s_and_b32 s6, s6, exec_lo
	s_wait_alu 0xfffe
	s_or_b32 s25, s25, s6
	s_and_not1_b32 exec_lo, exec_lo, s15
	s_cbranch_execz .LBB132_219
.LBB132_215:                            ;   Parent Loop BB132_20 Depth=1
                                        ; =>  This Inner Loop Header: Depth=2
	s_mov_b32 s6, exec_lo
	s_delay_alu instid0(VALU_DEP_1)
	v_cmpx_gt_u64_e64 s[28:29], v[8:9]
	s_cbranch_execz .LBB132_212
; %bb.216:                              ;   in Loop: Header=BB132_215 Depth=2
	global_load_u16 v10, v[6:7], off
	s_wait_loadcnt 0x0
	v_cmp_lt_i16_e32 vcc_lo, -1, v10
	v_and_b32_e32 v11, 0xffff, v10
	s_wait_alu 0xfffd
	v_cndmask_b32_e32 v26, 0xffff, v42, vcc_lo
	v_cmp_o_f16_e32 vcc_lo, v10, v10
	s_delay_alu instid0(VALU_DEP_2) | instskip(SKIP_1) | instid1(VALU_DEP_1)
	v_xor_b32_e32 v11, v26, v11
	s_wait_alu 0xfffd
	v_cndmask_b32_e32 v11, 0xffff, v11, vcc_lo
	s_delay_alu instid0(VALU_DEP_1) | instskip(NEXT) | instid1(VALU_DEP_1)
	v_and_b32_e32 v11, v11, v43
	v_cmp_eq_u32_e32 vcc_lo, v11, v20
	s_and_b32 exec_lo, exec_lo, vcc_lo
	s_cbranch_execz .LBB132_212
; %bb.217:                              ;   in Loop: Header=BB132_215 Depth=2
	v_perm_b32 v10, v10, s86, 0x5040100
	ds_store_b32 v3, v10 offset:3072
	s_branch .LBB132_212
.LBB132_218:                            ;   in Loop: Header=BB132_215 Depth=2
	s_mov_b32 s44, -1
	s_mov_b32 s6, -1
                                        ; implicit-def: $vgpr8_vgpr9
                                        ; implicit-def: $vgpr6_vgpr7
	s_branch .LBB132_214
.LBB132_219:                            ;   in Loop: Header=BB132_20 Depth=1
	s_or_b32 exec_lo, exec_lo, s15
	v_lshrrev_b32_e32 v44, 16, v10
	s_and_not1_b32 s6, s14, exec_lo
	s_wait_alu 0xfffe
	s_and_b32 s12, s25, exec_lo
	s_wait_alu 0xfffe
	s_or_b32 s14, s6, s12
.LBB132_220:                            ;   in Loop: Header=BB132_20 Depth=1
	s_or_b32 exec_lo, exec_lo, s7
	s_mov_b32 s25, 0
	s_mov_b32 s60, -1
.LBB132_221:                            ;   in Loop: Header=BB132_20 Depth=1
	s_wait_alu 0xfffe
	s_or_not1_b32 s6, s14, exec_lo
.LBB132_222:                            ;   in Loop: Header=BB132_20 Depth=1
	s_wait_alu 0xfffe
	s_or_b32 exec_lo, exec_lo, s62
	s_mov_b32 s7, 0
	s_and_saveexec_b32 s14, s6
	s_cbranch_execz .LBB132_282
; %bb.223:                              ;   in Loop: Header=BB132_20 Depth=1
	v_mov_b32_e32 v6, 1
	v_dual_mov_b32 v7, 0 :: v_dual_mov_b32 v2, 1
	s_xor_b32 s12, s61, -1
	s_wait_alu 0xfffe
	s_and_saveexec_b32 s6, s12
	s_cbranch_execz .LBB132_232
; %bb.224:                              ;   in Loop: Header=BB132_20 Depth=1
	s_mov_b32 s7, exec_lo
	v_cmpx_ge_u64_e64 s[10:11], v[4:5]
	s_wait_alu 0xfffe
	s_xor_b32 s7, exec_lo, s7
	s_cbranch_execz .LBB132_229
; %bb.225:                              ;   in Loop: Header=BB132_20 Depth=1
	ds_load_b64 v[6:7], v3 offset:5120
	s_lshl_b32 s12, 2, s84
	v_or_b32_e32 v43, s16, v43
	s_wait_alu 0xfffe
	v_and_or_b32 v20, v20, s20, s12
	s_wait_dscnt 0x0
	v_cmp_ne_u64_e32 vcc_lo, 0, v[6:7]
	s_cbranch_vccnz .LBB132_229
; %bb.226:                              ;   in Loop: Header=BB132_20 Depth=1
	s_and_saveexec_b32 s12, s3
; %bb.227:                              ;   in Loop: Header=BB132_20 Depth=1
	v_dual_mov_b32 v6, s10 :: v_dual_mov_b32 v7, s11
	ds_store_b64 v3, v[6:7] offset:5128
; %bb.228:                              ;   in Loop: Header=BB132_20 Depth=1
	s_wait_alu 0xfffe
	s_or_b32 exec_lo, exec_lo, s12
	s_wait_loadcnt_dscnt 0x0
	s_barrier_signal -1
	s_barrier_wait -1
	global_inv scope:SCOPE_SE
.LBB132_229:                            ;   in Loop: Header=BB132_20 Depth=1
	s_wait_alu 0xfffe
	s_or_saveexec_b32 s7, s7
	v_mov_b32_e32 v2, 8
	s_mov_b32 s12, 0
	s_wait_alu 0xfffe
	s_xor_b32 exec_lo, exec_lo, s7
; %bb.230:                              ;   in Loop: Header=BB132_20 Depth=1
	v_sub_co_u32 v4, vcc_lo, v4, s10
	s_wait_alu 0xfffd
	v_subrev_co_ci_u32_e64 v5, null, s11, v5, vcc_lo
	v_mov_b32_e32 v2, 0
	s_mov_b32 s12, exec_lo
; %bb.231:                              ;   in Loop: Header=BB132_20 Depth=1
	s_or_b32 exec_lo, exec_lo, s7
	s_delay_alu instid0(VALU_DEP_2)
	v_dual_mov_b32 v7, v5 :: v_dual_mov_b32 v6, v4
	s_wait_alu 0xfffe
	s_and_b32 s7, s12, exec_lo
.LBB132_232:                            ;   in Loop: Header=BB132_20 Depth=1
	s_wait_alu 0xfffe
	s_or_b32 exec_lo, exec_lo, s6
	s_mov_b32 s6, -1
                                        ; implicit-def: $sgpr63
                                        ; implicit-def: $sgpr62
	s_and_saveexec_b32 s15, s7
	s_cbranch_execz .LBB132_281
; %bb.233:                              ;   in Loop: Header=BB132_20 Depth=1
	v_cmp_eq_u64_e32 vcc_lo, 1, v[6:7]
	s_cmp_eq_u64 s[8:9], 1
	s_mov_b32 s7, -1
	s_cselect_b32 s6, -1, 0
                                        ; implicit-def: $sgpr63
                                        ; implicit-def: $sgpr62
	s_wait_alu 0xfffe
	s_and_b32 s20, s6, vcc_lo
	s_wait_alu 0xfffe
	s_and_saveexec_b32 s61, s20
	s_cbranch_execz .LBB132_269
; %bb.234:                              ;   in Loop: Header=BB132_20 Depth=1
	ds_load_b64 v[4:5], v3 offset:5120
	s_wait_loadcnt_dscnt 0x0
	s_barrier_signal -1
	s_barrier_wait -1
	global_inv scope:SCOPE_SE
	v_readfirstlane_b32 s6, v4
	v_readfirstlane_b32 s7, v5
	s_and_saveexec_b32 s10, s0
; %bb.235:                              ;   in Loop: Header=BB132_20 Depth=1
	ds_store_b16 v34, v3
; %bb.236:                              ;   in Loop: Header=BB132_20 Depth=1
	s_wait_alu 0xfffe
	s_or_b32 exec_lo, exec_lo, s10
	v_or_b32_e32 v20, s16, v20
	v_or_b32_e32 v43, s16, v43
	s_mov_b32 s62, -1
	s_mov_b32 s63, 0
	s_cmp_eq_u64 s[6:7], 0
	s_mov_b32 s12, 0
	s_mov_b32 s13, -1
	s_wait_loadcnt_dscnt 0x0
	s_barrier_signal -1
	s_barrier_wait -1
	global_inv scope:SCOPE_SE
                                        ; implicit-def: $vgpr44
	s_cbranch_scc1 .LBB132_253
; %bb.237:                              ;   in Loop: Header=BB132_20 Depth=1
	s_add_nc_u64 s[10:11], s[6:7], s[50:51]
	s_mov_b32 s12, s45
	s_wait_alu 0xfffe
	s_mov_b32 s13, s11
	s_wait_alu 0xfffe
	s_cmp_lg_u64 s[12:13], 0
	s_cbranch_scc0 .LBB132_288
; %bb.238:                              ;   in Loop: Header=BB132_20 Depth=1
	s_cvt_f32_u32 s12, s42
	s_sub_nc_u64 s[64:65], 0, s[42:43]
	s_wait_alu 0xfffe
	s_delay_alu instid0(SALU_CYCLE_1) | instskip(SKIP_1) | instid1(SALU_CYCLE_2)
	s_fmamk_f32 s12, s83, 0x0, s12
	s_wait_alu 0xfffe
	v_s_rcp_f32 s12, s12
	s_delay_alu instid0(TRANS32_DEP_1) | instskip(SKIP_1) | instid1(SALU_CYCLE_2)
	s_mul_f32 s12, s12, 0x5f7ffffc
	s_wait_alu 0xfffe
	s_mul_f32 s13, s12, 0x2f800000
	s_wait_alu 0xfffe
	s_delay_alu instid0(SALU_CYCLE_2) | instskip(SKIP_1) | instid1(SALU_CYCLE_2)
	s_trunc_f32 s13, s13
	s_wait_alu 0xfffe
	s_fmamk_f32 s12, s13, 0xcf800000, s12
	s_cvt_u32_f32 s13, s13
	s_wait_alu 0xfffe
	s_delay_alu instid0(SALU_CYCLE_1) | instskip(SKIP_1) | instid1(SALU_CYCLE_2)
	s_cvt_u32_f32 s12, s12
	s_wait_alu 0xfffe
	s_mul_u64 s[66:67], s[64:65], s[12:13]
	s_wait_alu 0xfffe
	s_mul_hi_u32 s69, s12, s67
	s_mul_i32 s68, s12, s67
	s_mul_hi_u32 s44, s12, s66
	s_mul_i32 s71, s13, s66
	s_wait_alu 0xfffe
	s_add_nc_u64 s[68:69], s[44:45], s[68:69]
	s_mul_hi_u32 s70, s13, s66
	s_mul_hi_u32 s72, s13, s67
	s_wait_alu 0xfffe
	s_add_co_u32 s44, s68, s71
	s_add_co_ci_u32 s44, s69, s70
	s_mul_i32 s66, s13, s67
	s_add_co_ci_u32 s67, s72, 0
	s_wait_alu 0xfffe
	s_add_nc_u64 s[66:67], s[44:45], s[66:67]
	s_wait_alu 0xfffe
	s_add_co_u32 s12, s12, s66
	s_cselect_b32 s44, -1, 0
	s_wait_alu 0xfffe
	s_cmp_lg_u32 s44, 0
	s_add_co_ci_u32 s13, s13, s67
	s_wait_alu 0xfffe
	s_mul_u64 s[64:65], s[64:65], s[12:13]
	s_wait_alu 0xfffe
	s_mul_hi_u32 s67, s12, s65
	s_mul_i32 s66, s12, s65
	s_mul_hi_u32 s44, s12, s64
	s_mul_i32 s69, s13, s64
	s_wait_alu 0xfffe
	s_add_nc_u64 s[66:67], s[44:45], s[66:67]
	s_mul_hi_u32 s68, s13, s64
	s_mul_hi_u32 s70, s13, s65
	s_wait_alu 0xfffe
	s_add_co_u32 s44, s66, s69
	s_add_co_ci_u32 s44, s67, s68
	s_mul_i32 s64, s13, s65
	s_add_co_ci_u32 s65, s70, 0
	s_wait_alu 0xfffe
	s_add_nc_u64 s[64:65], s[44:45], s[64:65]
	s_wait_alu 0xfffe
	s_add_co_u32 s12, s12, s64
	s_cselect_b32 s64, -1, 0
	s_wait_alu 0xfffe
	s_mul_hi_u32 s44, s10, s12
	s_cmp_lg_u32 s64, 0
	s_mul_hi_u32 s66, s11, s12
	s_add_co_ci_u32 s64, s13, s65
	s_mul_i32 s65, s11, s12
	s_wait_alu 0xfffe
	s_mul_hi_u32 s13, s10, s64
	s_mul_i32 s12, s10, s64
	s_mul_hi_u32 s67, s11, s64
	s_wait_alu 0xfffe
	s_add_nc_u64 s[12:13], s[44:45], s[12:13]
	s_mul_i32 s64, s11, s64
	s_wait_alu 0xfffe
	s_add_co_u32 s12, s12, s65
	s_add_co_ci_u32 s44, s13, s66
	s_add_co_ci_u32 s65, s67, 0
	s_wait_alu 0xfffe
	s_add_nc_u64 s[12:13], s[44:45], s[64:65]
	s_wait_alu 0xfffe
	s_mul_u64 s[12:13], s[42:43], s[12:13]
	s_wait_alu 0xfffe
	s_sub_co_u32 s12, s10, s12
	s_cselect_b32 s44, -1, 0
	s_wait_alu 0xfffe
	s_cmp_lg_u32 s44, 0
	s_sub_co_ci_u32 s13, s11, s13
	s_sub_co_u32 s44, s12, s42
	s_cselect_b32 s64, -1, 0
	s_wait_alu 0xfffe
	s_cmp_lg_u32 s64, 0
	s_sub_co_ci_u32 s64, s13, 0
	;; [unrolled: 5-line block ×3, first 2 shown]
	s_cmp_ge_u32 s44, s42
	s_cselect_b32 s67, -1, 0
	s_cmp_eq_u32 s64, 0
	s_wait_alu 0xfffe
	s_cselect_b32 s67, s67, -1
	s_wait_alu 0xfffe
	s_cmp_lg_u32 s67, 0
	s_cselect_b32 s64, s66, s64
	s_cselect_b32 s44, s65, s44
	s_cmp_ge_u32 s12, s42
	s_cselect_b32 s65, -1, 0
	s_cmp_eq_u32 s13, 0
	s_wait_alu 0xfffe
	s_cselect_b32 s65, s65, -1
	s_wait_alu 0xfffe
	s_cmp_lg_u32 s65, 0
	s_cselect_b32 s13, s64, s13
	s_cselect_b32 s12, s44, s12
	s_cbranch_execnz .LBB132_240
.LBB132_239:                            ;   in Loop: Header=BB132_20 Depth=1
	v_cvt_f32_u32_e32 v4, s42
	s_sub_co_i32 s13, 0, s42
	s_delay_alu instid0(VALU_DEP_1) | instskip(NEXT) | instid1(TRANS32_DEP_1)
	v_rcp_iflag_f32_e32 v4, v4
	v_mul_f32_e32 v4, 0x4f7ffffe, v4
	s_delay_alu instid0(VALU_DEP_1) | instskip(NEXT) | instid1(VALU_DEP_1)
	v_cvt_u32_f32_e32 v4, v4
	v_readfirstlane_b32 s12, v4
	s_wait_alu 0xfffe
	s_mul_i32 s13, s13, s12
	s_wait_alu 0xfffe
	s_mul_hi_u32 s13, s12, s13
	s_wait_alu 0xfffe
	s_add_co_i32 s12, s12, s13
	s_wait_alu 0xfffe
	s_mul_hi_u32 s12, s10, s12
	s_wait_alu 0xfffe
	s_mul_i32 s12, s12, s42
	s_wait_alu 0xfffe
	s_sub_co_i32 s12, s10, s12
	s_wait_alu 0xfffe
	s_sub_co_i32 s13, s12, s42
	s_cmp_ge_u32 s12, s42
	s_wait_alu 0xfffe
	s_cselect_b32 s12, s13, s12
	s_wait_alu 0xfffe
	s_sub_co_i32 s13, s12, s42
	s_cmp_ge_u32 s12, s42
	s_wait_alu 0xfffe
	s_cselect_b32 s44, s13, s12
	s_wait_alu 0xfffe
	s_mov_b64 s[12:13], s[44:45]
.LBB132_240:                            ;   in Loop: Header=BB132_20 Depth=1
	s_wait_alu 0xfffe
	s_sub_nc_u64 s[10:11], s[10:11], s[12:13]
	s_mov_b32 s13, 0
	s_mov_b32 s12, 0
	s_mov_b32 s44, exec_lo
                                        ; implicit-def: $vgpr44
	s_wait_alu 0xfffe
	v_cmpx_gt_u64_e64 s[10:11], v[0:1]
	s_cbranch_execz .LBB132_252
; %bb.241:                              ;   in Loop: Header=BB132_20 Depth=1
	v_dual_mov_b32 v8, v33 :: v_dual_mov_b32 v5, v1
	v_mov_b32_e32 v4, v0
                                        ; implicit-def: $sgpr64
	s_branch .LBB132_245
.LBB132_242:                            ;   in Loop: Header=BB132_245 Depth=2
	s_wait_alu 0xfffe
	s_or_b32 exec_lo, exec_lo, s65
	s_wait_loadcnt_dscnt 0x0
	s_barrier_signal -1
	s_barrier_wait -1
	global_inv scope:SCOPE_SE
	ds_load_b32 v9, v3 offset:3072
	s_wait_loadcnt_dscnt 0x0
	s_barrier_signal -1
	s_barrier_wait -1
	global_inv scope:SCOPE_SE
	v_cmp_neq_f16_e32 vcc_lo, 0, v9
	s_cbranch_vccnz .LBB132_248
; %bb.243:                              ;   in Loop: Header=BB132_245 Depth=2
	v_add_co_u32 v4, vcc_lo, v4, s42
	s_wait_alu 0xfffd
	v_add_co_ci_u32_e64 v5, null, 0, v5, vcc_lo
	v_add_nc_u32_e32 v8, s82, v8
	s_mov_b32 s65, 0
	s_delay_alu instid0(VALU_DEP_2)
	v_cmp_le_u64_e32 vcc_lo, s[10:11], v[4:5]
	s_or_not1_b32 s66, vcc_lo, exec_lo
.LBB132_244:                            ;   in Loop: Header=BB132_245 Depth=2
	s_wait_alu 0xfffe
	s_and_b32 s66, exec_lo, s66
	s_wait_alu 0xfffe
	s_or_b32 s12, s66, s12
	s_and_not1_b32 s64, s64, exec_lo
	s_and_b32 s65, s65, exec_lo
	s_wait_alu 0xfffe
	s_or_b32 s64, s64, s65
	s_and_not1_b32 exec_lo, exec_lo, s12
	s_cbranch_execz .LBB132_251
.LBB132_245:                            ;   Parent Loop BB132_20 Depth=1
                                        ; =>  This Inner Loop Header: Depth=2
	s_mov_b32 s65, exec_lo
	s_delay_alu instid0(VALU_DEP_1)
	v_cmpx_gt_u64_e64 s[6:7], v[4:5]
	s_cbranch_execz .LBB132_242
; %bb.246:                              ;   in Loop: Header=BB132_245 Depth=2
	ds_load_u16 v9, v8
	s_wait_dscnt 0x0
	v_cmp_lt_i16_e32 vcc_lo, -1, v9
	s_wait_alu 0xfffd
	v_dual_cndmask_b32 v11, 0xffff, v42 :: v_dual_and_b32 v10, 0xffff, v9
	v_cmp_o_f16_e32 vcc_lo, v9, v9
	s_delay_alu instid0(VALU_DEP_2) | instskip(SKIP_1) | instid1(VALU_DEP_1)
	v_xor_b32_e32 v10, v11, v10
	s_wait_alu 0xfffd
	v_cndmask_b32_e32 v10, 0xffff, v10, vcc_lo
	s_delay_alu instid0(VALU_DEP_1) | instskip(NEXT) | instid1(VALU_DEP_1)
	v_and_b32_e32 v10, v10, v43
	v_cmp_eq_u32_e32 vcc_lo, v10, v20
	s_and_b32 exec_lo, exec_lo, vcc_lo
	s_cbranch_execz .LBB132_242
; %bb.247:                              ;   in Loop: Header=BB132_245 Depth=2
	v_perm_b32 v9, v9, s86, 0x5040100
	ds_store_b32 v3, v9 offset:3072
	s_branch .LBB132_242
.LBB132_248:                            ;   in Loop: Header=BB132_245 Depth=2
	s_mov_b32 s66, -1
	s_mov_b32 s65, -1
                                        ; implicit-def: $vgpr4_vgpr5
                                        ; implicit-def: $vgpr8
	s_branch .LBB132_244
.LBB132_249:                            ;   in Loop: Header=BB132_20 Depth=1
                                        ; implicit-def: $sgpr14_sgpr15
	s_branch .LBB132_192
.LBB132_250:                            ;   in Loop: Header=BB132_20 Depth=1
                                        ; implicit-def: $sgpr6_sgpr7
	s_branch .LBB132_209
.LBB132_251:                            ;   in Loop: Header=BB132_20 Depth=1
	s_or_b32 exec_lo, exec_lo, s12
	v_lshrrev_b32_e32 v44, 16, v9
	s_wait_alu 0xfffe
	s_and_b32 s12, s64, exec_lo
.LBB132_252:                            ;   in Loop: Header=BB132_20 Depth=1
	s_or_b32 exec_lo, exec_lo, s44
.LBB132_253:                            ;   in Loop: Header=BB132_20 Depth=1
	s_wait_alu 0xfffe
	s_and_b32 vcc_lo, exec_lo, s13
	s_wait_alu 0xfffe
	s_cbranch_vccz .LBB132_268
; %bb.254:                              ;   in Loop: Header=BB132_20 Depth=1
	s_mov_b32 s6, s45
	s_mov_b32 s7, s53
	s_wait_alu 0xfffe
	s_cmp_lg_u64 s[6:7], 0
	s_cbranch_scc0 .LBB132_289
; %bb.255:                              ;   in Loop: Header=BB132_20 Depth=1
	s_cvt_f32_u32 s6, s42
	s_sub_nc_u64 s[10:11], 0, s[42:43]
	s_wait_alu 0xfffe
	s_delay_alu instid0(SALU_CYCLE_1) | instskip(SKIP_1) | instid1(SALU_CYCLE_2)
	s_fmamk_f32 s6, s83, 0x0, s6
	s_wait_alu 0xfffe
	v_s_rcp_f32 s6, s6
	s_delay_alu instid0(TRANS32_DEP_1) | instskip(SKIP_1) | instid1(SALU_CYCLE_2)
	s_mul_f32 s6, s6, 0x5f7ffffc
	s_wait_alu 0xfffe
	s_mul_f32 s7, s6, 0x2f800000
	s_wait_alu 0xfffe
	s_delay_alu instid0(SALU_CYCLE_2) | instskip(SKIP_1) | instid1(SALU_CYCLE_2)
	s_trunc_f32 s7, s7
	s_wait_alu 0xfffe
	s_fmamk_f32 s6, s7, 0xcf800000, s6
	s_cvt_u32_f32 s7, s7
	s_wait_alu 0xfffe
	s_delay_alu instid0(SALU_CYCLE_1) | instskip(SKIP_1) | instid1(SALU_CYCLE_2)
	s_cvt_u32_f32 s6, s6
	s_wait_alu 0xfffe
	s_mul_u64 s[62:63], s[10:11], s[6:7]
	s_wait_alu 0xfffe
	s_mul_hi_u32 s65, s6, s63
	s_mul_i32 s64, s6, s63
	s_mul_hi_u32 s44, s6, s62
	s_mul_i32 s66, s7, s62
	s_wait_alu 0xfffe
	s_add_nc_u64 s[64:65], s[44:45], s[64:65]
	s_mul_hi_u32 s13, s7, s62
	s_mul_hi_u32 s67, s7, s63
	s_wait_alu 0xfffe
	s_add_co_u32 s44, s64, s66
	s_add_co_ci_u32 s44, s65, s13
	s_mul_i32 s62, s7, s63
	s_add_co_ci_u32 s63, s67, 0
	s_wait_alu 0xfffe
	s_add_nc_u64 s[62:63], s[44:45], s[62:63]
	s_wait_alu 0xfffe
	s_add_co_u32 s6, s6, s62
	s_cselect_b32 s13, -1, 0
	s_wait_alu 0xfffe
	s_cmp_lg_u32 s13, 0
	s_add_co_ci_u32 s7, s7, s63
	s_wait_alu 0xfffe
	s_mul_u64 s[10:11], s[10:11], s[6:7]
	s_wait_alu 0xfffe
	s_mul_hi_u32 s63, s6, s11
	s_mul_i32 s62, s6, s11
	s_mul_hi_u32 s44, s6, s10
	s_mul_i32 s64, s7, s10
	s_wait_alu 0xfffe
	s_add_nc_u64 s[62:63], s[44:45], s[62:63]
	s_mul_hi_u32 s13, s7, s10
	s_mul_hi_u32 s65, s7, s11
	s_mul_i32 s10, s7, s11
	s_wait_alu 0xfffe
	s_add_co_u32 s11, s62, s64
	s_add_co_ci_u32 s44, s63, s13
	s_add_co_ci_u32 s11, s65, 0
	s_wait_alu 0xfffe
	s_add_nc_u64 s[10:11], s[44:45], s[10:11]
	s_wait_alu 0xfffe
	s_add_co_u32 s6, s6, s10
	s_cselect_b32 s10, -1, 0
	s_wait_alu 0xfffe
	s_mul_hi_u32 s44, s52, s6
	s_cmp_lg_u32 s10, 0
	s_mul_hi_u32 s13, s53, s6
	s_add_co_ci_u32 s10, s7, s11
	s_mul_i32 s11, s53, s6
	s_wait_alu 0xfffe
	s_mul_hi_u32 s7, s52, s10
	s_mul_i32 s6, s52, s10
	s_mul_hi_u32 s62, s53, s10
	s_wait_alu 0xfffe
	s_add_nc_u64 s[6:7], s[44:45], s[6:7]
	s_mul_i32 s10, s53, s10
	s_wait_alu 0xfffe
	s_add_co_u32 s6, s6, s11
	s_add_co_ci_u32 s44, s7, s13
	s_add_co_ci_u32 s11, s62, 0
	s_wait_alu 0xfffe
	s_add_nc_u64 s[6:7], s[44:45], s[10:11]
	s_wait_alu 0xfffe
	s_mul_u64 s[6:7], s[42:43], s[6:7]
	s_wait_alu 0xfffe
	s_sub_co_u32 s6, s52, s6
	s_cselect_b32 s10, -1, 0
	s_wait_alu 0xfffe
	s_cmp_lg_u32 s10, 0
	s_sub_co_ci_u32 s7, s53, s7
	s_sub_co_u32 s10, s6, s42
	s_cselect_b32 s11, -1, 0
	s_wait_alu 0xfffe
	s_cmp_lg_u32 s11, 0
	s_sub_co_ci_u32 s11, s7, 0
	;; [unrolled: 5-line block ×3, first 2 shown]
	s_cmp_ge_u32 s10, s42
	s_cselect_b32 s62, -1, 0
	s_cmp_eq_u32 s11, 0
	s_wait_alu 0xfffe
	s_cselect_b32 s62, s62, -1
	s_wait_alu 0xfffe
	s_cmp_lg_u32 s62, 0
	s_cselect_b32 s11, s44, s11
	s_cselect_b32 s10, s13, s10
	s_cmp_ge_u32 s6, s42
	s_cselect_b32 s13, -1, 0
	s_cmp_eq_u32 s7, 0
	s_wait_alu 0xfffe
	s_cselect_b32 s13, s13, -1
	s_wait_alu 0xfffe
	s_cmp_lg_u32 s13, 0
	s_cselect_b32 s7, s11, s7
	s_cselect_b32 s6, s10, s6
	s_cbranch_execnz .LBB132_257
.LBB132_256:                            ;   in Loop: Header=BB132_20 Depth=1
	v_cvt_f32_u32_e32 v4, s42
	s_sub_co_i32 s7, 0, s42
	s_delay_alu instid0(VALU_DEP_1) | instskip(NEXT) | instid1(TRANS32_DEP_1)
	v_rcp_iflag_f32_e32 v4, v4
	v_mul_f32_e32 v4, 0x4f7ffffe, v4
	s_delay_alu instid0(VALU_DEP_1) | instskip(NEXT) | instid1(VALU_DEP_1)
	v_cvt_u32_f32_e32 v4, v4
	v_readfirstlane_b32 s6, v4
	s_wait_alu 0xfffe
	s_mul_i32 s7, s7, s6
	s_wait_alu 0xfffe
	s_mul_hi_u32 s7, s6, s7
	s_wait_alu 0xfffe
	s_add_co_i32 s6, s6, s7
	s_wait_alu 0xfffe
	s_mul_hi_u32 s6, s52, s6
	s_wait_alu 0xfffe
	s_mul_i32 s6, s6, s42
	s_wait_alu 0xfffe
	s_sub_co_i32 s6, s52, s6
	s_wait_alu 0xfffe
	s_sub_co_i32 s7, s6, s42
	s_cmp_ge_u32 s6, s42
	s_wait_alu 0xfffe
	s_cselect_b32 s6, s7, s6
	s_wait_alu 0xfffe
	s_sub_co_i32 s7, s6, s42
	s_cmp_ge_u32 s6, s42
	s_wait_alu 0xfffe
	s_cselect_b32 s44, s7, s6
	s_wait_alu 0xfffe
	s_mov_b64 s[6:7], s[44:45]
.LBB132_257:                            ;   in Loop: Header=BB132_20 Depth=1
	s_wait_alu 0xfffe
	s_sub_nc_u64 s[10:11], s[52:53], s[6:7]
	s_mov_b32 s7, exec_lo
                                        ; implicit-def: $vgpr44
	s_wait_alu 0xfffe
	v_cmpx_gt_u64_e64 s[10:11], v[0:1]
	s_cbranch_execz .LBB132_267
; %bb.258:                              ;   in Loop: Header=BB132_20 Depth=1
	v_dual_mov_b32 v4, v12 :: v_dual_mov_b32 v5, v13
	v_dual_mov_b32 v9, v1 :: v_dual_mov_b32 v8, v0
	s_mov_b32 s13, 0
                                        ; implicit-def: $sgpr44
	s_branch .LBB132_262
.LBB132_259:                            ;   in Loop: Header=BB132_262 Depth=2
	s_wait_alu 0xfffe
	s_or_b32 exec_lo, exec_lo, s6
	s_wait_loadcnt_dscnt 0x0
	s_barrier_signal -1
	s_barrier_wait -1
	global_inv scope:SCOPE_SE
	ds_load_b32 v10, v3 offset:3072
	s_wait_loadcnt_dscnt 0x0
	s_barrier_signal -1
	s_barrier_wait -1
	global_inv scope:SCOPE_SE
	v_cmp_eq_f16_e32 vcc_lo, 0, v10
	s_cbranch_vccz .LBB132_265
; %bb.260:                              ;   in Loop: Header=BB132_262 Depth=2
	v_add_co_u32 v8, vcc_lo, v8, s42
	s_wait_alu 0xfffd
	v_add_co_ci_u32_e64 v9, null, 0, v9, vcc_lo
	v_add_co_u32 v4, s6, v4, s46
	s_wait_alu 0xf1ff
	v_add_co_ci_u32_e64 v5, null, s47, v5, s6
	s_delay_alu instid0(VALU_DEP_3)
	v_cmp_le_u64_e32 vcc_lo, s[10:11], v[8:9]
	s_mov_b32 s6, 0
	s_or_not1_b32 s62, vcc_lo, exec_lo
.LBB132_261:                            ;   in Loop: Header=BB132_262 Depth=2
	s_wait_alu 0xfffe
	s_and_b32 s62, exec_lo, s62
	s_wait_alu 0xfffe
	s_or_b32 s13, s62, s13
	s_and_not1_b32 s44, s44, exec_lo
	s_and_b32 s6, s6, exec_lo
	s_wait_alu 0xfffe
	s_or_b32 s44, s44, s6
	s_and_not1_b32 exec_lo, exec_lo, s13
	s_cbranch_execz .LBB132_266
.LBB132_262:                            ;   Parent Loop BB132_20 Depth=1
                                        ; =>  This Inner Loop Header: Depth=2
	s_mov_b32 s6, exec_lo
	s_delay_alu instid0(VALU_DEP_1)
	v_cmpx_gt_u64_e64 s[28:29], v[8:9]
	s_cbranch_execz .LBB132_259
; %bb.263:                              ;   in Loop: Header=BB132_262 Depth=2
	global_load_u16 v10, v[4:5], off
	s_wait_loadcnt 0x0
	v_cmp_lt_i16_e32 vcc_lo, -1, v10
	v_and_b32_e32 v11, 0xffff, v10
	s_wait_alu 0xfffd
	v_cndmask_b32_e32 v26, 0xffff, v42, vcc_lo
	v_cmp_o_f16_e32 vcc_lo, v10, v10
	s_delay_alu instid0(VALU_DEP_2) | instskip(SKIP_1) | instid1(VALU_DEP_1)
	v_xor_b32_e32 v11, v26, v11
	s_wait_alu 0xfffd
	v_cndmask_b32_e32 v11, 0xffff, v11, vcc_lo
	s_delay_alu instid0(VALU_DEP_1) | instskip(NEXT) | instid1(VALU_DEP_1)
	v_and_b32_e32 v11, v11, v43
	v_cmp_eq_u32_e32 vcc_lo, v11, v20
	s_and_b32 exec_lo, exec_lo, vcc_lo
	s_cbranch_execz .LBB132_259
; %bb.264:                              ;   in Loop: Header=BB132_262 Depth=2
	v_perm_b32 v10, v10, s86, 0x5040100
	ds_store_b32 v3, v10 offset:3072
	s_branch .LBB132_259
.LBB132_265:                            ;   in Loop: Header=BB132_262 Depth=2
	s_mov_b32 s62, -1
	s_mov_b32 s6, -1
                                        ; implicit-def: $vgpr8_vgpr9
                                        ; implicit-def: $vgpr4_vgpr5
	s_branch .LBB132_261
.LBB132_266:                            ;   in Loop: Header=BB132_20 Depth=1
	s_or_b32 exec_lo, exec_lo, s13
	v_lshrrev_b32_e32 v44, 16, v10
	s_and_not1_b32 s6, s12, exec_lo
	s_wait_alu 0xfffe
	s_and_b32 s10, s44, exec_lo
	s_wait_alu 0xfffe
	s_or_b32 s12, s6, s10
.LBB132_267:                            ;   in Loop: Header=BB132_20 Depth=1
	s_or_b32 exec_lo, exec_lo, s7
	s_mov_b32 s62, 0
	s_mov_b32 s63, -1
.LBB132_268:                            ;   in Loop: Header=BB132_20 Depth=1
	s_wait_alu 0xfffe
	s_or_not1_b32 s7, s12, exec_lo
.LBB132_269:                            ;   in Loop: Header=BB132_20 Depth=1
	s_or_b32 exec_lo, exec_lo, s61
	s_mov_b32 s10, 0
	s_wait_alu 0xfffe
	s_and_saveexec_b32 s6, s7
	s_cbranch_execz .LBB132_280
; %bb.270:                              ;   in Loop: Header=BB132_20 Depth=1
	v_mov_b32_e32 v4, 1
	v_dual_mov_b32 v5, 0 :: v_dual_mov_b32 v2, 1
	s_xor_b32 s10, s20, -1
	s_wait_alu 0xfffe
	s_and_saveexec_b32 s7, s10
	s_cbranch_execz .LBB132_279
; %bb.271:                              ;   in Loop: Header=BB132_20 Depth=1
	s_mov_b32 s10, exec_lo
	v_cmpx_ge_u64_e64 s[8:9], v[6:7]
	s_wait_alu 0xfffe
	s_xor_b32 s10, exec_lo, s10
	s_cbranch_execz .LBB132_276
; %bb.272:                              ;   in Loop: Header=BB132_20 Depth=1
	ds_load_b64 v[4:5], v3 offset:5120
	v_or_b32_e32 v20, s16, v20
	v_or_b32_e32 v43, s16, v43
	s_wait_dscnt 0x0
	v_cmp_ne_u64_e32 vcc_lo, 0, v[4:5]
	s_cbranch_vccnz .LBB132_276
; %bb.273:                              ;   in Loop: Header=BB132_20 Depth=1
	s_and_saveexec_b32 s11, s3
; %bb.274:                              ;   in Loop: Header=BB132_20 Depth=1
	v_dual_mov_b32 v4, s8 :: v_dual_mov_b32 v5, s9
	ds_store_b64 v3, v[4:5] offset:5128
; %bb.275:                              ;   in Loop: Header=BB132_20 Depth=1
	s_wait_alu 0xfffe
	s_or_b32 exec_lo, exec_lo, s11
	s_wait_loadcnt_dscnt 0x0
	s_barrier_signal -1
	s_barrier_wait -1
	global_inv scope:SCOPE_SE
.LBB132_276:                            ;   in Loop: Header=BB132_20 Depth=1
	s_wait_alu 0xfffe
	s_and_not1_saveexec_b32 s10, s10
; %bb.277:                              ;   in Loop: Header=BB132_20 Depth=1
	v_sub_co_u32 v6, vcc_lo, v6, s8
	s_wait_alu 0xfffd
	v_subrev_co_ci_u32_e64 v7, null, s9, v7, vcc_lo
; %bb.278:                              ;   in Loop: Header=BB132_20 Depth=1
	s_wait_alu 0xfffe
	s_or_b32 exec_lo, exec_lo, s10
	v_mov_b32_e32 v4, v6
	s_delay_alu instid0(VALU_DEP_2)
	v_dual_mov_b32 v2, 8 :: v_dual_mov_b32 v5, v7
.LBB132_279:                            ;   in Loop: Header=BB132_20 Depth=1
	s_wait_alu 0xfffe
	s_or_b32 exec_lo, exec_lo, s7
	s_delay_alu instid0(VALU_DEP_1)
	v_dual_mov_b32 v7, v5 :: v_dual_mov_b32 v6, v4
	s_mov_b32 s10, exec_lo
.LBB132_280:                            ;   in Loop: Header=BB132_20 Depth=1
	s_wait_alu 0xfffe
	s_or_b32 exec_lo, exec_lo, s6
	s_delay_alu instid0(SALU_CYCLE_1)
	s_or_not1_b32 s6, s10, exec_lo
.LBB132_281:                            ;   in Loop: Header=BB132_20 Depth=1
	s_wait_alu 0xfffe
	s_or_b32 exec_lo, exec_lo, s15
	v_dual_mov_b32 v4, v6 :: v_dual_mov_b32 v5, v7
	s_and_not1_b32 s7, s60, exec_lo
	s_and_b32 s8, s63, exec_lo
	s_and_not1_b32 s9, s25, exec_lo
	s_and_b32 s10, s62, exec_lo
	s_wait_alu 0xfffe
	s_or_b32 s60, s7, s8
	s_or_b32 s25, s9, s10
	s_and_b32 s7, s6, exec_lo
.LBB132_282:                            ;   in Loop: Header=BB132_20 Depth=1
	s_wait_alu 0xfffe
	s_or_b32 exec_lo, exec_lo, s14
	s_delay_alu instid0(SALU_CYCLE_1)
	s_or_not1_b32 s6, s7, exec_lo
.LBB132_283:                            ;   in Loop: Header=BB132_20 Depth=1
	s_wait_alu 0xfffe
	s_or_b32 exec_lo, exec_lo, s24
	v_dual_mov_b32 v9, v5 :: v_dual_mov_b32 v8, v4
	s_and_not1_b32 s7, s22, exec_lo
	s_and_b32 s8, s60, exec_lo
	s_and_not1_b32 s9, s21, exec_lo
	s_and_b32 s10, s25, exec_lo
	s_wait_alu 0xfffe
	s_or_b32 s22, s7, s8
	s_or_b32 s21, s9, s10
	s_and_b32 s7, s6, exec_lo
.LBB132_284:                            ;   in Loop: Header=BB132_20 Depth=1
	s_wait_alu 0xfffe
	s_or_b32 exec_lo, exec_lo, s23
	s_delay_alu instid0(SALU_CYCLE_1)
	s_or_not1_b32 s6, s7, exec_lo
.LBB132_285:                            ;   in Loop: Header=BB132_20 Depth=1
	s_or_b32 exec_lo, exec_lo, s19
	s_mov_b32 s7, 0
	s_wait_alu 0xfffe
	s_and_saveexec_b32 s8, s6
	s_wait_alu 0xfffe
	s_xor_b32 s6, exec_lo, s8
	s_cbranch_execz .LBB132_18
; %bb.286:                              ;   in Loop: Header=BB132_20 Depth=1
	v_and_b32_e32 v2, 7, v2
	s_mov_b32 s8, -1
	s_mov_b32 s7, -1
	s_mov_b32 s9, exec_lo
	s_delay_alu instid0(VALU_DEP_1)
	v_cmpx_eq_u32_e32 0, v2
	s_cbranch_execz .LBB132_17
; %bb.287:                              ;   in Loop: Header=BB132_20 Depth=1
	s_xor_b32 s87, s87, 1
	s_add_co_i32 s10, s84, -2
	s_cmp_eq_u32 s84, 0
	s_wait_alu 0xfffe
	s_mov_b32 s84, s10
	s_cselect_b32 s8, -1, 0
	s_xor_b32 s7, exec_lo, -1
	s_wait_alu 0xfffe
	s_or_not1_b32 s8, s8, exec_lo
	s_branch .LBB132_17
.LBB132_288:                            ;   in Loop: Header=BB132_20 Depth=1
                                        ; implicit-def: $sgpr12_sgpr13
	s_branch .LBB132_239
.LBB132_289:                            ;   in Loop: Header=BB132_20 Depth=1
                                        ; implicit-def: $sgpr6_sgpr7
	s_branch .LBB132_256
.LBB132_290:
	s_or_b32 exec_lo, exec_lo, s85
	s_xor_b32 s3, s93, -1
	s_xor_b32 s1, s91, -1
	s_xor_b32 s4, s88, -1
	s_mov_b32 s0, 0
	s_and_saveexec_b32 s5, s1
	s_wait_alu 0xfffe
	s_xor_b32 s1, exec_lo, s5
	s_cbranch_execnz .LBB132_295
; %bb.291:
	s_and_not1_saveexec_b32 s1, s1
	s_cbranch_execnz .LBB132_308
.LBB132_292:
	s_wait_alu 0xfffe
	s_or_b32 exec_lo, exec_lo, s1
	s_and_saveexec_b32 s1, s0
.LBB132_293:
	; divergent unreachable
.LBB132_294:
	s_endpgm
.LBB132_295:
	s_and_saveexec_b32 s0, s3
	s_delay_alu instid0(SALU_CYCLE_1)
	s_xor_b32 s3, exec_lo, s0
	s_cbranch_execz .LBB132_306
; %bb.296:
	s_and_saveexec_b32 s0, s4
	s_delay_alu instid0(SALU_CYCLE_1)
	s_xor_b32 s0, exec_lo, s0
; %bb.297:
	v_and_b32_e32 v2, 0x8000, v20
	v_mov_b32_e32 v3, 0xffff
	s_delay_alu instid0(VALU_DEP_2) | instskip(SKIP_1) | instid1(VALU_DEP_2)
	v_cmp_eq_u32_e32 vcc_lo, 0, v2
	s_wait_alu 0xfffd
	v_cndmask_b32_e32 v2, 0x8000, v3, vcc_lo
	s_delay_alu instid0(VALU_DEP_1)
	v_xor_b32_e32 v44, v2, v20
; %bb.298:
	s_or_b32 exec_lo, exec_lo, s0
	s_mul_u64 s[4:5], s[40:41], s[26:27]
	v_mov_b32_e32 v2, 0
	s_wait_alu 0xfffe
	s_lshl_b64 s[4:5], s[4:5], 1
	s_wait_alu 0xfffe
	s_add_nc_u64 s[4:5], s[38:39], s[4:5]
	global_store_b16 v2, v44, s[4:5]
	s_and_saveexec_b32 s4, s2
	s_cbranch_execz .LBB132_305
; %bb.299:
	v_cmp_u_f16_e32 vcc_lo, v44, v44
	s_mov_b32 s2, 0
                                        ; implicit-def: $sgpr5
                                        ; implicit-def: $sgpr8
                                        ; implicit-def: $sgpr7
	s_xor_b32 s6, vcc_lo, -1
	s_branch .LBB132_301
.LBB132_300:                            ;   in Loop: Header=BB132_301 Depth=1
	s_wait_alu 0xfffe
	s_or_b32 exec_lo, exec_lo, s9
	s_delay_alu instid0(SALU_CYCLE_1)
	s_and_b32 s0, exec_lo, s8
	s_wait_alu 0xfffe
	s_or_b32 s2, s0, s2
	s_and_not1_b32 s0, s5, exec_lo
	s_and_b32 s5, s7, exec_lo
	s_wait_alu 0xfffe
	s_or_b32 s5, s0, s5
	s_and_not1_b32 exec_lo, exec_lo, s2
	s_cbranch_execz .LBB132_303
.LBB132_301:                            ; =>This Inner Loop Header: Depth=1
	global_load_u16 v2, v[12:13], off
	s_or_b32 s7, s7, exec_lo
	s_or_b32 s8, s8, exec_lo
	s_wait_loadcnt 0x0
	v_cmp_o_f16_e32 vcc_lo, v2, v2
	v_cmp_neq_f16_e64 s0, v2, v44
	v_dual_mov_b32 v3, v1 :: v_dual_mov_b32 v2, v0
                                        ; implicit-def: $vgpr0_vgpr1
	s_wait_alu 0xfffe
	s_or_b32 s9, s6, vcc_lo
	s_wait_alu 0xfffe
	s_and_b32 s0, s0, s9
	s_wait_alu 0xfffe
	s_and_saveexec_b32 s9, s0
	s_cbranch_execz .LBB132_300
; %bb.302:                              ;   in Loop: Header=BB132_301 Depth=1
	v_add_co_u32 v0, vcc_lo, v2, s42
	s_wait_alu 0xfffd
	v_add_co_ci_u32_e64 v1, null, 0, v3, vcc_lo
	v_add_co_u32 v12, s0, v12, s46
	s_wait_alu 0xf1ff
	v_add_co_ci_u32_e64 v13, null, s47, v13, s0
	s_delay_alu instid0(VALU_DEP_3)
	v_cmp_le_u64_e32 vcc_lo, s[28:29], v[0:1]
	s_and_not1_b32 s0, s8, exec_lo
	s_and_not1_b32 s7, s7, exec_lo
	s_and_b32 s8, vcc_lo, exec_lo
	s_wait_alu 0xfffe
	s_or_b32 s8, s0, s8
	s_branch .LBB132_300
.LBB132_303:
	s_or_b32 exec_lo, exec_lo, s2
	s_wait_alu 0xfffe
	s_and_saveexec_b32 s0, s5
	s_wait_alu 0xfffe
	s_xor_b32 s0, exec_lo, s0
	s_cbranch_execz .LBB132_305
; %bb.304:
	s_mul_u64 s[6:7], s[34:35], s[26:27]
	v_mov_b32_e32 v0, 0
	s_wait_alu 0xfffe
	s_lshl_b64 s[6:7], s[6:7], 3
	s_wait_alu 0xfffe
	s_add_nc_u64 s[6:7], s[30:31], s[6:7]
	global_store_b64 v0, v[2:3], s[6:7]
.LBB132_305:
	s_wait_alu 0xfffe
	s_or_b32 exec_lo, exec_lo, s4
.LBB132_306:
	s_wait_alu 0xfffe
	s_or_saveexec_b32 s0, s3
	s_mov_b32 s2, 0
	s_wait_alu 0xfffe
	s_xor_b32 exec_lo, exec_lo, s0
	s_cbranch_execnz .LBB132_309
.LBB132_307:
	s_or_b32 exec_lo, exec_lo, s0
	s_wait_alu 0xfffe
	s_and_b32 s0, s2, exec_lo
	s_and_not1_saveexec_b32 s1, s1
	s_cbranch_execz .LBB132_292
.LBB132_308:
	s_wait_alu 0xfffe
	s_or_b32 s0, s0, exec_lo
	s_trap 2
	s_or_b32 exec_lo, exec_lo, s1
	s_wait_alu 0xfffe
	s_and_saveexec_b32 s1, s0
	s_cbranch_execnz .LBB132_293
	s_branch .LBB132_294
.LBB132_309:
	s_mov_b32 s2, exec_lo
	s_trap 2
	s_branch .LBB132_307
	.section	.rodata,"a",@progbits
	.p2align	6, 0x0
	.amdhsa_kernel _ZN2at6native12_GLOBAL__N_112gatherMedianIN3c104HalfEmLi1EEEvNS_4cuda6detail10TensorInfoIT_T0_EENS7_IlS9_EENS7_IKS8_S9_EES9_S9_S9_b
		.amdhsa_group_segment_fixed_size 5152
		.amdhsa_private_segment_fixed_size 0
		.amdhsa_kernarg_size 1536
		.amdhsa_user_sgpr_count 2
		.amdhsa_user_sgpr_dispatch_ptr 0
		.amdhsa_user_sgpr_queue_ptr 0
		.amdhsa_user_sgpr_kernarg_segment_ptr 1
		.amdhsa_user_sgpr_dispatch_id 0
		.amdhsa_user_sgpr_private_segment_size 0
		.amdhsa_wavefront_size32 1
		.amdhsa_uses_dynamic_stack 0
		.amdhsa_enable_private_segment 0
		.amdhsa_system_sgpr_workgroup_id_x 1
		.amdhsa_system_sgpr_workgroup_id_y 1
		.amdhsa_system_sgpr_workgroup_id_z 1
		.amdhsa_system_sgpr_workgroup_info 0
		.amdhsa_system_vgpr_workitem_id 0
		.amdhsa_next_free_vgpr 55
		.amdhsa_next_free_sgpr 94
		.amdhsa_reserve_vcc 1
		.amdhsa_float_round_mode_32 0
		.amdhsa_float_round_mode_16_64 0
		.amdhsa_float_denorm_mode_32 3
		.amdhsa_float_denorm_mode_16_64 3
		.amdhsa_fp16_overflow 0
		.amdhsa_workgroup_processor_mode 1
		.amdhsa_memory_ordered 1
		.amdhsa_forward_progress 1
		.amdhsa_inst_pref_size 151
		.amdhsa_round_robin_scheduling 0
		.amdhsa_exception_fp_ieee_invalid_op 0
		.amdhsa_exception_fp_denorm_src 0
		.amdhsa_exception_fp_ieee_div_zero 0
		.amdhsa_exception_fp_ieee_overflow 0
		.amdhsa_exception_fp_ieee_underflow 0
		.amdhsa_exception_fp_ieee_inexact 0
		.amdhsa_exception_int_div_zero 0
	.end_amdhsa_kernel
	.section	.text._ZN2at6native12_GLOBAL__N_112gatherMedianIN3c104HalfEmLi1EEEvNS_4cuda6detail10TensorInfoIT_T0_EENS7_IlS9_EENS7_IKS8_S9_EES9_S9_S9_b,"axG",@progbits,_ZN2at6native12_GLOBAL__N_112gatherMedianIN3c104HalfEmLi1EEEvNS_4cuda6detail10TensorInfoIT_T0_EENS7_IlS9_EENS7_IKS8_S9_EES9_S9_S9_b,comdat
.Lfunc_end132:
	.size	_ZN2at6native12_GLOBAL__N_112gatherMedianIN3c104HalfEmLi1EEEvNS_4cuda6detail10TensorInfoIT_T0_EENS7_IlS9_EENS7_IKS8_S9_EES9_S9_S9_b, .Lfunc_end132-_ZN2at6native12_GLOBAL__N_112gatherMedianIN3c104HalfEmLi1EEEvNS_4cuda6detail10TensorInfoIT_T0_EENS7_IlS9_EENS7_IKS8_S9_EES9_S9_S9_b
                                        ; -- End function
	.set _ZN2at6native12_GLOBAL__N_112gatherMedianIN3c104HalfEmLi1EEEvNS_4cuda6detail10TensorInfoIT_T0_EENS7_IlS9_EENS7_IKS8_S9_EES9_S9_S9_b.num_vgpr, 55
	.set _ZN2at6native12_GLOBAL__N_112gatherMedianIN3c104HalfEmLi1EEEvNS_4cuda6detail10TensorInfoIT_T0_EENS7_IlS9_EENS7_IKS8_S9_EES9_S9_S9_b.num_agpr, 0
	.set _ZN2at6native12_GLOBAL__N_112gatherMedianIN3c104HalfEmLi1EEEvNS_4cuda6detail10TensorInfoIT_T0_EENS7_IlS9_EENS7_IKS8_S9_EES9_S9_S9_b.numbered_sgpr, 94
	.set _ZN2at6native12_GLOBAL__N_112gatherMedianIN3c104HalfEmLi1EEEvNS_4cuda6detail10TensorInfoIT_T0_EENS7_IlS9_EENS7_IKS8_S9_EES9_S9_S9_b.num_named_barrier, 0
	.set _ZN2at6native12_GLOBAL__N_112gatherMedianIN3c104HalfEmLi1EEEvNS_4cuda6detail10TensorInfoIT_T0_EENS7_IlS9_EENS7_IKS8_S9_EES9_S9_S9_b.private_seg_size, 0
	.set _ZN2at6native12_GLOBAL__N_112gatherMedianIN3c104HalfEmLi1EEEvNS_4cuda6detail10TensorInfoIT_T0_EENS7_IlS9_EENS7_IKS8_S9_EES9_S9_S9_b.uses_vcc, 1
	.set _ZN2at6native12_GLOBAL__N_112gatherMedianIN3c104HalfEmLi1EEEvNS_4cuda6detail10TensorInfoIT_T0_EENS7_IlS9_EENS7_IKS8_S9_EES9_S9_S9_b.uses_flat_scratch, 0
	.set _ZN2at6native12_GLOBAL__N_112gatherMedianIN3c104HalfEmLi1EEEvNS_4cuda6detail10TensorInfoIT_T0_EENS7_IlS9_EENS7_IKS8_S9_EES9_S9_S9_b.has_dyn_sized_stack, 0
	.set _ZN2at6native12_GLOBAL__N_112gatherMedianIN3c104HalfEmLi1EEEvNS_4cuda6detail10TensorInfoIT_T0_EENS7_IlS9_EENS7_IKS8_S9_EES9_S9_S9_b.has_recursion, 0
	.set _ZN2at6native12_GLOBAL__N_112gatherMedianIN3c104HalfEmLi1EEEvNS_4cuda6detail10TensorInfoIT_T0_EENS7_IlS9_EENS7_IKS8_S9_EES9_S9_S9_b.has_indirect_call, 0
	.section	.AMDGPU.csdata,"",@progbits
; Kernel info:
; codeLenInByte = 19272
; TotalNumSgprs: 96
; NumVgprs: 55
; ScratchSize: 0
; MemoryBound: 0
; FloatMode: 240
; IeeeMode: 1
; LDSByteSize: 5152 bytes/workgroup (compile time only)
; SGPRBlocks: 0
; VGPRBlocks: 6
; NumSGPRsForWavesPerEU: 96
; NumVGPRsForWavesPerEU: 55
; Occupancy: 16
; WaveLimiterHint : 1
; COMPUTE_PGM_RSRC2:SCRATCH_EN: 0
; COMPUTE_PGM_RSRC2:USER_SGPR: 2
; COMPUTE_PGM_RSRC2:TRAP_HANDLER: 0
; COMPUTE_PGM_RSRC2:TGID_X_EN: 1
; COMPUTE_PGM_RSRC2:TGID_Y_EN: 1
; COMPUTE_PGM_RSRC2:TGID_Z_EN: 1
; COMPUTE_PGM_RSRC2:TIDIG_COMP_CNT: 0
	.section	.text._ZN2at6native12_GLOBAL__N_112gatherMedianIN3c104HalfEmLi2EEEvNS_4cuda6detail10TensorInfoIT_T0_EENS7_IlS9_EENS7_IKS8_S9_EES9_S9_S9_b,"axG",@progbits,_ZN2at6native12_GLOBAL__N_112gatherMedianIN3c104HalfEmLi2EEEvNS_4cuda6detail10TensorInfoIT_T0_EENS7_IlS9_EENS7_IKS8_S9_EES9_S9_S9_b,comdat
	.globl	_ZN2at6native12_GLOBAL__N_112gatherMedianIN3c104HalfEmLi2EEEvNS_4cuda6detail10TensorInfoIT_T0_EENS7_IlS9_EENS7_IKS8_S9_EES9_S9_S9_b ; -- Begin function _ZN2at6native12_GLOBAL__N_112gatherMedianIN3c104HalfEmLi2EEEvNS_4cuda6detail10TensorInfoIT_T0_EENS7_IlS9_EENS7_IKS8_S9_EES9_S9_S9_b
	.p2align	8
	.type	_ZN2at6native12_GLOBAL__N_112gatherMedianIN3c104HalfEmLi2EEEvNS_4cuda6detail10TensorInfoIT_T0_EENS7_IlS9_EENS7_IKS8_S9_EES9_S9_S9_b,@function
_ZN2at6native12_GLOBAL__N_112gatherMedianIN3c104HalfEmLi2EEEvNS_4cuda6detail10TensorInfoIT_T0_EENS7_IlS9_EENS7_IKS8_S9_EES9_S9_S9_b: ; @_ZN2at6native12_GLOBAL__N_112gatherMedianIN3c104HalfEmLi2EEEvNS_4cuda6detail10TensorInfoIT_T0_EENS7_IlS9_EENS7_IKS8_S9_EES9_S9_S9_b
; %bb.0:
	s_clause 0x1
	s_load_b64 s[8:9], s[0:1], 0x500
	s_load_b128 s[20:23], s[0:1], 0x4e0
	s_lshr_b32 s2, ttmp7, 16
	s_and_b32 s3, ttmp7, 0xffff
	s_mov_b32 s35, 0
	s_wait_kmcnt 0x0
	s_mul_i32 s2, s9, s2
	s_delay_alu instid0(SALU_CYCLE_1) | instskip(NEXT) | instid1(SALU_CYCLE_1)
	s_add_co_i32 s2, s2, s3
	s_mul_i32 s2, s2, s8
	s_delay_alu instid0(SALU_CYCLE_1) | instskip(NEXT) | instid1(SALU_CYCLE_1)
	s_add_co_i32 s34, s2, ttmp9
	v_cmp_le_u64_e64 s2, s[22:23], s[34:35]
	s_and_b32 vcc_lo, exec_lo, s2
	s_cbranch_vccnz .LBB133_300
; %bb.1:
	s_clause 0x2
	s_load_b64 s[40:41], s[0:1], 0x10
	s_load_b64 s[36:37], s[0:1], 0x4f0
	s_load_b64 s[22:23], s[0:1], 0x1b0
	s_mov_b64 s[38:39], 0
	s_mov_b64 s[42:43], 0
	s_wait_kmcnt 0x0
	v_cmp_lt_u64_e64 s2, s[34:35], s[40:41]
	s_and_b32 vcc_lo, exec_lo, s2
	s_cbranch_vccnz .LBB133_3
; %bb.2:
	v_cvt_f32_u32_e32 v1, s40
	s_sub_co_i32 s3, 0, s40
	s_mov_b32 s43, 0
	s_delay_alu instid0(VALU_DEP_1) | instskip(NEXT) | instid1(TRANS32_DEP_1)
	v_rcp_iflag_f32_e32 v1, v1
	v_mul_f32_e32 v1, 0x4f7ffffe, v1
	s_delay_alu instid0(VALU_DEP_1) | instskip(NEXT) | instid1(VALU_DEP_1)
	v_cvt_u32_f32_e32 v1, v1
	v_readfirstlane_b32 s2, v1
	s_mul_i32 s3, s3, s2
	s_delay_alu instid0(SALU_CYCLE_1) | instskip(NEXT) | instid1(SALU_CYCLE_1)
	s_mul_hi_u32 s3, s2, s3
	s_add_co_i32 s2, s2, s3
	s_delay_alu instid0(SALU_CYCLE_1) | instskip(NEXT) | instid1(SALU_CYCLE_1)
	s_mul_hi_u32 s2, s34, s2
	s_mul_i32 s3, s2, s40
	s_add_co_i32 s4, s2, 1
	s_sub_co_i32 s3, s34, s3
	s_delay_alu instid0(SALU_CYCLE_1)
	s_sub_co_i32 s5, s3, s40
	s_cmp_ge_u32 s3, s40
	s_cselect_b32 s2, s4, s2
	s_cselect_b32 s3, s5, s3
	s_add_co_i32 s4, s2, 1
	s_cmp_ge_u32 s3, s40
	s_cselect_b32 s42, s4, s2
.LBB133_3:
	s_load_b64 s[2:3], s[0:1], 0x350
	v_cmp_lt_u64_e64 s4, s[34:35], s[22:23]
	s_and_b32 vcc_lo, exec_lo, s4
	s_cbranch_vccnz .LBB133_5
; %bb.4:
	v_cvt_f32_u32_e32 v1, s22
	s_sub_co_i32 s5, 0, s22
	s_mov_b32 s39, 0
	s_delay_alu instid0(VALU_DEP_1) | instskip(NEXT) | instid1(TRANS32_DEP_1)
	v_rcp_iflag_f32_e32 v1, v1
	v_mul_f32_e32 v1, 0x4f7ffffe, v1
	s_delay_alu instid0(VALU_DEP_1) | instskip(NEXT) | instid1(VALU_DEP_1)
	v_cvt_u32_f32_e32 v1, v1
	v_readfirstlane_b32 s4, v1
	s_mul_i32 s5, s5, s4
	s_delay_alu instid0(SALU_CYCLE_1) | instskip(NEXT) | instid1(SALU_CYCLE_1)
	s_mul_hi_u32 s5, s4, s5
	s_add_co_i32 s4, s4, s5
	s_delay_alu instid0(SALU_CYCLE_1) | instskip(NEXT) | instid1(SALU_CYCLE_1)
	s_mul_hi_u32 s4, s34, s4
	s_mul_i32 s5, s4, s22
	s_add_co_i32 s6, s4, 1
	s_sub_co_i32 s5, s34, s5
	s_delay_alu instid0(SALU_CYCLE_1)
	s_sub_co_i32 s7, s5, s22
	s_cmp_ge_u32 s5, s22
	s_cselect_b32 s4, s6, s4
	s_cselect_b32 s5, s7, s5
	s_add_co_i32 s6, s4, 1
	s_cmp_ge_u32 s5, s22
	s_cselect_b32 s38, s6, s4
.LBB133_5:
	s_clause 0x1
	s_load_b128 s[4:7], s[0:1], 0x410
	s_load_b64 s[10:11], s[0:1], 0x340
	s_wait_kmcnt 0x0
	v_cmp_lt_u64_e64 s9, s[34:35], s[2:3]
	s_mov_b64 s[12:13], 0
	s_and_b32 vcc_lo, exec_lo, s9
	s_cbranch_vccnz .LBB133_7
; %bb.6:
	v_cvt_f32_u32_e32 v1, s2
	s_sub_co_i32 s12, 0, s2
	s_delay_alu instid0(VALU_DEP_1) | instskip(NEXT) | instid1(TRANS32_DEP_1)
	v_rcp_iflag_f32_e32 v1, v1
	v_mul_f32_e32 v1, 0x4f7ffffe, v1
	s_delay_alu instid0(VALU_DEP_1) | instskip(NEXT) | instid1(VALU_DEP_1)
	v_cvt_u32_f32_e32 v1, v1
	v_readfirstlane_b32 s9, v1
	s_mul_i32 s12, s12, s9
	s_delay_alu instid0(SALU_CYCLE_1) | instskip(NEXT) | instid1(SALU_CYCLE_1)
	s_mul_hi_u32 s12, s9, s12
	s_add_co_i32 s9, s9, s12
	s_delay_alu instid0(SALU_CYCLE_1) | instskip(NEXT) | instid1(SALU_CYCLE_1)
	s_mul_hi_u32 s9, s34, s9
	s_mul_i32 s12, s9, s2
	s_add_co_i32 s13, s9, 1
	s_sub_co_i32 s12, s34, s12
	s_delay_alu instid0(SALU_CYCLE_1)
	s_sub_co_i32 s14, s12, s2
	s_cmp_ge_u32 s12, s2
	s_cselect_b32 s9, s13, s9
	s_cselect_b32 s12, s14, s12
	s_add_co_i32 s14, s9, 1
	s_cmp_ge_u32 s12, s2
	s_mov_b32 s13, 0
	s_cselect_b32 s12, s14, s9
.LBB133_7:
	v_dual_mov_b32 v1, 0 :: v_dual_mov_b32 v2, 0
	s_mul_u64 s[2:3], s[12:13], s[2:3]
	s_mul_u64 s[4:5], s[12:13], s[4:5]
	s_wait_alu 0xfffe
	s_sub_nc_u64 s[2:3], s[34:35], s[2:3]
	s_lshl_b64 s[4:5], s[4:5], 1
	s_wait_alu 0xfffe
	s_mul_u64 s[6:7], s[2:3], s[6:7]
	v_cmp_gt_u64_e64 s2, s[20:21], v[0:1]
	v_mov_b32_e32 v3, 0
	s_add_nc_u64 s[4:5], s[10:11], s[4:5]
	s_lshl_b64 s[10:11], s[6:7], 1
	s_add_nc_u64 s[6:7], s[0:1], 0x500
	s_add_nc_u64 s[44:45], s[4:5], s[10:11]
	s_and_saveexec_b32 s4, s2
	s_cbranch_execz .LBB133_11
; %bb.8:
	s_load_b32 s3, s[6:7], 0xc
	v_dual_mov_b32 v2, 0 :: v_dual_mov_b32 v5, v1
	v_dual_mov_b32 v3, 0 :: v_dual_mov_b32 v4, v0
	s_mov_b32 s5, 0
	s_wait_kmcnt 0x0
	s_and_b32 s9, s3, 0xffff
.LBB133_9:                              ; =>This Inner Loop Header: Depth=1
	v_mul_lo_u32 v8, v5, s36
	v_mul_lo_u32 v9, v4, s37
	v_mad_co_u64_u32 v[6:7], null, v4, s36, 0
	s_delay_alu instid0(VALU_DEP_1) | instskip(NEXT) | instid1(VALU_DEP_1)
	v_add3_u32 v7, v7, v9, v8
	v_lshlrev_b64_e32 v[6:7], 1, v[6:7]
	s_delay_alu instid0(VALU_DEP_1) | instskip(SKIP_1) | instid1(VALU_DEP_2)
	v_add_co_u32 v6, vcc_lo, s44, v6
	s_wait_alu 0xfffd
	v_add_co_ci_u32_e64 v7, null, s45, v7, vcc_lo
	v_add_co_u32 v4, vcc_lo, v4, s9
	s_wait_alu 0xfffd
	v_add_co_ci_u32_e64 v5, null, 0, v5, vcc_lo
	global_load_u16 v6, v[6:7], off
	s_wait_loadcnt 0x0
	v_cmp_u_f16_e32 vcc_lo, v6, v6
	s_wait_alu 0xfffd
	v_cndmask_b32_e64 v6, 0, 1, vcc_lo
	v_cmp_le_u64_e32 vcc_lo, s[20:21], v[4:5]
	s_delay_alu instid0(VALU_DEP_2) | instskip(SKIP_3) | instid1(SALU_CYCLE_1)
	v_add_co_u32 v2, s3, v2, v6
	s_wait_alu 0xf1ff
	v_add_co_ci_u32_e64 v3, null, 0, v3, s3
	s_or_b32 s5, vcc_lo, s5
	s_and_not1_b32 exec_lo, exec_lo, s5
	s_cbranch_execnz .LBB133_9
; %bb.10:
	s_or_b32 exec_lo, exec_lo, s5
.LBB133_11:
	s_delay_alu instid0(SALU_CYCLE_1)
	s_or_b32 exec_lo, exec_lo, s4
	s_clause 0x3
	s_load_b128 s[24:27], s[0:1], 0x270
	s_load_b64 s[46:47], s[0:1], 0x1a0
	s_load_b128 s[28:31], s[0:1], 0xd0
	s_load_b64 s[48:49], s[0:1], 0x0
	v_cmp_eq_u32_e64 s3, 0, v0
	s_and_saveexec_b32 s4, s3
; %bb.12:
	v_mov_b32_e32 v4, 0
	s_delay_alu instid0(VALU_DEP_1)
	v_mov_b32_e32 v5, v4
	ds_store_b64 v4, v[4:5] offset:5136
; %bb.13:
	s_or_b32 exec_lo, exec_lo, s4
	s_mov_b64 s[4:5], 0
	s_mov_b32 s9, exec_lo
	s_wait_dscnt 0x0
	s_barrier_signal -1
	s_barrier_wait -1
	global_inv scope:SCOPE_SE
	v_cmpx_ne_u64_e32 0, v[2:3]
	s_cbranch_execz .LBB133_18
; %bb.14:
	s_mov_b32 s10, exec_lo
.LBB133_15:                             ; =>This Inner Loop Header: Depth=1
	s_delay_alu instid0(SALU_CYCLE_1)
	s_ctz_i32_b32 s11, s10
	s_wait_alu 0xfffe
	v_readlane_b32 s13, v3, s11
	v_readlane_b32 s12, v2, s11
	s_lshl_b32 s11, 1, s11
	s_wait_alu 0xfffe
	s_and_not1_b32 s10, s10, s11
	s_wait_alu 0xfffe
	s_cmp_lg_u32 s10, 0
	s_add_nc_u64 s[4:5], s[4:5], s[12:13]
	s_cbranch_scc1 .LBB133_15
; %bb.16:
	v_mbcnt_lo_u32_b32 v2, exec_lo, 0
	s_mov_b32 s10, exec_lo
	s_delay_alu instid0(VALU_DEP_1)
	v_cmpx_eq_u32_e32 0, v2
	s_wait_alu 0xfffe
	s_xor_b32 s10, exec_lo, s10
; %bb.17:
	v_mov_b32_e32 v2, s4
	v_dual_mov_b32 v4, 0 :: v_dual_mov_b32 v3, s5
	ds_add_u64 v4, v[2:3] offset:5136
.LBB133_18:
	s_wait_alu 0xfffe
	s_or_b32 exec_lo, exec_lo, s9
	v_dual_mov_b32 v2, 0 :: v_dual_mov_b32 v19, s20
	s_wait_loadcnt_dscnt 0x0
	s_barrier_signal -1
	s_barrier_wait -1
	global_inv scope:SCOPE_SE
	ds_load_b64 v[2:3], v2 offset:5136
	s_load_b32 s0, s[0:1], 0x4f8
	v_mov_b32_e32 v20, s21
	s_wait_dscnt 0x0
	v_cmp_gt_i64_e32 vcc_lo, 1, v[2:3]
	s_wait_kmcnt 0x0
	s_bitcmp1_b32 s0, 0
	s_cselect_b32 s0, -1, 0
	s_delay_alu instid0(SALU_CYCLE_1) | instskip(NEXT) | instid1(SALU_CYCLE_1)
	s_or_b32 s0, s0, vcc_lo
	s_and_not1_b32 vcc_lo, exec_lo, s0
	s_wait_alu 0xfffe
	s_cbranch_vccnz .LBB133_20
; %bb.19:
	v_not_b32_e32 v2, v2
	v_not_b32_e32 v3, v3
	s_delay_alu instid0(VALU_DEP_2) | instskip(SKIP_1) | instid1(VALU_DEP_2)
	v_add_co_u32 v2, vcc_lo, s20, v2
	s_wait_alu 0xfffd
	v_add_co_ci_u32_e64 v3, null, s21, v3, vcc_lo
	s_delay_alu instid0(VALU_DEP_1) | instskip(NEXT) | instid1(VALU_DEP_1)
	v_lshrrev_b64 v[2:3], 1, v[2:3]
	v_add_co_u32 v19, vcc_lo, v2, 1
	s_wait_alu 0xfffd
	s_delay_alu instid0(VALU_DEP_2)
	v_add_co_ci_u32_e64 v20, null, 0, v3, vcc_lo
.LBB133_20:
	s_and_saveexec_b32 s0, s3
	s_cbranch_execz .LBB133_22
; %bb.21:
	v_dual_mov_b32 v2, 0 :: v_dual_mov_b32 v5, s21
	s_delay_alu instid0(VALU_DEP_1)
	v_dual_mov_b32 v4, s20 :: v_dual_mov_b32 v3, v2
	ds_store_b32 v2, v2 offset:5144
	ds_store_b128 v2, v[2:5] offset:5120
.LBB133_22:
	s_or_b32 exec_lo, exec_lo, s0
	v_mad_co_u64_u32 v[4:5], null, s36, v0, 0
	v_mbcnt_lo_u32_b32 v25, -1, 0
	s_wait_loadcnt_dscnt 0x0
	s_barrier_signal -1
	s_barrier_wait -1
	global_inv scope:SCOPE_SE
	s_load_b32 s5, s[6:7], 0xc
	v_mov_b32_e32 v2, v5
	v_cmp_gt_u32_e32 vcc_lo, 32, v0
	v_cmp_gt_i32_e64 s4, 4, v25
	s_mov_b32 s53, 0
	v_cmp_lt_u64_e64 s33, 0x600, s[20:21]
	v_mad_co_u64_u32 v[5:6], null, s37, v0, v[2:3]
	v_dual_mov_b32 v3, 0 :: v_dual_add_nc_u32 v2, 2, v0
	v_mov_b32_e32 v33, 0x8000
	s_and_b32 s72, vcc_lo, s4
	v_lshlrev_b64_e64 v[6:7], v25, -1
	s_delay_alu instid0(VALU_DEP_3)
	v_dual_mov_b32 v13, v3 :: v_dual_lshlrev_b32 v26, 1, v0
	v_lshlrev_b64_e32 v[4:5], 1, v[4:5]
	s_movk_i32 s4, 0x3e0
	s_mov_b32 s51, s53
	s_wait_alu 0xfffe
	v_and_or_b32 v29, v0, s4, 0xc00
	v_cmp_gt_u32_e64 s0, 2, v0
	s_wait_kmcnt 0x0
	s_and_b32 s50, s5, 0xffff
	v_add_co_u32 v14, vcc_lo, s44, v4
	s_wait_alu 0xfffd
	v_add_co_ci_u32_e64 v15, null, s45, v5, vcc_lo
	v_cmp_gt_u64_e32 vcc_lo, s[20:21], v[2:3]
	v_not_b32_e32 v4, v0
	s_bfe_u32 s5, s5, 0xb0005
	s_cmp_gt_u32 s50, 31
	v_cmp_eq_u32_e64 s1, 0, v25
	s_cselect_b32 s73, -1, 0
	s_wait_alu 0xfffd
	v_cndmask_b32_e64 v2, v2, s20, vcc_lo
	v_cndmask_b32_e64 v5, 0, s21, vcc_lo
	s_cmp_lt_u32 ttmp9, s8
	v_dual_mov_b32 v30, 0 :: v_dual_add_nc_u32 v27, 0xc00, v26
	s_delay_alu instid0(VALU_DEP_3)
	v_add_co_u32 v4, vcc_lo, v2, v4
	s_wait_alu 0xfffd
	v_add_co_ci_u32_e64 v5, null, -1, v5, vcc_lo
	s_cselect_b32 s52, 12, 18
	s_wait_alu 0xfffe
	s_add_co_i32 s8, s5, -1
	v_dual_mov_b32 v17, v5 :: v_dual_lshlrev_b32 v12, 2, v0
	v_dual_mov_b32 v35, 0 :: v_dual_and_b32 v16, -2, v4
	s_wait_alu 0xfffe
	s_and_b32 s8, s8, 0xffff
	s_bfe_u32 s75, s50, 0x30005
	s_wait_alu 0xfffe
	s_cmp_gt_u32 s8, 6
	v_cmp_lt_u64_e64 s4, 1, v[4:5]
	s_cselect_b32 s77, -1, 0
	s_and_b32 s78, s5, 0x7f8
	v_cmp_ne_u64_e64 s5, v[4:5], v[16:17]
	v_not_b32_e32 v28, v6
	v_add_co_u32 v18, vcc_lo, v16, v0
	v_dual_mov_b32 v34, 0 :: v_dual_lshlrev_b32 v31, 3, v0
	v_lshl_or_b32 v32, v25, 3, 0xc00
	s_add_nc_u64 s[54:55], s[50:51], -1
	s_cmp_lg_u32 s75, 0
	s_add_nc_u64 s[56:57], s[54:55], s[20:21]
	s_mov_b32 s74, s36
	s_mov_b32 s76, s37
	s_cselect_b32 s79, -1, 0
	s_lshl_b32 s80, s50, 1
	s_mov_b32 s82, 14
	s_add_nc_u64 s[58:59], s[6:7], s[52:53]
	s_mov_b32 s81, 0x4f800000
	s_movk_i32 s84, 0x3c00
	s_mov_b32 s83, 0
	s_mov_b32 s85, 0
	s_wait_alu 0xfffd
	v_add_co_ci_u32_e64 v2, null, 0, v5, vcc_lo
                                        ; implicit-def: $sgpr89
                                        ; implicit-def: $sgpr91
                                        ; implicit-def: $sgpr86
                                        ; implicit-def: $sgpr88
                                        ; implicit-def: $sgpr90
                                        ; implicit-def: $sgpr87
	s_branch .LBB133_26
.LBB133_23:                             ;   in Loop: Header=BB133_26 Depth=1
	s_wait_alu 0xfffe
	s_or_b32 exec_lo, exec_lo, s9
	s_delay_alu instid0(SALU_CYCLE_1)
	s_and_b32 s7, s7, exec_lo
	s_and_not1_b32 s62, s62, exec_lo
	s_and_not1_b32 s61, s61, exec_lo
	s_or_not1_b32 s18, s8, exec_lo
.LBB133_24:                             ;   in Loop: Header=BB133_26 Depth=1
	s_wait_alu 0xfffe
	s_or_b32 exec_lo, exec_lo, s6
	s_delay_alu instid0(SALU_CYCLE_1)
	s_and_not1_b32 s6, s87, exec_lo
	s_and_b32 s7, s7, exec_lo
	s_and_not1_b32 s8, s88, exec_lo
	s_wait_alu 0xfffe
	s_or_b32 s87, s6, s7
	s_and_not1_b32 s6, s90, exec_lo
	s_and_b32 s7, s62, exec_lo
	s_and_b32 s9, s61, exec_lo
	s_wait_alu 0xfffe
	s_or_b32 s90, s6, s7
	s_or_b32 s88, s8, s9
	s_or_not1_b32 s18, s18, exec_lo
.LBB133_25:                             ;   in Loop: Header=BB133_26 Depth=1
	s_wait_alu 0xfffe
	s_or_b32 exec_lo, exec_lo, s17
	s_delay_alu instid0(SALU_CYCLE_1)
	s_and_b32 s6, exec_lo, s18
	v_dual_mov_b32 v20, v9 :: v_dual_mov_b32 v19, v8
	s_wait_alu 0xfffe
	s_or_b32 s83, s6, s83
	s_and_not1_b32 s6, s86, exec_lo
	s_and_b32 s7, s87, exec_lo
	s_and_not1_b32 s8, s91, exec_lo
	s_wait_alu 0xfffe
	s_or_b32 s86, s6, s7
	s_and_b32 s6, s90, exec_lo
	s_and_not1_b32 s7, s89, exec_lo
	s_and_b32 s9, s88, exec_lo
	s_wait_alu 0xfffe
	s_or_b32 s91, s8, s6
	s_or_b32 s89, s7, s9
	s_and_not1_b32 exec_lo, exec_lo, s83
	s_cbranch_execz .LBB133_296
.LBB133_26:                             ; =>This Loop Header: Depth=1
                                        ;     Child Loop BB133_31 Depth 2
                                        ;     Child Loop BB133_45 Depth 2
	;; [unrolled: 1-line block ×17, first 2 shown]
	ds_load_b128 v[4:7], v3 offset:5120
	s_wait_dscnt 0x0
	v_readfirstlane_b32 s61, v5
	v_readfirstlane_b32 s60, v4
	s_cmp_lg_u64 s[60:61], 0
	s_cbranch_scc1 .LBB133_58
; %bb.27:                               ;   in Loop: Header=BB133_26 Depth=1
	s_and_b32 vcc_lo, exec_lo, s33
	s_wait_alu 0xfffe
	s_cbranch_vccz .LBB133_39
; %bb.28:                               ;   in Loop: Header=BB133_26 Depth=1
	v_cmp_gt_u64_e32 vcc_lo, 0x601, v[6:7]
	s_mov_b32 s8, 0
	s_mov_b32 s6, 0
	s_cbranch_vccz .LBB133_40
; %bb.29:                               ;   in Loop: Header=BB133_26 Depth=1
	global_load_u16 v2, v3, s[58:59]
	global_load_u16 v6, v[14:15], off
	s_mov_b32 s9, 0
	v_dual_mov_b32 v5, v1 :: v_dual_mov_b32 v4, v0
	s_wait_loadcnt 0x1
	v_and_b32_e32 v2, 0xffff, v2
	s_branch .LBB133_31
.LBB133_30:                             ;   in Loop: Header=BB133_31 Depth=2
	s_wait_alu 0xfffe
	s_or_b32 exec_lo, exec_lo, s7
	v_mov_b32_e32 v6, v7
	s_and_not1_b32 exec_lo, exec_lo, s9
	s_cbranch_execz .LBB133_158
.LBB133_31:                             ;   Parent Loop BB133_26 Depth=1
                                        ; =>  This Inner Loop Header: Depth=2
	s_delay_alu instid0(VALU_DEP_1)
	v_add_co_u32 v4, vcc_lo, v4, v2
	s_wait_alu 0xfffd
	v_add_co_ci_u32_e64 v5, null, 0, v5, vcc_lo
	s_wait_dscnt 0x0
	v_dual_mov_b32 v8, 0 :: v_dual_mov_b32 v7, 0
	s_mov_b32 s7, exec_lo
	s_delay_alu instid0(VALU_DEP_2)
	v_cmp_le_u64_e32 vcc_lo, s[20:21], v[4:5]
	v_cmpx_gt_u64_e64 s[20:21], v[4:5]
	s_cbranch_execz .LBB133_33
; %bb.32:                               ;   in Loop: Header=BB133_31 Depth=2
	v_mul_lo_u32 v7, v5, s36
	v_mul_lo_u32 v11, v4, s37
	v_mad_co_u64_u32 v[9:10], null, v4, s36, 0
	s_delay_alu instid0(VALU_DEP_1) | instskip(NEXT) | instid1(VALU_DEP_1)
	v_add3_u32 v10, v10, v11, v7
	v_lshlrev_b64_e32 v[9:10], 1, v[9:10]
	s_delay_alu instid0(VALU_DEP_1) | instskip(SKIP_1) | instid1(VALU_DEP_2)
	v_add_co_u32 v9, s6, s44, v9
	s_wait_alu 0xf1fe
	v_add_co_ci_u32_e64 v10, null, s45, v10, s6
	global_load_u16 v7, v[9:10], off
.LBB133_33:                             ;   in Loop: Header=BB133_31 Depth=2
	s_wait_alu 0xfffe
	s_or_b32 exec_lo, exec_lo, s7
	s_wait_loadcnt 0x0
	v_cmp_lt_i16_e64 s6, -1, v6
	v_and_b32_e32 v9, 0xffff, v6
	s_wait_alu 0xf1ff
	s_delay_alu instid0(VALU_DEP_2) | instskip(SKIP_1) | instid1(VALU_DEP_2)
	v_cndmask_b32_e64 v10, 0xffff, v33, s6
	v_cmp_o_f16_e64 s6, v6, v6
	v_xor_b32_e32 v9, v10, v9
	s_wait_alu 0xf1ff
	s_delay_alu instid0(VALU_DEP_1) | instskip(NEXT) | instid1(VALU_DEP_1)
	v_cndmask_b32_e64 v9, 0xffff, v9, s6
	v_and_b32_e32 v9, v9, v34
	s_delay_alu instid0(VALU_DEP_1)
	v_cmp_eq_u32_e64 s6, v9, v30
	s_cmp_lg_u32 s6, 0
	s_cselect_b32 s7, -1, 0
	s_wait_alu 0xfffe
	s_and_b32 s7, s1, s7
	s_wait_alu 0xfffe
	s_and_saveexec_b32 s10, s7
	s_cbranch_execz .LBB133_37
; %bb.34:                               ;   in Loop: Header=BB133_31 Depth=2
	s_mov_b32 s13, exec_lo
	s_bcnt1_i32_b32 s11, s6
	s_wait_alu 0xfffe
	v_mbcnt_lo_u32_b32 v8, s13, 0
	s_mov_b32 s12, exec_lo
                                        ; implicit-def: $vgpr9
	s_delay_alu instid0(VALU_DEP_1)
	v_cmpx_eq_u32_e32 0, v8
; %bb.35:                               ;   in Loop: Header=BB133_31 Depth=2
	s_bcnt1_i32_b32 s7, s13
	s_wait_alu 0xfffe
	s_mul_i32 s7, s11, s7
	s_wait_alu 0xfffe
	v_mov_b32_e32 v9, s7
	ds_add_rtn_u32 v9, v3, v9 offset:5144
; %bb.36:                               ;   in Loop: Header=BB133_31 Depth=2
	s_or_b32 exec_lo, exec_lo, s12
	s_wait_dscnt 0x0
	v_readfirstlane_b32 s7, v9
	s_wait_alu 0xf1ff
	s_delay_alu instid0(VALU_DEP_1)
	v_mad_u32_u24 v8, s11, v8, s7
.LBB133_37:                             ;   in Loop: Header=BB133_31 Depth=2
	s_wait_alu 0xfffe
	s_or_b32 exec_lo, exec_lo, s10
	ds_bpermute_b32 v8, v3, v8
	s_and_b32 s7, exec_lo, vcc_lo
	s_wait_alu 0xfffe
	s_or_b32 s9, s7, s9
	s_and_saveexec_b32 s7, s6
	s_cbranch_execz .LBB133_30
; %bb.38:                               ;   in Loop: Header=BB133_31 Depth=2
	v_and_b32_e32 v9, s6, v28
	s_delay_alu instid0(VALU_DEP_1) | instskip(NEXT) | instid1(VALU_DEP_1)
	v_bcnt_u32_b32 v9, v9, 0
	v_lshlrev_b32_e32 v9, 1, v9
	s_wait_dscnt 0x0
	s_delay_alu instid0(VALU_DEP_1)
	v_lshl_add_u32 v8, v8, 1, v9
	ds_store_b16 v8, v6
	s_branch .LBB133_30
.LBB133_39:                             ;   in Loop: Header=BB133_26 Depth=1
	s_mov_b32 s8, -1
	s_mov_b32 s6, 0
.LBB133_40:                             ;   in Loop: Header=BB133_26 Depth=1
	s_wait_alu 0xfffe
	s_and_b32 vcc_lo, exec_lo, s8
	s_wait_alu 0xfffe
	s_cbranch_vccz .LBB133_56
.LBB133_41:                             ;   in Loop: Header=BB133_26 Depth=1
	s_and_saveexec_b32 s7, s2
	s_cbranch_execz .LBB133_53
; %bb.42:                               ;   in Loop: Header=BB133_26 Depth=1
	global_load_u16 v4, v3, s[58:59]
	global_load_u16 v10, v[14:15], off
	v_mov_b32_e32 v8, v0
	s_mov_b32 s10, exec_lo
	s_wait_loadcnt 0x1
	v_and_b32_e32 v2, 0xffff, v4
	v_readfirstlane_b32 s6, v4
	s_delay_alu instid0(VALU_DEP_2) | instskip(NEXT) | instid1(VALU_DEP_1)
	v_add_nc_u32_e32 v2, v2, v0
	v_cmpx_gt_u64_e64 s[20:21], v[2:3]
	s_cbranch_execz .LBB133_52
; %bb.43:                               ;   in Loop: Header=BB133_26 Depth=1
	s_and_b32 s52, s6, 0xffff
	v_dual_mov_b32 v5, v1 :: v_dual_mov_b32 v4, v0
	s_wait_alu 0xfffe
	s_cmp_eq_u32 s52, 1
	v_dual_mov_b32 v7, v3 :: v_dual_mov_b32 v6, v2
	s_cselect_b32 s6, -1, 0
                                        ; implicit-def: $vgpr8_vgpr9
	s_wait_alu 0xfffe
	s_and_b32 s9, s4, s6
	s_mov_b32 s6, -1
	s_wait_alu 0xfffe
	s_and_saveexec_b32 s8, s9
	s_cbranch_execz .LBB133_47
; %bb.44:                               ;   in Loop: Header=BB133_26 Depth=1
	v_add_co_u32 v4, s6, v2, 1
	s_wait_alu 0xf1ff
	v_add_co_ci_u32_e64 v5, null, 0, 0, s6
	s_wait_loadcnt 0x0
	v_dual_mov_b32 v8, v16 :: v_dual_lshlrev_b32 v21, 16, v10
	s_mov_b32 s9, 0
	s_delay_alu instid0(VALU_DEP_2)
	v_mov_b32_e32 v7, v5
	v_dual_mov_b32 v9, v17 :: v_dual_mov_b32 v6, v4
	v_mov_b32_e32 v5, v3
	v_dual_mov_b32 v11, v26 :: v_dual_mov_b32 v4, v2
.LBB133_45:                             ;   Parent Loop BB133_26 Depth=1
                                        ; =>  This Inner Loop Header: Depth=2
	s_delay_alu instid0(VALU_DEP_2) | instskip(NEXT) | instid1(VALU_DEP_2)
	v_mul_lo_u32 v10, v5, s36
	v_mul_lo_u32 v24, v4, s37
	v_mad_co_u64_u32 v[22:23], null, v4, s36, 0
	v_mul_lo_u32 v38, v7, s74
	v_mul_lo_u32 v39, v6, s76
	v_mad_co_u64_u32 v[36:37], null, v6, s74, 0
	s_delay_alu instid0(VALU_DEP_4) | instskip(NEXT) | instid1(VALU_DEP_2)
	v_add3_u32 v23, v23, v24, v10
	v_add3_u32 v37, v37, v39, v38
	s_delay_alu instid0(VALU_DEP_2) | instskip(NEXT) | instid1(VALU_DEP_2)
	v_lshlrev_b64_e32 v[22:23], 1, v[22:23]
	v_lshlrev_b64_e32 v[36:37], 1, v[36:37]
	s_delay_alu instid0(VALU_DEP_2) | instskip(SKIP_1) | instid1(VALU_DEP_3)
	v_add_co_u32 v22, vcc_lo, s44, v22
	s_wait_alu 0xfffd
	v_add_co_ci_u32_e64 v23, null, s45, v23, vcc_lo
	s_delay_alu instid0(VALU_DEP_3)
	v_add_co_u32 v36, vcc_lo, s44, v36
	s_wait_alu 0xfffd
	v_add_co_ci_u32_e64 v37, null, s45, v37, vcc_lo
	s_clause 0x1
	global_load_u16 v22, v[22:23], off
	global_load_u16 v10, v[36:37], off
	v_add_co_u32 v8, vcc_lo, v8, -2
	s_wait_alu 0xfffd
	v_add_co_ci_u32_e64 v9, null, -1, v9, vcc_lo
	v_add_co_u32 v6, vcc_lo, v6, 2
	s_wait_alu 0xfffd
	v_add_co_ci_u32_e64 v7, null, 0, v7, vcc_lo
	s_delay_alu instid0(VALU_DEP_3) | instskip(SKIP_4) | instid1(VALU_DEP_3)
	v_cmp_eq_u64_e64 s6, 0, v[8:9]
	v_add_co_u32 v4, vcc_lo, v4, 2
	s_wait_alu 0xfffd
	v_add_co_ci_u32_e64 v5, null, 0, v5, vcc_lo
	s_wait_alu 0xfffe
	s_or_b32 s9, s6, s9
	s_wait_loadcnt 0x1
	v_alignbit_b32 v21, v22, v21, 16
	s_wait_loadcnt 0x0
	v_perm_b32 v22, v10, v22, 0x5040100
	ds_store_b32 v11, v21
	v_add_nc_u32_e32 v11, 4, v11
	v_mov_b32_e32 v21, v22
	s_wait_alu 0xfffe
	s_and_not1_b32 exec_lo, exec_lo, s9
	s_cbranch_execnz .LBB133_45
; %bb.46:                               ;   in Loop: Header=BB133_26 Depth=1
	s_or_b32 exec_lo, exec_lo, s9
	v_add_co_u32 v6, vcc_lo, v2, v16
	s_wait_alu 0xfffd
	v_add_co_ci_u32_e64 v7, null, 0, v17, vcc_lo
	v_dual_mov_b32 v4, v18 :: v_dual_mov_b32 v5, v19
	s_delay_alu instid0(VALU_DEP_3)
	v_add_co_u32 v8, vcc_lo, v6, -1
	s_or_not1_b32 s6, s5, exec_lo
	s_wait_alu 0xfffd
	v_add_co_ci_u32_e64 v2, null, -1, v7, vcc_lo
.LBB133_47:                             ;   in Loop: Header=BB133_26 Depth=1
	s_wait_alu 0xfffe
	s_or_b32 exec_lo, exec_lo, s8
	s_and_saveexec_b32 s11, s6
	s_cbranch_execz .LBB133_51
; %bb.48:                               ;   in Loop: Header=BB133_26 Depth=1
	s_sub_nc_u64 s[8:9], 0, s[52:53]
	s_mov_b32 s12, 0
.LBB133_49:                             ;   Parent Loop BB133_26 Depth=1
                                        ; =>  This Inner Loop Header: Depth=2
	v_dual_mov_b32 v9, v7 :: v_dual_mov_b32 v8, v6
	v_lshlrev_b32_e32 v11, 1, v4
	s_delay_alu instid0(VALU_DEP_2) | instskip(NEXT) | instid1(VALU_DEP_3)
	v_mul_lo_u32 v2, v9, s36
	v_mul_lo_u32 v7, v8, s37
	v_mad_co_u64_u32 v[5:6], null, v8, s36, 0
	s_delay_alu instid0(VALU_DEP_1) | instskip(SKIP_2) | instid1(VALU_DEP_2)
	v_add3_u32 v6, v6, v7, v2
	s_wait_loadcnt 0x0
	v_mov_b32_e32 v2, v10
	v_lshlrev_b64_e32 v[5:6], 1, v[5:6]
	ds_store_b16 v11, v2
	v_add_co_u32 v5, vcc_lo, s44, v5
	s_wait_alu 0xfffd
	v_add_co_ci_u32_e64 v6, null, s45, v6, vcc_lo
	global_load_u16 v10, v[5:6], off
	v_add_co_u32 v6, vcc_lo, v8, s52
	s_wait_alu 0xfffd
	v_add_co_ci_u32_e64 v7, null, 0, v9, vcc_lo
	v_dual_mov_b32 v4, v8 :: v_dual_mov_b32 v5, v9
	s_wait_alu 0xfffe
	v_add_co_u32 v8, s6, s8, v6
	s_delay_alu instid0(VALU_DEP_3)
	v_cmp_le_u64_e32 vcc_lo, s[20:21], v[6:7]
	s_wait_alu 0xf1ff
	v_add_co_ci_u32_e64 v5, null, s9, v7, s6
	s_or_b32 s12, vcc_lo, s12
	s_wait_alu 0xfffe
	s_and_not1_b32 exec_lo, exec_lo, s12
	s_cbranch_execnz .LBB133_49
; %bb.50:                               ;   in Loop: Header=BB133_26 Depth=1
	s_or_b32 exec_lo, exec_lo, s12
.LBB133_51:                             ;   in Loop: Header=BB133_26 Depth=1
	s_wait_alu 0xfffe
	s_or_b32 exec_lo, exec_lo, s11
.LBB133_52:                             ;   in Loop: Header=BB133_26 Depth=1
	s_wait_alu 0xfffe
	s_or_b32 exec_lo, exec_lo, s10
	v_lshlrev_b32_e32 v2, 1, v8
	s_wait_loadcnt 0x0
	ds_store_b16 v2, v10
.LBB133_53:                             ;   in Loop: Header=BB133_26 Depth=1
	s_wait_alu 0xfffe
	s_or_b32 exec_lo, exec_lo, s7
	s_wait_loadcnt_dscnt 0x0
	s_barrier_signal -1
	s_barrier_wait -1
	global_inv scope:SCOPE_SE
	s_and_saveexec_b32 s6, s3
; %bb.54:                               ;   in Loop: Header=BB133_26 Depth=1
	v_dual_mov_b32 v4, s20 :: v_dual_mov_b32 v5, s21
	ds_store_b64 v3, v[4:5] offset:5120
; %bb.55:                               ;   in Loop: Header=BB133_26 Depth=1
	s_wait_alu 0xfffe
	s_or_b32 exec_lo, exec_lo, s6
	s_mov_b32 s6, -1
	s_wait_loadcnt_dscnt 0x0
	s_barrier_signal -1
	s_barrier_wait -1
.LBB133_56:                             ;   in Loop: Header=BB133_26 Depth=1
	s_wait_alu 0xfffe
	s_and_b32 vcc_lo, exec_lo, s6
	s_mov_b64 s[60:61], 0
	s_wait_alu 0xfffe
	s_cbranch_vccz .LBB133_58
; %bb.57:                               ;   in Loop: Header=BB133_26 Depth=1
	s_wait_loadcnt 0x0
	global_inv scope:SCOPE_SE
	ds_load_b64 v[4:5], v3 offset:5120
	s_wait_dscnt 0x0
	v_readfirstlane_b32 s60, v4
.LBB133_58:                             ;   in Loop: Header=BB133_26 Depth=1
	s_delay_alu instid0(VALU_DEP_1)
	s_cmp_lt_i32 s60, 1
	s_mov_b32 s6, -1
                                        ; implicit-def: $vgpr4_vgpr5
                                        ; implicit-def: $vgpr8_vgpr9
	s_cbranch_scc1 .LBB133_68
; %bb.59:                               ;   in Loop: Header=BB133_26 Depth=1
	s_wait_alu 0xfffe
	s_and_b32 vcc_lo, exec_lo, s6
	s_wait_alu 0xfffe
	s_cbranch_vccnz .LBB133_82
.LBB133_60:                             ;   in Loop: Header=BB133_26 Depth=1
	s_lshl_b32 s6, s85, 7
	s_and_saveexec_b32 s7, s1
	s_cbranch_execz .LBB133_62
.LBB133_61:                             ;   in Loop: Header=BB133_26 Depth=1
	s_wait_alu 0xfffe
	v_lshl_add_u32 v2, s6, 3, v29
	ds_store_b128 v2, v[4:7]
	ds_store_b128 v2, v[8:11] offset:16
.LBB133_62:                             ;   in Loop: Header=BB133_26 Depth=1
	s_wait_alu 0xfffe
	s_or_b32 exec_lo, exec_lo, s7
	s_wait_loadcnt_dscnt 0x0
	s_barrier_signal -1
	s_barrier_wait -1
	global_inv scope:SCOPE_SE
	s_and_saveexec_b32 s7, s72
	s_cbranch_execz .LBB133_96
; %bb.63:                               ;   in Loop: Header=BB133_26 Depth=1
	v_mov_b32_e32 v4, 0
	v_mov_b32_e32 v5, 0
	s_and_not1_b32 vcc_lo, exec_lo, s73
	s_wait_alu 0xfffe
	s_cbranch_vccnz .LBB133_95
; %bb.64:                               ;   in Loop: Header=BB133_26 Depth=1
	v_mov_b32_e32 v4, 0
	v_mov_b32_e32 v5, 0
	s_and_not1_b32 vcc_lo, exec_lo, s77
	s_wait_alu 0xfffe
	s_cbranch_vccnz .LBB133_92
; %bb.65:                               ;   in Loop: Header=BB133_26 Depth=1
	v_lshl_add_u32 v2, s85, 10, v32
	s_mov_b32 s8, 0
.LBB133_66:                             ;   Parent Loop BB133_26 Depth=1
                                        ; =>  This Inner Loop Header: Depth=2
	ds_load_2addr_b64 v[6:9], v2 offset1:4
	ds_load_2addr_b64 v[21:24], v2 offset0:8 offset1:12
	ds_load_2addr_b64 v[36:39], v2 offset0:16 offset1:20
	s_wait_alu 0xfffe
	s_add_co_i32 s8, s8, 8
	s_wait_alu 0xfffe
	s_cmp_eq_u32 s78, s8
	s_wait_dscnt 0x2
	v_add_co_u32 v4, vcc_lo, v6, v4
	s_wait_alu 0xfffd
	v_add_co_ci_u32_e64 v5, null, v7, v5, vcc_lo
	s_delay_alu instid0(VALU_DEP_2) | instskip(SKIP_1) | instid1(VALU_DEP_2)
	v_add_co_u32 v8, vcc_lo, v8, v4
	s_wait_alu 0xfffd
	v_add_co_ci_u32_e64 v9, null, v9, v5, vcc_lo
	ds_load_2addr_b64 v[4:7], v2 offset0:24 offset1:28
	s_wait_dscnt 0x2
	v_add_co_u32 v8, vcc_lo, v21, v8
	s_wait_alu 0xfffd
	v_add_co_ci_u32_e64 v9, null, v22, v9, vcc_lo
	v_add_nc_u32_e32 v2, 0x100, v2
	s_delay_alu instid0(VALU_DEP_3) | instskip(SKIP_1) | instid1(VALU_DEP_3)
	v_add_co_u32 v8, vcc_lo, v23, v8
	s_wait_alu 0xfffd
	v_add_co_ci_u32_e64 v9, null, v24, v9, vcc_lo
	s_wait_dscnt 0x1
	s_delay_alu instid0(VALU_DEP_2) | instskip(SKIP_1) | instid1(VALU_DEP_2)
	v_add_co_u32 v8, vcc_lo, v36, v8
	s_wait_alu 0xfffd
	v_add_co_ci_u32_e64 v9, null, v37, v9, vcc_lo
	s_delay_alu instid0(VALU_DEP_2) | instskip(SKIP_1) | instid1(VALU_DEP_2)
	v_add_co_u32 v8, vcc_lo, v38, v8
	s_wait_alu 0xfffd
	v_add_co_ci_u32_e64 v9, null, v39, v9, vcc_lo
	s_wait_dscnt 0x0
	s_delay_alu instid0(VALU_DEP_2) | instskip(SKIP_1) | instid1(VALU_DEP_2)
	v_add_co_u32 v4, vcc_lo, v4, v8
	s_wait_alu 0xfffd
	v_add_co_ci_u32_e64 v5, null, v5, v9, vcc_lo
	s_delay_alu instid0(VALU_DEP_2) | instskip(SKIP_1) | instid1(VALU_DEP_2)
	v_add_co_u32 v4, vcc_lo, v6, v4
	s_wait_alu 0xfffd
	v_add_co_ci_u32_e64 v5, null, v7, v5, vcc_lo
	s_cbranch_scc0 .LBB133_66
; %bb.67:                               ;   in Loop: Header=BB133_26 Depth=1
	s_mov_b32 s8, s78
	s_and_not1_b32 vcc_lo, exec_lo, s79
	s_wait_alu 0xfffe
	s_cbranch_vccz .LBB133_93
	s_branch .LBB133_95
.LBB133_68:                             ;   in Loop: Header=BB133_26 Depth=1
	global_load_u16 v2, v3, s[58:59]
	s_mov_b32 s7, s21
	s_wait_loadcnt 0x0
	v_readfirstlane_b32 s6, v2
	s_wait_alu 0xfffe
	s_and_b32 s8, 0xffff, s6
	s_mov_b32 s6, s53
	s_wait_alu 0xfffe
	s_lshl_b32 s18, s8, 2
	s_cmp_lg_u64 s[6:7], 0
	s_cbranch_scc0 .LBB133_91
; %bb.69:                               ;   in Loop: Header=BB133_26 Depth=1
	s_wait_alu 0xfffe
	s_cvt_f32_u32 s6, s18
	s_mov_b32 s19, s53
	s_wait_alu 0xfffe
	s_sub_nc_u64 s[8:9], 0, s[18:19]
	s_fmamk_f32 s6, s81, 0x0, s6
	s_wait_alu 0xfffe
	s_delay_alu instid0(SALU_CYCLE_2) | instskip(NEXT) | instid1(TRANS32_DEP_1)
	v_s_rcp_f32 s6, s6
	s_mul_f32 s6, s6, 0x5f7ffffc
	s_wait_alu 0xfffe
	s_delay_alu instid0(SALU_CYCLE_2) | instskip(SKIP_1) | instid1(SALU_CYCLE_2)
	s_mul_f32 s7, s6, 0x2f800000
	s_wait_alu 0xfffe
	s_trunc_f32 s7, s7
	s_wait_alu 0xfffe
	s_delay_alu instid0(SALU_CYCLE_2) | instskip(SKIP_2) | instid1(SALU_CYCLE_1)
	s_fmamk_f32 s6, s7, 0xcf800000, s6
	s_cvt_u32_f32 s7, s7
	s_wait_alu 0xfffe
	s_cvt_u32_f32 s6, s6
	s_wait_alu 0xfffe
	s_delay_alu instid0(SALU_CYCLE_2)
	s_mul_u64 s[10:11], s[8:9], s[6:7]
	s_wait_alu 0xfffe
	s_mul_hi_u32 s13, s6, s11
	s_mul_i32 s12, s6, s11
	s_mul_hi_u32 s52, s6, s10
	s_mul_i32 s15, s7, s10
	s_wait_alu 0xfffe
	s_add_nc_u64 s[12:13], s[52:53], s[12:13]
	s_mul_hi_u32 s14, s7, s10
	s_mul_hi_u32 s16, s7, s11
	s_mul_i32 s10, s7, s11
	s_wait_alu 0xfffe
	s_add_co_u32 s11, s12, s15
	s_add_co_ci_u32 s52, s13, s14
	s_add_co_ci_u32 s11, s16, 0
	s_wait_alu 0xfffe
	s_add_nc_u64 s[10:11], s[52:53], s[10:11]
	s_wait_alu 0xfffe
	s_add_co_u32 s6, s6, s10
	s_cselect_b32 s10, -1, 0
	s_wait_alu 0xfffe
	s_cmp_lg_u32 s10, 0
	s_add_co_ci_u32 s7, s7, s11
	s_wait_alu 0xfffe
	s_mul_u64 s[8:9], s[8:9], s[6:7]
	s_wait_alu 0xfffe
	s_mul_hi_u32 s11, s6, s9
	s_mul_i32 s10, s6, s9
	s_mul_hi_u32 s52, s6, s8
	s_mul_i32 s13, s7, s8
	s_wait_alu 0xfffe
	s_add_nc_u64 s[10:11], s[52:53], s[10:11]
	s_mul_hi_u32 s12, s7, s8
	s_mul_hi_u32 s14, s7, s9
	s_mul_i32 s8, s7, s9
	s_wait_alu 0xfffe
	s_add_co_u32 s9, s10, s13
	s_add_co_ci_u32 s52, s11, s12
	s_add_co_ci_u32 s9, s14, 0
	s_wait_alu 0xfffe
	s_add_nc_u64 s[8:9], s[52:53], s[8:9]
	s_wait_alu 0xfffe
	s_add_co_u32 s6, s6, s8
	s_cselect_b32 s8, -1, 0
	s_wait_alu 0xfffe
	s_mul_hi_u32 s52, s20, s6
	s_cmp_lg_u32 s8, 0
	s_mul_hi_u32 s10, s21, s6
	s_add_co_ci_u32 s8, s7, s9
	s_mul_i32 s9, s21, s6
	s_wait_alu 0xfffe
	s_mul_hi_u32 s7, s20, s8
	s_mul_i32 s6, s20, s8
	s_mul_hi_u32 s11, s21, s8
	s_wait_alu 0xfffe
	s_add_nc_u64 s[6:7], s[52:53], s[6:7]
	s_mul_i32 s8, s21, s8
	s_wait_alu 0xfffe
	s_add_co_u32 s6, s6, s9
	s_add_co_ci_u32 s52, s7, s10
	s_add_co_ci_u32 s9, s11, 0
	s_wait_alu 0xfffe
	s_add_nc_u64 s[6:7], s[52:53], s[8:9]
	s_wait_alu 0xfffe
	s_mul_u64 s[6:7], s[18:19], s[6:7]
	s_wait_alu 0xfffe
	s_sub_co_u32 s6, s20, s6
	s_cselect_b32 s8, -1, 0
	s_wait_alu 0xfffe
	s_cmp_lg_u32 s8, 0
	s_sub_co_ci_u32 s7, s21, s7
	s_sub_co_u32 s8, s6, s18
	s_cselect_b32 s9, -1, 0
	s_wait_alu 0xfffe
	s_cmp_lg_u32 s9, 0
	s_sub_co_ci_u32 s9, s7, 0
	;; [unrolled: 5-line block ×3, first 2 shown]
	s_cmp_ge_u32 s8, s18
	s_cselect_b32 s12, -1, 0
	s_cmp_eq_u32 s9, 0
	s_wait_alu 0xfffe
	s_cselect_b32 s12, s12, -1
	s_wait_alu 0xfffe
	s_cmp_lg_u32 s12, 0
	s_cselect_b32 s9, s11, s9
	s_cselect_b32 s8, s10, s8
	s_cmp_ge_u32 s6, s18
	s_cselect_b32 s10, -1, 0
	s_cmp_eq_u32 s7, 0
	s_wait_alu 0xfffe
	s_cselect_b32 s10, s10, -1
	s_wait_alu 0xfffe
	s_cmp_lg_u32 s10, 0
	s_cselect_b32 s7, s9, s7
	s_cselect_b32 s6, s8, s6
	s_cbranch_execnz .LBB133_71
.LBB133_70:                             ;   in Loop: Header=BB133_26 Depth=1
	s_wait_alu 0xfffe
	v_cvt_f32_u32_e32 v4, s18
	s_sub_co_i32 s7, 0, s18
	s_delay_alu instid0(VALU_DEP_1) | instskip(NEXT) | instid1(TRANS32_DEP_1)
	v_rcp_iflag_f32_e32 v4, v4
	v_mul_f32_e32 v4, 0x4f7ffffe, v4
	s_delay_alu instid0(VALU_DEP_1) | instskip(NEXT) | instid1(VALU_DEP_1)
	v_cvt_u32_f32_e32 v4, v4
	v_readfirstlane_b32 s6, v4
	s_wait_alu 0xfffe
	s_mul_i32 s7, s7, s6
	s_wait_alu 0xfffe
	s_mul_hi_u32 s7, s6, s7
	s_wait_alu 0xfffe
	s_add_co_i32 s6, s6, s7
	s_wait_alu 0xfffe
	s_mul_hi_u32 s6, s20, s6
	s_wait_alu 0xfffe
	s_mul_i32 s6, s6, s18
	s_wait_alu 0xfffe
	s_sub_co_i32 s6, s20, s6
	s_wait_alu 0xfffe
	s_sub_co_i32 s7, s6, s18
	s_cmp_ge_u32 s6, s18
	s_wait_alu 0xfffe
	s_cselect_b32 s6, s7, s6
	s_wait_alu 0xfffe
	s_sub_co_i32 s7, s6, s18
	s_cmp_ge_u32 s6, s18
	s_wait_alu 0xfffe
	s_cselect_b32 s52, s7, s6
	s_wait_alu 0xfffe
	s_mov_b64 s[6:7], s[52:53]
.LBB133_71:                             ;   in Loop: Header=BB133_26 Depth=1
	v_mov_b32_e32 v4, 0
	v_dual_mov_b32 v8, 0 :: v_dual_mov_b32 v5, 0
	v_dual_mov_b32 v6, 0 :: v_dual_mov_b32 v9, 0
	;; [unrolled: 1-line block ×3, first 2 shown]
	v_mov_b32_e32 v11, 0
	s_wait_alu 0xfffe
	s_sub_nc_u64 s[62:63], s[20:21], s[6:7]
	s_mov_b32 s17, exec_lo
	s_wait_alu 0xfffe
	v_cmpx_gt_u64_e64 s[62:63], v[12:13]
	s_cbranch_execz .LBB133_75
; %bb.72:                               ;   in Loop: Header=BB133_26 Depth=1
	v_dual_mov_b32 v22, v13 :: v_dual_mov_b32 v21, v12
	s_mov_b64 s[64:65], 0
	s_mov_b32 s19, 0
	s_mov_b64 s[66:67], 0
	s_mov_b64 s[68:69], 0
	s_mov_b64 s[70:71], 0
.LBB133_73:                             ;   Parent Loop BB133_26 Depth=1
                                        ; =>  This Inner Loop Header: Depth=2
	v_mul_lo_u32 v6, v22, s36
	v_mul_lo_u32 v7, v21, s37
	v_mad_co_u64_u32 v[4:5], null, v21, s36, 0
	s_lshl_b64 s[6:7], s[36:37], 1
	v_add3_u32 v5, v5, v7, v6
	s_delay_alu instid0(VALU_DEP_1) | instskip(NEXT) | instid1(VALU_DEP_1)
	v_lshlrev_b64_e32 v[4:5], 1, v[4:5]
	v_add_co_u32 v4, vcc_lo, s44, v4
	s_wait_alu 0xfffd
	s_delay_alu instid0(VALU_DEP_2) | instskip(SKIP_1) | instid1(VALU_DEP_2)
	v_add_co_ci_u32_e64 v5, null, s45, v5, vcc_lo
	s_wait_alu 0xfffe
	v_add_co_u32 v6, vcc_lo, v4, s6
	s_wait_alu 0xfffd
	s_delay_alu instid0(VALU_DEP_2)
	v_add_co_ci_u32_e64 v7, null, s7, v5, vcc_lo
	s_clause 0x1
	global_load_u16 v8, v[4:5], off
	global_load_u16 v9, v[6:7], off
	v_add_co_u32 v4, vcc_lo, v6, s6
	s_wait_alu 0xfffd
	v_add_co_ci_u32_e64 v5, null, s7, v7, vcc_lo
	global_load_u16 v6, v[4:5], off
	v_add_co_u32 v4, vcc_lo, v4, s6
	s_wait_alu 0xfffd
	v_add_co_ci_u32_e64 v5, null, s7, v5, vcc_lo
	v_add_co_u32 v21, vcc_lo, v21, s18
	s_wait_alu 0xfffd
	v_add_co_ci_u32_e64 v22, null, 0, v22, vcc_lo
	global_load_u16 v4, v[4:5], off
	v_cmp_le_u64_e32 vcc_lo, s[62:63], v[21:22]
	s_wait_loadcnt 0x3
	v_cmp_lt_i16_e64 s6, -1, v8
	v_and_b32_e32 v5, 0xffff, v8
	s_wait_loadcnt 0x2
	v_and_b32_e32 v10, 0xffff, v9
	s_wait_alu 0xf1ff
	v_cndmask_b32_e64 v7, 0xffff, v33, s6
	v_cmp_lt_i16_e64 s6, -1, v9
	s_wait_loadcnt 0x1
	v_cmp_lt_i16_e64 s7, -1, v6
	s_delay_alu instid0(VALU_DEP_3) | instskip(SKIP_4) | instid1(VALU_DEP_3)
	v_xor_b32_e32 v5, v7, v5
	s_wait_alu 0xf1ff
	v_cndmask_b32_e64 v11, 0xffff, v33, s6
	v_cmp_o_f16_e64 s6, v8, v8
	v_and_b32_e32 v8, 0xffff, v6
	v_xor_b32_e32 v7, v11, v10
	s_wait_alu 0xf1ff
	s_delay_alu instid0(VALU_DEP_3)
	v_cndmask_b32_e64 v5, 0xffff, v5, s6
	v_cmp_o_f16_e64 s6, v9, v9
	v_cndmask_b32_e64 v10, 0xffff, v33, s7
	s_wait_loadcnt 0x0
	v_and_b32_e32 v9, 0xffff, v4
	v_cmp_o_f16_e64 s11, v4, v4
	v_and_b32_e32 v11, v5, v34
	s_wait_alu 0xf1ff
	v_cndmask_b32_e64 v7, 0xffff, v7, s6
	v_cmp_lt_i16_e64 s6, -1, v4
	v_xor_b32_e32 v8, v10, v8
	v_bfe_u32 v5, v5, s82, 2
	s_wait_alu 0xf1ff
	s_delay_alu instid0(VALU_DEP_3) | instskip(SKIP_1) | instid1(VALU_DEP_3)
	v_cndmask_b32_e64 v10, 0xffff, v33, s6
	v_cmp_o_f16_e64 s6, v6, v6
	v_cmp_eq_u32_e64 s7, 0, v5
	v_cmp_eq_u32_e64 s8, 1, v5
	;; [unrolled: 1-line block ×4, first 2 shown]
	s_wait_alu 0xf1ff
	v_cndmask_b32_e64 v6, 0xffff, v8, s6
	v_xor_b32_e32 v8, v10, v9
	v_cmp_eq_u32_e64 s6, v11, v30
	v_and_b32_e32 v9, v7, v34
	v_bfe_u32 v7, v7, s82, 2
	v_and_b32_e32 v5, v6, v34
	v_cndmask_b32_e64 v4, 0xffff, v8, s11
	v_bfe_u32 v6, v6, s82, 2
	v_cmp_eq_u32_e64 s11, v9, v30
	v_cmp_eq_u32_e64 s12, 0, v7
	s_and_b32 s7, s6, s7
	s_and_b32 s8, s6, s8
	;; [unrolled: 1-line block ×3, first 2 shown]
	s_wait_alu 0xfffe
	v_cndmask_b32_e64 v8, 0, 1, s7
	v_cmp_eq_u32_e64 s7, 1, v7
	v_cndmask_b32_e64 v9, 0, 1, s8
	v_cmp_eq_u32_e64 s8, 2, v7
	;; [unrolled: 2-line block ×3, first 2 shown]
	s_and_b32 s6, s6, s10
	v_cmp_eq_u32_e64 s10, 0, v6
	s_wait_alu 0xfffe
	v_cndmask_b32_e64 v7, 0, 1, s6
	v_cmp_eq_u32_e64 s6, v5, v30
	v_and_b32_e32 v5, v4, v34
	v_bfe_u32 v4, v4, s82, 2
	s_and_b32 s12, s11, s12
	v_cmp_ne_u32_e64 s13, 0, v8
	s_wait_alu 0xfffe
	v_cndmask_b32_e64 v8, 0, 1, s12
	v_cmp_eq_u32_e64 s12, 1, v6
	s_and_b32 s7, s11, s7
	s_and_b32 s8, s11, s8
	;; [unrolled: 1-line block ×3, first 2 shown]
	v_cmp_ne_u32_e64 s14, 0, v9
	s_wait_alu 0xfffe
	v_cndmask_b32_e64 v9, 0, 1, s7
	v_cmp_eq_u32_e64 s7, 2, v6
	v_cmp_ne_u32_e64 s15, 0, v10
	v_cndmask_b32_e64 v10, 0, 1, s8
	v_cmp_eq_u32_e64 s8, 3, v6
	v_cndmask_b32_e64 v6, 0, 1, s9
	v_cmp_eq_u32_e64 s9, v5, v30
	v_cmp_eq_u32_e64 s11, 0, v4
	s_and_b32 s10, s6, s10
	v_cmp_ne_u32_e64 s16, 0, v7
	s_wait_alu 0xfffe
	v_cndmask_b32_e64 v5, 0, 1, s10
	v_cmp_eq_u32_e64 s10, 1, v4
	s_and_b32 s12, s6, s12
	s_and_b32 s7, s6, s7
	s_wait_alu 0xfffe
	v_cndmask_b32_e64 v7, 0, 1, s12
	v_cmp_eq_u32_e64 s12, 2, v4
	s_and_b32 s6, s6, s8
	s_and_b32 s8, s9, s11
	s_bcnt1_i32_b32 s52, s13
	v_cmp_ne_u32_e64 s13, 0, v8
	v_cndmask_b32_e64 v8, 0, 1, s7
	v_cmp_eq_u32_e64 s7, 3, v4
	s_bcnt1_i32_b32 s93, s16
	v_cmp_ne_u32_e64 s16, 0, v6
	s_wait_alu 0xfffe
	v_cndmask_b32_e64 v4, 0, 1, s6
	v_cmp_ne_u32_e64 s6, 0, v5
	v_cndmask_b32_e64 v5, 0, 1, s8
	s_and_b32 s10, s9, s10
	s_and_b32 s11, s9, s12
	s_wait_alu 0xfffe
	v_cndmask_b32_e64 v6, 0, 1, s10
	s_bcnt1_i32_b32 s61, s14
	v_cmp_ne_u32_e64 s14, 0, v9
	v_cmp_ne_u32_e64 s8, 0, v7
	v_cndmask_b32_e64 v7, 0, 1, s11
	s_and_b32 s7, s9, s7
	s_bcnt1_i32_b32 s92, s15
	v_cmp_ne_u32_e64 s15, 0, v10
	s_bcnt1_i32_b32 s12, s16
	s_bcnt1_i32_b32 s16, s6
	v_cmp_ne_u32_e64 s6, 0, v5
	s_bcnt1_i32_b32 s13, s13
	v_cmp_ne_u32_e64 s11, 0, v4
	s_wait_alu 0xfffe
	v_cndmask_b32_e64 v4, 0, 1, s7
	v_cmp_ne_u32_e64 s10, 0, v8
	v_cmp_ne_u32_e64 s7, 0, v6
	s_bcnt1_i32_b32 s14, s14
	s_add_co_i32 s13, s13, s52
	s_bcnt1_i32_b32 s52, s8
	v_cmp_ne_u32_e64 s8, 0, v7
	s_bcnt1_i32_b32 s15, s15
	s_wait_alu 0xfffe
	s_add_co_i32 s14, s14, s61
	s_add_co_i32 s13, s13, s16
	s_bcnt1_i32_b32 s6, s6
	v_cmp_ne_u32_e64 s9, 0, v4
	s_add_co_i32 s15, s15, s92
	s_bcnt1_i32_b32 s10, s10
	s_wait_alu 0xfffe
	s_add_co_i32 s14, s14, s52
	s_bcnt1_i32_b32 s7, s7
	s_add_co_i32 s52, s13, s6
	s_add_co_i32 s12, s12, s93
	s_bcnt1_i32_b32 s11, s11
	s_add_co_i32 s10, s15, s10
	s_bcnt1_i32_b32 s8, s8
	s_wait_alu 0xfffe
	s_add_nc_u64 s[70:71], s[70:71], s[52:53]
	s_add_co_i32 s52, s14, s7
	s_add_co_i32 s11, s12, s11
	s_bcnt1_i32_b32 s9, s9
	s_wait_alu 0xfffe
	s_add_nc_u64 s[68:69], s[68:69], s[52:53]
	s_add_co_i32 s52, s10, s8
	v_mov_b32_e32 v4, s70
	s_wait_alu 0xfffe
	s_add_nc_u64 s[66:67], s[66:67], s[52:53]
	s_add_co_i32 s52, s11, s9
	v_mov_b32_e32 v6, s68
	s_wait_alu 0xfffe
	s_add_nc_u64 s[64:65], s[64:65], s[52:53]
	v_mov_b32_e32 v8, s66
	s_wait_alu 0xfffe
	v_dual_mov_b32 v10, s64 :: v_dual_mov_b32 v5, s71
	v_mov_b32_e32 v7, s69
	v_mov_b32_e32 v9, s67
	;; [unrolled: 1-line block ×3, first 2 shown]
	s_or_b32 s19, vcc_lo, s19
	s_wait_alu 0xfffe
	s_and_not1_b32 exec_lo, exec_lo, s19
	s_cbranch_execnz .LBB133_73
; %bb.74:                               ;   in Loop: Header=BB133_26 Depth=1
	s_or_b32 exec_lo, exec_lo, s19
.LBB133_75:                             ;   in Loop: Header=BB133_26 Depth=1
	s_delay_alu instid0(SALU_CYCLE_1)
	s_or_b32 exec_lo, exec_lo, s17
	v_add_co_u32 v21, s6, s62, v0
	v_and_b32_e32 v2, 0xffff, v2
	s_wait_alu 0xf1ff
	v_add_co_ci_u32_e64 v22, null, s63, 0, s6
	s_mov_b32 s10, exec_lo
	v_cmpx_gt_u64_e64 s[20:21], v[21:22]
	s_cbranch_execz .LBB133_81
; %bb.76:                               ;   in Loop: Header=BB133_26 Depth=1
	v_mul_lo_u32 v36, v22, s36
	v_mul_lo_u32 v37, v21, s37
	v_mad_co_u64_u32 v[23:24], null, v21, s36, 0
	s_mov_b32 s11, 0
	v_add3_u32 v24, v24, v37, v36
	s_delay_alu instid0(VALU_DEP_1) | instskip(NEXT) | instid1(VALU_DEP_1)
	v_lshlrev_b64_e32 v[23:24], 1, v[23:24]
	v_add_co_u32 v23, vcc_lo, s44, v23
	s_wait_alu 0xfffd
	s_delay_alu instid0(VALU_DEP_2)
	v_add_co_ci_u32_e64 v24, null, s45, v24, vcc_lo
	global_load_u16 v24, v[23:24], off
	s_branch .LBB133_78
.LBB133_77:                             ;   in Loop: Header=BB133_78 Depth=2
	s_wait_alu 0xfffe
	s_or_b32 exec_lo, exec_lo, s7
	s_wait_loadcnt 0x0
	v_cmp_lt_i16_e64 s6, -1, v24
	v_and_b32_e32 v36, 0xffff, v24
	s_and_b32 s7, exec_lo, vcc_lo
	s_wait_alu 0xfffe
	s_or_b32 s11, s7, s11
	v_cndmask_b32_e64 v37, 0xffff, v33, s6
	v_cmp_o_f16_e64 s6, v24, v24
	s_delay_alu instid0(VALU_DEP_2) | instskip(SKIP_1) | instid1(VALU_DEP_1)
	v_xor_b32_e32 v36, v37, v36
	s_wait_alu 0xf1ff
	v_cndmask_b32_e64 v24, 0xffff, v36, s6
	s_delay_alu instid0(VALU_DEP_1) | instskip(SKIP_1) | instid1(VALU_DEP_2)
	v_and_b32_e32 v36, v24, v34
	v_bfe_u32 v24, v24, s82, 2
	v_cmp_eq_u32_e32 vcc_lo, v36, v30
	s_delay_alu instid0(VALU_DEP_2)
	v_cmp_eq_u32_e64 s6, 0, v24
	v_cmp_eq_u32_e64 s7, 1, v24
	;; [unrolled: 1-line block ×4, first 2 shown]
	s_and_b32 s6, vcc_lo, s6
	s_wait_alu 0xfffe
	v_cndmask_b32_e64 v24, 0, 1, s6
	s_and_b32 s6, vcc_lo, s7
	s_wait_alu 0xfffe
	v_cndmask_b32_e64 v36, 0, 1, s6
	;; [unrolled: 3-line block ×3, first 2 shown]
	s_and_b32 s6, vcc_lo, s9
	v_cmp_ne_u32_e32 vcc_lo, 0, v24
	s_wait_alu 0xfffe
	v_cndmask_b32_e64 v38, 0, 1, s6
	v_cmp_ne_u32_e64 s6, 0, v36
	v_cmp_ne_u32_e64 s7, 0, v37
	v_mov_b32_e32 v24, v23
	s_bcnt1_i32_b32 s9, vcc_lo
	v_cmp_ne_u32_e64 s8, 0, v38
	s_bcnt1_i32_b32 s6, s6
	s_wait_alu 0xfffe
	v_add_co_u32 v4, vcc_lo, v4, s9
	s_bcnt1_i32_b32 s7, s7
	s_wait_alu 0xfffd
	v_add_co_ci_u32_e64 v5, null, 0, v5, vcc_lo
	v_add_co_u32 v6, vcc_lo, v6, s6
	s_wait_alu 0xfffd
	v_add_co_ci_u32_e64 v7, null, 0, v7, vcc_lo
	s_wait_alu 0xfffe
	v_add_co_u32 v8, vcc_lo, v8, s7
	s_bcnt1_i32_b32 s6, s8
	s_wait_alu 0xfffd
	v_add_co_ci_u32_e64 v9, null, 0, v9, vcc_lo
	s_wait_alu 0xfffe
	v_add_co_u32 v10, vcc_lo, v10, s6
	s_wait_alu 0xfffd
	v_add_co_ci_u32_e64 v11, null, 0, v11, vcc_lo
	s_and_not1_b32 exec_lo, exec_lo, s11
	s_cbranch_execz .LBB133_80
.LBB133_78:                             ;   Parent Loop BB133_26 Depth=1
                                        ; =>  This Inner Loop Header: Depth=2
	v_add_co_u32 v21, vcc_lo, v21, v2
	s_wait_alu 0xfffd
	v_add_co_ci_u32_e64 v22, null, 0, v22, vcc_lo
	v_mov_b32_e32 v23, 0
	s_mov_b32 s7, exec_lo
	s_delay_alu instid0(VALU_DEP_2)
	v_cmp_le_u64_e32 vcc_lo, s[20:21], v[21:22]
	v_cmpx_gt_u64_e64 s[20:21], v[21:22]
	s_cbranch_execz .LBB133_77
; %bb.79:                               ;   in Loop: Header=BB133_78 Depth=2
	v_mul_lo_u32 v23, v22, s36
	v_mul_lo_u32 v38, v21, s37
	v_mad_co_u64_u32 v[36:37], null, v21, s36, 0
	s_delay_alu instid0(VALU_DEP_1) | instskip(NEXT) | instid1(VALU_DEP_1)
	v_add3_u32 v37, v37, v38, v23
	v_lshlrev_b64_e32 v[36:37], 1, v[36:37]
	s_delay_alu instid0(VALU_DEP_1) | instskip(SKIP_1) | instid1(VALU_DEP_2)
	v_add_co_u32 v36, s6, s44, v36
	s_wait_alu 0xf1ff
	v_add_co_ci_u32_e64 v37, null, s45, v37, s6
	global_load_u16 v23, v[36:37], off
	s_branch .LBB133_77
.LBB133_80:                             ;   in Loop: Header=BB133_26 Depth=1
	s_or_b32 exec_lo, exec_lo, s11
.LBB133_81:                             ;   in Loop: Header=BB133_26 Depth=1
	s_wait_alu 0xfffe
	s_or_b32 exec_lo, exec_lo, s10
	s_branch .LBB133_60
.LBB133_82:                             ;   in Loop: Header=BB133_26 Depth=1
	global_load_u16 v2, v3, s[58:59]
	v_mov_b32_e32 v6, 0
	v_mov_b32_e32 v8, 0
	v_dual_mov_b32 v10, 0 :: v_dual_mov_b32 v9, 0
	v_mov_b32_e32 v11, 0
	s_mov_b32 s92, exec_lo
	v_mov_b32_e32 v7, 0
	s_wait_loadcnt 0x0
	v_readfirstlane_b32 s6, v2
	v_and_b32_e32 v2, 0xffff, v2
	s_and_b32 s61, 0xffff, s6
	s_wait_alu 0xfffe
	s_lshl_b32 s71, s61, 2
	s_wait_alu 0xfffe
	s_cvt_f32_u32 s6, s71
	s_sub_co_i32 s7, 0, s71
	s_wait_alu 0xfffe
	s_delay_alu instid0(SALU_CYCLE_1) | instskip(NEXT) | instid1(TRANS32_DEP_1)
	v_rcp_iflag_f32_e32 v4, s6
	v_readfirstlane_b32 s6, v4
	s_mul_f32 s6, s6, 0x4f7ffffe
	s_wait_alu 0xfffe
	s_delay_alu instid0(SALU_CYCLE_2) | instskip(SKIP_1) | instid1(SALU_CYCLE_2)
	s_cvt_u32_f32 s6, s6
	s_wait_alu 0xfffe
	s_mul_i32 s7, s7, s6
	s_wait_alu 0xfffe
	s_mul_hi_u32 s7, s6, s7
	s_wait_alu 0xfffe
	s_add_co_i32 s6, s6, s7
	s_wait_alu 0xfffe
	s_mul_hi_u32 s6, s60, s6
	s_wait_alu 0xfffe
	s_mul_i32 s7, s6, s71
	s_add_co_i32 s8, s6, 1
	s_wait_alu 0xfffe
	s_sub_co_i32 s7, s60, s7
	s_wait_alu 0xfffe
	s_sub_co_i32 s9, s7, s71
	s_cmp_ge_u32 s7, s71
	s_cselect_b32 s6, s8, s6
	s_wait_alu 0xfffe
	s_cselect_b32 s7, s9, s7
	s_add_co_i32 s8, s6, 1
	s_wait_alu 0xfffe
	s_cmp_ge_u32 s7, s71
	s_cselect_b32 s70, s8, s6
	s_wait_alu 0xfffe
	v_mul_hi_u32 v5, s70, v2
	v_mul_lo_u32 v4, s70, v2
	s_delay_alu instid0(VALU_DEP_1) | instskip(SKIP_2) | instid1(VALU_DEP_3)
	v_lshlrev_b64_e32 v[21:22], 2, v[4:5]
	v_mov_b32_e32 v4, 0
	v_mov_b32_e32 v5, 0
	v_cmpx_gt_u64_e64 v[21:22], v[12:13]
	s_cbranch_execz .LBB133_86
; %bb.83:                               ;   in Loop: Header=BB133_26 Depth=1
	v_mov_b32_e32 v24, v13
	v_dual_mov_b32 v36, v31 :: v_dual_mov_b32 v23, v12
	s_lshl_b32 s93, s61, 3
	s_mov_b64 s[62:63], 0
	s_mov_b32 s94, 0
	s_mov_b64 s[64:65], 0
	s_mov_b64 s[66:67], 0
	;; [unrolled: 1-line block ×3, first 2 shown]
.LBB133_84:                             ;   Parent Loop BB133_26 Depth=1
                                        ; =>  This Inner Loop Header: Depth=2
	ds_load_b64 v[4:5], v36
	v_add_co_u32 v23, vcc_lo, v23, s71
	s_wait_alu 0xfffd
	v_add_co_ci_u32_e64 v24, null, 0, v24, vcc_lo
	s_delay_alu instid0(VALU_DEP_1)
	v_cmp_ge_u64_e32 vcc_lo, v[23:24], v[21:22]
	s_wait_dscnt 0x0
	v_cmp_lt_i16_e64 s6, -1, v4
	v_lshrrev_b32_e32 v6, 16, v4
	v_lshrrev_b32_e32 v11, 16, v5
	v_and_b32_e32 v7, 0xffff, v4
	v_and_b32_e32 v9, 0xffff, v5
	s_wait_alu 0xf1ff
	v_cndmask_b32_e64 v8, 0xffff, v33, s6
	v_cmp_lt_i16_e64 s6, -1, v5
	v_cmp_lt_i16_e64 s7, -1, v11
	s_delay_alu instid0(VALU_DEP_3) | instskip(SKIP_1) | instid1(VALU_DEP_3)
	v_xor_b32_e32 v7, v8, v7
	s_wait_alu 0xf1ff
	v_cndmask_b32_e64 v10, 0xffff, v33, s6
	v_cmp_lt_i16_e64 s6, -1, v6
	s_delay_alu instid0(VALU_DEP_2) | instskip(SKIP_1) | instid1(VALU_DEP_2)
	v_xor_b32_e32 v9, v10, v9
	s_wait_alu 0xf1ff
	v_cndmask_b32_e64 v8, 0xffff, v33, s6
	v_cmp_o_f16_e64 s6, v5, v5
	v_cndmask_b32_e64 v5, 0xffff, v33, s7
	v_cmp_o_f16_e64 s7, v4, v4
	s_delay_alu instid0(VALU_DEP_2) | instskip(SKIP_1) | instid1(VALU_DEP_2)
	v_xor_b32_e32 v5, v5, v11
	s_wait_alu 0xf1ff
	v_cndmask_b32_e64 v4, 0xffff, v7, s7
	v_xor_b32_e32 v7, v8, v6
	v_cmp_o_f16_e64 s7, v6, v6
	v_cndmask_b32_e64 v8, 0xffff, v9, s6
	v_cmp_o_f16_e64 s6, v11, v11
	s_wait_alu 0xf1ff
	s_delay_alu instid0(VALU_DEP_3)
	v_cndmask_b32_e64 v6, 0xffff, v7, s7
	v_and_b32_e32 v7, v4, v34
	v_bfe_u32 v4, v4, s82, 2
	v_and_b32_e32 v9, v8, v34
	v_bfe_u32 v8, v8, s82, 2
	v_cndmask_b32_e64 v5, 0xffff, v5, s6
	v_cmp_eq_u32_e64 s6, v7, v30
	v_cmp_eq_u32_e64 s8, 0, v4
	v_and_b32_e32 v7, v6, v34
	v_cmp_eq_u32_e64 s7, v9, v30
	v_bfe_u32 v6, v6, s82, 2
	v_cmp_eq_u32_e64 s9, 0, v8
	v_cmp_eq_u32_e64 s10, 1, v4
	v_cmp_eq_u32_e64 s12, 2, v4
	v_and_b32_e32 v9, v5, v34
	v_bfe_u32 v5, v5, s82, 2
	v_cmp_eq_u32_e64 s11, 1, v8
	v_cmp_eq_u32_e64 s13, 2, v8
	;; [unrolled: 1-line block ×3, first 2 shown]
	s_and_b32 s8, s6, s8
	v_cmp_eq_u32_e64 s15, 3, v8
	v_cmp_eq_u32_e64 s16, v7, v30
	;; [unrolled: 1-line block ×3, first 2 shown]
	s_wait_alu 0xfffe
	v_cndmask_b32_e64 v4, 0, 1, s8
	s_and_b32 s8, s7, s9
	s_and_b32 s10, s6, s10
	;; [unrolled: 1-line block ×3, first 2 shown]
	v_cmp_eq_u32_e64 s17, v9, v30
	v_cmp_eq_u32_e64 s19, 0, v5
	s_wait_alu 0xfffe
	v_cndmask_b32_e64 v7, 0, 1, s8
	v_cmp_eq_u32_e64 s8, 1, v6
	v_cndmask_b32_e64 v8, 0, 1, s10
	s_and_b32 s10, s7, s11
	v_cndmask_b32_e64 v10, 0, 1, s12
	s_and_b32 s12, s7, s13
	s_and_b32 s6, s6, s14
	v_cmp_eq_u32_e64 s9, 1, v5
	s_wait_alu 0xfffe
	v_cndmask_b32_e64 v9, 0, 1, s10
	v_cmp_eq_u32_e64 s10, 2, v6
	v_cmp_eq_u32_e64 s11, 2, v5
	v_cndmask_b32_e64 v11, 0, 1, s12
	v_cmp_eq_u32_e64 s12, 3, v6
	v_cmp_eq_u32_e64 s13, 3, v5
	v_cndmask_b32_e64 v5, 0, 1, s6
	s_and_b32 s6, s7, s15
	s_and_b32 s7, s16, s18
	s_wait_alu 0xfffe
	v_cndmask_b32_e64 v6, 0, 1, s6
	v_cmp_ne_u32_e64 s6, 0, v4
	v_cndmask_b32_e64 v4, 0, 1, s7
	s_and_b32 s14, s17, s19
	s_and_b32 s8, s16, s8
	v_cmp_ne_u32_e64 s7, 0, v7
	s_wait_alu 0xfffe
	v_cndmask_b32_e64 v7, 0, 1, s14
	v_cmp_ne_u32_e64 s14, 0, v8
	v_cndmask_b32_e64 v8, 0, 1, s8
	s_and_b32 s9, s17, s9
	s_and_b32 s10, s16, s10
	;; [unrolled: 1-line block ×4, first 2 shown]
	v_cmp_ne_u32_e64 s8, 0, v9
	s_wait_alu 0xfffe
	v_cndmask_b32_e64 v9, 0, 1, s9
	v_cmp_ne_u32_e64 s9, 0, v10
	v_cndmask_b32_e64 v10, 0, 1, s10
	v_cmp_ne_u32_e64 s10, 0, v11
	;; [unrolled: 2-line block ×3, first 2 shown]
	v_cndmask_b32_e64 v5, 0, 1, s12
	s_and_b32 s13, s17, s13
	s_bcnt1_i32_b32 s15, s6
	v_cmp_ne_u32_e64 s6, 0, v4
	v_cmp_ne_u32_e64 s12, 0, v6
	s_wait_alu 0xfffe
	v_cndmask_b32_e64 v6, 0, 1, s13
	v_cmp_ne_u32_e64 s13, 0, v8
	s_bcnt1_i32_b32 s16, s7
	v_cmp_ne_u32_e64 s7, 0, v7
	s_bcnt1_i32_b32 s18, s9
	;; [unrolled: 2-line block ×4, first 2 shown]
	s_bcnt1_i32_b32 s17, s8
	v_cmp_ne_u32_e64 s8, 0, v9
	s_bcnt1_i32_b32 s14, s14
	s_bcnt1_i32_b32 s13, s13
	s_wait_alu 0xfffe
	s_add_co_i32 s6, s6, s15
	s_bcnt1_i32_b32 s19, s10
	v_cmp_ne_u32_e64 s10, 0, v11
	s_bcnt1_i32_b32 s7, s7
	s_bcnt1_i32_b32 s9, s9
	;; [unrolled: 1-line block ×3, first 2 shown]
	s_add_co_i32 s13, s13, s14
	s_wait_alu 0xfffe
	s_add_co_i32 s6, s6, s16
	s_bcnt1_i32_b32 s95, s12
	v_cmp_ne_u32_e64 s12, 0, v6
	s_bcnt1_i32_b32 s8, s8
	s_add_co_i32 s9, s9, s18
	s_add_co_i32 s11, s11, s52
	;; [unrolled: 1-line block ×3, first 2 shown]
	s_wait_alu 0xfffe
	s_add_co_i32 s52, s6, s7
	s_bcnt1_i32_b32 s10, s10
	s_add_co_i32 s9, s9, s19
	s_wait_alu 0xfffe
	s_add_nc_u64 s[68:69], s[68:69], s[52:53]
	s_add_co_i32 s52, s13, s8
	s_bcnt1_i32_b32 s12, s12
	s_add_co_i32 s11, s11, s95
	s_wait_alu 0xfffe
	s_add_nc_u64 s[66:67], s[66:67], s[52:53]
	s_add_co_i32 s52, s9, s10
	v_mov_b32_e32 v4, s68
	s_wait_alu 0xfffe
	s_add_nc_u64 s[64:65], s[64:65], s[52:53]
	s_add_co_i32 s52, s11, s12
	v_mov_b32_e32 v6, s66
	s_wait_alu 0xfffe
	s_add_nc_u64 s[62:63], s[62:63], s[52:53]
	v_mov_b32_e32 v8, s64
	s_wait_alu 0xfffe
	v_mov_b32_e32 v10, s62
	v_dual_mov_b32 v5, s69 :: v_dual_add_nc_u32 v36, s93, v36
	v_mov_b32_e32 v7, s67
	v_mov_b32_e32 v9, s65
	;; [unrolled: 1-line block ×3, first 2 shown]
	s_or_b32 s94, vcc_lo, s94
	s_delay_alu instid0(SALU_CYCLE_1)
	s_and_not1_b32 exec_lo, exec_lo, s94
	s_cbranch_execnz .LBB133_84
; %bb.85:                               ;   in Loop: Header=BB133_26 Depth=1
	s_or_b32 exec_lo, exec_lo, s94
.LBB133_86:                             ;   in Loop: Header=BB133_26 Depth=1
	s_delay_alu instid0(SALU_CYCLE_1)
	s_or_b32 exec_lo, exec_lo, s92
	v_add_co_u32 v21, vcc_lo, v21, v0
	s_wait_alu 0xfffd
	v_add_co_ci_u32_e64 v22, null, 0, v22, vcc_lo
	s_and_b32 s52, s60, 0x7fffffff
	s_mov_b32 s11, exec_lo
	s_wait_alu 0xfffe
	v_cmpx_gt_u64_e64 s[52:53], v[21:22]
	s_cbranch_execz .LBB133_90
; %bb.87:                               ;   in Loop: Header=BB133_26 Depth=1
	s_mul_i32 s70, s70, s61
	s_lshl_b32 s13, s61, 1
	s_wait_alu 0xfffe
	v_lshl_add_u32 v23, s70, 3, v26
	s_mov_b32 s12, 0
.LBB133_88:                             ;   Parent Loop BB133_26 Depth=1
                                        ; =>  This Inner Loop Header: Depth=2
	ds_load_u16 v24, v23
	v_add_co_u32 v21, vcc_lo, v21, v2
	s_wait_alu 0xfffd
	v_add_co_ci_u32_e64 v22, null, 0, v22, vcc_lo
	v_add_nc_u32_e32 v23, s13, v23
	s_delay_alu instid0(VALU_DEP_2) | instskip(SKIP_4) | instid1(VALU_DEP_2)
	v_cmp_le_u64_e32 vcc_lo, s[52:53], v[21:22]
	s_wait_dscnt 0x0
	v_cmp_lt_i16_e64 s6, -1, v24
	v_and_b32_e32 v36, 0xffff, v24
	s_wait_alu 0xf1ff
	v_cndmask_b32_e64 v37, 0xffff, v33, s6
	v_cmp_o_f16_e64 s6, v24, v24
	s_delay_alu instid0(VALU_DEP_2) | instskip(SKIP_1) | instid1(VALU_DEP_1)
	v_xor_b32_e32 v36, v37, v36
	s_wait_alu 0xf1ff
	v_cndmask_b32_e64 v24, 0xffff, v36, s6
	s_delay_alu instid0(VALU_DEP_1) | instskip(SKIP_1) | instid1(VALU_DEP_2)
	v_and_b32_e32 v36, v24, v34
	v_bfe_u32 v24, v24, s82, 2
	v_cmp_eq_u32_e64 s6, v36, v30
	s_delay_alu instid0(VALU_DEP_2)
	v_cmp_eq_u32_e64 s7, 0, v24
	v_cmp_eq_u32_e64 s8, 1, v24
	;; [unrolled: 1-line block ×4, first 2 shown]
	s_and_b32 s7, s6, s7
	s_wait_alu 0xfffe
	v_cndmask_b32_e64 v24, 0, 1, s7
	s_and_b32 s7, s6, s8
	s_wait_alu 0xfffe
	v_cndmask_b32_e64 v36, 0, 1, s7
	s_and_b32 s7, s6, s9
	s_and_b32 s6, s6, s10
	s_wait_alu 0xfffe
	v_cndmask_b32_e64 v37, 0, 1, s7
	v_cndmask_b32_e64 v38, 0, 1, s6
	v_cmp_ne_u32_e64 s6, 0, v24
	v_cmp_ne_u32_e64 s7, 0, v36
	s_delay_alu instid0(VALU_DEP_4) | instskip(NEXT) | instid1(VALU_DEP_4)
	v_cmp_ne_u32_e64 s8, 0, v37
	v_cmp_ne_u32_e64 s9, 0, v38
	s_bcnt1_i32_b32 s6, s6
	s_bcnt1_i32_b32 s7, s7
	s_wait_alu 0xfffe
	v_add_co_u32 v4, s6, v4, s6
	s_bcnt1_i32_b32 s8, s8
	v_add_co_ci_u32_e64 v5, null, 0, v5, s6
	v_add_co_u32 v6, s6, v6, s7
	s_bcnt1_i32_b32 s9, s9
	v_add_co_ci_u32_e64 v7, null, 0, v7, s6
	s_wait_alu 0xfffe
	v_add_co_u32 v8, s6, v8, s8
	s_wait_alu 0xf1ff
	v_add_co_ci_u32_e64 v9, null, 0, v9, s6
	v_add_co_u32 v10, s6, v10, s9
	s_wait_alu 0xf1ff
	v_add_co_ci_u32_e64 v11, null, 0, v11, s6
	s_or_b32 s12, vcc_lo, s12
	s_wait_alu 0xfffe
	s_and_not1_b32 exec_lo, exec_lo, s12
	s_cbranch_execnz .LBB133_88
; %bb.89:                               ;   in Loop: Header=BB133_26 Depth=1
	s_or_b32 exec_lo, exec_lo, s12
.LBB133_90:                             ;   in Loop: Header=BB133_26 Depth=1
	s_delay_alu instid0(SALU_CYCLE_1)
	s_or_b32 exec_lo, exec_lo, s11
	s_lshl_b32 s6, s85, 7
	s_and_saveexec_b32 s7, s1
	s_cbranch_execnz .LBB133_61
	s_branch .LBB133_62
.LBB133_91:                             ;   in Loop: Header=BB133_26 Depth=1
                                        ; implicit-def: $sgpr6_sgpr7
	s_branch .LBB133_70
.LBB133_92:                             ;   in Loop: Header=BB133_26 Depth=1
	s_mov_b32 s8, 0
	s_and_not1_b32 vcc_lo, exec_lo, s79
	s_wait_alu 0xfffe
	s_cbranch_vccnz .LBB133_95
.LBB133_93:                             ;   in Loop: Header=BB133_26 Depth=1
	s_lshl_b32 s9, s85, 10
	s_lshl_b32 s8, s8, 5
	s_wait_alu 0xfffe
	v_add3_u32 v2, s9, s8, v32
	s_mov_b32 s8, s75
.LBB133_94:                             ;   Parent Loop BB133_26 Depth=1
                                        ; =>  This Inner Loop Header: Depth=2
	ds_load_b64 v[6:7], v2
	v_add_nc_u32_e32 v2, 32, v2
	s_wait_alu 0xfffe
	s_add_co_i32 s8, s8, -1
	s_wait_alu 0xfffe
	s_cmp_lg_u32 s8, 0
	s_wait_dscnt 0x0
	v_add_co_u32 v4, vcc_lo, v6, v4
	s_wait_alu 0xfffd
	v_add_co_ci_u32_e64 v5, null, v7, v5, vcc_lo
	s_cbranch_scc1 .LBB133_94
.LBB133_95:                             ;   in Loop: Header=BB133_26 Depth=1
	v_add_lshl_u32 v2, s6, v25, 3
	ds_store_b64 v2, v[4:5] offset:3072
.LBB133_96:                             ;   in Loop: Header=BB133_26 Depth=1
	s_wait_alu 0xfffe
	s_or_b32 exec_lo, exec_lo, s7
	s_lshl_b32 s6, s6, 3
	s_wait_loadcnt_dscnt 0x0
	s_wait_alu 0xfffe
	v_mov_b32_e32 v2, s6
	s_barrier_signal -1
	s_barrier_wait -1
	global_inv scope:SCOPE_SE
	v_cmp_eq_u64_e32 vcc_lo, 1, v[19:20]
	ds_load_b128 v[4:7], v2 offset:3072
	ds_load_b128 v[8:11], v2 offset:3088
	s_lshl_b32 s16, 3, s82
	s_mov_b32 s18, -1
	s_wait_alu 0xfffe
	s_not_b32 s60, s16
                                        ; implicit-def: $sgpr62
                                        ; implicit-def: $sgpr61
	s_wait_dscnt 0x1
	v_cmp_eq_u64_e64 s6, 1, v[4:5]
	s_wait_dscnt 0x0
	v_readfirstlane_b32 s10, v8
	v_readfirstlane_b32 s11, v9
	;; [unrolled: 1-line block ×4, first 2 shown]
	s_and_b32 s19, s6, vcc_lo
	s_mov_b32 s6, -1
	s_wait_alu 0xfffe
	s_and_saveexec_b32 s17, s19
	s_cbranch_execz .LBB133_130
; %bb.97:                               ;   in Loop: Header=BB133_26 Depth=1
	ds_load_b64 v[8:9], v3 offset:5120
	s_wait_loadcnt_dscnt 0x0
	s_barrier_signal -1
	s_barrier_wait -1
	global_inv scope:SCOPE_SE
	v_readfirstlane_b32 s6, v8
	v_readfirstlane_b32 s7, v9
	s_and_saveexec_b32 s12, s0
; %bb.98:                               ;   in Loop: Header=BB133_26 Depth=1
	ds_store_b16 v27, v3
; %bb.99:                               ;   in Loop: Header=BB133_26 Depth=1
	s_wait_alu 0xfffe
	s_or_b32 exec_lo, exec_lo, s12
	v_and_b32_e32 v30, s60, v30
	v_or_b32_e32 v34, s16, v34
	s_mov_b32 s61, -1
	s_mov_b32 s62, 0
	s_cmp_eq_u64 s[6:7], 0
	s_mov_b32 s14, 0
	s_mov_b32 s15, -1
	s_wait_loadcnt_dscnt 0x0
	s_barrier_signal -1
	s_barrier_wait -1
	global_inv scope:SCOPE_SE
                                        ; implicit-def: $vgpr35
	s_cbranch_scc1 .LBB133_114
; %bb.100:                              ;   in Loop: Header=BB133_26 Depth=1
	s_add_nc_u64 s[12:13], s[6:7], s[54:55]
	s_mov_b32 s14, s53
	s_wait_alu 0xfffe
	s_mov_b32 s15, s13
	s_wait_alu 0xfffe
	s_cmp_lg_u64 s[14:15], 0
	s_cbranch_scc0 .LBB133_157
; %bb.101:                              ;   in Loop: Header=BB133_26 Depth=1
	s_cvt_f32_u32 s14, s50
	s_sub_nc_u64 s[64:65], 0, s[50:51]
	s_wait_alu 0xfffe
	s_delay_alu instid0(SALU_CYCLE_1) | instskip(SKIP_1) | instid1(SALU_CYCLE_2)
	s_fmamk_f32 s14, s81, 0x0, s14
	s_wait_alu 0xfffe
	v_s_rcp_f32 s14, s14
	s_delay_alu instid0(TRANS32_DEP_1) | instskip(SKIP_1) | instid1(SALU_CYCLE_2)
	s_mul_f32 s14, s14, 0x5f7ffffc
	s_wait_alu 0xfffe
	s_mul_f32 s15, s14, 0x2f800000
	s_wait_alu 0xfffe
	s_delay_alu instid0(SALU_CYCLE_2) | instskip(SKIP_1) | instid1(SALU_CYCLE_2)
	s_trunc_f32 s15, s15
	s_wait_alu 0xfffe
	s_fmamk_f32 s14, s15, 0xcf800000, s14
	s_cvt_u32_f32 s15, s15
	s_wait_alu 0xfffe
	s_delay_alu instid0(SALU_CYCLE_1) | instskip(SKIP_1) | instid1(SALU_CYCLE_2)
	s_cvt_u32_f32 s14, s14
	s_wait_alu 0xfffe
	s_mul_u64 s[66:67], s[64:65], s[14:15]
	s_wait_alu 0xfffe
	s_mul_hi_u32 s69, s14, s67
	s_mul_i32 s68, s14, s67
	s_mul_hi_u32 s52, s14, s66
	s_mul_i32 s70, s15, s66
	s_wait_alu 0xfffe
	s_add_nc_u64 s[68:69], s[52:53], s[68:69]
	s_mul_hi_u32 s63, s15, s66
	s_mul_hi_u32 s71, s15, s67
	s_wait_alu 0xfffe
	s_add_co_u32 s52, s68, s70
	s_add_co_ci_u32 s52, s69, s63
	s_mul_i32 s66, s15, s67
	s_add_co_ci_u32 s67, s71, 0
	s_wait_alu 0xfffe
	s_add_nc_u64 s[66:67], s[52:53], s[66:67]
	s_wait_alu 0xfffe
	s_add_co_u32 s14, s14, s66
	s_cselect_b32 s52, -1, 0
	s_wait_alu 0xfffe
	s_cmp_lg_u32 s52, 0
	s_add_co_ci_u32 s15, s15, s67
	s_wait_alu 0xfffe
	s_mul_u64 s[64:65], s[64:65], s[14:15]
	s_wait_alu 0xfffe
	s_mul_hi_u32 s67, s14, s65
	s_mul_i32 s66, s14, s65
	s_mul_hi_u32 s52, s14, s64
	s_mul_i32 s68, s15, s64
	s_wait_alu 0xfffe
	s_add_nc_u64 s[66:67], s[52:53], s[66:67]
	s_mul_hi_u32 s63, s15, s64
	s_mul_hi_u32 s69, s15, s65
	s_wait_alu 0xfffe
	s_add_co_u32 s52, s66, s68
	s_add_co_ci_u32 s52, s67, s63
	s_mul_i32 s64, s15, s65
	s_add_co_ci_u32 s65, s69, 0
	s_wait_alu 0xfffe
	s_add_nc_u64 s[64:65], s[52:53], s[64:65]
	s_wait_alu 0xfffe
	s_add_co_u32 s14, s14, s64
	s_cselect_b32 s63, -1, 0
	s_wait_alu 0xfffe
	s_mul_hi_u32 s52, s12, s14
	s_cmp_lg_u32 s63, 0
	s_mul_hi_u32 s63, s13, s14
	s_add_co_ci_u32 s64, s15, s65
	s_mul_i32 s65, s13, s14
	s_wait_alu 0xfffe
	s_mul_hi_u32 s15, s12, s64
	s_mul_i32 s14, s12, s64
	s_mul_hi_u32 s66, s13, s64
	s_wait_alu 0xfffe
	s_add_nc_u64 s[14:15], s[52:53], s[14:15]
	s_mul_i32 s64, s13, s64
	s_wait_alu 0xfffe
	s_add_co_u32 s14, s14, s65
	s_add_co_ci_u32 s52, s15, s63
	s_add_co_ci_u32 s65, s66, 0
	s_wait_alu 0xfffe
	s_add_nc_u64 s[14:15], s[52:53], s[64:65]
	s_wait_alu 0xfffe
	s_mul_u64 s[14:15], s[50:51], s[14:15]
	s_wait_alu 0xfffe
	s_sub_co_u32 s14, s12, s14
	s_cselect_b32 s52, -1, 0
	s_wait_alu 0xfffe
	s_cmp_lg_u32 s52, 0
	s_sub_co_ci_u32 s15, s13, s15
	s_sub_co_u32 s52, s14, s50
	s_cselect_b32 s63, -1, 0
	s_wait_alu 0xfffe
	s_cmp_lg_u32 s63, 0
	s_sub_co_ci_u32 s63, s15, 0
	;; [unrolled: 5-line block ×3, first 2 shown]
	s_cmp_ge_u32 s52, s50
	s_cselect_b32 s66, -1, 0
	s_cmp_eq_u32 s63, 0
	s_wait_alu 0xfffe
	s_cselect_b32 s66, s66, -1
	s_wait_alu 0xfffe
	s_cmp_lg_u32 s66, 0
	s_cselect_b32 s63, s65, s63
	s_cselect_b32 s52, s64, s52
	s_cmp_ge_u32 s14, s50
	s_cselect_b32 s64, -1, 0
	s_cmp_eq_u32 s15, 0
	s_wait_alu 0xfffe
	s_cselect_b32 s64, s64, -1
	s_wait_alu 0xfffe
	s_cmp_lg_u32 s64, 0
	s_cselect_b32 s15, s63, s15
	s_cselect_b32 s14, s52, s14
	s_cbranch_execnz .LBB133_103
.LBB133_102:                            ;   in Loop: Header=BB133_26 Depth=1
	v_cvt_f32_u32_e32 v2, s50
	s_sub_co_i32 s15, 0, s50
	s_delay_alu instid0(VALU_DEP_1) | instskip(NEXT) | instid1(TRANS32_DEP_1)
	v_rcp_iflag_f32_e32 v2, v2
	v_mul_f32_e32 v2, 0x4f7ffffe, v2
	s_delay_alu instid0(VALU_DEP_1) | instskip(NEXT) | instid1(VALU_DEP_1)
	v_cvt_u32_f32_e32 v2, v2
	v_readfirstlane_b32 s14, v2
	s_wait_alu 0xfffe
	s_mul_i32 s15, s15, s14
	s_wait_alu 0xfffe
	s_mul_hi_u32 s15, s14, s15
	s_wait_alu 0xfffe
	s_add_co_i32 s14, s14, s15
	s_wait_alu 0xfffe
	s_mul_hi_u32 s14, s12, s14
	s_wait_alu 0xfffe
	s_mul_i32 s14, s14, s50
	s_wait_alu 0xfffe
	s_sub_co_i32 s14, s12, s14
	s_wait_alu 0xfffe
	s_sub_co_i32 s15, s14, s50
	s_cmp_ge_u32 s14, s50
	s_wait_alu 0xfffe
	s_cselect_b32 s14, s15, s14
	s_wait_alu 0xfffe
	s_sub_co_i32 s15, s14, s50
	s_cmp_ge_u32 s14, s50
	s_wait_alu 0xfffe
	s_cselect_b32 s52, s15, s14
	s_wait_alu 0xfffe
	s_mov_b64 s[14:15], s[52:53]
.LBB133_103:                            ;   in Loop: Header=BB133_26 Depth=1
	s_wait_alu 0xfffe
	s_sub_nc_u64 s[12:13], s[12:13], s[14:15]
	s_mov_b32 s15, 0
	s_mov_b32 s14, 0
	s_mov_b32 s52, exec_lo
                                        ; implicit-def: $vgpr35
	s_wait_alu 0xfffe
	v_cmpx_gt_u64_e64 s[12:13], v[0:1]
	s_cbranch_execz .LBB133_113
; %bb.104:                              ;   in Loop: Header=BB133_26 Depth=1
	v_dual_mov_b32 v2, v26 :: v_dual_mov_b32 v9, v1
	v_mov_b32_e32 v8, v0
                                        ; implicit-def: $sgpr63
	s_branch .LBB133_108
.LBB133_105:                            ;   in Loop: Header=BB133_108 Depth=2
	s_wait_alu 0xfffe
	s_or_b32 exec_lo, exec_lo, s64
	s_wait_loadcnt_dscnt 0x0
	s_barrier_signal -1
	s_barrier_wait -1
	global_inv scope:SCOPE_SE
	ds_load_b32 v10, v3 offset:3072
	s_wait_loadcnt_dscnt 0x0
	s_barrier_signal -1
	s_barrier_wait -1
	global_inv scope:SCOPE_SE
	v_cmp_neq_f16_e32 vcc_lo, 0, v10
	s_cbranch_vccnz .LBB133_111
; %bb.106:                              ;   in Loop: Header=BB133_108 Depth=2
	v_add_co_u32 v8, vcc_lo, v8, s50
	s_wait_alu 0xfffd
	v_add_co_ci_u32_e64 v9, null, 0, v9, vcc_lo
	v_add_nc_u32_e32 v2, s80, v2
	s_mov_b32 s64, 0
	s_delay_alu instid0(VALU_DEP_2)
	v_cmp_le_u64_e32 vcc_lo, s[12:13], v[8:9]
	s_or_not1_b32 s65, vcc_lo, exec_lo
.LBB133_107:                            ;   in Loop: Header=BB133_108 Depth=2
	s_wait_alu 0xfffe
	s_and_b32 s65, exec_lo, s65
	s_wait_alu 0xfffe
	s_or_b32 s14, s65, s14
	s_and_not1_b32 s63, s63, exec_lo
	s_and_b32 s64, s64, exec_lo
	s_wait_alu 0xfffe
	s_or_b32 s63, s63, s64
	s_and_not1_b32 exec_lo, exec_lo, s14
	s_cbranch_execz .LBB133_112
.LBB133_108:                            ;   Parent Loop BB133_26 Depth=1
                                        ; =>  This Inner Loop Header: Depth=2
	s_mov_b32 s64, exec_lo
	s_delay_alu instid0(VALU_DEP_1)
	v_cmpx_gt_u64_e64 s[6:7], v[8:9]
	s_cbranch_execz .LBB133_105
; %bb.109:                              ;   in Loop: Header=BB133_108 Depth=2
	ds_load_u16 v10, v2
	s_wait_dscnt 0x0
	v_cmp_lt_i16_e32 vcc_lo, -1, v10
	v_and_b32_e32 v11, 0xffff, v10
	s_wait_alu 0xfffd
	v_cndmask_b32_e32 v21, 0xffff, v33, vcc_lo
	v_cmp_o_f16_e32 vcc_lo, v10, v10
	s_delay_alu instid0(VALU_DEP_2) | instskip(SKIP_1) | instid1(VALU_DEP_1)
	v_xor_b32_e32 v11, v21, v11
	s_wait_alu 0xfffd
	v_cndmask_b32_e32 v11, 0xffff, v11, vcc_lo
	s_delay_alu instid0(VALU_DEP_1) | instskip(NEXT) | instid1(VALU_DEP_1)
	v_and_b32_e32 v11, v11, v34
	v_cmp_eq_u32_e32 vcc_lo, v11, v30
	s_and_b32 exec_lo, exec_lo, vcc_lo
	s_cbranch_execz .LBB133_105
; %bb.110:                              ;   in Loop: Header=BB133_108 Depth=2
	v_perm_b32 v10, v10, s84, 0x5040100
	ds_store_b32 v3, v10 offset:3072
	s_branch .LBB133_105
.LBB133_111:                            ;   in Loop: Header=BB133_108 Depth=2
	s_mov_b32 s65, -1
	s_mov_b32 s64, -1
                                        ; implicit-def: $vgpr8_vgpr9
                                        ; implicit-def: $vgpr2
	s_branch .LBB133_107
.LBB133_112:                            ;   in Loop: Header=BB133_26 Depth=1
	s_or_b32 exec_lo, exec_lo, s14
	v_lshrrev_b32_e32 v35, 16, v10
	s_wait_alu 0xfffe
	s_and_b32 s14, s63, exec_lo
.LBB133_113:                            ;   in Loop: Header=BB133_26 Depth=1
	s_or_b32 exec_lo, exec_lo, s52
.LBB133_114:                            ;   in Loop: Header=BB133_26 Depth=1
	s_wait_alu 0xfffe
	s_and_b32 vcc_lo, exec_lo, s15
	s_wait_alu 0xfffe
	s_cbranch_vccz .LBB133_129
; %bb.115:                              ;   in Loop: Header=BB133_26 Depth=1
	s_mov_b32 s6, s53
	s_mov_b32 s7, s57
	s_wait_alu 0xfffe
	s_cmp_lg_u64 s[6:7], 0
	s_cbranch_scc0 .LBB133_161
; %bb.116:                              ;   in Loop: Header=BB133_26 Depth=1
	s_cvt_f32_u32 s6, s50
	s_sub_nc_u64 s[12:13], 0, s[50:51]
	s_wait_alu 0xfffe
	s_delay_alu instid0(SALU_CYCLE_1) | instskip(SKIP_1) | instid1(SALU_CYCLE_2)
	s_fmamk_f32 s6, s81, 0x0, s6
	s_wait_alu 0xfffe
	v_s_rcp_f32 s6, s6
	s_delay_alu instid0(TRANS32_DEP_1) | instskip(SKIP_1) | instid1(SALU_CYCLE_2)
	s_mul_f32 s6, s6, 0x5f7ffffc
	s_wait_alu 0xfffe
	s_mul_f32 s7, s6, 0x2f800000
	s_wait_alu 0xfffe
	s_delay_alu instid0(SALU_CYCLE_2) | instskip(SKIP_1) | instid1(SALU_CYCLE_2)
	s_trunc_f32 s7, s7
	s_wait_alu 0xfffe
	s_fmamk_f32 s6, s7, 0xcf800000, s6
	s_cvt_u32_f32 s7, s7
	s_wait_alu 0xfffe
	s_delay_alu instid0(SALU_CYCLE_1) | instskip(SKIP_1) | instid1(SALU_CYCLE_2)
	s_cvt_u32_f32 s6, s6
	s_wait_alu 0xfffe
	s_mul_u64 s[62:63], s[12:13], s[6:7]
	s_wait_alu 0xfffe
	s_mul_hi_u32 s65, s6, s63
	s_mul_i32 s64, s6, s63
	s_mul_hi_u32 s52, s6, s62
	s_mul_i32 s61, s7, s62
	s_wait_alu 0xfffe
	s_add_nc_u64 s[64:65], s[52:53], s[64:65]
	s_mul_hi_u32 s15, s7, s62
	s_mul_hi_u32 s66, s7, s63
	s_wait_alu 0xfffe
	s_add_co_u32 s52, s64, s61
	s_add_co_ci_u32 s52, s65, s15
	s_mul_i32 s62, s7, s63
	s_add_co_ci_u32 s63, s66, 0
	s_wait_alu 0xfffe
	s_add_nc_u64 s[62:63], s[52:53], s[62:63]
	s_wait_alu 0xfffe
	s_add_co_u32 s6, s6, s62
	s_cselect_b32 s15, -1, 0
	s_wait_alu 0xfffe
	s_cmp_lg_u32 s15, 0
	s_add_co_ci_u32 s7, s7, s63
	s_wait_alu 0xfffe
	s_mul_u64 s[12:13], s[12:13], s[6:7]
	s_wait_alu 0xfffe
	s_mul_hi_u32 s63, s6, s13
	s_mul_i32 s62, s6, s13
	s_mul_hi_u32 s52, s6, s12
	s_mul_i32 s61, s7, s12
	s_wait_alu 0xfffe
	s_add_nc_u64 s[62:63], s[52:53], s[62:63]
	s_mul_hi_u32 s15, s7, s12
	s_mul_hi_u32 s64, s7, s13
	s_mul_i32 s12, s7, s13
	s_wait_alu 0xfffe
	s_add_co_u32 s13, s62, s61
	s_add_co_ci_u32 s52, s63, s15
	s_add_co_ci_u32 s13, s64, 0
	s_wait_alu 0xfffe
	s_add_nc_u64 s[12:13], s[52:53], s[12:13]
	s_wait_alu 0xfffe
	s_add_co_u32 s6, s6, s12
	s_cselect_b32 s12, -1, 0
	s_wait_alu 0xfffe
	s_mul_hi_u32 s52, s56, s6
	s_cmp_lg_u32 s12, 0
	s_mul_hi_u32 s15, s57, s6
	s_add_co_ci_u32 s12, s7, s13
	s_mul_i32 s13, s57, s6
	s_wait_alu 0xfffe
	s_mul_hi_u32 s7, s56, s12
	s_mul_i32 s6, s56, s12
	s_mul_hi_u32 s61, s57, s12
	s_wait_alu 0xfffe
	s_add_nc_u64 s[6:7], s[52:53], s[6:7]
	s_mul_i32 s12, s57, s12
	s_wait_alu 0xfffe
	s_add_co_u32 s6, s6, s13
	s_add_co_ci_u32 s52, s7, s15
	s_add_co_ci_u32 s13, s61, 0
	s_wait_alu 0xfffe
	s_add_nc_u64 s[6:7], s[52:53], s[12:13]
	s_wait_alu 0xfffe
	s_mul_u64 s[6:7], s[50:51], s[6:7]
	s_wait_alu 0xfffe
	s_sub_co_u32 s6, s56, s6
	s_cselect_b32 s12, -1, 0
	s_wait_alu 0xfffe
	s_cmp_lg_u32 s12, 0
	s_sub_co_ci_u32 s7, s57, s7
	s_sub_co_u32 s12, s6, s50
	s_cselect_b32 s13, -1, 0
	s_wait_alu 0xfffe
	s_cmp_lg_u32 s13, 0
	s_sub_co_ci_u32 s13, s7, 0
	;; [unrolled: 5-line block ×3, first 2 shown]
	s_cmp_ge_u32 s12, s50
	s_cselect_b32 s61, -1, 0
	s_cmp_eq_u32 s13, 0
	s_wait_alu 0xfffe
	s_cselect_b32 s61, s61, -1
	s_wait_alu 0xfffe
	s_cmp_lg_u32 s61, 0
	s_cselect_b32 s13, s52, s13
	s_cselect_b32 s12, s15, s12
	s_cmp_ge_u32 s6, s50
	s_cselect_b32 s15, -1, 0
	s_cmp_eq_u32 s7, 0
	s_wait_alu 0xfffe
	s_cselect_b32 s15, s15, -1
	s_wait_alu 0xfffe
	s_cmp_lg_u32 s15, 0
	s_cselect_b32 s7, s13, s7
	s_cselect_b32 s6, s12, s6
	s_cbranch_execnz .LBB133_118
.LBB133_117:                            ;   in Loop: Header=BB133_26 Depth=1
	v_cvt_f32_u32_e32 v2, s50
	s_sub_co_i32 s7, 0, s50
	s_delay_alu instid0(VALU_DEP_1) | instskip(NEXT) | instid1(TRANS32_DEP_1)
	v_rcp_iflag_f32_e32 v2, v2
	v_mul_f32_e32 v2, 0x4f7ffffe, v2
	s_delay_alu instid0(VALU_DEP_1) | instskip(NEXT) | instid1(VALU_DEP_1)
	v_cvt_u32_f32_e32 v2, v2
	v_readfirstlane_b32 s6, v2
	s_wait_alu 0xfffe
	s_mul_i32 s7, s7, s6
	s_wait_alu 0xfffe
	s_mul_hi_u32 s7, s6, s7
	s_wait_alu 0xfffe
	s_add_co_i32 s6, s6, s7
	s_wait_alu 0xfffe
	s_mul_hi_u32 s6, s56, s6
	s_wait_alu 0xfffe
	s_mul_i32 s6, s6, s50
	s_wait_alu 0xfffe
	s_sub_co_i32 s6, s56, s6
	s_wait_alu 0xfffe
	s_sub_co_i32 s7, s6, s50
	s_cmp_ge_u32 s6, s50
	s_wait_alu 0xfffe
	s_cselect_b32 s6, s7, s6
	s_wait_alu 0xfffe
	s_sub_co_i32 s7, s6, s50
	s_cmp_ge_u32 s6, s50
	s_wait_alu 0xfffe
	s_cselect_b32 s52, s7, s6
	s_wait_alu 0xfffe
	s_mov_b64 s[6:7], s[52:53]
.LBB133_118:                            ;   in Loop: Header=BB133_26 Depth=1
	s_wait_alu 0xfffe
	s_sub_nc_u64 s[6:7], s[56:57], s[6:7]
	s_mov_b32 s12, exec_lo
                                        ; implicit-def: $vgpr35
	s_wait_alu 0xfffe
	v_cmpx_gt_u64_e64 s[6:7], v[0:1]
	s_cbranch_execz .LBB133_128
; %bb.119:                              ;   in Loop: Header=BB133_26 Depth=1
	v_dual_mov_b32 v9, v1 :: v_dual_mov_b32 v8, v0
	s_mov_b32 s13, 0
                                        ; implicit-def: $sgpr15
	s_branch .LBB133_123
.LBB133_120:                            ;   in Loop: Header=BB133_123 Depth=2
	s_wait_alu 0xfffe
	s_or_b32 exec_lo, exec_lo, s52
	s_wait_loadcnt_dscnt 0x0
	s_barrier_signal -1
	s_barrier_wait -1
	global_inv scope:SCOPE_SE
	ds_load_b32 v2, v3 offset:3072
	s_wait_loadcnt_dscnt 0x0
	s_barrier_signal -1
	s_barrier_wait -1
	global_inv scope:SCOPE_SE
	v_cmp_neq_f16_e32 vcc_lo, 0, v2
	s_cbranch_vccnz .LBB133_126
; %bb.121:                              ;   in Loop: Header=BB133_123 Depth=2
	v_add_co_u32 v8, vcc_lo, v8, s50
	s_wait_alu 0xfffd
	v_add_co_ci_u32_e64 v9, null, 0, v9, vcc_lo
	s_mov_b32 s52, 0
	v_cmp_le_u64_e32 vcc_lo, s[6:7], v[8:9]
	s_or_not1_b32 s61, vcc_lo, exec_lo
.LBB133_122:                            ;   in Loop: Header=BB133_123 Depth=2
	s_wait_alu 0xfffe
	s_and_b32 s61, exec_lo, s61
	s_wait_alu 0xfffe
	s_or_b32 s13, s61, s13
	s_and_not1_b32 s15, s15, exec_lo
	s_and_b32 s52, s52, exec_lo
	s_wait_alu 0xfffe
	s_or_b32 s15, s15, s52
	s_and_not1_b32 exec_lo, exec_lo, s13
	s_cbranch_execz .LBB133_127
.LBB133_123:                            ;   Parent Loop BB133_26 Depth=1
                                        ; =>  This Inner Loop Header: Depth=2
	s_mov_b32 s52, exec_lo
	s_delay_alu instid0(VALU_DEP_1)
	v_cmpx_gt_u64_e64 s[20:21], v[8:9]
	s_cbranch_execz .LBB133_120
; %bb.124:                              ;   in Loop: Header=BB133_123 Depth=2
	v_mul_lo_u32 v2, v9, s36
	v_mul_lo_u32 v21, v8, s37
	v_mad_co_u64_u32 v[10:11], null, v8, s36, 0
	s_delay_alu instid0(VALU_DEP_1) | instskip(NEXT) | instid1(VALU_DEP_1)
	v_add3_u32 v11, v11, v21, v2
	v_lshlrev_b64_e32 v[10:11], 1, v[10:11]
	s_delay_alu instid0(VALU_DEP_1) | instskip(SKIP_1) | instid1(VALU_DEP_2)
	v_add_co_u32 v10, vcc_lo, s44, v10
	s_wait_alu 0xfffd
	v_add_co_ci_u32_e64 v11, null, s45, v11, vcc_lo
	global_load_u16 v2, v[10:11], off
	s_wait_loadcnt 0x0
	v_cmp_lt_i16_e32 vcc_lo, -1, v2
	s_wait_alu 0xfffd
	v_dual_cndmask_b32 v11, 0xffff, v33 :: v_dual_and_b32 v10, 0xffff, v2
	v_cmp_o_f16_e32 vcc_lo, v2, v2
	s_delay_alu instid0(VALU_DEP_2) | instskip(SKIP_1) | instid1(VALU_DEP_1)
	v_xor_b32_e32 v10, v11, v10
	s_wait_alu 0xfffd
	v_cndmask_b32_e32 v10, 0xffff, v10, vcc_lo
	s_delay_alu instid0(VALU_DEP_1) | instskip(NEXT) | instid1(VALU_DEP_1)
	v_and_b32_e32 v10, v10, v34
	v_cmp_eq_u32_e32 vcc_lo, v10, v30
	s_and_b32 exec_lo, exec_lo, vcc_lo
	s_cbranch_execz .LBB133_120
; %bb.125:                              ;   in Loop: Header=BB133_123 Depth=2
	v_perm_b32 v2, v2, s84, 0x5040100
	ds_store_b32 v3, v2 offset:3072
	s_branch .LBB133_120
.LBB133_126:                            ;   in Loop: Header=BB133_123 Depth=2
	s_mov_b32 s61, -1
	s_mov_b32 s52, -1
                                        ; implicit-def: $vgpr8_vgpr9
	s_branch .LBB133_122
.LBB133_127:                            ;   in Loop: Header=BB133_26 Depth=1
	s_or_b32 exec_lo, exec_lo, s13
	v_lshrrev_b32_e32 v35, 16, v2
	s_and_not1_b32 s6, s14, exec_lo
	s_wait_alu 0xfffe
	s_and_b32 s7, s15, exec_lo
	s_wait_alu 0xfffe
	s_or_b32 s14, s6, s7
.LBB133_128:                            ;   in Loop: Header=BB133_26 Depth=1
	s_or_b32 exec_lo, exec_lo, s12
	s_mov_b32 s61, 0
	s_mov_b32 s62, -1
.LBB133_129:                            ;   in Loop: Header=BB133_26 Depth=1
	s_wait_alu 0xfffe
	s_or_not1_b32 s6, s14, exec_lo
.LBB133_130:                            ;   in Loop: Header=BB133_26 Depth=1
	s_wait_alu 0xfffe
	s_or_b32 exec_lo, exec_lo, s17
	s_delay_alu instid0(SALU_CYCLE_1)
	s_and_not1_b32 s7, s90, exec_lo
	s_and_b32 s12, s62, exec_lo
	s_and_not1_b32 s13, s88, exec_lo
	s_and_b32 s14, s61, exec_lo
	s_and_not1_b32 s87, s87, exec_lo
	s_wait_alu 0xfffe
	s_or_b32 s90, s7, s12
	s_or_b32 s88, s13, s14
                                        ; implicit-def: $vgpr8_vgpr9
	s_and_saveexec_b32 s17, s6
	s_cbranch_execz .LBB133_25
; %bb.131:                              ;   in Loop: Header=BB133_26 Depth=1
	v_mov_b32_e32 v8, 1
	v_dual_mov_b32 v9, 0 :: v_dual_mov_b32 v2, 1
	s_xor_b32 s12, s19, -1
	s_mov_b32 s7, 0
	s_wait_alu 0xfffe
	s_and_saveexec_b32 s6, s12
	s_cbranch_execz .LBB133_140
; %bb.132:                              ;   in Loop: Header=BB133_26 Depth=1
	s_mov_b32 s7, exec_lo
	v_cmpx_le_u64_e64 v[19:20], v[4:5]
	s_wait_alu 0xfffe
	s_xor_b32 s7, exec_lo, s7
	s_cbranch_execz .LBB133_137
; %bb.133:                              ;   in Loop: Header=BB133_26 Depth=1
	ds_load_b64 v[8:9], v3 offset:5120
	v_and_b32_e32 v30, s60, v30
	v_or_b32_e32 v34, s16, v34
	s_wait_dscnt 0x0
	v_cmp_ne_u64_e32 vcc_lo, 0, v[8:9]
	s_cbranch_vccnz .LBB133_137
; %bb.134:                              ;   in Loop: Header=BB133_26 Depth=1
	s_and_saveexec_b32 s12, s3
; %bb.135:                              ;   in Loop: Header=BB133_26 Depth=1
	ds_store_b64 v3, v[4:5] offset:5128
; %bb.136:                              ;   in Loop: Header=BB133_26 Depth=1
	s_wait_alu 0xfffe
	s_or_b32 exec_lo, exec_lo, s12
	s_wait_loadcnt_dscnt 0x0
	s_barrier_signal -1
	s_barrier_wait -1
	global_inv scope:SCOPE_SE
.LBB133_137:                            ;   in Loop: Header=BB133_26 Depth=1
	s_wait_alu 0xfffe
	s_or_saveexec_b32 s7, s7
	v_mov_b32_e32 v2, 8
	s_mov_b32 s12, 0
	s_wait_alu 0xfffe
	s_xor_b32 exec_lo, exec_lo, s7
; %bb.138:                              ;   in Loop: Header=BB133_26 Depth=1
	v_sub_co_u32 v19, vcc_lo, v19, v4
	s_wait_alu 0xfffd
	v_sub_co_ci_u32_e64 v20, null, v20, v5, vcc_lo
	v_mov_b32_e32 v2, 0
	s_mov_b32 s12, exec_lo
; %bb.139:                              ;   in Loop: Header=BB133_26 Depth=1
	s_or_b32 exec_lo, exec_lo, s7
	s_delay_alu instid0(VALU_DEP_2)
	v_dual_mov_b32 v8, v19 :: v_dual_mov_b32 v9, v20
	s_wait_alu 0xfffe
	s_and_b32 s7, s12, exec_lo
.LBB133_140:                            ;   in Loop: Header=BB133_26 Depth=1
	s_wait_alu 0xfffe
	s_or_b32 exec_lo, exec_lo, s6
	s_mov_b32 s18, -1
	s_mov_b32 s6, -1
                                        ; implicit-def: $sgpr61
                                        ; implicit-def: $sgpr62
	s_and_saveexec_b32 s12, s7
	s_wait_alu 0xfffe
	s_xor_b32 s19, exec_lo, s12
	s_cbranch_execz .LBB133_291
; %bb.141:                              ;   in Loop: Header=BB133_26 Depth=1
	v_cmp_eq_u64_e32 vcc_lo, 1, v[6:7]
	v_cmp_eq_u64_e64 s6, 1, v[8:9]
                                        ; implicit-def: $sgpr62
                                        ; implicit-def: $sgpr61
	s_and_b32 s64, vcc_lo, s6
	s_mov_b32 s6, -1
	s_wait_alu 0xfffe
	s_and_saveexec_b32 s63, s64
	s_cbranch_execz .LBB133_180
; %bb.142:                              ;   in Loop: Header=BB133_26 Depth=1
	ds_load_b64 v[4:5], v3 offset:5120
	s_wait_loadcnt_dscnt 0x0
	s_barrier_signal -1
	s_barrier_wait -1
	global_inv scope:SCOPE_SE
	v_readfirstlane_b32 s6, v4
	v_readfirstlane_b32 s7, v5
	s_and_saveexec_b32 s12, s0
; %bb.143:                              ;   in Loop: Header=BB133_26 Depth=1
	ds_store_b16 v27, v3
; %bb.144:                              ;   in Loop: Header=BB133_26 Depth=1
	s_wait_alu 0xfffe
	s_or_b32 exec_lo, exec_lo, s12
	s_lshl_b32 s12, 1, s82
	v_or_b32_e32 v34, s16, v34
	s_wait_alu 0xfffe
	v_and_or_b32 v30, v30, s60, s12
	s_mov_b32 s61, -1
	s_mov_b32 s62, 0
	s_cmp_eq_u64 s[6:7], 0
	s_mov_b32 s14, 0
	s_mov_b32 s15, -1
	s_wait_loadcnt_dscnt 0x0
	s_barrier_signal -1
	s_barrier_wait -1
	global_inv scope:SCOPE_SE
                                        ; implicit-def: $vgpr35
	s_cbranch_scc1 .LBB133_164
; %bb.145:                              ;   in Loop: Header=BB133_26 Depth=1
	s_add_nc_u64 s[12:13], s[6:7], s[54:55]
	s_mov_b32 s14, s53
	s_wait_alu 0xfffe
	s_mov_b32 s15, s13
	s_wait_alu 0xfffe
	s_cmp_lg_u64 s[14:15], 0
	s_cbranch_scc0 .LBB133_208
; %bb.146:                              ;   in Loop: Header=BB133_26 Depth=1
	s_cvt_f32_u32 s14, s50
	s_sub_nc_u64 s[66:67], 0, s[50:51]
	s_wait_alu 0xfffe
	s_delay_alu instid0(SALU_CYCLE_1) | instskip(SKIP_1) | instid1(SALU_CYCLE_2)
	s_fmamk_f32 s14, s81, 0x0, s14
	s_wait_alu 0xfffe
	v_s_rcp_f32 s14, s14
	s_delay_alu instid0(TRANS32_DEP_1) | instskip(SKIP_1) | instid1(SALU_CYCLE_2)
	s_mul_f32 s14, s14, 0x5f7ffffc
	s_wait_alu 0xfffe
	s_mul_f32 s15, s14, 0x2f800000
	s_wait_alu 0xfffe
	s_delay_alu instid0(SALU_CYCLE_2) | instskip(SKIP_1) | instid1(SALU_CYCLE_2)
	s_trunc_f32 s15, s15
	s_wait_alu 0xfffe
	s_fmamk_f32 s14, s15, 0xcf800000, s14
	s_cvt_u32_f32 s15, s15
	s_wait_alu 0xfffe
	s_delay_alu instid0(SALU_CYCLE_1) | instskip(SKIP_1) | instid1(SALU_CYCLE_2)
	s_cvt_u32_f32 s14, s14
	s_wait_alu 0xfffe
	s_mul_u64 s[68:69], s[66:67], s[14:15]
	s_wait_alu 0xfffe
	s_mul_hi_u32 s71, s14, s69
	s_mul_i32 s70, s14, s69
	s_mul_hi_u32 s52, s14, s68
	s_mul_i32 s92, s15, s68
	s_wait_alu 0xfffe
	s_add_nc_u64 s[70:71], s[52:53], s[70:71]
	s_mul_hi_u32 s65, s15, s68
	s_mul_hi_u32 s93, s15, s69
	s_wait_alu 0xfffe
	s_add_co_u32 s52, s70, s92
	s_add_co_ci_u32 s52, s71, s65
	s_mul_i32 s68, s15, s69
	s_add_co_ci_u32 s69, s93, 0
	s_wait_alu 0xfffe
	s_add_nc_u64 s[68:69], s[52:53], s[68:69]
	s_wait_alu 0xfffe
	s_add_co_u32 s14, s14, s68
	s_cselect_b32 s52, -1, 0
	s_wait_alu 0xfffe
	s_cmp_lg_u32 s52, 0
	s_add_co_ci_u32 s15, s15, s69
	s_wait_alu 0xfffe
	s_mul_u64 s[66:67], s[66:67], s[14:15]
	s_wait_alu 0xfffe
	s_mul_hi_u32 s69, s14, s67
	s_mul_i32 s68, s14, s67
	s_mul_hi_u32 s52, s14, s66
	s_mul_i32 s70, s15, s66
	s_wait_alu 0xfffe
	s_add_nc_u64 s[68:69], s[52:53], s[68:69]
	s_mul_hi_u32 s65, s15, s66
	s_mul_hi_u32 s71, s15, s67
	s_wait_alu 0xfffe
	s_add_co_u32 s52, s68, s70
	s_add_co_ci_u32 s52, s69, s65
	s_mul_i32 s66, s15, s67
	s_add_co_ci_u32 s67, s71, 0
	s_wait_alu 0xfffe
	s_add_nc_u64 s[66:67], s[52:53], s[66:67]
	s_wait_alu 0xfffe
	s_add_co_u32 s14, s14, s66
	s_cselect_b32 s65, -1, 0
	s_wait_alu 0xfffe
	s_mul_hi_u32 s52, s12, s14
	s_cmp_lg_u32 s65, 0
	s_mul_hi_u32 s65, s13, s14
	s_add_co_ci_u32 s66, s15, s67
	s_mul_i32 s67, s13, s14
	s_wait_alu 0xfffe
	s_mul_hi_u32 s15, s12, s66
	s_mul_i32 s14, s12, s66
	s_mul_hi_u32 s68, s13, s66
	s_wait_alu 0xfffe
	s_add_nc_u64 s[14:15], s[52:53], s[14:15]
	s_mul_i32 s66, s13, s66
	s_wait_alu 0xfffe
	s_add_co_u32 s14, s14, s67
	s_add_co_ci_u32 s52, s15, s65
	s_add_co_ci_u32 s67, s68, 0
	s_wait_alu 0xfffe
	s_add_nc_u64 s[14:15], s[52:53], s[66:67]
	s_wait_alu 0xfffe
	s_mul_u64 s[14:15], s[50:51], s[14:15]
	s_wait_alu 0xfffe
	s_sub_co_u32 s14, s12, s14
	s_cselect_b32 s52, -1, 0
	s_wait_alu 0xfffe
	s_cmp_lg_u32 s52, 0
	s_sub_co_ci_u32 s15, s13, s15
	s_sub_co_u32 s52, s14, s50
	s_cselect_b32 s65, -1, 0
	s_wait_alu 0xfffe
	s_cmp_lg_u32 s65, 0
	s_sub_co_ci_u32 s65, s15, 0
	;; [unrolled: 5-line block ×3, first 2 shown]
	s_cmp_ge_u32 s52, s50
	s_cselect_b32 s68, -1, 0
	s_cmp_eq_u32 s65, 0
	s_wait_alu 0xfffe
	s_cselect_b32 s68, s68, -1
	s_wait_alu 0xfffe
	s_cmp_lg_u32 s68, 0
	s_cselect_b32 s65, s67, s65
	s_cselect_b32 s52, s66, s52
	s_cmp_ge_u32 s14, s50
	s_cselect_b32 s66, -1, 0
	s_cmp_eq_u32 s15, 0
	s_wait_alu 0xfffe
	s_cselect_b32 s66, s66, -1
	s_wait_alu 0xfffe
	s_cmp_lg_u32 s66, 0
	s_cselect_b32 s15, s65, s15
	s_cselect_b32 s14, s52, s14
	s_cbranch_execnz .LBB133_148
.LBB133_147:                            ;   in Loop: Header=BB133_26 Depth=1
	v_cvt_f32_u32_e32 v4, s50
	s_sub_co_i32 s15, 0, s50
	s_delay_alu instid0(VALU_DEP_1) | instskip(NEXT) | instid1(TRANS32_DEP_1)
	v_rcp_iflag_f32_e32 v4, v4
	v_mul_f32_e32 v4, 0x4f7ffffe, v4
	s_delay_alu instid0(VALU_DEP_1) | instskip(NEXT) | instid1(VALU_DEP_1)
	v_cvt_u32_f32_e32 v4, v4
	v_readfirstlane_b32 s14, v4
	s_wait_alu 0xfffe
	s_mul_i32 s15, s15, s14
	s_wait_alu 0xfffe
	s_mul_hi_u32 s15, s14, s15
	s_wait_alu 0xfffe
	s_add_co_i32 s14, s14, s15
	s_wait_alu 0xfffe
	s_mul_hi_u32 s14, s12, s14
	s_wait_alu 0xfffe
	s_mul_i32 s14, s14, s50
	s_wait_alu 0xfffe
	s_sub_co_i32 s14, s12, s14
	s_wait_alu 0xfffe
	s_sub_co_i32 s15, s14, s50
	s_cmp_ge_u32 s14, s50
	s_wait_alu 0xfffe
	s_cselect_b32 s14, s15, s14
	s_wait_alu 0xfffe
	s_sub_co_i32 s15, s14, s50
	s_cmp_ge_u32 s14, s50
	s_wait_alu 0xfffe
	s_cselect_b32 s52, s15, s14
	s_wait_alu 0xfffe
	s_mov_b64 s[14:15], s[52:53]
.LBB133_148:                            ;   in Loop: Header=BB133_26 Depth=1
	s_wait_alu 0xfffe
	s_sub_nc_u64 s[12:13], s[12:13], s[14:15]
	s_mov_b32 s15, 0
	s_mov_b32 s14, 0
	s_mov_b32 s52, exec_lo
                                        ; implicit-def: $vgpr35
	s_wait_alu 0xfffe
	v_cmpx_gt_u64_e64 s[12:13], v[0:1]
	s_cbranch_execz .LBB133_163
; %bb.149:                              ;   in Loop: Header=BB133_26 Depth=1
	v_dual_mov_b32 v10, v26 :: v_dual_mov_b32 v5, v1
	v_mov_b32_e32 v4, v0
                                        ; implicit-def: $sgpr65
	s_branch .LBB133_153
.LBB133_150:                            ;   in Loop: Header=BB133_153 Depth=2
	s_wait_alu 0xfffe
	s_or_b32 exec_lo, exec_lo, s66
	s_wait_loadcnt_dscnt 0x0
	s_barrier_signal -1
	s_barrier_wait -1
	global_inv scope:SCOPE_SE
	ds_load_b32 v11, v3 offset:3072
	s_wait_loadcnt_dscnt 0x0
	s_barrier_signal -1
	s_barrier_wait -1
	global_inv scope:SCOPE_SE
	v_cmp_neq_f16_e32 vcc_lo, 0, v11
	s_cbranch_vccnz .LBB133_156
; %bb.151:                              ;   in Loop: Header=BB133_153 Depth=2
	v_add_co_u32 v4, vcc_lo, v4, s50
	s_wait_alu 0xfffd
	v_add_co_ci_u32_e64 v5, null, 0, v5, vcc_lo
	v_add_nc_u32_e32 v10, s80, v10
	s_mov_b32 s66, 0
	s_delay_alu instid0(VALU_DEP_2)
	v_cmp_le_u64_e32 vcc_lo, s[12:13], v[4:5]
	s_or_not1_b32 s67, vcc_lo, exec_lo
.LBB133_152:                            ;   in Loop: Header=BB133_153 Depth=2
	s_wait_alu 0xfffe
	s_and_b32 s67, exec_lo, s67
	s_wait_alu 0xfffe
	s_or_b32 s14, s67, s14
	s_and_not1_b32 s65, s65, exec_lo
	s_and_b32 s66, s66, exec_lo
	s_wait_alu 0xfffe
	s_or_b32 s65, s65, s66
	s_and_not1_b32 exec_lo, exec_lo, s14
	s_cbranch_execz .LBB133_162
.LBB133_153:                            ;   Parent Loop BB133_26 Depth=1
                                        ; =>  This Inner Loop Header: Depth=2
	s_mov_b32 s66, exec_lo
	s_delay_alu instid0(VALU_DEP_1)
	v_cmpx_gt_u64_e64 s[6:7], v[4:5]
	s_cbranch_execz .LBB133_150
; %bb.154:                              ;   in Loop: Header=BB133_153 Depth=2
	ds_load_u16 v11, v10
	s_wait_dscnt 0x0
	v_cmp_lt_i16_e32 vcc_lo, -1, v11
	s_wait_alu 0xfffd
	v_dual_cndmask_b32 v20, 0xffff, v33 :: v_dual_and_b32 v19, 0xffff, v11
	v_cmp_o_f16_e32 vcc_lo, v11, v11
	s_delay_alu instid0(VALU_DEP_2) | instskip(SKIP_1) | instid1(VALU_DEP_1)
	v_xor_b32_e32 v19, v20, v19
	s_wait_alu 0xfffd
	v_cndmask_b32_e32 v19, 0xffff, v19, vcc_lo
	s_delay_alu instid0(VALU_DEP_1) | instskip(NEXT) | instid1(VALU_DEP_1)
	v_and_b32_e32 v19, v19, v34
	v_cmp_eq_u32_e32 vcc_lo, v19, v30
	s_and_b32 exec_lo, exec_lo, vcc_lo
	s_cbranch_execz .LBB133_150
; %bb.155:                              ;   in Loop: Header=BB133_153 Depth=2
	v_perm_b32 v11, v11, s84, 0x5040100
	ds_store_b32 v3, v11 offset:3072
	s_branch .LBB133_150
.LBB133_156:                            ;   in Loop: Header=BB133_153 Depth=2
	s_mov_b32 s67, -1
	s_mov_b32 s66, -1
                                        ; implicit-def: $vgpr4_vgpr5
                                        ; implicit-def: $vgpr10
	s_branch .LBB133_152
.LBB133_157:                            ;   in Loop: Header=BB133_26 Depth=1
                                        ; implicit-def: $sgpr14_sgpr15
	s_branch .LBB133_102
.LBB133_158:                            ;   in Loop: Header=BB133_26 Depth=1
	s_or_b32 exec_lo, exec_lo, s9
	s_wait_dscnt 0x0
	s_barrier_signal -1
	s_barrier_wait -1
	global_inv scope:SCOPE_SE
	s_and_saveexec_b32 s6, s3
	s_cbranch_execz .LBB133_160
; %bb.159:                              ;   in Loop: Header=BB133_26 Depth=1
	ds_load_b32 v4, v3 offset:5144
	s_wait_dscnt 0x0
	v_ashrrev_i32_e32 v5, 31, v4
	ds_store_b64 v3, v[4:5] offset:5120
.LBB133_160:                            ;   in Loop: Header=BB133_26 Depth=1
	s_wait_alu 0xfffe
	s_or_b32 exec_lo, exec_lo, s6
	s_wait_loadcnt_dscnt 0x0
	s_barrier_signal -1
	s_mov_b32 s6, -1
	s_barrier_wait -1
	s_and_b32 vcc_lo, exec_lo, s8
	s_wait_alu 0xfffe
	s_cbranch_vccnz .LBB133_41
	s_branch .LBB133_56
.LBB133_161:                            ;   in Loop: Header=BB133_26 Depth=1
                                        ; implicit-def: $sgpr6_sgpr7
	s_branch .LBB133_117
.LBB133_162:                            ;   in Loop: Header=BB133_26 Depth=1
	s_or_b32 exec_lo, exec_lo, s14
	v_lshrrev_b32_e32 v35, 16, v11
	s_wait_alu 0xfffe
	s_and_b32 s14, s65, exec_lo
.LBB133_163:                            ;   in Loop: Header=BB133_26 Depth=1
	s_or_b32 exec_lo, exec_lo, s52
.LBB133_164:                            ;   in Loop: Header=BB133_26 Depth=1
	s_wait_alu 0xfffe
	s_and_b32 vcc_lo, exec_lo, s15
	s_wait_alu 0xfffe
	s_cbranch_vccz .LBB133_179
; %bb.165:                              ;   in Loop: Header=BB133_26 Depth=1
	s_mov_b32 s6, s53
	s_mov_b32 s7, s57
	s_wait_alu 0xfffe
	s_cmp_lg_u64 s[6:7], 0
	s_cbranch_scc0 .LBB133_209
; %bb.166:                              ;   in Loop: Header=BB133_26 Depth=1
	s_cvt_f32_u32 s6, s50
	s_sub_nc_u64 s[12:13], 0, s[50:51]
	s_wait_alu 0xfffe
	s_delay_alu instid0(SALU_CYCLE_1) | instskip(SKIP_1) | instid1(SALU_CYCLE_2)
	s_fmamk_f32 s6, s81, 0x0, s6
	s_wait_alu 0xfffe
	v_s_rcp_f32 s6, s6
	s_delay_alu instid0(TRANS32_DEP_1) | instskip(SKIP_1) | instid1(SALU_CYCLE_2)
	s_mul_f32 s6, s6, 0x5f7ffffc
	s_wait_alu 0xfffe
	s_mul_f32 s7, s6, 0x2f800000
	s_wait_alu 0xfffe
	s_delay_alu instid0(SALU_CYCLE_2) | instskip(SKIP_1) | instid1(SALU_CYCLE_2)
	s_trunc_f32 s7, s7
	s_wait_alu 0xfffe
	s_fmamk_f32 s6, s7, 0xcf800000, s6
	s_cvt_u32_f32 s7, s7
	s_wait_alu 0xfffe
	s_delay_alu instid0(SALU_CYCLE_1) | instskip(SKIP_1) | instid1(SALU_CYCLE_2)
	s_cvt_u32_f32 s6, s6
	s_wait_alu 0xfffe
	s_mul_u64 s[66:67], s[12:13], s[6:7]
	s_wait_alu 0xfffe
	s_mul_hi_u32 s69, s6, s67
	s_mul_i32 s68, s6, s67
	s_mul_hi_u32 s52, s6, s66
	s_mul_i32 s61, s7, s66
	s_wait_alu 0xfffe
	s_add_nc_u64 s[68:69], s[52:53], s[68:69]
	s_mul_hi_u32 s15, s7, s66
	s_mul_hi_u32 s62, s7, s67
	s_wait_alu 0xfffe
	s_add_co_u32 s52, s68, s61
	s_add_co_ci_u32 s52, s69, s15
	s_mul_i32 s66, s7, s67
	s_add_co_ci_u32 s67, s62, 0
	s_wait_alu 0xfffe
	s_add_nc_u64 s[66:67], s[52:53], s[66:67]
	s_wait_alu 0xfffe
	s_add_co_u32 s6, s6, s66
	s_cselect_b32 s15, -1, 0
	s_wait_alu 0xfffe
	s_cmp_lg_u32 s15, 0
	s_add_co_ci_u32 s7, s7, s67
	s_wait_alu 0xfffe
	s_mul_u64 s[12:13], s[12:13], s[6:7]
	s_wait_alu 0xfffe
	s_mul_hi_u32 s67, s6, s13
	s_mul_i32 s66, s6, s13
	s_mul_hi_u32 s52, s6, s12
	s_mul_i32 s61, s7, s12
	s_wait_alu 0xfffe
	s_add_nc_u64 s[66:67], s[52:53], s[66:67]
	s_mul_hi_u32 s15, s7, s12
	s_mul_hi_u32 s62, s7, s13
	s_mul_i32 s12, s7, s13
	s_wait_alu 0xfffe
	s_add_co_u32 s13, s66, s61
	s_add_co_ci_u32 s52, s67, s15
	s_add_co_ci_u32 s13, s62, 0
	s_wait_alu 0xfffe
	s_add_nc_u64 s[12:13], s[52:53], s[12:13]
	s_wait_alu 0xfffe
	s_add_co_u32 s6, s6, s12
	s_cselect_b32 s12, -1, 0
	s_wait_alu 0xfffe
	s_mul_hi_u32 s52, s56, s6
	s_cmp_lg_u32 s12, 0
	s_mul_hi_u32 s15, s57, s6
	s_add_co_ci_u32 s12, s7, s13
	s_mul_i32 s13, s57, s6
	s_wait_alu 0xfffe
	s_mul_hi_u32 s7, s56, s12
	s_mul_i32 s6, s56, s12
	s_mul_hi_u32 s61, s57, s12
	s_wait_alu 0xfffe
	s_add_nc_u64 s[6:7], s[52:53], s[6:7]
	s_mul_i32 s12, s57, s12
	s_wait_alu 0xfffe
	s_add_co_u32 s6, s6, s13
	s_add_co_ci_u32 s52, s7, s15
	s_add_co_ci_u32 s13, s61, 0
	s_wait_alu 0xfffe
	s_add_nc_u64 s[6:7], s[52:53], s[12:13]
	s_wait_alu 0xfffe
	s_mul_u64 s[6:7], s[50:51], s[6:7]
	s_wait_alu 0xfffe
	s_sub_co_u32 s6, s56, s6
	s_cselect_b32 s12, -1, 0
	s_wait_alu 0xfffe
	s_cmp_lg_u32 s12, 0
	s_sub_co_ci_u32 s7, s57, s7
	s_sub_co_u32 s12, s6, s50
	s_cselect_b32 s13, -1, 0
	s_wait_alu 0xfffe
	s_cmp_lg_u32 s13, 0
	s_sub_co_ci_u32 s13, s7, 0
	;; [unrolled: 5-line block ×3, first 2 shown]
	s_cmp_ge_u32 s12, s50
	s_cselect_b32 s61, -1, 0
	s_cmp_eq_u32 s13, 0
	s_wait_alu 0xfffe
	s_cselect_b32 s61, s61, -1
	s_wait_alu 0xfffe
	s_cmp_lg_u32 s61, 0
	s_cselect_b32 s13, s52, s13
	s_cselect_b32 s12, s15, s12
	s_cmp_ge_u32 s6, s50
	s_cselect_b32 s15, -1, 0
	s_cmp_eq_u32 s7, 0
	s_wait_alu 0xfffe
	s_cselect_b32 s15, s15, -1
	s_wait_alu 0xfffe
	s_cmp_lg_u32 s15, 0
	s_cselect_b32 s7, s13, s7
	s_cselect_b32 s6, s12, s6
	s_cbranch_execnz .LBB133_168
.LBB133_167:                            ;   in Loop: Header=BB133_26 Depth=1
	v_cvt_f32_u32_e32 v4, s50
	s_sub_co_i32 s7, 0, s50
	s_delay_alu instid0(VALU_DEP_1) | instskip(NEXT) | instid1(TRANS32_DEP_1)
	v_rcp_iflag_f32_e32 v4, v4
	v_mul_f32_e32 v4, 0x4f7ffffe, v4
	s_delay_alu instid0(VALU_DEP_1) | instskip(NEXT) | instid1(VALU_DEP_1)
	v_cvt_u32_f32_e32 v4, v4
	v_readfirstlane_b32 s6, v4
	s_wait_alu 0xfffe
	s_mul_i32 s7, s7, s6
	s_wait_alu 0xfffe
	s_mul_hi_u32 s7, s6, s7
	s_wait_alu 0xfffe
	s_add_co_i32 s6, s6, s7
	s_wait_alu 0xfffe
	s_mul_hi_u32 s6, s56, s6
	s_wait_alu 0xfffe
	s_mul_i32 s6, s6, s50
	s_wait_alu 0xfffe
	s_sub_co_i32 s6, s56, s6
	s_wait_alu 0xfffe
	s_sub_co_i32 s7, s6, s50
	s_cmp_ge_u32 s6, s50
	s_wait_alu 0xfffe
	s_cselect_b32 s6, s7, s6
	s_wait_alu 0xfffe
	s_sub_co_i32 s7, s6, s50
	s_cmp_ge_u32 s6, s50
	s_wait_alu 0xfffe
	s_cselect_b32 s52, s7, s6
	s_wait_alu 0xfffe
	s_mov_b64 s[6:7], s[52:53]
.LBB133_168:                            ;   in Loop: Header=BB133_26 Depth=1
	s_wait_alu 0xfffe
	s_sub_nc_u64 s[6:7], s[56:57], s[6:7]
	s_mov_b32 s12, exec_lo
                                        ; implicit-def: $vgpr35
	s_wait_alu 0xfffe
	v_cmpx_gt_u64_e64 s[6:7], v[0:1]
	s_cbranch_execz .LBB133_178
; %bb.169:                              ;   in Loop: Header=BB133_26 Depth=1
	v_dual_mov_b32 v5, v1 :: v_dual_mov_b32 v4, v0
	s_mov_b32 s13, 0
                                        ; implicit-def: $sgpr15
	s_branch .LBB133_173
.LBB133_170:                            ;   in Loop: Header=BB133_173 Depth=2
	s_wait_alu 0xfffe
	s_or_b32 exec_lo, exec_lo, s52
	s_wait_loadcnt_dscnt 0x0
	s_barrier_signal -1
	s_barrier_wait -1
	global_inv scope:SCOPE_SE
	ds_load_b32 v10, v3 offset:3072
	s_wait_loadcnt_dscnt 0x0
	s_barrier_signal -1
	s_barrier_wait -1
	global_inv scope:SCOPE_SE
	v_cmp_eq_f16_e32 vcc_lo, 0, v10
	s_cbranch_vccz .LBB133_176
; %bb.171:                              ;   in Loop: Header=BB133_173 Depth=2
	v_add_co_u32 v4, vcc_lo, v4, s50
	s_wait_alu 0xfffd
	v_add_co_ci_u32_e64 v5, null, 0, v5, vcc_lo
	s_mov_b32 s52, 0
	v_cmp_le_u64_e32 vcc_lo, s[6:7], v[4:5]
	s_or_not1_b32 s61, vcc_lo, exec_lo
.LBB133_172:                            ;   in Loop: Header=BB133_173 Depth=2
	s_wait_alu 0xfffe
	s_and_b32 s61, exec_lo, s61
	s_wait_alu 0xfffe
	s_or_b32 s13, s61, s13
	s_and_not1_b32 s15, s15, exec_lo
	s_and_b32 s52, s52, exec_lo
	s_wait_alu 0xfffe
	s_or_b32 s15, s15, s52
	s_and_not1_b32 exec_lo, exec_lo, s13
	s_cbranch_execz .LBB133_177
.LBB133_173:                            ;   Parent Loop BB133_26 Depth=1
                                        ; =>  This Inner Loop Header: Depth=2
	s_mov_b32 s52, exec_lo
	s_delay_alu instid0(VALU_DEP_1)
	v_cmpx_gt_u64_e64 s[20:21], v[4:5]
	s_cbranch_execz .LBB133_170
; %bb.174:                              ;   in Loop: Header=BB133_173 Depth=2
	v_mul_lo_u32 v19, v5, s36
	v_mul_lo_u32 v20, v4, s37
	v_mad_co_u64_u32 v[10:11], null, v4, s36, 0
	s_delay_alu instid0(VALU_DEP_1) | instskip(NEXT) | instid1(VALU_DEP_1)
	v_add3_u32 v11, v11, v20, v19
	v_lshlrev_b64_e32 v[10:11], 1, v[10:11]
	s_delay_alu instid0(VALU_DEP_1) | instskip(SKIP_1) | instid1(VALU_DEP_2)
	v_add_co_u32 v10, vcc_lo, s44, v10
	s_wait_alu 0xfffd
	v_add_co_ci_u32_e64 v11, null, s45, v11, vcc_lo
	global_load_u16 v10, v[10:11], off
	s_wait_loadcnt 0x0
	v_cmp_lt_i16_e32 vcc_lo, -1, v10
	v_and_b32_e32 v11, 0xffff, v10
	s_wait_alu 0xfffd
	v_cndmask_b32_e32 v19, 0xffff, v33, vcc_lo
	v_cmp_o_f16_e32 vcc_lo, v10, v10
	s_delay_alu instid0(VALU_DEP_2) | instskip(SKIP_1) | instid1(VALU_DEP_1)
	v_xor_b32_e32 v11, v19, v11
	s_wait_alu 0xfffd
	v_cndmask_b32_e32 v11, 0xffff, v11, vcc_lo
	s_delay_alu instid0(VALU_DEP_1) | instskip(NEXT) | instid1(VALU_DEP_1)
	v_and_b32_e32 v11, v11, v34
	v_cmp_eq_u32_e32 vcc_lo, v11, v30
	s_and_b32 exec_lo, exec_lo, vcc_lo
	s_cbranch_execz .LBB133_170
; %bb.175:                              ;   in Loop: Header=BB133_173 Depth=2
	v_perm_b32 v10, v10, s84, 0x5040100
	ds_store_b32 v3, v10 offset:3072
	s_branch .LBB133_170
.LBB133_176:                            ;   in Loop: Header=BB133_173 Depth=2
	s_mov_b32 s61, -1
	s_mov_b32 s52, -1
                                        ; implicit-def: $vgpr4_vgpr5
	s_branch .LBB133_172
.LBB133_177:                            ;   in Loop: Header=BB133_26 Depth=1
	s_or_b32 exec_lo, exec_lo, s13
	v_lshrrev_b32_e32 v35, 16, v10
	s_and_not1_b32 s6, s14, exec_lo
	s_wait_alu 0xfffe
	s_and_b32 s7, s15, exec_lo
	s_wait_alu 0xfffe
	s_or_b32 s14, s6, s7
.LBB133_178:                            ;   in Loop: Header=BB133_26 Depth=1
	s_or_b32 exec_lo, exec_lo, s12
	s_mov_b32 s61, 0
	s_mov_b32 s62, -1
.LBB133_179:                            ;   in Loop: Header=BB133_26 Depth=1
	s_wait_alu 0xfffe
	s_or_not1_b32 s6, s14, exec_lo
.LBB133_180:                            ;   in Loop: Header=BB133_26 Depth=1
	s_wait_alu 0xfffe
	s_or_b32 exec_lo, exec_lo, s63
	s_mov_b32 s7, 0
	s_and_saveexec_b32 s63, s6
	s_cbranch_execz .LBB133_290
; %bb.181:                              ;   in Loop: Header=BB133_26 Depth=1
	v_mov_b32_e32 v4, 1
	v_dual_mov_b32 v5, 0 :: v_dual_mov_b32 v2, 1
	s_xor_b32 s12, s64, -1
	s_wait_alu 0xfffe
	s_and_saveexec_b32 s6, s12
	s_cbranch_execz .LBB133_191
; %bb.182:                              ;   in Loop: Header=BB133_26 Depth=1
	s_mov_b32 s7, exec_lo
	v_cmpx_le_u64_e64 v[8:9], v[6:7]
	s_wait_alu 0xfffe
	s_xor_b32 s7, exec_lo, s7
	s_cbranch_execz .LBB133_188
; %bb.183:                              ;   in Loop: Header=BB133_26 Depth=1
	ds_load_b64 v[4:5], v3 offset:5120
	s_lshl_b32 s12, 1, s82
	v_or_b32_e32 v34, s16, v34
	s_wait_alu 0xfffe
	v_and_or_b32 v30, v30, s60, s12
	s_wait_dscnt 0x0
	v_cmp_ne_u64_e32 vcc_lo, 0, v[4:5]
	s_cbranch_vccnz .LBB133_187
; %bb.184:                              ;   in Loop: Header=BB133_26 Depth=1
	s_and_saveexec_b32 s12, s3
; %bb.185:                              ;   in Loop: Header=BB133_26 Depth=1
	ds_store_b64 v3, v[6:7] offset:5128
; %bb.186:                              ;   in Loop: Header=BB133_26 Depth=1
	s_wait_alu 0xfffe
	s_or_b32 exec_lo, exec_lo, s12
	s_wait_loadcnt_dscnt 0x0
	s_barrier_signal -1
	s_barrier_wait -1
	global_inv scope:SCOPE_SE
.LBB133_187:                            ;   in Loop: Header=BB133_26 Depth=1
                                        ; implicit-def: $vgpr4_vgpr5_vgpr6_vgpr7
.LBB133_188:                            ;   in Loop: Header=BB133_26 Depth=1
	s_wait_alu 0xfffe
	s_or_saveexec_b32 s7, s7
	v_mov_b32_e32 v2, 8
	s_mov_b32 s12, 0
	s_wait_alu 0xfffe
	s_xor_b32 exec_lo, exec_lo, s7
; %bb.189:                              ;   in Loop: Header=BB133_26 Depth=1
	v_sub_co_u32 v8, vcc_lo, v8, v6
	s_wait_alu 0xfffd
	v_sub_co_ci_u32_e64 v9, null, v9, v7, vcc_lo
	v_mov_b32_e32 v2, 0
	s_mov_b32 s12, exec_lo
; %bb.190:                              ;   in Loop: Header=BB133_26 Depth=1
	s_or_b32 exec_lo, exec_lo, s7
	s_delay_alu instid0(VALU_DEP_2)
	v_dual_mov_b32 v4, v8 :: v_dual_mov_b32 v5, v9
	s_wait_alu 0xfffe
	s_and_b32 s7, s12, exec_lo
.LBB133_191:                            ;   in Loop: Header=BB133_26 Depth=1
	s_wait_alu 0xfffe
	s_or_b32 exec_lo, exec_lo, s6
	s_mov_b32 s6, -1
                                        ; implicit-def: $sgpr65
                                        ; implicit-def: $sgpr66
	s_and_saveexec_b32 s64, s7
	s_cbranch_execz .LBB133_289
; %bb.192:                              ;   in Loop: Header=BB133_26 Depth=1
	v_cmp_eq_u64_e32 vcc_lo, 1, v[4:5]
	s_cmp_eq_u64 s[10:11], 1
                                        ; implicit-def: $sgpr66
                                        ; implicit-def: $sgpr65
	s_cselect_b32 s6, -1, 0
	s_wait_alu 0xfffe
	s_and_b32 s67, s6, vcc_lo
	s_mov_b32 s6, -1
	s_wait_alu 0xfffe
	s_and_saveexec_b32 s68, s67
	s_cbranch_execz .LBB133_228
; %bb.193:                              ;   in Loop: Header=BB133_26 Depth=1
	ds_load_b64 v[6:7], v3 offset:5120
	s_wait_loadcnt_dscnt 0x0
	s_barrier_signal -1
	s_barrier_wait -1
	global_inv scope:SCOPE_SE
	v_readfirstlane_b32 s6, v6
	v_readfirstlane_b32 s7, v7
	s_and_saveexec_b32 s12, s0
; %bb.194:                              ;   in Loop: Header=BB133_26 Depth=1
	ds_store_b16 v27, v3
; %bb.195:                              ;   in Loop: Header=BB133_26 Depth=1
	s_wait_alu 0xfffe
	s_or_b32 exec_lo, exec_lo, s12
	s_lshl_b32 s12, 2, s82
	v_or_b32_e32 v34, s16, v34
	s_wait_alu 0xfffe
	v_and_or_b32 v30, v30, s60, s12
	s_mov_b32 s65, -1
	s_mov_b32 s66, 0
	s_cmp_eq_u64 s[6:7], 0
	s_mov_b32 s14, 0
	s_mov_b32 s15, -1
	s_wait_loadcnt_dscnt 0x0
	s_barrier_signal -1
	s_barrier_wait -1
	global_inv scope:SCOPE_SE
                                        ; implicit-def: $vgpr35
	s_cbranch_scc1 .LBB133_212
; %bb.196:                              ;   in Loop: Header=BB133_26 Depth=1
	s_add_nc_u64 s[12:13], s[6:7], s[54:55]
	s_mov_b32 s14, s53
	s_wait_alu 0xfffe
	s_mov_b32 s15, s13
	s_wait_alu 0xfffe
	s_cmp_lg_u64 s[14:15], 0
	s_cbranch_scc0 .LBB133_255
; %bb.197:                              ;   in Loop: Header=BB133_26 Depth=1
	s_cvt_f32_u32 s14, s50
	s_sub_nc_u64 s[70:71], 0, s[50:51]
	s_wait_alu 0xfffe
	s_delay_alu instid0(SALU_CYCLE_1) | instskip(SKIP_1) | instid1(SALU_CYCLE_2)
	s_fmamk_f32 s14, s81, 0x0, s14
	s_wait_alu 0xfffe
	v_s_rcp_f32 s14, s14
	s_delay_alu instid0(TRANS32_DEP_1) | instskip(SKIP_1) | instid1(SALU_CYCLE_2)
	s_mul_f32 s14, s14, 0x5f7ffffc
	s_wait_alu 0xfffe
	s_mul_f32 s15, s14, 0x2f800000
	s_wait_alu 0xfffe
	s_delay_alu instid0(SALU_CYCLE_2) | instskip(SKIP_1) | instid1(SALU_CYCLE_2)
	s_trunc_f32 s15, s15
	s_wait_alu 0xfffe
	s_fmamk_f32 s14, s15, 0xcf800000, s14
	s_cvt_u32_f32 s15, s15
	s_wait_alu 0xfffe
	s_delay_alu instid0(SALU_CYCLE_1) | instskip(SKIP_1) | instid1(SALU_CYCLE_2)
	s_cvt_u32_f32 s14, s14
	s_wait_alu 0xfffe
	s_mul_u64 s[92:93], s[70:71], s[14:15]
	s_wait_alu 0xfffe
	s_mul_hi_u32 s95, s14, s93
	s_mul_i32 s94, s14, s93
	s_mul_hi_u32 s52, s14, s92
	s_mul_i32 s96, s15, s92
	s_wait_alu 0xfffe
	s_add_nc_u64 s[94:95], s[52:53], s[94:95]
	s_mul_hi_u32 s69, s15, s92
	s_mul_hi_u32 s97, s15, s93
	s_add_co_u32 s52, s94, s96
	s_wait_alu 0xfffe
	s_add_co_ci_u32 s52, s95, s69
	s_mul_i32 s92, s15, s93
	s_add_co_ci_u32 s93, s97, 0
	s_wait_alu 0xfffe
	s_add_nc_u64 s[92:93], s[52:53], s[92:93]
	s_wait_alu 0xfffe
	s_add_co_u32 s14, s14, s92
	s_cselect_b32 s52, -1, 0
	s_wait_alu 0xfffe
	s_cmp_lg_u32 s52, 0
	s_add_co_ci_u32 s15, s15, s93
	s_wait_alu 0xfffe
	s_mul_u64 s[70:71], s[70:71], s[14:15]
	s_wait_alu 0xfffe
	s_mul_hi_u32 s93, s14, s71
	s_mul_i32 s92, s14, s71
	s_mul_hi_u32 s52, s14, s70
	s_mul_i32 s94, s15, s70
	s_wait_alu 0xfffe
	s_add_nc_u64 s[92:93], s[52:53], s[92:93]
	s_mul_hi_u32 s69, s15, s70
	s_mul_hi_u32 s95, s15, s71
	s_wait_alu 0xfffe
	s_add_co_u32 s52, s92, s94
	s_add_co_ci_u32 s52, s93, s69
	s_mul_i32 s70, s15, s71
	s_add_co_ci_u32 s71, s95, 0
	s_wait_alu 0xfffe
	s_add_nc_u64 s[70:71], s[52:53], s[70:71]
	s_wait_alu 0xfffe
	s_add_co_u32 s14, s14, s70
	s_cselect_b32 s69, -1, 0
	s_wait_alu 0xfffe
	s_mul_hi_u32 s52, s12, s14
	s_cmp_lg_u32 s69, 0
	s_mul_hi_u32 s69, s13, s14
	s_add_co_ci_u32 s70, s15, s71
	s_mul_i32 s71, s13, s14
	s_wait_alu 0xfffe
	s_mul_hi_u32 s15, s12, s70
	s_mul_i32 s14, s12, s70
	s_mul_hi_u32 s92, s13, s70
	s_wait_alu 0xfffe
	s_add_nc_u64 s[14:15], s[52:53], s[14:15]
	s_mul_i32 s70, s13, s70
	s_wait_alu 0xfffe
	s_add_co_u32 s14, s14, s71
	s_add_co_ci_u32 s52, s15, s69
	s_add_co_ci_u32 s71, s92, 0
	s_wait_alu 0xfffe
	s_add_nc_u64 s[14:15], s[52:53], s[70:71]
	s_wait_alu 0xfffe
	s_mul_u64 s[14:15], s[50:51], s[14:15]
	s_wait_alu 0xfffe
	s_sub_co_u32 s14, s12, s14
	s_cselect_b32 s52, -1, 0
	s_wait_alu 0xfffe
	s_cmp_lg_u32 s52, 0
	s_sub_co_ci_u32 s15, s13, s15
	s_sub_co_u32 s52, s14, s50
	s_cselect_b32 s69, -1, 0
	s_wait_alu 0xfffe
	s_cmp_lg_u32 s69, 0
	s_sub_co_ci_u32 s69, s15, 0
	s_sub_co_u32 s70, s52, s50
	s_cselect_b32 s71, -1, 0
	s_wait_alu 0xfffe
	s_cmp_lg_u32 s71, 0
	s_sub_co_ci_u32 s71, s69, 0
	s_cmp_ge_u32 s52, s50
	s_cselect_b32 s92, -1, 0
	s_cmp_eq_u32 s69, 0
	s_wait_alu 0xfffe
	s_cselect_b32 s92, s92, -1
	s_wait_alu 0xfffe
	s_cmp_lg_u32 s92, 0
	s_cselect_b32 s69, s71, s69
	s_cselect_b32 s52, s70, s52
	s_cmp_ge_u32 s14, s50
	s_cselect_b32 s70, -1, 0
	s_cmp_eq_u32 s15, 0
	s_wait_alu 0xfffe
	s_cselect_b32 s70, s70, -1
	s_wait_alu 0xfffe
	s_cmp_lg_u32 s70, 0
	s_cselect_b32 s15, s69, s15
	s_cselect_b32 s14, s52, s14
	s_cbranch_execnz .LBB133_199
.LBB133_198:                            ;   in Loop: Header=BB133_26 Depth=1
	v_cvt_f32_u32_e32 v6, s50
	s_sub_co_i32 s15, 0, s50
	s_delay_alu instid0(VALU_DEP_1) | instskip(NEXT) | instid1(TRANS32_DEP_1)
	v_rcp_iflag_f32_e32 v6, v6
	v_mul_f32_e32 v6, 0x4f7ffffe, v6
	s_delay_alu instid0(VALU_DEP_1) | instskip(NEXT) | instid1(VALU_DEP_1)
	v_cvt_u32_f32_e32 v6, v6
	v_readfirstlane_b32 s14, v6
	s_wait_alu 0xfffe
	s_mul_i32 s15, s15, s14
	s_wait_alu 0xfffe
	s_mul_hi_u32 s15, s14, s15
	s_wait_alu 0xfffe
	s_add_co_i32 s14, s14, s15
	s_wait_alu 0xfffe
	s_mul_hi_u32 s14, s12, s14
	s_wait_alu 0xfffe
	s_mul_i32 s14, s14, s50
	s_wait_alu 0xfffe
	s_sub_co_i32 s14, s12, s14
	s_wait_alu 0xfffe
	s_sub_co_i32 s15, s14, s50
	s_cmp_ge_u32 s14, s50
	s_wait_alu 0xfffe
	s_cselect_b32 s14, s15, s14
	s_wait_alu 0xfffe
	s_sub_co_i32 s15, s14, s50
	s_cmp_ge_u32 s14, s50
	s_wait_alu 0xfffe
	s_cselect_b32 s52, s15, s14
	s_wait_alu 0xfffe
	s_mov_b64 s[14:15], s[52:53]
.LBB133_199:                            ;   in Loop: Header=BB133_26 Depth=1
	s_wait_alu 0xfffe
	s_sub_nc_u64 s[12:13], s[12:13], s[14:15]
	s_mov_b32 s15, 0
	s_mov_b32 s14, 0
	s_mov_b32 s52, exec_lo
                                        ; implicit-def: $vgpr35
	s_wait_alu 0xfffe
	v_cmpx_gt_u64_e64 s[12:13], v[0:1]
	s_cbranch_execz .LBB133_211
; %bb.200:                              ;   in Loop: Header=BB133_26 Depth=1
	v_dual_mov_b32 v8, v26 :: v_dual_mov_b32 v7, v1
	v_mov_b32_e32 v6, v0
                                        ; implicit-def: $sgpr69
	s_branch .LBB133_204
.LBB133_201:                            ;   in Loop: Header=BB133_204 Depth=2
	s_wait_alu 0xfffe
	s_or_b32 exec_lo, exec_lo, s70
	s_wait_loadcnt_dscnt 0x0
	s_barrier_signal -1
	s_barrier_wait -1
	global_inv scope:SCOPE_SE
	ds_load_b32 v9, v3 offset:3072
	s_wait_loadcnt_dscnt 0x0
	s_barrier_signal -1
	s_barrier_wait -1
	global_inv scope:SCOPE_SE
	v_cmp_neq_f16_e32 vcc_lo, 0, v9
	s_cbranch_vccnz .LBB133_207
; %bb.202:                              ;   in Loop: Header=BB133_204 Depth=2
	v_add_co_u32 v6, vcc_lo, v6, s50
	s_wait_alu 0xfffd
	v_add_co_ci_u32_e64 v7, null, 0, v7, vcc_lo
	v_add_nc_u32_e32 v8, s80, v8
	s_mov_b32 s70, 0
	s_delay_alu instid0(VALU_DEP_2)
	v_cmp_le_u64_e32 vcc_lo, s[12:13], v[6:7]
	s_or_not1_b32 s71, vcc_lo, exec_lo
.LBB133_203:                            ;   in Loop: Header=BB133_204 Depth=2
	s_wait_alu 0xfffe
	s_and_b32 s71, exec_lo, s71
	s_wait_alu 0xfffe
	s_or_b32 s14, s71, s14
	s_and_not1_b32 s69, s69, exec_lo
	s_and_b32 s70, s70, exec_lo
	s_wait_alu 0xfffe
	s_or_b32 s69, s69, s70
	s_and_not1_b32 exec_lo, exec_lo, s14
	s_cbranch_execz .LBB133_210
.LBB133_204:                            ;   Parent Loop BB133_26 Depth=1
                                        ; =>  This Inner Loop Header: Depth=2
	s_mov_b32 s70, exec_lo
	s_delay_alu instid0(VALU_DEP_1)
	v_cmpx_gt_u64_e64 s[6:7], v[6:7]
	s_cbranch_execz .LBB133_201
; %bb.205:                              ;   in Loop: Header=BB133_204 Depth=2
	ds_load_u16 v9, v8
	s_wait_dscnt 0x0
	v_cmp_lt_i16_e32 vcc_lo, -1, v9
	v_and_b32_e32 v10, 0xffff, v9
	s_wait_alu 0xfffd
	v_cndmask_b32_e32 v11, 0xffff, v33, vcc_lo
	v_cmp_o_f16_e32 vcc_lo, v9, v9
	s_delay_alu instid0(VALU_DEP_2) | instskip(SKIP_1) | instid1(VALU_DEP_1)
	v_xor_b32_e32 v10, v11, v10
	s_wait_alu 0xfffd
	v_cndmask_b32_e32 v10, 0xffff, v10, vcc_lo
	s_delay_alu instid0(VALU_DEP_1) | instskip(NEXT) | instid1(VALU_DEP_1)
	v_and_b32_e32 v10, v10, v34
	v_cmp_eq_u32_e32 vcc_lo, v10, v30
	s_and_b32 exec_lo, exec_lo, vcc_lo
	s_cbranch_execz .LBB133_201
; %bb.206:                              ;   in Loop: Header=BB133_204 Depth=2
	v_perm_b32 v9, v9, s84, 0x5040100
	ds_store_b32 v3, v9 offset:3072
	s_branch .LBB133_201
.LBB133_207:                            ;   in Loop: Header=BB133_204 Depth=2
	s_mov_b32 s71, -1
	s_mov_b32 s70, -1
                                        ; implicit-def: $vgpr6_vgpr7
                                        ; implicit-def: $vgpr8
	s_branch .LBB133_203
.LBB133_208:                            ;   in Loop: Header=BB133_26 Depth=1
                                        ; implicit-def: $sgpr14_sgpr15
	s_branch .LBB133_147
.LBB133_209:                            ;   in Loop: Header=BB133_26 Depth=1
                                        ; implicit-def: $sgpr6_sgpr7
	s_branch .LBB133_167
.LBB133_210:                            ;   in Loop: Header=BB133_26 Depth=1
	s_or_b32 exec_lo, exec_lo, s14
	v_lshrrev_b32_e32 v35, 16, v9
	s_wait_alu 0xfffe
	s_and_b32 s14, s69, exec_lo
.LBB133_211:                            ;   in Loop: Header=BB133_26 Depth=1
	s_or_b32 exec_lo, exec_lo, s52
.LBB133_212:                            ;   in Loop: Header=BB133_26 Depth=1
	s_wait_alu 0xfffe
	s_and_b32 vcc_lo, exec_lo, s15
	s_wait_alu 0xfffe
	s_cbranch_vccz .LBB133_227
; %bb.213:                              ;   in Loop: Header=BB133_26 Depth=1
	s_mov_b32 s6, s53
	s_mov_b32 s7, s57
	s_wait_alu 0xfffe
	s_cmp_lg_u64 s[6:7], 0
	s_cbranch_scc0 .LBB133_256
; %bb.214:                              ;   in Loop: Header=BB133_26 Depth=1
	s_cvt_f32_u32 s6, s50
	s_sub_nc_u64 s[12:13], 0, s[50:51]
	s_wait_alu 0xfffe
	s_delay_alu instid0(SALU_CYCLE_1) | instskip(SKIP_1) | instid1(SALU_CYCLE_2)
	s_fmamk_f32 s6, s81, 0x0, s6
	s_wait_alu 0xfffe
	v_s_rcp_f32 s6, s6
	s_delay_alu instid0(TRANS32_DEP_1) | instskip(SKIP_1) | instid1(SALU_CYCLE_2)
	s_mul_f32 s6, s6, 0x5f7ffffc
	s_wait_alu 0xfffe
	s_mul_f32 s7, s6, 0x2f800000
	s_wait_alu 0xfffe
	s_delay_alu instid0(SALU_CYCLE_2) | instskip(SKIP_1) | instid1(SALU_CYCLE_2)
	s_trunc_f32 s7, s7
	s_wait_alu 0xfffe
	s_fmamk_f32 s6, s7, 0xcf800000, s6
	s_cvt_u32_f32 s7, s7
	s_wait_alu 0xfffe
	s_delay_alu instid0(SALU_CYCLE_1) | instskip(SKIP_1) | instid1(SALU_CYCLE_2)
	s_cvt_u32_f32 s6, s6
	s_wait_alu 0xfffe
	s_mul_u64 s[70:71], s[12:13], s[6:7]
	s_wait_alu 0xfffe
	s_mul_hi_u32 s93, s6, s71
	s_mul_i32 s92, s6, s71
	s_mul_hi_u32 s52, s6, s70
	s_mul_i32 s65, s7, s70
	s_wait_alu 0xfffe
	s_add_nc_u64 s[92:93], s[52:53], s[92:93]
	s_mul_hi_u32 s15, s7, s70
	s_mul_hi_u32 s66, s7, s71
	s_wait_alu 0xfffe
	s_add_co_u32 s52, s92, s65
	s_add_co_ci_u32 s52, s93, s15
	s_mul_i32 s70, s7, s71
	s_add_co_ci_u32 s71, s66, 0
	s_wait_alu 0xfffe
	s_add_nc_u64 s[70:71], s[52:53], s[70:71]
	s_wait_alu 0xfffe
	s_add_co_u32 s6, s6, s70
	s_cselect_b32 s15, -1, 0
	s_wait_alu 0xfffe
	s_cmp_lg_u32 s15, 0
	s_add_co_ci_u32 s7, s7, s71
	s_wait_alu 0xfffe
	s_mul_u64 s[12:13], s[12:13], s[6:7]
	s_wait_alu 0xfffe
	s_mul_hi_u32 s71, s6, s13
	s_mul_i32 s70, s6, s13
	s_mul_hi_u32 s52, s6, s12
	s_mul_i32 s65, s7, s12
	s_wait_alu 0xfffe
	s_add_nc_u64 s[70:71], s[52:53], s[70:71]
	s_mul_hi_u32 s15, s7, s12
	s_mul_hi_u32 s66, s7, s13
	s_mul_i32 s12, s7, s13
	s_wait_alu 0xfffe
	s_add_co_u32 s13, s70, s65
	s_add_co_ci_u32 s52, s71, s15
	s_add_co_ci_u32 s13, s66, 0
	s_wait_alu 0xfffe
	s_add_nc_u64 s[12:13], s[52:53], s[12:13]
	s_wait_alu 0xfffe
	s_add_co_u32 s6, s6, s12
	s_cselect_b32 s12, -1, 0
	s_wait_alu 0xfffe
	s_mul_hi_u32 s52, s56, s6
	s_cmp_lg_u32 s12, 0
	s_mul_hi_u32 s15, s57, s6
	s_add_co_ci_u32 s12, s7, s13
	s_mul_i32 s13, s57, s6
	s_wait_alu 0xfffe
	s_mul_hi_u32 s7, s56, s12
	s_mul_i32 s6, s56, s12
	s_mul_hi_u32 s65, s57, s12
	s_wait_alu 0xfffe
	s_add_nc_u64 s[6:7], s[52:53], s[6:7]
	s_mul_i32 s12, s57, s12
	s_wait_alu 0xfffe
	s_add_co_u32 s6, s6, s13
	s_add_co_ci_u32 s52, s7, s15
	s_add_co_ci_u32 s13, s65, 0
	s_wait_alu 0xfffe
	s_add_nc_u64 s[6:7], s[52:53], s[12:13]
	s_wait_alu 0xfffe
	s_mul_u64 s[6:7], s[50:51], s[6:7]
	s_wait_alu 0xfffe
	s_sub_co_u32 s6, s56, s6
	s_cselect_b32 s12, -1, 0
	s_wait_alu 0xfffe
	s_cmp_lg_u32 s12, 0
	s_sub_co_ci_u32 s7, s57, s7
	s_sub_co_u32 s12, s6, s50
	s_cselect_b32 s13, -1, 0
	s_wait_alu 0xfffe
	s_cmp_lg_u32 s13, 0
	s_sub_co_ci_u32 s13, s7, 0
	;; [unrolled: 5-line block ×3, first 2 shown]
	s_cmp_ge_u32 s12, s50
	s_cselect_b32 s65, -1, 0
	s_cmp_eq_u32 s13, 0
	s_wait_alu 0xfffe
	s_cselect_b32 s65, s65, -1
	s_wait_alu 0xfffe
	s_cmp_lg_u32 s65, 0
	s_cselect_b32 s13, s52, s13
	s_cselect_b32 s12, s15, s12
	s_cmp_ge_u32 s6, s50
	s_cselect_b32 s15, -1, 0
	s_cmp_eq_u32 s7, 0
	s_wait_alu 0xfffe
	s_cselect_b32 s15, s15, -1
	s_wait_alu 0xfffe
	s_cmp_lg_u32 s15, 0
	s_cselect_b32 s7, s13, s7
	s_cselect_b32 s6, s12, s6
	s_cbranch_execnz .LBB133_216
.LBB133_215:                            ;   in Loop: Header=BB133_26 Depth=1
	v_cvt_f32_u32_e32 v6, s50
	s_sub_co_i32 s7, 0, s50
	s_delay_alu instid0(VALU_DEP_1) | instskip(NEXT) | instid1(TRANS32_DEP_1)
	v_rcp_iflag_f32_e32 v6, v6
	v_mul_f32_e32 v6, 0x4f7ffffe, v6
	s_delay_alu instid0(VALU_DEP_1) | instskip(NEXT) | instid1(VALU_DEP_1)
	v_cvt_u32_f32_e32 v6, v6
	v_readfirstlane_b32 s6, v6
	s_wait_alu 0xfffe
	s_mul_i32 s7, s7, s6
	s_wait_alu 0xfffe
	s_mul_hi_u32 s7, s6, s7
	s_wait_alu 0xfffe
	s_add_co_i32 s6, s6, s7
	s_wait_alu 0xfffe
	s_mul_hi_u32 s6, s56, s6
	s_wait_alu 0xfffe
	s_mul_i32 s6, s6, s50
	s_wait_alu 0xfffe
	s_sub_co_i32 s6, s56, s6
	s_wait_alu 0xfffe
	s_sub_co_i32 s7, s6, s50
	s_cmp_ge_u32 s6, s50
	s_wait_alu 0xfffe
	s_cselect_b32 s6, s7, s6
	s_wait_alu 0xfffe
	s_sub_co_i32 s7, s6, s50
	s_cmp_ge_u32 s6, s50
	s_wait_alu 0xfffe
	s_cselect_b32 s52, s7, s6
	s_wait_alu 0xfffe
	s_mov_b64 s[6:7], s[52:53]
.LBB133_216:                            ;   in Loop: Header=BB133_26 Depth=1
	s_wait_alu 0xfffe
	s_sub_nc_u64 s[6:7], s[56:57], s[6:7]
	s_mov_b32 s12, exec_lo
                                        ; implicit-def: $vgpr35
	s_wait_alu 0xfffe
	v_cmpx_gt_u64_e64 s[6:7], v[0:1]
	s_cbranch_execz .LBB133_226
; %bb.217:                              ;   in Loop: Header=BB133_26 Depth=1
	v_dual_mov_b32 v7, v1 :: v_dual_mov_b32 v6, v0
	s_mov_b32 s13, 0
                                        ; implicit-def: $sgpr15
	s_branch .LBB133_221
.LBB133_218:                            ;   in Loop: Header=BB133_221 Depth=2
	s_wait_alu 0xfffe
	s_or_b32 exec_lo, exec_lo, s52
	s_wait_loadcnt_dscnt 0x0
	s_barrier_signal -1
	s_barrier_wait -1
	global_inv scope:SCOPE_SE
	ds_load_b32 v8, v3 offset:3072
	s_wait_loadcnt_dscnt 0x0
	s_barrier_signal -1
	s_barrier_wait -1
	global_inv scope:SCOPE_SE
	v_cmp_eq_f16_e32 vcc_lo, 0, v8
	s_cbranch_vccz .LBB133_224
; %bb.219:                              ;   in Loop: Header=BB133_221 Depth=2
	v_add_co_u32 v6, vcc_lo, v6, s50
	s_wait_alu 0xfffd
	v_add_co_ci_u32_e64 v7, null, 0, v7, vcc_lo
	s_mov_b32 s52, 0
	v_cmp_le_u64_e32 vcc_lo, s[6:7], v[6:7]
	s_or_not1_b32 s65, vcc_lo, exec_lo
.LBB133_220:                            ;   in Loop: Header=BB133_221 Depth=2
	s_wait_alu 0xfffe
	s_and_b32 s65, exec_lo, s65
	s_wait_alu 0xfffe
	s_or_b32 s13, s65, s13
	s_and_not1_b32 s15, s15, exec_lo
	s_and_b32 s52, s52, exec_lo
	s_wait_alu 0xfffe
	s_or_b32 s15, s15, s52
	s_and_not1_b32 exec_lo, exec_lo, s13
	s_cbranch_execz .LBB133_225
.LBB133_221:                            ;   Parent Loop BB133_26 Depth=1
                                        ; =>  This Inner Loop Header: Depth=2
	s_mov_b32 s52, exec_lo
	s_delay_alu instid0(VALU_DEP_1)
	v_cmpx_gt_u64_e64 s[20:21], v[6:7]
	s_cbranch_execz .LBB133_218
; %bb.222:                              ;   in Loop: Header=BB133_221 Depth=2
	v_mul_lo_u32 v10, v7, s36
	v_mul_lo_u32 v11, v6, s37
	v_mad_co_u64_u32 v[8:9], null, v6, s36, 0
	s_delay_alu instid0(VALU_DEP_1) | instskip(NEXT) | instid1(VALU_DEP_1)
	v_add3_u32 v9, v9, v11, v10
	v_lshlrev_b64_e32 v[8:9], 1, v[8:9]
	s_delay_alu instid0(VALU_DEP_1) | instskip(SKIP_1) | instid1(VALU_DEP_2)
	v_add_co_u32 v8, vcc_lo, s44, v8
	s_wait_alu 0xfffd
	v_add_co_ci_u32_e64 v9, null, s45, v9, vcc_lo
	global_load_u16 v8, v[8:9], off
	s_wait_loadcnt 0x0
	v_cmp_lt_i16_e32 vcc_lo, -1, v8
	s_wait_alu 0xfffd
	v_dual_cndmask_b32 v10, 0xffff, v33 :: v_dual_and_b32 v9, 0xffff, v8
	v_cmp_o_f16_e32 vcc_lo, v8, v8
	s_delay_alu instid0(VALU_DEP_2) | instskip(SKIP_1) | instid1(VALU_DEP_1)
	v_xor_b32_e32 v9, v10, v9
	s_wait_alu 0xfffd
	v_cndmask_b32_e32 v9, 0xffff, v9, vcc_lo
	s_delay_alu instid0(VALU_DEP_1) | instskip(NEXT) | instid1(VALU_DEP_1)
	v_and_b32_e32 v9, v9, v34
	v_cmp_eq_u32_e32 vcc_lo, v9, v30
	s_and_b32 exec_lo, exec_lo, vcc_lo
	s_cbranch_execz .LBB133_218
; %bb.223:                              ;   in Loop: Header=BB133_221 Depth=2
	v_perm_b32 v8, v8, s84, 0x5040100
	ds_store_b32 v3, v8 offset:3072
	s_branch .LBB133_218
.LBB133_224:                            ;   in Loop: Header=BB133_221 Depth=2
	s_mov_b32 s65, -1
	s_mov_b32 s52, -1
                                        ; implicit-def: $vgpr6_vgpr7
	s_branch .LBB133_220
.LBB133_225:                            ;   in Loop: Header=BB133_26 Depth=1
	s_or_b32 exec_lo, exec_lo, s13
	v_lshrrev_b32_e32 v35, 16, v8
	s_and_not1_b32 s6, s14, exec_lo
	s_wait_alu 0xfffe
	s_and_b32 s7, s15, exec_lo
	s_wait_alu 0xfffe
	s_or_b32 s14, s6, s7
.LBB133_226:                            ;   in Loop: Header=BB133_26 Depth=1
	s_or_b32 exec_lo, exec_lo, s12
	s_mov_b32 s65, 0
	s_mov_b32 s66, -1
.LBB133_227:                            ;   in Loop: Header=BB133_26 Depth=1
	s_wait_alu 0xfffe
	s_or_not1_b32 s6, s14, exec_lo
.LBB133_228:                            ;   in Loop: Header=BB133_26 Depth=1
	s_wait_alu 0xfffe
	s_or_b32 exec_lo, exec_lo, s68
	s_mov_b32 s7, 0
	s_and_saveexec_b32 s14, s6
	s_cbranch_execz .LBB133_288
; %bb.229:                              ;   in Loop: Header=BB133_26 Depth=1
	v_mov_b32_e32 v6, 1
	v_dual_mov_b32 v7, 0 :: v_dual_mov_b32 v2, 1
	s_xor_b32 s12, s67, -1
	s_wait_alu 0xfffe
	s_and_saveexec_b32 s6, s12
	s_cbranch_execz .LBB133_238
; %bb.230:                              ;   in Loop: Header=BB133_26 Depth=1
	s_mov_b32 s7, exec_lo
	v_cmpx_ge_u64_e64 s[10:11], v[4:5]
	s_wait_alu 0xfffe
	s_xor_b32 s7, exec_lo, s7
	s_cbranch_execz .LBB133_235
; %bb.231:                              ;   in Loop: Header=BB133_26 Depth=1
	ds_load_b64 v[6:7], v3 offset:5120
	s_lshl_b32 s12, 2, s82
	v_or_b32_e32 v34, s16, v34
	s_wait_alu 0xfffe
	v_and_or_b32 v30, v30, s60, s12
	s_wait_dscnt 0x0
	v_cmp_ne_u64_e32 vcc_lo, 0, v[6:7]
	s_cbranch_vccnz .LBB133_235
; %bb.232:                              ;   in Loop: Header=BB133_26 Depth=1
	s_and_saveexec_b32 s12, s3
; %bb.233:                              ;   in Loop: Header=BB133_26 Depth=1
	v_dual_mov_b32 v6, s10 :: v_dual_mov_b32 v7, s11
	ds_store_b64 v3, v[6:7] offset:5128
; %bb.234:                              ;   in Loop: Header=BB133_26 Depth=1
	s_wait_alu 0xfffe
	s_or_b32 exec_lo, exec_lo, s12
	s_wait_loadcnt_dscnt 0x0
	s_barrier_signal -1
	s_barrier_wait -1
	global_inv scope:SCOPE_SE
.LBB133_235:                            ;   in Loop: Header=BB133_26 Depth=1
	s_wait_alu 0xfffe
	s_or_saveexec_b32 s7, s7
	v_mov_b32_e32 v2, 8
	s_mov_b32 s12, 0
	s_wait_alu 0xfffe
	s_xor_b32 exec_lo, exec_lo, s7
; %bb.236:                              ;   in Loop: Header=BB133_26 Depth=1
	v_sub_co_u32 v4, vcc_lo, v4, s10
	s_wait_alu 0xfffd
	v_subrev_co_ci_u32_e64 v5, null, s11, v5, vcc_lo
	v_mov_b32_e32 v2, 0
	s_mov_b32 s12, exec_lo
; %bb.237:                              ;   in Loop: Header=BB133_26 Depth=1
	s_or_b32 exec_lo, exec_lo, s7
	s_delay_alu instid0(VALU_DEP_2)
	v_dual_mov_b32 v7, v5 :: v_dual_mov_b32 v6, v4
	s_wait_alu 0xfffe
	s_and_b32 s7, s12, exec_lo
.LBB133_238:                            ;   in Loop: Header=BB133_26 Depth=1
	s_wait_alu 0xfffe
	s_or_b32 exec_lo, exec_lo, s6
	s_mov_b32 s6, -1
                                        ; implicit-def: $sgpr69
                                        ; implicit-def: $sgpr68
	s_and_saveexec_b32 s15, s7
	s_cbranch_execz .LBB133_287
; %bb.239:                              ;   in Loop: Header=BB133_26 Depth=1
	v_cmp_eq_u64_e32 vcc_lo, 1, v[6:7]
	s_cmp_eq_u64 s[8:9], 1
	s_mov_b32 s7, -1
	s_cselect_b32 s6, -1, 0
                                        ; implicit-def: $sgpr69
                                        ; implicit-def: $sgpr68
	s_wait_alu 0xfffe
	s_and_b32 s60, s6, vcc_lo
	s_wait_alu 0xfffe
	s_and_saveexec_b32 s67, s60
	s_cbranch_execz .LBB133_275
; %bb.240:                              ;   in Loop: Header=BB133_26 Depth=1
	ds_load_b64 v[4:5], v3 offset:5120
	s_wait_loadcnt_dscnt 0x0
	s_barrier_signal -1
	s_barrier_wait -1
	global_inv scope:SCOPE_SE
	v_readfirstlane_b32 s6, v4
	v_readfirstlane_b32 s7, v5
	s_and_saveexec_b32 s10, s0
; %bb.241:                              ;   in Loop: Header=BB133_26 Depth=1
	ds_store_b16 v27, v3
; %bb.242:                              ;   in Loop: Header=BB133_26 Depth=1
	s_wait_alu 0xfffe
	s_or_b32 exec_lo, exec_lo, s10
	v_or_b32_e32 v30, s16, v30
	v_or_b32_e32 v34, s16, v34
	s_mov_b32 s68, -1
	s_mov_b32 s69, 0
	s_cmp_eq_u64 s[6:7], 0
	s_mov_b32 s12, 0
	s_mov_b32 s13, -1
	s_wait_loadcnt_dscnt 0x0
	s_barrier_signal -1
	s_barrier_wait -1
	global_inv scope:SCOPE_SE
                                        ; implicit-def: $vgpr35
	s_cbranch_scc1 .LBB133_259
; %bb.243:                              ;   in Loop: Header=BB133_26 Depth=1
	s_add_nc_u64 s[10:11], s[6:7], s[54:55]
	s_mov_b32 s12, s53
	s_wait_alu 0xfffe
	s_mov_b32 s13, s11
	s_wait_alu 0xfffe
	s_cmp_lg_u64 s[12:13], 0
	s_cbranch_scc0 .LBB133_294
; %bb.244:                              ;   in Loop: Header=BB133_26 Depth=1
	s_cvt_f32_u32 s12, s50
	s_sub_nc_u64 s[70:71], 0, s[50:51]
	s_wait_alu 0xfffe
	s_delay_alu instid0(SALU_CYCLE_1) | instskip(SKIP_1) | instid1(SALU_CYCLE_2)
	s_fmamk_f32 s12, s81, 0x0, s12
	s_wait_alu 0xfffe
	v_s_rcp_f32 s12, s12
	s_delay_alu instid0(TRANS32_DEP_1) | instskip(SKIP_1) | instid1(SALU_CYCLE_2)
	s_mul_f32 s12, s12, 0x5f7ffffc
	s_wait_alu 0xfffe
	s_mul_f32 s13, s12, 0x2f800000
	s_wait_alu 0xfffe
	s_delay_alu instid0(SALU_CYCLE_2) | instskip(SKIP_1) | instid1(SALU_CYCLE_2)
	s_trunc_f32 s13, s13
	s_wait_alu 0xfffe
	s_fmamk_f32 s12, s13, 0xcf800000, s12
	s_cvt_u32_f32 s13, s13
	s_wait_alu 0xfffe
	s_delay_alu instid0(SALU_CYCLE_1) | instskip(SKIP_1) | instid1(SALU_CYCLE_2)
	s_cvt_u32_f32 s12, s12
	s_wait_alu 0xfffe
	s_mul_u64 s[92:93], s[70:71], s[12:13]
	s_wait_alu 0xfffe
	s_mul_hi_u32 s95, s12, s93
	s_mul_i32 s94, s12, s93
	s_mul_hi_u32 s52, s12, s92
	s_mul_i32 s97, s13, s92
	s_wait_alu 0xfffe
	s_add_nc_u64 s[94:95], s[52:53], s[94:95]
	s_mul_hi_u32 s96, s13, s92
	s_mul_hi_u32 s98, s13, s93
	s_add_co_u32 s52, s94, s97
	s_add_co_ci_u32 s52, s95, s96
	s_mul_i32 s92, s13, s93
	s_add_co_ci_u32 s93, s98, 0
	s_wait_alu 0xfffe
	s_add_nc_u64 s[92:93], s[52:53], s[92:93]
	s_wait_alu 0xfffe
	s_add_co_u32 s12, s12, s92
	s_cselect_b32 s52, -1, 0
	s_wait_alu 0xfffe
	s_cmp_lg_u32 s52, 0
	s_add_co_ci_u32 s13, s13, s93
	s_wait_alu 0xfffe
	s_mul_u64 s[70:71], s[70:71], s[12:13]
	s_wait_alu 0xfffe
	s_mul_hi_u32 s93, s12, s71
	s_mul_i32 s92, s12, s71
	s_mul_hi_u32 s52, s12, s70
	s_mul_i32 s95, s13, s70
	s_wait_alu 0xfffe
	s_add_nc_u64 s[92:93], s[52:53], s[92:93]
	s_mul_hi_u32 s94, s13, s70
	s_mul_hi_u32 s96, s13, s71
	s_wait_alu 0xfffe
	s_add_co_u32 s52, s92, s95
	s_add_co_ci_u32 s52, s93, s94
	s_mul_i32 s70, s13, s71
	s_add_co_ci_u32 s71, s96, 0
	s_wait_alu 0xfffe
	s_add_nc_u64 s[70:71], s[52:53], s[70:71]
	s_wait_alu 0xfffe
	s_add_co_u32 s12, s12, s70
	s_cselect_b32 s70, -1, 0
	s_wait_alu 0xfffe
	s_mul_hi_u32 s52, s10, s12
	s_cmp_lg_u32 s70, 0
	s_mul_hi_u32 s92, s11, s12
	s_add_co_ci_u32 s70, s13, s71
	s_mul_i32 s71, s11, s12
	s_wait_alu 0xfffe
	s_mul_hi_u32 s13, s10, s70
	s_mul_i32 s12, s10, s70
	s_mul_hi_u32 s93, s11, s70
	s_wait_alu 0xfffe
	s_add_nc_u64 s[12:13], s[52:53], s[12:13]
	s_mul_i32 s70, s11, s70
	s_wait_alu 0xfffe
	s_add_co_u32 s12, s12, s71
	s_add_co_ci_u32 s52, s13, s92
	s_add_co_ci_u32 s71, s93, 0
	s_wait_alu 0xfffe
	s_add_nc_u64 s[12:13], s[52:53], s[70:71]
	s_wait_alu 0xfffe
	s_mul_u64 s[12:13], s[50:51], s[12:13]
	s_wait_alu 0xfffe
	s_sub_co_u32 s12, s10, s12
	s_cselect_b32 s52, -1, 0
	s_wait_alu 0xfffe
	s_cmp_lg_u32 s52, 0
	s_sub_co_ci_u32 s13, s11, s13
	s_sub_co_u32 s52, s12, s50
	s_cselect_b32 s70, -1, 0
	s_wait_alu 0xfffe
	s_cmp_lg_u32 s70, 0
	s_sub_co_ci_u32 s70, s13, 0
	;; [unrolled: 5-line block ×3, first 2 shown]
	s_cmp_ge_u32 s52, s50
	s_cselect_b32 s93, -1, 0
	s_cmp_eq_u32 s70, 0
	s_wait_alu 0xfffe
	s_cselect_b32 s93, s93, -1
	s_wait_alu 0xfffe
	s_cmp_lg_u32 s93, 0
	s_cselect_b32 s70, s92, s70
	s_cselect_b32 s52, s71, s52
	s_cmp_ge_u32 s12, s50
	s_cselect_b32 s71, -1, 0
	s_cmp_eq_u32 s13, 0
	s_wait_alu 0xfffe
	s_cselect_b32 s71, s71, -1
	s_wait_alu 0xfffe
	s_cmp_lg_u32 s71, 0
	s_cselect_b32 s13, s70, s13
	s_cselect_b32 s12, s52, s12
	s_cbranch_execnz .LBB133_246
.LBB133_245:                            ;   in Loop: Header=BB133_26 Depth=1
	v_cvt_f32_u32_e32 v4, s50
	s_sub_co_i32 s13, 0, s50
	s_delay_alu instid0(VALU_DEP_1) | instskip(NEXT) | instid1(TRANS32_DEP_1)
	v_rcp_iflag_f32_e32 v4, v4
	v_mul_f32_e32 v4, 0x4f7ffffe, v4
	s_delay_alu instid0(VALU_DEP_1) | instskip(NEXT) | instid1(VALU_DEP_1)
	v_cvt_u32_f32_e32 v4, v4
	v_readfirstlane_b32 s12, v4
	s_wait_alu 0xfffe
	s_mul_i32 s13, s13, s12
	s_wait_alu 0xfffe
	s_mul_hi_u32 s13, s12, s13
	s_wait_alu 0xfffe
	s_add_co_i32 s12, s12, s13
	s_wait_alu 0xfffe
	s_mul_hi_u32 s12, s10, s12
	s_wait_alu 0xfffe
	s_mul_i32 s12, s12, s50
	s_wait_alu 0xfffe
	s_sub_co_i32 s12, s10, s12
	s_wait_alu 0xfffe
	s_sub_co_i32 s13, s12, s50
	s_cmp_ge_u32 s12, s50
	s_wait_alu 0xfffe
	s_cselect_b32 s12, s13, s12
	s_wait_alu 0xfffe
	s_sub_co_i32 s13, s12, s50
	s_cmp_ge_u32 s12, s50
	s_wait_alu 0xfffe
	s_cselect_b32 s52, s13, s12
	s_wait_alu 0xfffe
	s_mov_b64 s[12:13], s[52:53]
.LBB133_246:                            ;   in Loop: Header=BB133_26 Depth=1
	s_wait_alu 0xfffe
	s_sub_nc_u64 s[10:11], s[10:11], s[12:13]
	s_mov_b32 s13, 0
	s_mov_b32 s12, 0
	s_mov_b32 s52, exec_lo
                                        ; implicit-def: $vgpr35
	s_wait_alu 0xfffe
	v_cmpx_gt_u64_e64 s[10:11], v[0:1]
	s_cbranch_execz .LBB133_258
; %bb.247:                              ;   in Loop: Header=BB133_26 Depth=1
	v_dual_mov_b32 v8, v26 :: v_dual_mov_b32 v5, v1
	v_mov_b32_e32 v4, v0
                                        ; implicit-def: $sgpr70
	s_branch .LBB133_251
.LBB133_248:                            ;   in Loop: Header=BB133_251 Depth=2
	s_wait_alu 0xfffe
	s_or_b32 exec_lo, exec_lo, s71
	s_wait_loadcnt_dscnt 0x0
	s_barrier_signal -1
	s_barrier_wait -1
	global_inv scope:SCOPE_SE
	ds_load_b32 v9, v3 offset:3072
	s_wait_loadcnt_dscnt 0x0
	s_barrier_signal -1
	s_barrier_wait -1
	global_inv scope:SCOPE_SE
	v_cmp_neq_f16_e32 vcc_lo, 0, v9
	s_cbranch_vccnz .LBB133_254
; %bb.249:                              ;   in Loop: Header=BB133_251 Depth=2
	v_add_co_u32 v4, vcc_lo, v4, s50
	s_wait_alu 0xfffd
	v_add_co_ci_u32_e64 v5, null, 0, v5, vcc_lo
	v_add_nc_u32_e32 v8, s80, v8
	s_mov_b32 s71, 0
	s_delay_alu instid0(VALU_DEP_2)
	v_cmp_le_u64_e32 vcc_lo, s[10:11], v[4:5]
	s_or_not1_b32 s92, vcc_lo, exec_lo
.LBB133_250:                            ;   in Loop: Header=BB133_251 Depth=2
	s_wait_alu 0xfffe
	s_and_b32 s92, exec_lo, s92
	s_wait_alu 0xfffe
	s_or_b32 s12, s92, s12
	s_and_not1_b32 s70, s70, exec_lo
	s_and_b32 s71, s71, exec_lo
	s_wait_alu 0xfffe
	s_or_b32 s70, s70, s71
	s_and_not1_b32 exec_lo, exec_lo, s12
	s_cbranch_execz .LBB133_257
.LBB133_251:                            ;   Parent Loop BB133_26 Depth=1
                                        ; =>  This Inner Loop Header: Depth=2
	s_mov_b32 s71, exec_lo
	s_delay_alu instid0(VALU_DEP_1)
	v_cmpx_gt_u64_e64 s[6:7], v[4:5]
	s_cbranch_execz .LBB133_248
; %bb.252:                              ;   in Loop: Header=BB133_251 Depth=2
	ds_load_u16 v9, v8
	s_wait_dscnt 0x0
	v_cmp_lt_i16_e32 vcc_lo, -1, v9
	v_and_b32_e32 v10, 0xffff, v9
	s_wait_alu 0xfffd
	v_cndmask_b32_e32 v11, 0xffff, v33, vcc_lo
	v_cmp_o_f16_e32 vcc_lo, v9, v9
	s_delay_alu instid0(VALU_DEP_2) | instskip(SKIP_1) | instid1(VALU_DEP_1)
	v_xor_b32_e32 v10, v11, v10
	s_wait_alu 0xfffd
	v_cndmask_b32_e32 v10, 0xffff, v10, vcc_lo
	s_delay_alu instid0(VALU_DEP_1) | instskip(NEXT) | instid1(VALU_DEP_1)
	v_and_b32_e32 v10, v10, v34
	v_cmp_eq_u32_e32 vcc_lo, v10, v30
	s_and_b32 exec_lo, exec_lo, vcc_lo
	s_cbranch_execz .LBB133_248
; %bb.253:                              ;   in Loop: Header=BB133_251 Depth=2
	v_perm_b32 v9, v9, s84, 0x5040100
	ds_store_b32 v3, v9 offset:3072
	s_branch .LBB133_248
.LBB133_254:                            ;   in Loop: Header=BB133_251 Depth=2
	s_mov_b32 s92, -1
	s_mov_b32 s71, -1
                                        ; implicit-def: $vgpr4_vgpr5
                                        ; implicit-def: $vgpr8
	s_branch .LBB133_250
.LBB133_255:                            ;   in Loop: Header=BB133_26 Depth=1
                                        ; implicit-def: $sgpr14_sgpr15
	s_branch .LBB133_198
.LBB133_256:                            ;   in Loop: Header=BB133_26 Depth=1
                                        ; implicit-def: $sgpr6_sgpr7
	s_branch .LBB133_215
.LBB133_257:                            ;   in Loop: Header=BB133_26 Depth=1
	s_or_b32 exec_lo, exec_lo, s12
	v_lshrrev_b32_e32 v35, 16, v9
	s_wait_alu 0xfffe
	s_and_b32 s12, s70, exec_lo
.LBB133_258:                            ;   in Loop: Header=BB133_26 Depth=1
	s_or_b32 exec_lo, exec_lo, s52
.LBB133_259:                            ;   in Loop: Header=BB133_26 Depth=1
	s_wait_alu 0xfffe
	s_and_b32 vcc_lo, exec_lo, s13
	s_wait_alu 0xfffe
	s_cbranch_vccz .LBB133_274
; %bb.260:                              ;   in Loop: Header=BB133_26 Depth=1
	s_mov_b32 s6, s53
	s_mov_b32 s7, s57
	s_wait_alu 0xfffe
	s_cmp_lg_u64 s[6:7], 0
	s_cbranch_scc0 .LBB133_295
; %bb.261:                              ;   in Loop: Header=BB133_26 Depth=1
	s_cvt_f32_u32 s6, s50
	s_sub_nc_u64 s[10:11], 0, s[50:51]
	s_wait_alu 0xfffe
	s_delay_alu instid0(SALU_CYCLE_1) | instskip(SKIP_1) | instid1(SALU_CYCLE_2)
	s_fmamk_f32 s6, s81, 0x0, s6
	s_wait_alu 0xfffe
	v_s_rcp_f32 s6, s6
	s_delay_alu instid0(TRANS32_DEP_1) | instskip(SKIP_1) | instid1(SALU_CYCLE_2)
	s_mul_f32 s6, s6, 0x5f7ffffc
	s_wait_alu 0xfffe
	s_mul_f32 s7, s6, 0x2f800000
	s_wait_alu 0xfffe
	s_delay_alu instid0(SALU_CYCLE_2) | instskip(SKIP_1) | instid1(SALU_CYCLE_2)
	s_trunc_f32 s7, s7
	s_wait_alu 0xfffe
	s_fmamk_f32 s6, s7, 0xcf800000, s6
	s_cvt_u32_f32 s7, s7
	s_wait_alu 0xfffe
	s_delay_alu instid0(SALU_CYCLE_1) | instskip(SKIP_1) | instid1(SALU_CYCLE_2)
	s_cvt_u32_f32 s6, s6
	s_wait_alu 0xfffe
	s_mul_u64 s[68:69], s[10:11], s[6:7]
	s_wait_alu 0xfffe
	s_mul_hi_u32 s71, s6, s69
	s_mul_i32 s70, s6, s69
	s_mul_hi_u32 s52, s6, s68
	s_mul_i32 s92, s7, s68
	s_wait_alu 0xfffe
	s_add_nc_u64 s[70:71], s[52:53], s[70:71]
	s_mul_hi_u32 s13, s7, s68
	s_mul_hi_u32 s93, s7, s69
	s_wait_alu 0xfffe
	s_add_co_u32 s52, s70, s92
	s_add_co_ci_u32 s52, s71, s13
	s_mul_i32 s68, s7, s69
	s_add_co_ci_u32 s69, s93, 0
	s_wait_alu 0xfffe
	s_add_nc_u64 s[68:69], s[52:53], s[68:69]
	s_wait_alu 0xfffe
	s_add_co_u32 s6, s6, s68
	s_cselect_b32 s13, -1, 0
	s_wait_alu 0xfffe
	s_cmp_lg_u32 s13, 0
	s_add_co_ci_u32 s7, s7, s69
	s_wait_alu 0xfffe
	s_mul_u64 s[10:11], s[10:11], s[6:7]
	s_wait_alu 0xfffe
	s_mul_hi_u32 s69, s6, s11
	s_mul_i32 s68, s6, s11
	s_mul_hi_u32 s52, s6, s10
	s_mul_i32 s70, s7, s10
	s_wait_alu 0xfffe
	s_add_nc_u64 s[68:69], s[52:53], s[68:69]
	s_mul_hi_u32 s13, s7, s10
	s_mul_hi_u32 s71, s7, s11
	s_mul_i32 s10, s7, s11
	s_wait_alu 0xfffe
	s_add_co_u32 s11, s68, s70
	s_add_co_ci_u32 s52, s69, s13
	s_add_co_ci_u32 s11, s71, 0
	s_wait_alu 0xfffe
	s_add_nc_u64 s[10:11], s[52:53], s[10:11]
	s_wait_alu 0xfffe
	s_add_co_u32 s6, s6, s10
	s_cselect_b32 s10, -1, 0
	s_wait_alu 0xfffe
	s_mul_hi_u32 s52, s56, s6
	s_cmp_lg_u32 s10, 0
	s_mul_hi_u32 s13, s57, s6
	s_add_co_ci_u32 s10, s7, s11
	s_mul_i32 s11, s57, s6
	s_wait_alu 0xfffe
	s_mul_hi_u32 s7, s56, s10
	s_mul_i32 s6, s56, s10
	s_mul_hi_u32 s68, s57, s10
	s_wait_alu 0xfffe
	s_add_nc_u64 s[6:7], s[52:53], s[6:7]
	s_mul_i32 s10, s57, s10
	s_wait_alu 0xfffe
	s_add_co_u32 s6, s6, s11
	s_add_co_ci_u32 s52, s7, s13
	s_add_co_ci_u32 s11, s68, 0
	s_wait_alu 0xfffe
	s_add_nc_u64 s[6:7], s[52:53], s[10:11]
	s_wait_alu 0xfffe
	s_mul_u64 s[6:7], s[50:51], s[6:7]
	s_wait_alu 0xfffe
	s_sub_co_u32 s6, s56, s6
	s_cselect_b32 s10, -1, 0
	s_wait_alu 0xfffe
	s_cmp_lg_u32 s10, 0
	s_sub_co_ci_u32 s7, s57, s7
	s_sub_co_u32 s10, s6, s50
	s_cselect_b32 s11, -1, 0
	s_wait_alu 0xfffe
	s_cmp_lg_u32 s11, 0
	s_sub_co_ci_u32 s11, s7, 0
	;; [unrolled: 5-line block ×3, first 2 shown]
	s_cmp_ge_u32 s10, s50
	s_cselect_b32 s68, -1, 0
	s_cmp_eq_u32 s11, 0
	s_wait_alu 0xfffe
	s_cselect_b32 s68, s68, -1
	s_wait_alu 0xfffe
	s_cmp_lg_u32 s68, 0
	s_cselect_b32 s11, s52, s11
	s_cselect_b32 s10, s13, s10
	s_cmp_ge_u32 s6, s50
	s_cselect_b32 s13, -1, 0
	s_cmp_eq_u32 s7, 0
	s_wait_alu 0xfffe
	s_cselect_b32 s13, s13, -1
	s_wait_alu 0xfffe
	s_cmp_lg_u32 s13, 0
	s_cselect_b32 s7, s11, s7
	s_cselect_b32 s6, s10, s6
	s_cbranch_execnz .LBB133_263
.LBB133_262:                            ;   in Loop: Header=BB133_26 Depth=1
	v_cvt_f32_u32_e32 v4, s50
	s_sub_co_i32 s7, 0, s50
	s_delay_alu instid0(VALU_DEP_1) | instskip(NEXT) | instid1(TRANS32_DEP_1)
	v_rcp_iflag_f32_e32 v4, v4
	v_mul_f32_e32 v4, 0x4f7ffffe, v4
	s_delay_alu instid0(VALU_DEP_1) | instskip(NEXT) | instid1(VALU_DEP_1)
	v_cvt_u32_f32_e32 v4, v4
	v_readfirstlane_b32 s6, v4
	s_wait_alu 0xfffe
	s_mul_i32 s7, s7, s6
	s_wait_alu 0xfffe
	s_mul_hi_u32 s7, s6, s7
	s_wait_alu 0xfffe
	s_add_co_i32 s6, s6, s7
	s_wait_alu 0xfffe
	s_mul_hi_u32 s6, s56, s6
	s_wait_alu 0xfffe
	s_mul_i32 s6, s6, s50
	s_wait_alu 0xfffe
	s_sub_co_i32 s6, s56, s6
	s_wait_alu 0xfffe
	s_sub_co_i32 s7, s6, s50
	s_cmp_ge_u32 s6, s50
	s_wait_alu 0xfffe
	s_cselect_b32 s6, s7, s6
	s_wait_alu 0xfffe
	s_sub_co_i32 s7, s6, s50
	s_cmp_ge_u32 s6, s50
	s_wait_alu 0xfffe
	s_cselect_b32 s52, s7, s6
	s_wait_alu 0xfffe
	s_mov_b64 s[6:7], s[52:53]
.LBB133_263:                            ;   in Loop: Header=BB133_26 Depth=1
	s_wait_alu 0xfffe
	s_sub_nc_u64 s[6:7], s[56:57], s[6:7]
	s_mov_b32 s10, exec_lo
                                        ; implicit-def: $vgpr35
	s_wait_alu 0xfffe
	v_cmpx_gt_u64_e64 s[6:7], v[0:1]
	s_cbranch_execz .LBB133_273
; %bb.264:                              ;   in Loop: Header=BB133_26 Depth=1
	v_dual_mov_b32 v5, v1 :: v_dual_mov_b32 v4, v0
	s_mov_b32 s11, 0
                                        ; implicit-def: $sgpr13
	s_branch .LBB133_268
.LBB133_265:                            ;   in Loop: Header=BB133_268 Depth=2
	s_wait_alu 0xfffe
	s_or_b32 exec_lo, exec_lo, s52
	s_wait_loadcnt_dscnt 0x0
	s_barrier_signal -1
	s_barrier_wait -1
	global_inv scope:SCOPE_SE
	ds_load_b32 v8, v3 offset:3072
	s_wait_loadcnt_dscnt 0x0
	s_barrier_signal -1
	s_barrier_wait -1
	global_inv scope:SCOPE_SE
	v_cmp_eq_f16_e32 vcc_lo, 0, v8
	s_cbranch_vccz .LBB133_271
; %bb.266:                              ;   in Loop: Header=BB133_268 Depth=2
	v_add_co_u32 v4, vcc_lo, v4, s50
	s_wait_alu 0xfffd
	v_add_co_ci_u32_e64 v5, null, 0, v5, vcc_lo
	s_mov_b32 s52, 0
	v_cmp_le_u64_e32 vcc_lo, s[6:7], v[4:5]
	s_or_not1_b32 s68, vcc_lo, exec_lo
.LBB133_267:                            ;   in Loop: Header=BB133_268 Depth=2
	s_wait_alu 0xfffe
	s_and_b32 s68, exec_lo, s68
	s_wait_alu 0xfffe
	s_or_b32 s11, s68, s11
	s_and_not1_b32 s13, s13, exec_lo
	s_and_b32 s52, s52, exec_lo
	s_wait_alu 0xfffe
	s_or_b32 s13, s13, s52
	s_and_not1_b32 exec_lo, exec_lo, s11
	s_cbranch_execz .LBB133_272
.LBB133_268:                            ;   Parent Loop BB133_26 Depth=1
                                        ; =>  This Inner Loop Header: Depth=2
	s_mov_b32 s52, exec_lo
	s_delay_alu instid0(VALU_DEP_1)
	v_cmpx_gt_u64_e64 s[20:21], v[4:5]
	s_cbranch_execz .LBB133_265
; %bb.269:                              ;   in Loop: Header=BB133_268 Depth=2
	v_mul_lo_u32 v10, v5, s36
	v_mul_lo_u32 v11, v4, s37
	v_mad_co_u64_u32 v[8:9], null, v4, s36, 0
	s_delay_alu instid0(VALU_DEP_1) | instskip(NEXT) | instid1(VALU_DEP_1)
	v_add3_u32 v9, v9, v11, v10
	v_lshlrev_b64_e32 v[8:9], 1, v[8:9]
	s_delay_alu instid0(VALU_DEP_1) | instskip(SKIP_1) | instid1(VALU_DEP_2)
	v_add_co_u32 v8, vcc_lo, s44, v8
	s_wait_alu 0xfffd
	v_add_co_ci_u32_e64 v9, null, s45, v9, vcc_lo
	global_load_u16 v8, v[8:9], off
	s_wait_loadcnt 0x0
	v_cmp_lt_i16_e32 vcc_lo, -1, v8
	s_wait_alu 0xfffd
	v_dual_cndmask_b32 v10, 0xffff, v33 :: v_dual_and_b32 v9, 0xffff, v8
	v_cmp_o_f16_e32 vcc_lo, v8, v8
	s_delay_alu instid0(VALU_DEP_2) | instskip(SKIP_1) | instid1(VALU_DEP_1)
	v_xor_b32_e32 v9, v10, v9
	s_wait_alu 0xfffd
	v_cndmask_b32_e32 v9, 0xffff, v9, vcc_lo
	s_delay_alu instid0(VALU_DEP_1) | instskip(NEXT) | instid1(VALU_DEP_1)
	v_and_b32_e32 v9, v9, v34
	v_cmp_eq_u32_e32 vcc_lo, v9, v30
	s_and_b32 exec_lo, exec_lo, vcc_lo
	s_cbranch_execz .LBB133_265
; %bb.270:                              ;   in Loop: Header=BB133_268 Depth=2
	v_perm_b32 v8, v8, s84, 0x5040100
	ds_store_b32 v3, v8 offset:3072
	s_branch .LBB133_265
.LBB133_271:                            ;   in Loop: Header=BB133_268 Depth=2
	s_mov_b32 s68, -1
	s_mov_b32 s52, -1
                                        ; implicit-def: $vgpr4_vgpr5
	s_branch .LBB133_267
.LBB133_272:                            ;   in Loop: Header=BB133_26 Depth=1
	s_or_b32 exec_lo, exec_lo, s11
	v_lshrrev_b32_e32 v35, 16, v8
	s_and_not1_b32 s6, s12, exec_lo
	s_wait_alu 0xfffe
	s_and_b32 s7, s13, exec_lo
	s_wait_alu 0xfffe
	s_or_b32 s12, s6, s7
.LBB133_273:                            ;   in Loop: Header=BB133_26 Depth=1
	s_or_b32 exec_lo, exec_lo, s10
	s_mov_b32 s68, 0
	s_mov_b32 s69, -1
.LBB133_274:                            ;   in Loop: Header=BB133_26 Depth=1
	s_wait_alu 0xfffe
	s_or_not1_b32 s7, s12, exec_lo
.LBB133_275:                            ;   in Loop: Header=BB133_26 Depth=1
	s_wait_alu 0xfffe
	s_or_b32 exec_lo, exec_lo, s67
	s_mov_b32 s10, 0
	s_and_saveexec_b32 s6, s7
	s_cbranch_execz .LBB133_286
; %bb.276:                              ;   in Loop: Header=BB133_26 Depth=1
	v_mov_b32_e32 v4, 1
	v_dual_mov_b32 v5, 0 :: v_dual_mov_b32 v2, 1
	s_xor_b32 s10, s60, -1
	s_wait_alu 0xfffe
	s_and_saveexec_b32 s7, s10
	s_cbranch_execz .LBB133_285
; %bb.277:                              ;   in Loop: Header=BB133_26 Depth=1
	s_mov_b32 s10, exec_lo
	v_cmpx_ge_u64_e64 s[8:9], v[6:7]
	s_wait_alu 0xfffe
	s_xor_b32 s10, exec_lo, s10
	s_cbranch_execz .LBB133_282
; %bb.278:                              ;   in Loop: Header=BB133_26 Depth=1
	ds_load_b64 v[4:5], v3 offset:5120
	v_or_b32_e32 v30, s16, v30
	v_or_b32_e32 v34, s16, v34
	s_wait_dscnt 0x0
	v_cmp_ne_u64_e32 vcc_lo, 0, v[4:5]
	s_cbranch_vccnz .LBB133_282
; %bb.279:                              ;   in Loop: Header=BB133_26 Depth=1
	s_and_saveexec_b32 s11, s3
; %bb.280:                              ;   in Loop: Header=BB133_26 Depth=1
	v_dual_mov_b32 v4, s8 :: v_dual_mov_b32 v5, s9
	ds_store_b64 v3, v[4:5] offset:5128
; %bb.281:                              ;   in Loop: Header=BB133_26 Depth=1
	s_wait_alu 0xfffe
	s_or_b32 exec_lo, exec_lo, s11
	s_wait_loadcnt_dscnt 0x0
	s_barrier_signal -1
	s_barrier_wait -1
	global_inv scope:SCOPE_SE
.LBB133_282:                            ;   in Loop: Header=BB133_26 Depth=1
	s_wait_alu 0xfffe
	s_and_not1_saveexec_b32 s10, s10
; %bb.283:                              ;   in Loop: Header=BB133_26 Depth=1
	v_sub_co_u32 v6, vcc_lo, v6, s8
	s_wait_alu 0xfffd
	v_subrev_co_ci_u32_e64 v7, null, s9, v7, vcc_lo
; %bb.284:                              ;   in Loop: Header=BB133_26 Depth=1
	s_wait_alu 0xfffe
	s_or_b32 exec_lo, exec_lo, s10
	v_mov_b32_e32 v4, v6
	s_delay_alu instid0(VALU_DEP_2)
	v_dual_mov_b32 v2, 8 :: v_dual_mov_b32 v5, v7
.LBB133_285:                            ;   in Loop: Header=BB133_26 Depth=1
	s_wait_alu 0xfffe
	s_or_b32 exec_lo, exec_lo, s7
	s_delay_alu instid0(VALU_DEP_1)
	v_dual_mov_b32 v7, v5 :: v_dual_mov_b32 v6, v4
	s_mov_b32 s10, exec_lo
.LBB133_286:                            ;   in Loop: Header=BB133_26 Depth=1
	s_wait_alu 0xfffe
	s_or_b32 exec_lo, exec_lo, s6
	s_delay_alu instid0(SALU_CYCLE_1)
	s_or_not1_b32 s6, s10, exec_lo
.LBB133_287:                            ;   in Loop: Header=BB133_26 Depth=1
	s_wait_alu 0xfffe
	s_or_b32 exec_lo, exec_lo, s15
	v_dual_mov_b32 v4, v6 :: v_dual_mov_b32 v5, v7
	s_and_not1_b32 s7, s66, exec_lo
	s_and_b32 s8, s69, exec_lo
	s_and_not1_b32 s9, s65, exec_lo
	s_and_b32 s10, s68, exec_lo
	s_wait_alu 0xfffe
	s_or_b32 s66, s7, s8
	s_or_b32 s65, s9, s10
	s_and_b32 s7, s6, exec_lo
.LBB133_288:                            ;   in Loop: Header=BB133_26 Depth=1
	s_wait_alu 0xfffe
	s_or_b32 exec_lo, exec_lo, s14
	s_delay_alu instid0(SALU_CYCLE_1)
	s_or_not1_b32 s6, s7, exec_lo
.LBB133_289:                            ;   in Loop: Header=BB133_26 Depth=1
	s_wait_alu 0xfffe
	s_or_b32 exec_lo, exec_lo, s64
	v_dual_mov_b32 v9, v5 :: v_dual_mov_b32 v8, v4
	s_and_not1_b32 s7, s62, exec_lo
	s_and_b32 s8, s66, exec_lo
	s_and_not1_b32 s9, s61, exec_lo
	s_and_b32 s10, s65, exec_lo
	s_wait_alu 0xfffe
	s_or_b32 s62, s7, s8
	s_or_b32 s61, s9, s10
	s_and_b32 s7, s6, exec_lo
.LBB133_290:                            ;   in Loop: Header=BB133_26 Depth=1
	s_wait_alu 0xfffe
	s_or_b32 exec_lo, exec_lo, s63
	s_delay_alu instid0(SALU_CYCLE_1)
	s_or_not1_b32 s6, s7, exec_lo
.LBB133_291:                            ;   in Loop: Header=BB133_26 Depth=1
	s_wait_alu 0xfffe
	s_or_b32 exec_lo, exec_lo, s19
	s_mov_b32 s7, 0
	s_and_saveexec_b32 s8, s6
	s_wait_alu 0xfffe
	s_xor_b32 s6, exec_lo, s8
	s_cbranch_execz .LBB133_24
; %bb.292:                              ;   in Loop: Header=BB133_26 Depth=1
	v_and_b32_e32 v2, 7, v2
	s_mov_b32 s8, -1
	s_mov_b32 s7, -1
	s_mov_b32 s9, exec_lo
	s_delay_alu instid0(VALU_DEP_1)
	v_cmpx_eq_u32_e32 0, v2
	s_cbranch_execz .LBB133_23
; %bb.293:                              ;   in Loop: Header=BB133_26 Depth=1
	s_xor_b32 s85, s85, 1
	s_add_co_i32 s10, s82, -2
	s_cmp_eq_u32 s82, 0
	s_wait_alu 0xfffe
	s_mov_b32 s82, s10
	s_cselect_b32 s8, -1, 0
	s_xor_b32 s7, exec_lo, -1
	s_wait_alu 0xfffe
	s_or_not1_b32 s8, s8, exec_lo
	s_branch .LBB133_23
.LBB133_294:                            ;   in Loop: Header=BB133_26 Depth=1
                                        ; implicit-def: $sgpr12_sgpr13
	s_branch .LBB133_245
.LBB133_295:                            ;   in Loop: Header=BB133_26 Depth=1
                                        ; implicit-def: $sgpr6_sgpr7
	s_branch .LBB133_262
.LBB133_296:
	s_or_b32 exec_lo, exec_lo, s83
	s_xor_b32 s3, s91, -1
	s_xor_b32 s1, s89, -1
	;; [unrolled: 1-line block ×3, first 2 shown]
	s_mov_b32 s0, 0
	s_and_saveexec_b32 s5, s1
	s_wait_alu 0xfffe
	s_xor_b32 s1, exec_lo, s5
	s_cbranch_execnz .LBB133_301
; %bb.297:
	s_and_not1_saveexec_b32 s1, s1
	s_cbranch_execnz .LBB133_314
.LBB133_298:
	s_or_b32 exec_lo, exec_lo, s1
	s_and_saveexec_b32 s1, s0
.LBB133_299:
	; divergent unreachable
.LBB133_300:
	s_endpgm
.LBB133_301:
	s_and_saveexec_b32 s0, s3
	s_delay_alu instid0(SALU_CYCLE_1)
	s_xor_b32 s3, exec_lo, s0
	s_cbranch_execz .LBB133_312
; %bb.302:
	s_and_saveexec_b32 s0, s4
	s_delay_alu instid0(SALU_CYCLE_1)
	s_xor_b32 s0, exec_lo, s0
; %bb.303:
	v_and_b32_e32 v2, 0x8000, v30
	v_mov_b32_e32 v3, 0xffff
	s_delay_alu instid0(VALU_DEP_2) | instskip(SKIP_1) | instid1(VALU_DEP_2)
	v_cmp_eq_u32_e32 vcc_lo, 0, v2
	s_wait_alu 0xfffd
	v_cndmask_b32_e32 v2, 0x8000, v3, vcc_lo
	s_delay_alu instid0(VALU_DEP_1)
	v_xor_b32_e32 v35, v2, v30
; %bb.304:
	s_or_b32 exec_lo, exec_lo, s0
	s_mul_u64 s[4:5], s[42:43], s[40:41]
	s_mul_u64 s[6:7], s[42:43], s[28:29]
	s_wait_alu 0xfffe
	s_sub_nc_u64 s[4:5], s[34:35], s[4:5]
	s_lshl_b64 s[6:7], s[6:7], 1
	s_wait_alu 0xfffe
	s_mul_u64 s[4:5], s[4:5], s[30:31]
	v_mov_b32_e32 v2, 0
	s_add_nc_u64 s[6:7], s[48:49], s[6:7]
	s_wait_alu 0xfffe
	s_lshl_b64 s[4:5], s[4:5], 1
	s_wait_alu 0xfffe
	s_add_nc_u64 s[4:5], s[6:7], s[4:5]
	global_store_b16 v2, v35, s[4:5]
	s_and_saveexec_b32 s4, s2
	s_cbranch_execz .LBB133_311
; %bb.305:
	v_cmp_u_f16_e32 vcc_lo, v35, v35
	s_mov_b32 s2, 0
                                        ; implicit-def: $sgpr5
                                        ; implicit-def: $sgpr8
                                        ; implicit-def: $sgpr7
	s_xor_b32 s6, vcc_lo, -1
	s_branch .LBB133_307
.LBB133_306:                            ;   in Loop: Header=BB133_307 Depth=1
	s_or_b32 exec_lo, exec_lo, s0
	s_wait_alu 0xfffe
	s_and_b32 s0, exec_lo, s8
	s_delay_alu instid0(SALU_CYCLE_1)
	s_or_b32 s2, s0, s2
	s_and_not1_b32 s0, s5, exec_lo
	s_and_b32 s5, s7, exec_lo
	s_wait_alu 0xfffe
	s_or_b32 s5, s0, s5
	s_and_not1_b32 exec_lo, exec_lo, s2
	s_cbranch_execz .LBB133_309
.LBB133_307:                            ; =>This Inner Loop Header: Depth=1
	v_dual_mov_b32 v3, v1 :: v_dual_mov_b32 v2, v0
	s_or_b32 s7, s7, exec_lo
	s_or_b32 s8, s8, exec_lo
	s_delay_alu instid0(VALU_DEP_1) | instskip(NEXT) | instid1(VALU_DEP_2)
	v_mul_lo_u32 v4, v3, s36
	v_mul_lo_u32 v5, v2, s37
	v_mad_co_u64_u32 v[0:1], null, v2, s36, 0
	s_delay_alu instid0(VALU_DEP_1) | instskip(NEXT) | instid1(VALU_DEP_1)
	v_add3_u32 v1, v1, v5, v4
	v_lshlrev_b64_e32 v[0:1], 1, v[0:1]
	s_delay_alu instid0(VALU_DEP_1) | instskip(SKIP_1) | instid1(VALU_DEP_2)
	v_add_co_u32 v0, vcc_lo, s44, v0
	s_wait_alu 0xfffd
	v_add_co_ci_u32_e64 v1, null, s45, v1, vcc_lo
	global_load_u16 v0, v[0:1], off
	s_wait_loadcnt 0x0
	v_cmp_o_f16_e32 vcc_lo, v0, v0
	v_cmp_neq_f16_e64 s0, v0, v35
                                        ; implicit-def: $vgpr0_vgpr1
	s_wait_alu 0xfffe
	s_or_b32 s9, s6, vcc_lo
	s_wait_alu 0xfffe
	s_and_b32 s9, s0, s9
	s_wait_alu 0xfffe
	s_and_saveexec_b32 s0, s9
	s_cbranch_execz .LBB133_306
; %bb.308:                              ;   in Loop: Header=BB133_307 Depth=1
	v_add_co_u32 v0, vcc_lo, v2, s50
	s_wait_alu 0xfffd
	v_add_co_ci_u32_e64 v1, null, 0, v3, vcc_lo
	s_and_not1_b32 s8, s8, exec_lo
	s_and_not1_b32 s7, s7, exec_lo
	v_cmp_le_u64_e32 vcc_lo, s[20:21], v[0:1]
	s_and_b32 s9, vcc_lo, exec_lo
	s_wait_alu 0xfffe
	s_or_b32 s8, s8, s9
	s_branch .LBB133_306
.LBB133_309:
	s_or_b32 exec_lo, exec_lo, s2
	s_wait_alu 0xfffe
	s_and_saveexec_b32 s0, s5
	s_delay_alu instid0(SALU_CYCLE_1)
	s_xor_b32 s0, exec_lo, s0
	s_cbranch_execz .LBB133_311
; %bb.310:
	s_mul_u64 s[6:7], s[38:39], s[22:23]
	s_mul_u64 s[8:9], s[38:39], s[24:25]
	s_wait_alu 0xfffe
	s_sub_nc_u64 s[6:7], s[34:35], s[6:7]
	s_lshl_b64 s[8:9], s[8:9], 3
	s_wait_alu 0xfffe
	s_mul_u64 s[6:7], s[6:7], s[26:27]
	v_mov_b32_e32 v0, 0
	s_add_nc_u64 s[8:9], s[46:47], s[8:9]
	s_wait_alu 0xfffe
	s_lshl_b64 s[6:7], s[6:7], 3
	s_wait_alu 0xfffe
	s_add_nc_u64 s[6:7], s[8:9], s[6:7]
	global_store_b64 v0, v[2:3], s[6:7]
.LBB133_311:
	s_wait_alu 0xfffe
	s_or_b32 exec_lo, exec_lo, s4
.LBB133_312:
	s_wait_alu 0xfffe
	s_or_saveexec_b32 s0, s3
	s_mov_b32 s2, 0
	s_xor_b32 exec_lo, exec_lo, s0
	s_cbranch_execnz .LBB133_315
.LBB133_313:
	s_or_b32 exec_lo, exec_lo, s0
	s_wait_alu 0xfffe
	s_and_b32 s0, s2, exec_lo
	s_and_not1_saveexec_b32 s1, s1
	s_cbranch_execz .LBB133_298
.LBB133_314:
	s_or_b32 s0, s0, exec_lo
	s_trap 2
	s_or_b32 exec_lo, exec_lo, s1
	s_and_saveexec_b32 s1, s0
	s_cbranch_execnz .LBB133_299
	s_branch .LBB133_300
.LBB133_315:
	s_mov_b32 s2, exec_lo
	s_trap 2
	s_branch .LBB133_313
	.section	.rodata,"a",@progbits
	.p2align	6, 0x0
	.amdhsa_kernel _ZN2at6native12_GLOBAL__N_112gatherMedianIN3c104HalfEmLi2EEEvNS_4cuda6detail10TensorInfoIT_T0_EENS7_IlS9_EENS7_IKS8_S9_EES9_S9_S9_b
		.amdhsa_group_segment_fixed_size 5152
		.amdhsa_private_segment_fixed_size 0
		.amdhsa_kernarg_size 1536
		.amdhsa_user_sgpr_count 2
		.amdhsa_user_sgpr_dispatch_ptr 0
		.amdhsa_user_sgpr_queue_ptr 0
		.amdhsa_user_sgpr_kernarg_segment_ptr 1
		.amdhsa_user_sgpr_dispatch_id 0
		.amdhsa_user_sgpr_private_segment_size 0
		.amdhsa_wavefront_size32 1
		.amdhsa_uses_dynamic_stack 0
		.amdhsa_enable_private_segment 0
		.amdhsa_system_sgpr_workgroup_id_x 1
		.amdhsa_system_sgpr_workgroup_id_y 1
		.amdhsa_system_sgpr_workgroup_id_z 1
		.amdhsa_system_sgpr_workgroup_info 0
		.amdhsa_system_vgpr_workitem_id 0
		.amdhsa_next_free_vgpr 40
		.amdhsa_next_free_sgpr 99
		.amdhsa_reserve_vcc 1
		.amdhsa_float_round_mode_32 0
		.amdhsa_float_round_mode_16_64 0
		.amdhsa_float_denorm_mode_32 3
		.amdhsa_float_denorm_mode_16_64 3
		.amdhsa_fp16_overflow 0
		.amdhsa_workgroup_processor_mode 1
		.amdhsa_memory_ordered 1
		.amdhsa_forward_progress 1
		.amdhsa_inst_pref_size 155
		.amdhsa_round_robin_scheduling 0
		.amdhsa_exception_fp_ieee_invalid_op 0
		.amdhsa_exception_fp_denorm_src 0
		.amdhsa_exception_fp_ieee_div_zero 0
		.amdhsa_exception_fp_ieee_overflow 0
		.amdhsa_exception_fp_ieee_underflow 0
		.amdhsa_exception_fp_ieee_inexact 0
		.amdhsa_exception_int_div_zero 0
	.end_amdhsa_kernel
	.section	.text._ZN2at6native12_GLOBAL__N_112gatherMedianIN3c104HalfEmLi2EEEvNS_4cuda6detail10TensorInfoIT_T0_EENS7_IlS9_EENS7_IKS8_S9_EES9_S9_S9_b,"axG",@progbits,_ZN2at6native12_GLOBAL__N_112gatherMedianIN3c104HalfEmLi2EEEvNS_4cuda6detail10TensorInfoIT_T0_EENS7_IlS9_EENS7_IKS8_S9_EES9_S9_S9_b,comdat
.Lfunc_end133:
	.size	_ZN2at6native12_GLOBAL__N_112gatherMedianIN3c104HalfEmLi2EEEvNS_4cuda6detail10TensorInfoIT_T0_EENS7_IlS9_EENS7_IKS8_S9_EES9_S9_S9_b, .Lfunc_end133-_ZN2at6native12_GLOBAL__N_112gatherMedianIN3c104HalfEmLi2EEEvNS_4cuda6detail10TensorInfoIT_T0_EENS7_IlS9_EENS7_IKS8_S9_EES9_S9_S9_b
                                        ; -- End function
	.set _ZN2at6native12_GLOBAL__N_112gatherMedianIN3c104HalfEmLi2EEEvNS_4cuda6detail10TensorInfoIT_T0_EENS7_IlS9_EENS7_IKS8_S9_EES9_S9_S9_b.num_vgpr, 40
	.set _ZN2at6native12_GLOBAL__N_112gatherMedianIN3c104HalfEmLi2EEEvNS_4cuda6detail10TensorInfoIT_T0_EENS7_IlS9_EENS7_IKS8_S9_EES9_S9_S9_b.num_agpr, 0
	.set _ZN2at6native12_GLOBAL__N_112gatherMedianIN3c104HalfEmLi2EEEvNS_4cuda6detail10TensorInfoIT_T0_EENS7_IlS9_EENS7_IKS8_S9_EES9_S9_S9_b.numbered_sgpr, 99
	.set _ZN2at6native12_GLOBAL__N_112gatherMedianIN3c104HalfEmLi2EEEvNS_4cuda6detail10TensorInfoIT_T0_EENS7_IlS9_EENS7_IKS8_S9_EES9_S9_S9_b.num_named_barrier, 0
	.set _ZN2at6native12_GLOBAL__N_112gatherMedianIN3c104HalfEmLi2EEEvNS_4cuda6detail10TensorInfoIT_T0_EENS7_IlS9_EENS7_IKS8_S9_EES9_S9_S9_b.private_seg_size, 0
	.set _ZN2at6native12_GLOBAL__N_112gatherMedianIN3c104HalfEmLi2EEEvNS_4cuda6detail10TensorInfoIT_T0_EENS7_IlS9_EENS7_IKS8_S9_EES9_S9_S9_b.uses_vcc, 1
	.set _ZN2at6native12_GLOBAL__N_112gatherMedianIN3c104HalfEmLi2EEEvNS_4cuda6detail10TensorInfoIT_T0_EENS7_IlS9_EENS7_IKS8_S9_EES9_S9_S9_b.uses_flat_scratch, 0
	.set _ZN2at6native12_GLOBAL__N_112gatherMedianIN3c104HalfEmLi2EEEvNS_4cuda6detail10TensorInfoIT_T0_EENS7_IlS9_EENS7_IKS8_S9_EES9_S9_S9_b.has_dyn_sized_stack, 0
	.set _ZN2at6native12_GLOBAL__N_112gatherMedianIN3c104HalfEmLi2EEEvNS_4cuda6detail10TensorInfoIT_T0_EENS7_IlS9_EENS7_IKS8_S9_EES9_S9_S9_b.has_recursion, 0
	.set _ZN2at6native12_GLOBAL__N_112gatherMedianIN3c104HalfEmLi2EEEvNS_4cuda6detail10TensorInfoIT_T0_EENS7_IlS9_EENS7_IKS8_S9_EES9_S9_S9_b.has_indirect_call, 0
	.section	.AMDGPU.csdata,"",@progbits
; Kernel info:
; codeLenInByte = 19736
; TotalNumSgprs: 101
; NumVgprs: 40
; ScratchSize: 0
; MemoryBound: 0
; FloatMode: 240
; IeeeMode: 1
; LDSByteSize: 5152 bytes/workgroup (compile time only)
; SGPRBlocks: 0
; VGPRBlocks: 4
; NumSGPRsForWavesPerEU: 101
; NumVGPRsForWavesPerEU: 40
; Occupancy: 16
; WaveLimiterHint : 1
; COMPUTE_PGM_RSRC2:SCRATCH_EN: 0
; COMPUTE_PGM_RSRC2:USER_SGPR: 2
; COMPUTE_PGM_RSRC2:TRAP_HANDLER: 0
; COMPUTE_PGM_RSRC2:TGID_X_EN: 1
; COMPUTE_PGM_RSRC2:TGID_Y_EN: 1
; COMPUTE_PGM_RSRC2:TGID_Z_EN: 1
; COMPUTE_PGM_RSRC2:TIDIG_COMP_CNT: 0
	.section	.text._ZN2at6native12_GLOBAL__N_112gatherMedianIN3c104HalfEmLi3EEEvNS_4cuda6detail10TensorInfoIT_T0_EENS7_IlS9_EENS7_IKS8_S9_EES9_S9_S9_b,"axG",@progbits,_ZN2at6native12_GLOBAL__N_112gatherMedianIN3c104HalfEmLi3EEEvNS_4cuda6detail10TensorInfoIT_T0_EENS7_IlS9_EENS7_IKS8_S9_EES9_S9_S9_b,comdat
	.globl	_ZN2at6native12_GLOBAL__N_112gatherMedianIN3c104HalfEmLi3EEEvNS_4cuda6detail10TensorInfoIT_T0_EENS7_IlS9_EENS7_IKS8_S9_EES9_S9_S9_b ; -- Begin function _ZN2at6native12_GLOBAL__N_112gatherMedianIN3c104HalfEmLi3EEEvNS_4cuda6detail10TensorInfoIT_T0_EENS7_IlS9_EENS7_IKS8_S9_EES9_S9_S9_b
	.p2align	8
	.type	_ZN2at6native12_GLOBAL__N_112gatherMedianIN3c104HalfEmLi3EEEvNS_4cuda6detail10TensorInfoIT_T0_EENS7_IlS9_EENS7_IKS8_S9_EES9_S9_S9_b,@function
_ZN2at6native12_GLOBAL__N_112gatherMedianIN3c104HalfEmLi3EEEvNS_4cuda6detail10TensorInfoIT_T0_EENS7_IlS9_EENS7_IKS8_S9_EES9_S9_S9_b: ; @_ZN2at6native12_GLOBAL__N_112gatherMedianIN3c104HalfEmLi3EEEvNS_4cuda6detail10TensorInfoIT_T0_EENS7_IlS9_EENS7_IKS8_S9_EES9_S9_S9_b
; %bb.0:
	s_clause 0x1
	s_load_b64 s[12:13], s[0:1], 0x500
	s_load_b128 s[20:23], s[0:1], 0x4e0
	s_lshr_b32 s2, ttmp7, 16
	s_and_b32 s3, ttmp7, 0xffff
	s_mov_b32 s35, 0
	s_wait_kmcnt 0x0
	s_mul_i32 s2, s13, s2
	s_delay_alu instid0(SALU_CYCLE_1) | instskip(NEXT) | instid1(SALU_CYCLE_1)
	s_add_co_i32 s2, s2, s3
	s_mul_i32 s2, s2, s12
	s_delay_alu instid0(SALU_CYCLE_1) | instskip(NEXT) | instid1(SALU_CYCLE_1)
	s_add_co_i32 s34, s2, ttmp9
	v_cmp_le_u64_e64 s2, s[22:23], s[34:35]
	s_and_b32 vcc_lo, exec_lo, s2
	s_cbranch_vccnz .LBB134_306
; %bb.1:
	s_load_b128 s[28:31], s[0:1], 0x10
	s_mov_b64 s[50:51], 0
	s_mov_b64 s[48:49], 0
	s_wait_kmcnt 0x0
	v_cmp_lt_u64_e64 s2, s[34:35], s[30:31]
	s_and_b32 vcc_lo, exec_lo, s2
	s_cbranch_vccnz .LBB134_3
; %bb.2:
	v_cvt_f32_u32_e32 v1, s30
	s_sub_co_i32 s3, 0, s30
	s_mov_b32 s49, 0
	s_delay_alu instid0(VALU_DEP_1) | instskip(NEXT) | instid1(TRANS32_DEP_1)
	v_rcp_iflag_f32_e32 v1, v1
	v_mul_f32_e32 v1, 0x4f7ffffe, v1
	s_delay_alu instid0(VALU_DEP_1) | instskip(NEXT) | instid1(VALU_DEP_1)
	v_cvt_u32_f32_e32 v1, v1
	v_readfirstlane_b32 s2, v1
	s_mul_i32 s3, s3, s2
	s_delay_alu instid0(SALU_CYCLE_1) | instskip(NEXT) | instid1(SALU_CYCLE_1)
	s_mul_hi_u32 s3, s2, s3
	s_add_co_i32 s2, s2, s3
	s_delay_alu instid0(SALU_CYCLE_1) | instskip(NEXT) | instid1(SALU_CYCLE_1)
	s_mul_hi_u32 s2, s34, s2
	s_mul_i32 s3, s2, s30
	s_add_co_i32 s4, s2, 1
	s_sub_co_i32 s3, s34, s3
	s_delay_alu instid0(SALU_CYCLE_1)
	s_sub_co_i32 s5, s3, s30
	s_cmp_ge_u32 s3, s30
	s_cselect_b32 s2, s4, s2
	s_cselect_b32 s3, s5, s3
	s_add_co_i32 s4, s2, 1
	s_cmp_ge_u32 s3, s30
	s_cselect_b32 s48, s4, s2
.LBB134_3:
	s_load_b128 s[24:27], s[0:1], 0x1b0
	v_cmp_lt_u64_e64 s2, s[48:49], s[28:29]
	s_and_b32 vcc_lo, exec_lo, s2
	s_cbranch_vccnz .LBB134_5
; %bb.4:
	v_cvt_f32_u32_e32 v1, s28
	s_sub_co_i32 s3, 0, s28
	s_mov_b32 s51, 0
	s_delay_alu instid0(VALU_DEP_1) | instskip(NEXT) | instid1(TRANS32_DEP_1)
	v_rcp_iflag_f32_e32 v1, v1
	v_mul_f32_e32 v1, 0x4f7ffffe, v1
	s_delay_alu instid0(VALU_DEP_1) | instskip(NEXT) | instid1(VALU_DEP_1)
	v_cvt_u32_f32_e32 v1, v1
	v_readfirstlane_b32 s2, v1
	s_mul_i32 s3, s3, s2
	s_delay_alu instid0(SALU_CYCLE_1) | instskip(NEXT) | instid1(SALU_CYCLE_1)
	s_mul_hi_u32 s3, s2, s3
	s_add_co_i32 s2, s2, s3
	s_delay_alu instid0(SALU_CYCLE_1) | instskip(NEXT) | instid1(SALU_CYCLE_1)
	s_mul_hi_u32 s2, s48, s2
	s_mul_i32 s3, s2, s28
	s_add_co_i32 s4, s2, 1
	s_sub_co_i32 s3, s48, s3
	s_delay_alu instid0(SALU_CYCLE_1)
	s_sub_co_i32 s5, s3, s28
	s_cmp_ge_u32 s3, s28
	s_cselect_b32 s2, s4, s2
	s_cselect_b32 s3, s5, s3
	s_add_co_i32 s4, s2, 1
	s_cmp_ge_u32 s3, s28
	s_cselect_b32 s50, s4, s2
.LBB134_5:
	s_wait_kmcnt 0x0
	v_cmp_lt_u64_e64 s2, s[34:35], s[26:27]
	s_mov_b64 s[44:45], 0
	s_mov_b64 s[22:23], 0
	s_and_b32 vcc_lo, exec_lo, s2
	s_cbranch_vccnz .LBB134_7
; %bb.6:
	v_cvt_f32_u32_e32 v1, s26
	s_sub_co_i32 s3, 0, s26
	s_mov_b32 s23, 0
	s_delay_alu instid0(VALU_DEP_1) | instskip(NEXT) | instid1(TRANS32_DEP_1)
	v_rcp_iflag_f32_e32 v1, v1
	v_mul_f32_e32 v1, 0x4f7ffffe, v1
	s_delay_alu instid0(VALU_DEP_1) | instskip(NEXT) | instid1(VALU_DEP_1)
	v_cvt_u32_f32_e32 v1, v1
	v_readfirstlane_b32 s2, v1
	s_mul_i32 s3, s3, s2
	s_delay_alu instid0(SALU_CYCLE_1) | instskip(NEXT) | instid1(SALU_CYCLE_1)
	s_mul_hi_u32 s3, s2, s3
	s_add_co_i32 s2, s2, s3
	s_delay_alu instid0(SALU_CYCLE_1) | instskip(NEXT) | instid1(SALU_CYCLE_1)
	s_mul_hi_u32 s2, s34, s2
	s_mul_i32 s3, s2, s26
	s_add_co_i32 s4, s2, 1
	s_sub_co_i32 s3, s34, s3
	s_delay_alu instid0(SALU_CYCLE_1)
	s_sub_co_i32 s5, s3, s26
	s_cmp_ge_u32 s3, s26
	s_cselect_b32 s2, s4, s2
	s_cselect_b32 s3, s5, s3
	s_add_co_i32 s4, s2, 1
	s_cmp_ge_u32 s3, s26
	s_cselect_b32 s22, s4, s2
.LBB134_7:
	s_clause 0x3
	s_load_b64 s[46:47], s[0:1], 0x4f0
	s_load_b64 s[2:3], s[0:1], 0x420
	s_load_b128 s[4:7], s[0:1], 0x410
	s_load_b128 s[8:11], s[0:1], 0x350
	v_cmp_lt_u64_e64 s13, s[22:23], s[24:25]
	s_and_b32 vcc_lo, exec_lo, s13
	s_cbranch_vccnz .LBB134_9
; %bb.8:
	v_cvt_f32_u32_e32 v1, s24
	s_sub_co_i32 s14, 0, s24
	s_mov_b32 s45, 0
	s_delay_alu instid0(VALU_DEP_1) | instskip(NEXT) | instid1(TRANS32_DEP_1)
	v_rcp_iflag_f32_e32 v1, v1
	v_mul_f32_e32 v1, 0x4f7ffffe, v1
	s_delay_alu instid0(VALU_DEP_1) | instskip(NEXT) | instid1(VALU_DEP_1)
	v_cvt_u32_f32_e32 v1, v1
	v_readfirstlane_b32 s13, v1
	s_mul_i32 s14, s14, s13
	s_delay_alu instid0(SALU_CYCLE_1) | instskip(NEXT) | instid1(SALU_CYCLE_1)
	s_mul_hi_u32 s14, s13, s14
	s_add_co_i32 s13, s13, s14
	s_delay_alu instid0(SALU_CYCLE_1) | instskip(NEXT) | instid1(SALU_CYCLE_1)
	s_mul_hi_u32 s13, s22, s13
	s_mul_i32 s14, s13, s24
	s_add_co_i32 s15, s13, 1
	s_sub_co_i32 s14, s22, s14
	s_delay_alu instid0(SALU_CYCLE_1)
	s_sub_co_i32 s16, s14, s24
	s_cmp_ge_u32 s14, s24
	s_cselect_b32 s13, s15, s13
	s_cselect_b32 s14, s16, s14
	s_add_co_i32 s15, s13, 1
	s_cmp_ge_u32 s14, s24
	s_cselect_b32 s44, s15, s13
.LBB134_9:
	s_wait_kmcnt 0x0
	v_cmp_lt_u64_e64 s13, s[34:35], s[10:11]
	s_mov_b64 s[14:15], 0
	s_mov_b64 s[16:17], 0
	s_and_b32 vcc_lo, exec_lo, s13
	s_cbranch_vccnz .LBB134_11
; %bb.10:
	v_cvt_f32_u32_e32 v1, s10
	s_sub_co_i32 s16, 0, s10
	s_delay_alu instid0(VALU_DEP_1) | instskip(NEXT) | instid1(TRANS32_DEP_1)
	v_rcp_iflag_f32_e32 v1, v1
	v_mul_f32_e32 v1, 0x4f7ffffe, v1
	s_delay_alu instid0(VALU_DEP_1) | instskip(NEXT) | instid1(VALU_DEP_1)
	v_cvt_u32_f32_e32 v1, v1
	v_readfirstlane_b32 s13, v1
	s_mul_i32 s16, s16, s13
	s_delay_alu instid0(SALU_CYCLE_1) | instskip(NEXT) | instid1(SALU_CYCLE_1)
	s_mul_hi_u32 s16, s13, s16
	s_add_co_i32 s13, s13, s16
	s_delay_alu instid0(SALU_CYCLE_1) | instskip(NEXT) | instid1(SALU_CYCLE_1)
	s_mul_hi_u32 s13, s34, s13
	s_mul_i32 s16, s13, s10
	s_add_co_i32 s17, s13, 1
	s_sub_co_i32 s16, s34, s16
	s_delay_alu instid0(SALU_CYCLE_1)
	s_sub_co_i32 s18, s16, s10
	s_cmp_ge_u32 s16, s10
	s_cselect_b32 s13, s17, s13
	s_cselect_b32 s16, s18, s16
	s_add_co_i32 s18, s13, 1
	s_cmp_ge_u32 s16, s10
	s_mov_b32 s17, 0
	s_cselect_b32 s16, s18, s13
.LBB134_11:
	s_clause 0x1
	s_load_b64 s[18:19], s[0:1], 0x280
	s_load_b128 s[36:39], s[0:1], 0x270
                                        ; implicit-def: $vgpr40 : SGPR spill to VGPR lane
	v_cmp_lt_u64_e64 s13, s[16:17], s[8:9]
	s_and_b32 vcc_lo, exec_lo, s13
	s_wait_kmcnt 0x0
	v_writelane_b32 v40, s18, 0
	v_writelane_b32 v40, s19, 1
	s_clause 0x2
	s_load_b64 s[56:57], s[0:1], 0xe0
	s_load_b128 s[40:43], s[0:1], 0xd0
	s_load_b64 s[18:19], s[0:1], 0x340
	v_writelane_b32 v40, s36, 2
	v_writelane_b32 v40, s37, 3
	;; [unrolled: 1-line block ×4, first 2 shown]
	s_cbranch_vccnz .LBB134_13
; %bb.12:
	v_cvt_f32_u32_e32 v1, s8
	s_sub_co_i32 s14, 0, s8
	s_delay_alu instid0(VALU_DEP_1) | instskip(NEXT) | instid1(TRANS32_DEP_1)
	v_rcp_iflag_f32_e32 v1, v1
	v_mul_f32_e32 v1, 0x4f7ffffe, v1
	s_delay_alu instid0(VALU_DEP_1) | instskip(NEXT) | instid1(VALU_DEP_1)
	v_cvt_u32_f32_e32 v1, v1
	v_readfirstlane_b32 s13, v1
	s_mul_i32 s14, s14, s13
	s_delay_alu instid0(SALU_CYCLE_1) | instskip(NEXT) | instid1(SALU_CYCLE_1)
	s_mul_hi_u32 s14, s13, s14
	s_add_co_i32 s13, s13, s14
	s_delay_alu instid0(SALU_CYCLE_1) | instskip(NEXT) | instid1(SALU_CYCLE_1)
	s_mul_hi_u32 s13, s16, s13
	s_mul_i32 s14, s13, s8
	s_add_co_i32 s15, s13, 1
	s_sub_co_i32 s14, s16, s14
	s_delay_alu instid0(SALU_CYCLE_1)
	s_sub_co_i32 s33, s14, s8
	s_cmp_ge_u32 s14, s8
	s_cselect_b32 s13, s15, s13
	s_cselect_b32 s14, s33, s14
	s_add_co_i32 s33, s13, 1
	s_cmp_ge_u32 s14, s8
	s_mov_b32 s15, 0
	s_cselect_b32 s14, s33, s13
.LBB134_13:
	s_mul_u64 s[10:11], s[16:17], s[10:11]
	s_mul_u64 s[8:9], s[14:15], s[8:9]
	s_wait_alu 0xfffe
	s_sub_nc_u64 s[10:11], s[34:35], s[10:11]
	v_dual_mov_b32 v1, 0 :: v_dual_mov_b32 v2, 0
	s_sub_nc_u64 s[8:9], s[16:17], s[8:9]
	s_wait_alu 0xfffe
	s_mul_u64 s[10:11], s[10:11], s[2:3]
	s_mul_u64 s[2:3], s[14:15], s[4:5]
	;; [unrolled: 1-line block ×3, first 2 shown]
	s_lshl_b64 s[2:3], s[2:3], 1
	s_lshl_b64 s[4:5], s[4:5], 1
	s_wait_kmcnt 0x0
	s_add_nc_u64 s[6:7], s[18:19], s[2:3]
	v_cmp_gt_u64_e64 s2, s[20:21], v[0:1]
	v_mov_b32_e32 v3, 0
	s_add_nc_u64 s[4:5], s[6:7], s[4:5]
	s_wait_alu 0xfffe
	s_lshl_b64 s[8:9], s[10:11], 1
	s_add_nc_u64 s[6:7], s[0:1], 0x500
	s_wait_alu 0xfffe
	s_add_nc_u64 s[54:55], s[4:5], s[8:9]
	s_and_saveexec_b32 s4, s2
	s_cbranch_execz .LBB134_17
; %bb.14:
	s_load_b32 s3, s[6:7], 0xc
	v_dual_mov_b32 v2, 0 :: v_dual_mov_b32 v5, v1
	v_dual_mov_b32 v3, 0 :: v_dual_mov_b32 v4, v0
	s_mov_b32 s5, 0
	s_wait_kmcnt 0x0
	s_and_b32 s8, s3, 0xffff
.LBB134_15:                             ; =>This Inner Loop Header: Depth=1
	v_mul_lo_u32 v8, v5, s46
	v_mul_lo_u32 v9, v4, s47
	v_mad_co_u64_u32 v[6:7], null, v4, s46, 0
	s_delay_alu instid0(VALU_DEP_1) | instskip(NEXT) | instid1(VALU_DEP_1)
	v_add3_u32 v7, v7, v9, v8
	v_lshlrev_b64_e32 v[6:7], 1, v[6:7]
	s_delay_alu instid0(VALU_DEP_1) | instskip(SKIP_1) | instid1(VALU_DEP_2)
	v_add_co_u32 v6, vcc_lo, s54, v6
	s_wait_alu 0xfffd
	v_add_co_ci_u32_e64 v7, null, s55, v7, vcc_lo
	s_wait_alu 0xfffe
	v_add_co_u32 v4, vcc_lo, v4, s8
	s_wait_alu 0xfffd
	v_add_co_ci_u32_e64 v5, null, 0, v5, vcc_lo
	global_load_u16 v6, v[6:7], off
	s_wait_loadcnt 0x0
	v_cmp_u_f16_e32 vcc_lo, v6, v6
	s_wait_alu 0xfffd
	v_cndmask_b32_e64 v6, 0, 1, vcc_lo
	v_cmp_le_u64_e32 vcc_lo, s[20:21], v[4:5]
	s_delay_alu instid0(VALU_DEP_2) | instskip(SKIP_3) | instid1(SALU_CYCLE_1)
	v_add_co_u32 v2, s3, v2, v6
	s_wait_alu 0xf1ff
	v_add_co_ci_u32_e64 v3, null, 0, v3, s3
	s_or_b32 s5, vcc_lo, s5
	s_and_not1_b32 exec_lo, exec_lo, s5
	s_cbranch_execnz .LBB134_15
; %bb.16:
	s_or_b32 exec_lo, exec_lo, s5
.LBB134_17:
	s_delay_alu instid0(SALU_CYCLE_1)
	s_or_b32 exec_lo, exec_lo, s4
	s_clause 0x1
	s_load_b64 s[4:5], s[0:1], 0x1a0
	s_load_b64 s[60:61], s[0:1], 0x0
	v_cmp_eq_u32_e64 s3, 0, v0
	s_wait_kmcnt 0x0
	v_writelane_b32 v40, s4, 6
	v_writelane_b32 v40, s5, 7
	s_and_saveexec_b32 s4, s3
; %bb.18:
	v_mov_b32_e32 v4, 0
	s_delay_alu instid0(VALU_DEP_1)
	v_mov_b32_e32 v5, v4
	ds_store_b64 v4, v[4:5] offset:5136
; %bb.19:
	s_wait_alu 0xfffe
	s_or_b32 exec_lo, exec_lo, s4
	s_mov_b64 s[4:5], 0
	s_mov_b32 s8, exec_lo
	s_wait_dscnt 0x0
	s_barrier_signal -1
	s_barrier_wait -1
	global_inv scope:SCOPE_SE
	v_cmpx_ne_u64_e32 0, v[2:3]
	s_cbranch_execz .LBB134_24
; %bb.20:
	s_mov_b32 s9, exec_lo
.LBB134_21:                             ; =>This Inner Loop Header: Depth=1
	s_wait_alu 0xfffe
	s_ctz_i32_b32 s13, s9
	s_wait_alu 0xfffe
	v_readlane_b32 s11, v3, s13
	v_readlane_b32 s10, v2, s13
	s_lshl_b32 s13, 1, s13
	s_wait_alu 0xfffe
	s_and_not1_b32 s9, s9, s13
	s_wait_alu 0xfffe
	s_cmp_lg_u32 s9, 0
	s_add_nc_u64 s[4:5], s[4:5], s[10:11]
	s_cbranch_scc1 .LBB134_21
; %bb.22:
	v_mbcnt_lo_u32_b32 v2, exec_lo, 0
	s_mov_b32 s9, exec_lo
	s_delay_alu instid0(VALU_DEP_1)
	v_cmpx_eq_u32_e32 0, v2
	s_wait_alu 0xfffe
	s_xor_b32 s9, exec_lo, s9
; %bb.23:
	v_mov_b32_e32 v2, s4
	v_dual_mov_b32 v4, 0 :: v_dual_mov_b32 v3, s5
	ds_add_u64 v4, v[2:3] offset:5136
.LBB134_24:
	s_wait_alu 0xfffe
	s_or_b32 exec_lo, exec_lo, s8
	v_dual_mov_b32 v2, 0 :: v_dual_mov_b32 v19, s20
	s_wait_loadcnt_dscnt 0x0
	s_barrier_signal -1
	s_barrier_wait -1
	global_inv scope:SCOPE_SE
	ds_load_b64 v[2:3], v2 offset:5136
	s_load_b32 s0, s[0:1], 0x4f8
	v_mov_b32_e32 v20, s21
	s_wait_dscnt 0x0
	v_cmp_gt_i64_e32 vcc_lo, 1, v[2:3]
	s_wait_kmcnt 0x0
	s_bitcmp1_b32 s0, 0
	s_cselect_b32 s0, -1, 0
	s_delay_alu instid0(SALU_CYCLE_1) | instskip(NEXT) | instid1(SALU_CYCLE_1)
	s_or_b32 s0, s0, vcc_lo
	s_and_not1_b32 vcc_lo, exec_lo, s0
	s_wait_alu 0xfffe
	s_cbranch_vccnz .LBB134_26
; %bb.25:
	v_not_b32_e32 v2, v2
	v_not_b32_e32 v3, v3
	s_delay_alu instid0(VALU_DEP_2) | instskip(SKIP_1) | instid1(VALU_DEP_2)
	v_add_co_u32 v2, vcc_lo, s20, v2
	s_wait_alu 0xfffd
	v_add_co_ci_u32_e64 v3, null, s21, v3, vcc_lo
	s_delay_alu instid0(VALU_DEP_1) | instskip(NEXT) | instid1(VALU_DEP_1)
	v_lshrrev_b64 v[2:3], 1, v[2:3]
	v_add_co_u32 v19, vcc_lo, v2, 1
	s_wait_alu 0xfffd
	s_delay_alu instid0(VALU_DEP_2)
	v_add_co_ci_u32_e64 v20, null, 0, v3, vcc_lo
.LBB134_26:
	s_and_saveexec_b32 s0, s3
	s_cbranch_execz .LBB134_28
; %bb.27:
	v_dual_mov_b32 v2, 0 :: v_dual_mov_b32 v5, s21
	s_delay_alu instid0(VALU_DEP_1)
	v_dual_mov_b32 v4, s20 :: v_dual_mov_b32 v3, v2
	ds_store_b32 v2, v2 offset:5144
	ds_store_b128 v2, v[2:5] offset:5120
.LBB134_28:
	s_or_b32 exec_lo, exec_lo, s0
	v_mad_co_u64_u32 v[4:5], null, s46, v0, 0
	v_mbcnt_lo_u32_b32 v25, -1, 0
	s_wait_loadcnt_dscnt 0x0
	s_barrier_signal -1
	s_barrier_wait -1
	global_inv scope:SCOPE_SE
	s_load_b32 s5, s[6:7], 0xc
	v_mov_b32_e32 v2, v5
	v_cmp_gt_u32_e32 vcc_lo, 32, v0
	v_cmp_gt_i32_e64 s4, 4, v25
	s_mov_b32 s65, 0
	v_cmp_lt_u64_e64 s33, 0x600, s[20:21]
	v_mad_co_u64_u32 v[5:6], null, s47, v0, v[2:3]
	v_dual_mov_b32 v3, 0 :: v_dual_add_nc_u32 v2, 2, v0
	v_mov_b32_e32 v33, 0x8000
	s_and_b32 s84, vcc_lo, s4
	v_lshlrev_b64_e64 v[6:7], v25, -1
	s_delay_alu instid0(VALU_DEP_3)
	v_dual_mov_b32 v13, v3 :: v_dual_lshlrev_b32 v26, 1, v0
	v_lshlrev_b64_e32 v[4:5], 1, v[4:5]
	s_movk_i32 s4, 0x3e0
	s_mov_b32 s63, s65
	s_wait_alu 0xfffe
	v_and_or_b32 v29, v0, s4, 0xc00
	v_cmp_gt_u32_e64 s0, 2, v0
	s_wait_kmcnt 0x0
	s_and_b32 s62, s5, 0xffff
	v_add_co_u32 v14, vcc_lo, s54, v4
	s_wait_alu 0xfffd
	v_add_co_ci_u32_e64 v15, null, s55, v5, vcc_lo
	v_cmp_gt_u64_e32 vcc_lo, s[20:21], v[2:3]
	v_not_b32_e32 v4, v0
	s_bfe_u32 s5, s5, 0xb0005
	s_cmp_gt_u32 s62, 31
	v_cmp_eq_u32_e64 s1, 0, v25
	s_cselect_b32 s85, -1, 0
	s_wait_alu 0xfffd
	v_cndmask_b32_e64 v2, v2, s20, vcc_lo
	v_cndmask_b32_e64 v5, 0, s21, vcc_lo
	s_cmp_lt_u32 ttmp9, s12
	v_dual_mov_b32 v30, 0 :: v_dual_add_nc_u32 v27, 0xc00, v26
	s_delay_alu instid0(VALU_DEP_3)
	v_add_co_u32 v4, vcc_lo, v2, v4
	s_wait_alu 0xfffd
	v_add_co_ci_u32_e64 v5, null, -1, v5, vcc_lo
	s_cselect_b32 s64, 12, 18
	s_wait_alu 0xfffe
	s_add_co_i32 s8, s5, -1
	v_dual_mov_b32 v17, v5 :: v_dual_lshlrev_b32 v12, 2, v0
	v_dual_mov_b32 v35, 0 :: v_dual_and_b32 v16, -2, v4
	s_wait_alu 0xfffe
	s_and_b32 s8, s8, 0xffff
	s_bfe_u32 s87, s62, 0x30005
	s_wait_alu 0xfffe
	s_cmp_gt_u32 s8, 6
	v_cmp_lt_u64_e64 s4, 1, v[4:5]
	s_cselect_b32 s89, -1, 0
	s_and_b32 s90, s5, 0x7f8
	v_cmp_ne_u64_e64 s5, v[4:5], v[16:17]
	v_not_b32_e32 v28, v6
	v_add_co_u32 v18, vcc_lo, v16, v0
	v_dual_mov_b32 v34, 0 :: v_dual_lshlrev_b32 v31, 3, v0
	v_lshl_or_b32 v32, v25, 3, 0xc00
	s_add_nc_u64 s[66:67], s[62:63], -1
	s_cmp_lg_u32 s87, 0
	s_add_nc_u64 s[68:69], s[66:67], s[20:21]
	s_mov_b32 s86, s46
	s_mov_b32 s88, s47
	s_cselect_b32 s91, -1, 0
	s_lshl_b32 s92, s62, 1
	s_mov_b32 s94, 14
	s_add_nc_u64 s[70:71], s[6:7], s[64:65]
	s_mov_b32 s93, 0x4f800000
	s_movk_i32 s96, 0x3c00
	s_mov_b32 s95, 0
	s_mov_b32 s97, 0
	s_wait_alu 0xfffd
	v_add_co_ci_u32_e64 v2, null, 0, v5, vcc_lo
                                        ; implicit-def: $sgpr101
                                        ; implicit-def: $sgpr103
                                        ; implicit-def: $sgpr98
                                        ; implicit-def: $sgpr100
                                        ; implicit-def: $sgpr102
                                        ; implicit-def: $sgpr99
	s_branch .LBB134_32
.LBB134_29:                             ;   in Loop: Header=BB134_32 Depth=1
	s_wait_alu 0xfffe
	s_or_b32 exec_lo, exec_lo, s9
	s_delay_alu instid0(SALU_CYCLE_1)
	s_and_b32 s7, s7, exec_lo
	s_and_not1_b32 s74, s74, exec_lo
	s_and_not1_b32 s73, s73, exec_lo
	s_or_not1_b32 s18, s8, exec_lo
.LBB134_30:                             ;   in Loop: Header=BB134_32 Depth=1
	s_wait_alu 0xfffe
	s_or_b32 exec_lo, exec_lo, s6
	s_delay_alu instid0(SALU_CYCLE_1)
	s_and_not1_b32 s6, s99, exec_lo
	s_and_b32 s7, s7, exec_lo
	s_and_not1_b32 s8, s100, exec_lo
	s_wait_alu 0xfffe
	s_or_b32 s99, s6, s7
	s_and_not1_b32 s6, s102, exec_lo
	s_and_b32 s7, s74, exec_lo
	s_and_b32 s9, s73, exec_lo
	s_wait_alu 0xfffe
	s_or_b32 s102, s6, s7
	s_or_b32 s100, s8, s9
	s_or_not1_b32 s18, s18, exec_lo
.LBB134_31:                             ;   in Loop: Header=BB134_32 Depth=1
	s_wait_alu 0xfffe
	s_or_b32 exec_lo, exec_lo, s17
	s_delay_alu instid0(SALU_CYCLE_1)
	s_and_b32 s6, exec_lo, s18
	v_dual_mov_b32 v20, v9 :: v_dual_mov_b32 v19, v8
	s_wait_alu 0xfffe
	s_or_b32 s95, s6, s95
	s_and_not1_b32 s6, s98, exec_lo
	s_and_b32 s7, s99, exec_lo
	s_and_not1_b32 s8, s103, exec_lo
	s_wait_alu 0xfffe
	s_or_b32 s98, s6, s7
	s_and_b32 s6, s102, exec_lo
	s_and_not1_b32 s7, s101, exec_lo
	s_and_b32 s9, s100, exec_lo
	s_wait_alu 0xfffe
	s_or_b32 s103, s8, s6
	s_or_b32 s101, s7, s9
	s_and_not1_b32 exec_lo, exec_lo, s95
	s_cbranch_execz .LBB134_302
.LBB134_32:                             ; =>This Loop Header: Depth=1
                                        ;     Child Loop BB134_37 Depth 2
                                        ;     Child Loop BB134_51 Depth 2
	;; [unrolled: 1-line block ×17, first 2 shown]
	ds_load_b128 v[4:7], v3 offset:5120
	s_wait_dscnt 0x0
	v_readfirstlane_b32 s73, v5
	v_readfirstlane_b32 s72, v4
	s_cmp_lg_u64 s[72:73], 0
	s_cbranch_scc1 .LBB134_64
; %bb.33:                               ;   in Loop: Header=BB134_32 Depth=1
	s_and_b32 vcc_lo, exec_lo, s33
	s_wait_alu 0xfffe
	s_cbranch_vccz .LBB134_45
; %bb.34:                               ;   in Loop: Header=BB134_32 Depth=1
	v_cmp_gt_u64_e32 vcc_lo, 0x601, v[6:7]
	s_mov_b32 s8, 0
	s_mov_b32 s6, 0
	s_cbranch_vccz .LBB134_46
; %bb.35:                               ;   in Loop: Header=BB134_32 Depth=1
	global_load_u16 v2, v3, s[70:71]
	global_load_u16 v6, v[14:15], off
	s_mov_b32 s9, 0
	v_dual_mov_b32 v5, v1 :: v_dual_mov_b32 v4, v0
	s_wait_loadcnt 0x1
	v_and_b32_e32 v2, 0xffff, v2
	s_branch .LBB134_37
.LBB134_36:                             ;   in Loop: Header=BB134_37 Depth=2
	s_wait_alu 0xfffe
	s_or_b32 exec_lo, exec_lo, s7
	v_mov_b32_e32 v6, v7
	s_and_not1_b32 exec_lo, exec_lo, s9
	s_cbranch_execz .LBB134_164
.LBB134_37:                             ;   Parent Loop BB134_32 Depth=1
                                        ; =>  This Inner Loop Header: Depth=2
	s_delay_alu instid0(VALU_DEP_1)
	v_add_co_u32 v4, vcc_lo, v4, v2
	s_wait_alu 0xfffd
	v_add_co_ci_u32_e64 v5, null, 0, v5, vcc_lo
	s_wait_dscnt 0x0
	v_dual_mov_b32 v8, 0 :: v_dual_mov_b32 v7, 0
	s_mov_b32 s7, exec_lo
	s_delay_alu instid0(VALU_DEP_2)
	v_cmp_le_u64_e32 vcc_lo, s[20:21], v[4:5]
	v_cmpx_gt_u64_e64 s[20:21], v[4:5]
	s_cbranch_execz .LBB134_39
; %bb.38:                               ;   in Loop: Header=BB134_37 Depth=2
	v_mul_lo_u32 v7, v5, s46
	v_mul_lo_u32 v11, v4, s47
	v_mad_co_u64_u32 v[9:10], null, v4, s46, 0
	s_delay_alu instid0(VALU_DEP_1) | instskip(NEXT) | instid1(VALU_DEP_1)
	v_add3_u32 v10, v10, v11, v7
	v_lshlrev_b64_e32 v[9:10], 1, v[9:10]
	s_delay_alu instid0(VALU_DEP_1) | instskip(SKIP_1) | instid1(VALU_DEP_2)
	v_add_co_u32 v9, s6, s54, v9
	s_wait_alu 0xf1fe
	v_add_co_ci_u32_e64 v10, null, s55, v10, s6
	global_load_u16 v7, v[9:10], off
.LBB134_39:                             ;   in Loop: Header=BB134_37 Depth=2
	s_wait_alu 0xfffe
	s_or_b32 exec_lo, exec_lo, s7
	s_wait_loadcnt 0x0
	v_cmp_lt_i16_e64 s6, -1, v6
	v_and_b32_e32 v9, 0xffff, v6
	s_wait_alu 0xf1ff
	s_delay_alu instid0(VALU_DEP_2) | instskip(SKIP_1) | instid1(VALU_DEP_2)
	v_cndmask_b32_e64 v10, 0xffff, v33, s6
	v_cmp_o_f16_e64 s6, v6, v6
	v_xor_b32_e32 v9, v10, v9
	s_wait_alu 0xf1ff
	s_delay_alu instid0(VALU_DEP_1) | instskip(NEXT) | instid1(VALU_DEP_1)
	v_cndmask_b32_e64 v9, 0xffff, v9, s6
	v_and_b32_e32 v9, v9, v34
	s_delay_alu instid0(VALU_DEP_1)
	v_cmp_eq_u32_e64 s6, v9, v30
	s_cmp_lg_u32 s6, 0
	s_cselect_b32 s7, -1, 0
	s_wait_alu 0xfffe
	s_and_b32 s7, s1, s7
	s_wait_alu 0xfffe
	s_and_saveexec_b32 s10, s7
	s_cbranch_execz .LBB134_43
; %bb.40:                               ;   in Loop: Header=BB134_37 Depth=2
	s_mov_b32 s13, exec_lo
	s_bcnt1_i32_b32 s11, s6
	s_wait_alu 0xfffe
	v_mbcnt_lo_u32_b32 v8, s13, 0
	s_mov_b32 s12, exec_lo
                                        ; implicit-def: $vgpr9
	s_delay_alu instid0(VALU_DEP_1)
	v_cmpx_eq_u32_e32 0, v8
; %bb.41:                               ;   in Loop: Header=BB134_37 Depth=2
	s_bcnt1_i32_b32 s7, s13
	s_wait_alu 0xfffe
	s_mul_i32 s7, s11, s7
	s_wait_alu 0xfffe
	v_mov_b32_e32 v9, s7
	ds_add_rtn_u32 v9, v3, v9 offset:5144
; %bb.42:                               ;   in Loop: Header=BB134_37 Depth=2
	s_or_b32 exec_lo, exec_lo, s12
	s_wait_dscnt 0x0
	v_readfirstlane_b32 s7, v9
	s_wait_alu 0xf1ff
	s_delay_alu instid0(VALU_DEP_1)
	v_mad_u32_u24 v8, s11, v8, s7
.LBB134_43:                             ;   in Loop: Header=BB134_37 Depth=2
	s_wait_alu 0xfffe
	s_or_b32 exec_lo, exec_lo, s10
	ds_bpermute_b32 v8, v3, v8
	s_and_b32 s7, exec_lo, vcc_lo
	s_wait_alu 0xfffe
	s_or_b32 s9, s7, s9
	s_and_saveexec_b32 s7, s6
	s_cbranch_execz .LBB134_36
; %bb.44:                               ;   in Loop: Header=BB134_37 Depth=2
	v_and_b32_e32 v9, s6, v28
	s_delay_alu instid0(VALU_DEP_1) | instskip(NEXT) | instid1(VALU_DEP_1)
	v_bcnt_u32_b32 v9, v9, 0
	v_lshlrev_b32_e32 v9, 1, v9
	s_wait_dscnt 0x0
	s_delay_alu instid0(VALU_DEP_1)
	v_lshl_add_u32 v8, v8, 1, v9
	ds_store_b16 v8, v6
	s_branch .LBB134_36
.LBB134_45:                             ;   in Loop: Header=BB134_32 Depth=1
	s_mov_b32 s8, -1
	s_mov_b32 s6, 0
.LBB134_46:                             ;   in Loop: Header=BB134_32 Depth=1
	s_wait_alu 0xfffe
	s_and_b32 vcc_lo, exec_lo, s8
	s_wait_alu 0xfffe
	s_cbranch_vccz .LBB134_62
.LBB134_47:                             ;   in Loop: Header=BB134_32 Depth=1
	s_and_saveexec_b32 s7, s2
	s_cbranch_execz .LBB134_59
; %bb.48:                               ;   in Loop: Header=BB134_32 Depth=1
	global_load_u16 v4, v3, s[70:71]
	global_load_u16 v10, v[14:15], off
	v_mov_b32_e32 v8, v0
	s_mov_b32 s10, exec_lo
	s_wait_loadcnt 0x1
	v_and_b32_e32 v2, 0xffff, v4
	v_readfirstlane_b32 s6, v4
	s_delay_alu instid0(VALU_DEP_2) | instskip(NEXT) | instid1(VALU_DEP_1)
	v_add_nc_u32_e32 v2, v2, v0
	v_cmpx_gt_u64_e64 s[20:21], v[2:3]
	s_cbranch_execz .LBB134_58
; %bb.49:                               ;   in Loop: Header=BB134_32 Depth=1
	s_and_b32 s64, s6, 0xffff
	v_dual_mov_b32 v5, v1 :: v_dual_mov_b32 v4, v0
	s_wait_alu 0xfffe
	s_cmp_eq_u32 s64, 1
	v_dual_mov_b32 v7, v3 :: v_dual_mov_b32 v6, v2
	s_cselect_b32 s6, -1, 0
                                        ; implicit-def: $vgpr8_vgpr9
	s_wait_alu 0xfffe
	s_and_b32 s9, s4, s6
	s_mov_b32 s6, -1
	s_wait_alu 0xfffe
	s_and_saveexec_b32 s8, s9
	s_cbranch_execz .LBB134_53
; %bb.50:                               ;   in Loop: Header=BB134_32 Depth=1
	v_add_co_u32 v4, s6, v2, 1
	s_wait_alu 0xf1ff
	v_add_co_ci_u32_e64 v5, null, 0, 0, s6
	s_wait_loadcnt 0x0
	v_dual_mov_b32 v8, v16 :: v_dual_lshlrev_b32 v21, 16, v10
	s_mov_b32 s9, 0
	s_delay_alu instid0(VALU_DEP_2)
	v_mov_b32_e32 v7, v5
	v_dual_mov_b32 v9, v17 :: v_dual_mov_b32 v6, v4
	v_mov_b32_e32 v5, v3
	v_dual_mov_b32 v11, v26 :: v_dual_mov_b32 v4, v2
.LBB134_51:                             ;   Parent Loop BB134_32 Depth=1
                                        ; =>  This Inner Loop Header: Depth=2
	s_delay_alu instid0(VALU_DEP_2) | instskip(NEXT) | instid1(VALU_DEP_2)
	v_mul_lo_u32 v10, v5, s46
	v_mul_lo_u32 v24, v4, s47
	v_mad_co_u64_u32 v[22:23], null, v4, s46, 0
	v_mul_lo_u32 v38, v7, s86
	v_mul_lo_u32 v39, v6, s88
	v_mad_co_u64_u32 v[36:37], null, v6, s86, 0
	s_delay_alu instid0(VALU_DEP_4) | instskip(NEXT) | instid1(VALU_DEP_2)
	v_add3_u32 v23, v23, v24, v10
	v_add3_u32 v37, v37, v39, v38
	s_delay_alu instid0(VALU_DEP_2) | instskip(NEXT) | instid1(VALU_DEP_2)
	v_lshlrev_b64_e32 v[22:23], 1, v[22:23]
	v_lshlrev_b64_e32 v[36:37], 1, v[36:37]
	s_delay_alu instid0(VALU_DEP_2) | instskip(SKIP_1) | instid1(VALU_DEP_3)
	v_add_co_u32 v22, vcc_lo, s54, v22
	s_wait_alu 0xfffd
	v_add_co_ci_u32_e64 v23, null, s55, v23, vcc_lo
	s_delay_alu instid0(VALU_DEP_3)
	v_add_co_u32 v36, vcc_lo, s54, v36
	s_wait_alu 0xfffd
	v_add_co_ci_u32_e64 v37, null, s55, v37, vcc_lo
	s_clause 0x1
	global_load_u16 v22, v[22:23], off
	global_load_u16 v10, v[36:37], off
	v_add_co_u32 v8, vcc_lo, v8, -2
	s_wait_alu 0xfffd
	v_add_co_ci_u32_e64 v9, null, -1, v9, vcc_lo
	v_add_co_u32 v6, vcc_lo, v6, 2
	s_wait_alu 0xfffd
	v_add_co_ci_u32_e64 v7, null, 0, v7, vcc_lo
	s_delay_alu instid0(VALU_DEP_3) | instskip(SKIP_4) | instid1(VALU_DEP_3)
	v_cmp_eq_u64_e64 s6, 0, v[8:9]
	v_add_co_u32 v4, vcc_lo, v4, 2
	s_wait_alu 0xfffd
	v_add_co_ci_u32_e64 v5, null, 0, v5, vcc_lo
	s_wait_alu 0xfffe
	s_or_b32 s9, s6, s9
	s_wait_loadcnt 0x1
	v_alignbit_b32 v21, v22, v21, 16
	s_wait_loadcnt 0x0
	v_perm_b32 v22, v10, v22, 0x5040100
	ds_store_b32 v11, v21
	v_add_nc_u32_e32 v11, 4, v11
	v_mov_b32_e32 v21, v22
	s_wait_alu 0xfffe
	s_and_not1_b32 exec_lo, exec_lo, s9
	s_cbranch_execnz .LBB134_51
; %bb.52:                               ;   in Loop: Header=BB134_32 Depth=1
	s_or_b32 exec_lo, exec_lo, s9
	v_add_co_u32 v6, vcc_lo, v2, v16
	s_wait_alu 0xfffd
	v_add_co_ci_u32_e64 v7, null, 0, v17, vcc_lo
	v_dual_mov_b32 v4, v18 :: v_dual_mov_b32 v5, v19
	s_delay_alu instid0(VALU_DEP_3)
	v_add_co_u32 v8, vcc_lo, v6, -1
	s_or_not1_b32 s6, s5, exec_lo
	s_wait_alu 0xfffd
	v_add_co_ci_u32_e64 v2, null, -1, v7, vcc_lo
.LBB134_53:                             ;   in Loop: Header=BB134_32 Depth=1
	s_wait_alu 0xfffe
	s_or_b32 exec_lo, exec_lo, s8
	s_and_saveexec_b32 s11, s6
	s_cbranch_execz .LBB134_57
; %bb.54:                               ;   in Loop: Header=BB134_32 Depth=1
	s_sub_nc_u64 s[8:9], 0, s[64:65]
	s_mov_b32 s12, 0
.LBB134_55:                             ;   Parent Loop BB134_32 Depth=1
                                        ; =>  This Inner Loop Header: Depth=2
	v_dual_mov_b32 v9, v7 :: v_dual_mov_b32 v8, v6
	v_lshlrev_b32_e32 v11, 1, v4
	s_delay_alu instid0(VALU_DEP_2) | instskip(NEXT) | instid1(VALU_DEP_3)
	v_mul_lo_u32 v2, v9, s46
	v_mul_lo_u32 v7, v8, s47
	v_mad_co_u64_u32 v[5:6], null, v8, s46, 0
	s_delay_alu instid0(VALU_DEP_1) | instskip(SKIP_2) | instid1(VALU_DEP_2)
	v_add3_u32 v6, v6, v7, v2
	s_wait_loadcnt 0x0
	v_mov_b32_e32 v2, v10
	v_lshlrev_b64_e32 v[5:6], 1, v[5:6]
	ds_store_b16 v11, v2
	v_add_co_u32 v5, vcc_lo, s54, v5
	s_wait_alu 0xfffd
	v_add_co_ci_u32_e64 v6, null, s55, v6, vcc_lo
	global_load_u16 v10, v[5:6], off
	v_add_co_u32 v6, vcc_lo, v8, s64
	s_wait_alu 0xfffd
	v_add_co_ci_u32_e64 v7, null, 0, v9, vcc_lo
	v_dual_mov_b32 v4, v8 :: v_dual_mov_b32 v5, v9
	s_wait_alu 0xfffe
	v_add_co_u32 v8, s6, s8, v6
	s_delay_alu instid0(VALU_DEP_3)
	v_cmp_le_u64_e32 vcc_lo, s[20:21], v[6:7]
	s_wait_alu 0xf1ff
	v_add_co_ci_u32_e64 v5, null, s9, v7, s6
	s_or_b32 s12, vcc_lo, s12
	s_wait_alu 0xfffe
	s_and_not1_b32 exec_lo, exec_lo, s12
	s_cbranch_execnz .LBB134_55
; %bb.56:                               ;   in Loop: Header=BB134_32 Depth=1
	s_or_b32 exec_lo, exec_lo, s12
.LBB134_57:                             ;   in Loop: Header=BB134_32 Depth=1
	s_wait_alu 0xfffe
	s_or_b32 exec_lo, exec_lo, s11
.LBB134_58:                             ;   in Loop: Header=BB134_32 Depth=1
	s_wait_alu 0xfffe
	s_or_b32 exec_lo, exec_lo, s10
	v_lshlrev_b32_e32 v2, 1, v8
	s_wait_loadcnt 0x0
	ds_store_b16 v2, v10
.LBB134_59:                             ;   in Loop: Header=BB134_32 Depth=1
	s_wait_alu 0xfffe
	s_or_b32 exec_lo, exec_lo, s7
	s_wait_loadcnt_dscnt 0x0
	s_barrier_signal -1
	s_barrier_wait -1
	global_inv scope:SCOPE_SE
	s_and_saveexec_b32 s6, s3
; %bb.60:                               ;   in Loop: Header=BB134_32 Depth=1
	v_dual_mov_b32 v4, s20 :: v_dual_mov_b32 v5, s21
	ds_store_b64 v3, v[4:5] offset:5120
; %bb.61:                               ;   in Loop: Header=BB134_32 Depth=1
	s_wait_alu 0xfffe
	s_or_b32 exec_lo, exec_lo, s6
	s_mov_b32 s6, -1
	s_wait_loadcnt_dscnt 0x0
	s_barrier_signal -1
	s_barrier_wait -1
.LBB134_62:                             ;   in Loop: Header=BB134_32 Depth=1
	s_wait_alu 0xfffe
	s_and_b32 vcc_lo, exec_lo, s6
	s_mov_b64 s[72:73], 0
	s_wait_alu 0xfffe
	s_cbranch_vccz .LBB134_64
; %bb.63:                               ;   in Loop: Header=BB134_32 Depth=1
	s_wait_loadcnt 0x0
	global_inv scope:SCOPE_SE
	ds_load_b64 v[4:5], v3 offset:5120
	s_wait_dscnt 0x0
	v_readfirstlane_b32 s72, v4
.LBB134_64:                             ;   in Loop: Header=BB134_32 Depth=1
	s_delay_alu instid0(VALU_DEP_1)
	s_cmp_lt_i32 s72, 1
	s_mov_b32 s6, -1
                                        ; implicit-def: $vgpr4_vgpr5
                                        ; implicit-def: $vgpr8_vgpr9
	s_cbranch_scc1 .LBB134_74
; %bb.65:                               ;   in Loop: Header=BB134_32 Depth=1
	s_wait_alu 0xfffe
	s_and_b32 vcc_lo, exec_lo, s6
	s_wait_alu 0xfffe
	s_cbranch_vccnz .LBB134_88
.LBB134_66:                             ;   in Loop: Header=BB134_32 Depth=1
	s_lshl_b32 s6, s97, 7
	s_and_saveexec_b32 s7, s1
	s_cbranch_execz .LBB134_68
.LBB134_67:                             ;   in Loop: Header=BB134_32 Depth=1
	s_wait_alu 0xfffe
	v_lshl_add_u32 v2, s6, 3, v29
	ds_store_b128 v2, v[4:7]
	ds_store_b128 v2, v[8:11] offset:16
.LBB134_68:                             ;   in Loop: Header=BB134_32 Depth=1
	s_wait_alu 0xfffe
	s_or_b32 exec_lo, exec_lo, s7
	s_wait_loadcnt_dscnt 0x0
	s_barrier_signal -1
	s_barrier_wait -1
	global_inv scope:SCOPE_SE
	s_and_saveexec_b32 s7, s84
	s_cbranch_execz .LBB134_102
; %bb.69:                               ;   in Loop: Header=BB134_32 Depth=1
	v_mov_b32_e32 v4, 0
	v_mov_b32_e32 v5, 0
	s_and_not1_b32 vcc_lo, exec_lo, s85
	s_wait_alu 0xfffe
	s_cbranch_vccnz .LBB134_101
; %bb.70:                               ;   in Loop: Header=BB134_32 Depth=1
	v_mov_b32_e32 v4, 0
	v_mov_b32_e32 v5, 0
	s_and_not1_b32 vcc_lo, exec_lo, s89
	s_wait_alu 0xfffe
	s_cbranch_vccnz .LBB134_98
; %bb.71:                               ;   in Loop: Header=BB134_32 Depth=1
	v_lshl_add_u32 v2, s97, 10, v32
	s_mov_b32 s8, 0
.LBB134_72:                             ;   Parent Loop BB134_32 Depth=1
                                        ; =>  This Inner Loop Header: Depth=2
	ds_load_2addr_b64 v[6:9], v2 offset1:4
	ds_load_2addr_b64 v[21:24], v2 offset0:8 offset1:12
	ds_load_2addr_b64 v[36:39], v2 offset0:16 offset1:20
	s_wait_alu 0xfffe
	s_add_co_i32 s8, s8, 8
	s_wait_alu 0xfffe
	s_cmp_eq_u32 s90, s8
	s_wait_dscnt 0x2
	v_add_co_u32 v4, vcc_lo, v6, v4
	s_wait_alu 0xfffd
	v_add_co_ci_u32_e64 v5, null, v7, v5, vcc_lo
	s_delay_alu instid0(VALU_DEP_2) | instskip(SKIP_1) | instid1(VALU_DEP_2)
	v_add_co_u32 v8, vcc_lo, v8, v4
	s_wait_alu 0xfffd
	v_add_co_ci_u32_e64 v9, null, v9, v5, vcc_lo
	ds_load_2addr_b64 v[4:7], v2 offset0:24 offset1:28
	s_wait_dscnt 0x2
	v_add_co_u32 v8, vcc_lo, v21, v8
	s_wait_alu 0xfffd
	v_add_co_ci_u32_e64 v9, null, v22, v9, vcc_lo
	v_add_nc_u32_e32 v2, 0x100, v2
	s_delay_alu instid0(VALU_DEP_3) | instskip(SKIP_1) | instid1(VALU_DEP_3)
	v_add_co_u32 v8, vcc_lo, v23, v8
	s_wait_alu 0xfffd
	v_add_co_ci_u32_e64 v9, null, v24, v9, vcc_lo
	s_wait_dscnt 0x1
	s_delay_alu instid0(VALU_DEP_2) | instskip(SKIP_1) | instid1(VALU_DEP_2)
	v_add_co_u32 v8, vcc_lo, v36, v8
	s_wait_alu 0xfffd
	v_add_co_ci_u32_e64 v9, null, v37, v9, vcc_lo
	s_delay_alu instid0(VALU_DEP_2) | instskip(SKIP_1) | instid1(VALU_DEP_2)
	v_add_co_u32 v8, vcc_lo, v38, v8
	s_wait_alu 0xfffd
	v_add_co_ci_u32_e64 v9, null, v39, v9, vcc_lo
	s_wait_dscnt 0x0
	s_delay_alu instid0(VALU_DEP_2) | instskip(SKIP_1) | instid1(VALU_DEP_2)
	v_add_co_u32 v4, vcc_lo, v4, v8
	s_wait_alu 0xfffd
	v_add_co_ci_u32_e64 v5, null, v5, v9, vcc_lo
	s_delay_alu instid0(VALU_DEP_2) | instskip(SKIP_1) | instid1(VALU_DEP_2)
	v_add_co_u32 v4, vcc_lo, v6, v4
	s_wait_alu 0xfffd
	v_add_co_ci_u32_e64 v5, null, v7, v5, vcc_lo
	s_cbranch_scc0 .LBB134_72
; %bb.73:                               ;   in Loop: Header=BB134_32 Depth=1
	s_mov_b32 s8, s90
	s_and_not1_b32 vcc_lo, exec_lo, s91
	s_wait_alu 0xfffe
	s_cbranch_vccz .LBB134_99
	s_branch .LBB134_101
.LBB134_74:                             ;   in Loop: Header=BB134_32 Depth=1
	global_load_u16 v2, v3, s[70:71]
	s_mov_b32 s7, s21
	s_wait_loadcnt 0x0
	v_readfirstlane_b32 s6, v2
	s_wait_alu 0xfffe
	s_and_b32 s8, 0xffff, s6
	s_mov_b32 s6, s65
	s_wait_alu 0xfffe
	s_lshl_b32 s18, s8, 2
	s_cmp_lg_u64 s[6:7], 0
	s_cbranch_scc0 .LBB134_97
; %bb.75:                               ;   in Loop: Header=BB134_32 Depth=1
	s_wait_alu 0xfffe
	s_cvt_f32_u32 s6, s18
	s_mov_b32 s19, s65
	s_wait_alu 0xfffe
	s_sub_nc_u64 s[8:9], 0, s[18:19]
	s_fmamk_f32 s6, s93, 0x0, s6
	s_wait_alu 0xfffe
	s_delay_alu instid0(SALU_CYCLE_2) | instskip(NEXT) | instid1(TRANS32_DEP_1)
	v_s_rcp_f32 s6, s6
	s_mul_f32 s6, s6, 0x5f7ffffc
	s_wait_alu 0xfffe
	s_delay_alu instid0(SALU_CYCLE_2) | instskip(SKIP_1) | instid1(SALU_CYCLE_2)
	s_mul_f32 s7, s6, 0x2f800000
	s_wait_alu 0xfffe
	s_trunc_f32 s7, s7
	s_wait_alu 0xfffe
	s_delay_alu instid0(SALU_CYCLE_2) | instskip(SKIP_2) | instid1(SALU_CYCLE_1)
	s_fmamk_f32 s6, s7, 0xcf800000, s6
	s_cvt_u32_f32 s7, s7
	s_wait_alu 0xfffe
	s_cvt_u32_f32 s6, s6
	s_wait_alu 0xfffe
	s_delay_alu instid0(SALU_CYCLE_2)
	s_mul_u64 s[10:11], s[8:9], s[6:7]
	s_wait_alu 0xfffe
	s_mul_hi_u32 s13, s6, s11
	s_mul_i32 s12, s6, s11
	s_mul_hi_u32 s64, s6, s10
	s_mul_i32 s15, s7, s10
	s_wait_alu 0xfffe
	s_add_nc_u64 s[12:13], s[64:65], s[12:13]
	s_mul_hi_u32 s14, s7, s10
	s_mul_hi_u32 s16, s7, s11
	s_mul_i32 s10, s7, s11
	s_wait_alu 0xfffe
	s_add_co_u32 s11, s12, s15
	s_add_co_ci_u32 s64, s13, s14
	s_add_co_ci_u32 s11, s16, 0
	s_wait_alu 0xfffe
	s_add_nc_u64 s[10:11], s[64:65], s[10:11]
	s_wait_alu 0xfffe
	s_add_co_u32 s6, s6, s10
	s_cselect_b32 s10, -1, 0
	s_wait_alu 0xfffe
	s_cmp_lg_u32 s10, 0
	s_add_co_ci_u32 s7, s7, s11
	s_wait_alu 0xfffe
	s_mul_u64 s[8:9], s[8:9], s[6:7]
	s_wait_alu 0xfffe
	s_mul_hi_u32 s11, s6, s9
	s_mul_i32 s10, s6, s9
	s_mul_hi_u32 s64, s6, s8
	s_mul_i32 s13, s7, s8
	s_wait_alu 0xfffe
	s_add_nc_u64 s[10:11], s[64:65], s[10:11]
	s_mul_hi_u32 s12, s7, s8
	s_mul_hi_u32 s14, s7, s9
	s_mul_i32 s8, s7, s9
	s_wait_alu 0xfffe
	s_add_co_u32 s9, s10, s13
	s_add_co_ci_u32 s64, s11, s12
	s_add_co_ci_u32 s9, s14, 0
	s_wait_alu 0xfffe
	s_add_nc_u64 s[8:9], s[64:65], s[8:9]
	s_wait_alu 0xfffe
	s_add_co_u32 s6, s6, s8
	s_cselect_b32 s8, -1, 0
	s_wait_alu 0xfffe
	s_mul_hi_u32 s64, s20, s6
	s_cmp_lg_u32 s8, 0
	s_mul_hi_u32 s10, s21, s6
	s_add_co_ci_u32 s8, s7, s9
	s_mul_i32 s9, s21, s6
	s_wait_alu 0xfffe
	s_mul_hi_u32 s7, s20, s8
	s_mul_i32 s6, s20, s8
	s_mul_hi_u32 s11, s21, s8
	s_wait_alu 0xfffe
	s_add_nc_u64 s[6:7], s[64:65], s[6:7]
	s_mul_i32 s8, s21, s8
	s_wait_alu 0xfffe
	s_add_co_u32 s6, s6, s9
	s_add_co_ci_u32 s64, s7, s10
	s_add_co_ci_u32 s9, s11, 0
	s_wait_alu 0xfffe
	s_add_nc_u64 s[6:7], s[64:65], s[8:9]
	s_wait_alu 0xfffe
	s_mul_u64 s[6:7], s[18:19], s[6:7]
	s_wait_alu 0xfffe
	s_sub_co_u32 s6, s20, s6
	s_cselect_b32 s8, -1, 0
	s_wait_alu 0xfffe
	s_cmp_lg_u32 s8, 0
	s_sub_co_ci_u32 s7, s21, s7
	s_sub_co_u32 s8, s6, s18
	s_cselect_b32 s9, -1, 0
	s_wait_alu 0xfffe
	s_cmp_lg_u32 s9, 0
	s_sub_co_ci_u32 s9, s7, 0
	;; [unrolled: 5-line block ×3, first 2 shown]
	s_cmp_ge_u32 s8, s18
	s_cselect_b32 s12, -1, 0
	s_cmp_eq_u32 s9, 0
	s_wait_alu 0xfffe
	s_cselect_b32 s12, s12, -1
	s_wait_alu 0xfffe
	s_cmp_lg_u32 s12, 0
	s_cselect_b32 s9, s11, s9
	s_cselect_b32 s8, s10, s8
	s_cmp_ge_u32 s6, s18
	s_cselect_b32 s10, -1, 0
	s_cmp_eq_u32 s7, 0
	s_wait_alu 0xfffe
	s_cselect_b32 s10, s10, -1
	s_wait_alu 0xfffe
	s_cmp_lg_u32 s10, 0
	s_cselect_b32 s7, s9, s7
	s_cselect_b32 s6, s8, s6
	s_cbranch_execnz .LBB134_77
.LBB134_76:                             ;   in Loop: Header=BB134_32 Depth=1
	s_wait_alu 0xfffe
	v_cvt_f32_u32_e32 v4, s18
	s_sub_co_i32 s7, 0, s18
	s_delay_alu instid0(VALU_DEP_1) | instskip(NEXT) | instid1(TRANS32_DEP_1)
	v_rcp_iflag_f32_e32 v4, v4
	v_mul_f32_e32 v4, 0x4f7ffffe, v4
	s_delay_alu instid0(VALU_DEP_1) | instskip(NEXT) | instid1(VALU_DEP_1)
	v_cvt_u32_f32_e32 v4, v4
	v_readfirstlane_b32 s6, v4
	s_wait_alu 0xfffe
	s_mul_i32 s7, s7, s6
	s_wait_alu 0xfffe
	s_mul_hi_u32 s7, s6, s7
	s_wait_alu 0xfffe
	s_add_co_i32 s6, s6, s7
	s_wait_alu 0xfffe
	s_mul_hi_u32 s6, s20, s6
	s_wait_alu 0xfffe
	s_mul_i32 s6, s6, s18
	s_wait_alu 0xfffe
	s_sub_co_i32 s6, s20, s6
	s_wait_alu 0xfffe
	s_sub_co_i32 s7, s6, s18
	s_cmp_ge_u32 s6, s18
	s_wait_alu 0xfffe
	s_cselect_b32 s6, s7, s6
	s_wait_alu 0xfffe
	s_sub_co_i32 s7, s6, s18
	s_cmp_ge_u32 s6, s18
	s_wait_alu 0xfffe
	s_cselect_b32 s64, s7, s6
	s_wait_alu 0xfffe
	s_mov_b64 s[6:7], s[64:65]
.LBB134_77:                             ;   in Loop: Header=BB134_32 Depth=1
	v_mov_b32_e32 v4, 0
	v_dual_mov_b32 v8, 0 :: v_dual_mov_b32 v5, 0
	v_dual_mov_b32 v6, 0 :: v_dual_mov_b32 v9, 0
	;; [unrolled: 1-line block ×3, first 2 shown]
	v_mov_b32_e32 v11, 0
	s_wait_alu 0xfffe
	s_sub_nc_u64 s[74:75], s[20:21], s[6:7]
	s_mov_b32 s17, exec_lo
	s_wait_alu 0xfffe
	v_cmpx_gt_u64_e64 s[74:75], v[12:13]
	s_cbranch_execz .LBB134_81
; %bb.78:                               ;   in Loop: Header=BB134_32 Depth=1
	v_dual_mov_b32 v22, v13 :: v_dual_mov_b32 v21, v12
	s_mov_b64 s[76:77], 0
	s_mov_b32 s19, 0
	s_mov_b64 s[78:79], 0
	s_mov_b64 s[80:81], 0
	;; [unrolled: 1-line block ×3, first 2 shown]
.LBB134_79:                             ;   Parent Loop BB134_32 Depth=1
                                        ; =>  This Inner Loop Header: Depth=2
	v_mul_lo_u32 v6, v22, s46
	v_mul_lo_u32 v7, v21, s47
	v_mad_co_u64_u32 v[4:5], null, v21, s46, 0
	s_lshl_b64 s[6:7], s[46:47], 1
	v_add3_u32 v5, v5, v7, v6
	s_delay_alu instid0(VALU_DEP_1) | instskip(NEXT) | instid1(VALU_DEP_1)
	v_lshlrev_b64_e32 v[4:5], 1, v[4:5]
	v_add_co_u32 v4, vcc_lo, s54, v4
	s_wait_alu 0xfffd
	s_delay_alu instid0(VALU_DEP_2) | instskip(SKIP_1) | instid1(VALU_DEP_2)
	v_add_co_ci_u32_e64 v5, null, s55, v5, vcc_lo
	s_wait_alu 0xfffe
	v_add_co_u32 v6, vcc_lo, v4, s6
	s_wait_alu 0xfffd
	s_delay_alu instid0(VALU_DEP_2)
	v_add_co_ci_u32_e64 v7, null, s7, v5, vcc_lo
	s_clause 0x1
	global_load_u16 v8, v[4:5], off
	global_load_u16 v9, v[6:7], off
	v_add_co_u32 v4, vcc_lo, v6, s6
	s_wait_alu 0xfffd
	v_add_co_ci_u32_e64 v5, null, s7, v7, vcc_lo
	s_delay_alu instid0(VALU_DEP_2)
	v_add_co_u32 v6, vcc_lo, v4, s6
	global_load_u16 v4, v[4:5], off
	s_wait_alu 0xfffd
	v_add_co_ci_u32_e64 v7, null, s7, v5, vcc_lo
	v_add_co_u32 v21, vcc_lo, v21, s18
	s_wait_alu 0xfffd
	v_add_co_ci_u32_e64 v22, null, 0, v22, vcc_lo
	global_load_u16 v5, v[6:7], off
	v_cmp_le_u64_e32 vcc_lo, s[74:75], v[21:22]
	s_wait_loadcnt 0x3
	v_cmp_lt_i16_e64 s6, -1, v8
	v_and_b32_e32 v6, 0xffff, v8
	v_cmp_o_f16_e64 s7, v8, v8
	s_wait_loadcnt 0x2
	v_cmp_lt_i16_e64 s8, -1, v9
	v_and_b32_e32 v8, 0xffff, v9
	s_wait_alu 0xf1ff
	v_cndmask_b32_e64 v7, 0xffff, v33, s6
	v_cmp_o_f16_e64 s6, v9, v9
	v_cndmask_b32_e64 v9, 0xffff, v33, s8
	s_delay_alu instid0(VALU_DEP_3)
	v_xor_b32_e32 v6, v7, v6
	s_wait_loadcnt 0x1
	v_cmp_lt_i16_e64 s8, -1, v4
	v_and_b32_e32 v7, 0xffff, v4
	v_cmp_o_f16_e64 s9, v4, v4
	v_xor_b32_e32 v4, v9, v8
	v_cndmask_b32_e64 v6, 0xffff, v6, s7
	s_wait_alu 0xf1ff
	v_cndmask_b32_e64 v8, 0xffff, v33, s8
	s_wait_loadcnt 0x0
	v_cmp_lt_i16_e64 s8, -1, v5
	v_and_b32_e32 v9, 0xffff, v5
	v_cmp_o_f16_e64 s7, v5, v5
	v_xor_b32_e32 v5, v8, v7
	v_and_b32_e32 v8, v6, v34
	s_wait_alu 0xf1ff
	v_cndmask_b32_e64 v7, 0xffff, v33, s8
	v_cndmask_b32_e64 v4, 0xffff, v4, s6
	v_bfe_u32 v6, v6, s94, 2
	v_cndmask_b32_e64 v5, 0xffff, v5, s9
	v_cmp_eq_u32_e64 s6, v8, v30
	v_xor_b32_e32 v7, v7, v9
	v_and_b32_e32 v8, v4, v34
	v_bfe_u32 v4, v4, s94, 2
	v_cmp_eq_u32_e64 s8, 0, v6
	v_cmp_eq_u32_e64 s9, 1, v6
	;; [unrolled: 1-line block ×4, first 2 shown]
	v_cndmask_b32_e64 v6, 0xffff, v7, s7
	v_cmp_eq_u32_e64 s7, v8, v30
	v_and_b32_e32 v7, v5, v34
	v_bfe_u32 v5, v5, s94, 2
	v_cmp_eq_u32_e64 s12, 0, v4
	s_and_b32 s13, s6, s8
	v_cmp_eq_u32_e64 s8, 1, v4
	s_and_b32 s14, s6, s9
	;; [unrolled: 2-line block ×3, first 2 shown]
	v_cmp_eq_u32_e64 s10, 3, v4
	s_wait_alu 0xfffe
	v_cndmask_b32_e64 v4, 0, 1, s13
	s_and_b32 s6, s6, s11
	v_cndmask_b32_e64 v8, 0, 1, s14
	v_cndmask_b32_e64 v9, 0, 1, s15
	s_wait_alu 0xfffe
	v_cndmask_b32_e64 v10, 0, 1, s6
	v_cmp_eq_u32_e64 s6, v7, v30
	v_and_b32_e32 v7, v6, v34
	v_bfe_u32 v6, v6, s94, 2
	v_cmp_eq_u32_e64 s11, 0, v5
	s_and_b32 s13, s7, s12
	v_cmp_eq_u32_e64 s12, 1, v5
	s_and_b32 s14, s7, s8
	;; [unrolled: 2-line block ×4, first 2 shown]
	v_cmp_ne_u32_e64 s7, 0, v4
	s_wait_alu 0xfffe
	v_cndmask_b32_e64 v4, 0, 1, s13
	v_cndmask_b32_e64 v5, 0, 1, s14
	v_cmp_ne_u32_e64 s10, 0, v8
	v_cmp_ne_u32_e64 s13, 0, v9
	v_cndmask_b32_e64 v8, 0, 1, s15
	v_cndmask_b32_e64 v9, 0, 1, s16
	v_cmp_eq_u32_e64 s15, v7, v30
	v_cmp_eq_u32_e64 s16, 0, v6
	s_and_b32 s36, s6, s11
	v_cmp_eq_u32_e64 s11, 1, v6
	s_and_b32 s37, s6, s12
	s_and_b32 s38, s6, s8
	;; [unrolled: 1-line block ×3, first 2 shown]
	v_cmp_ne_u32_e64 s6, 0, v4
	s_wait_alu 0xfffe
	v_cndmask_b32_e64 v4, 0, 1, s36
	v_cmp_eq_u32_e64 s12, 2, v6
	s_bcnt1_i32_b32 s52, s7
	v_cmp_ne_u32_e64 s7, 0, v5
	v_cndmask_b32_e64 v5, 0, 1, s37
	v_cmp_ne_u32_e64 s9, 0, v8
	s_and_b32 s16, s15, s16
	v_cmp_eq_u32_e64 s8, 3, v6
	v_cndmask_b32_e64 v6, 0, 1, s38
	v_cmp_ne_u32_e64 s14, 0, v10
	s_bcnt1_i32_b32 s36, s10
	v_cmp_ne_u32_e64 s10, 0, v9
	s_and_b32 s11, s15, s11
	s_bcnt1_i32_b32 s37, s6
	v_cmp_ne_u32_e64 s6, 0, v4
	s_wait_alu 0xfffe
	v_cndmask_b32_e64 v4, 0, 1, s16
	v_cndmask_b32_e64 v7, 0, 1, s39
	s_and_b32 s12, s15, s12
	s_bcnt1_i32_b32 s16, s7
	v_cmp_ne_u32_e64 s7, 0, v5
	v_cndmask_b32_e64 v5, 0, 1, s11
	s_bcnt1_i32_b32 s13, s13
	s_bcnt1_i32_b32 s11, s9
	s_and_b32 s15, s15, s8
	v_cmp_ne_u32_e64 s8, 0, v6
	s_wait_alu 0xfffe
	v_cndmask_b32_e64 v6, 0, 1, s12
	s_bcnt1_i32_b32 s14, s14
	s_bcnt1_i32_b32 s10, s10
	s_add_co_i32 s11, s11, s13
	s_bcnt1_i32_b32 s13, s6
	v_cmp_ne_u32_e64 s6, 0, v4
	v_cmp_ne_u32_e64 s9, 0, v7
	v_cndmask_b32_e64 v7, 0, 1, s15
	s_wait_alu 0xfffe
	s_add_co_i32 s10, s10, s14
	s_bcnt1_i32_b32 s14, s7
	v_cmp_ne_u32_e64 s7, 0, v5
	s_add_co_i32 s12, s37, s52
	s_add_co_i32 s15, s16, s36
	s_bcnt1_i32_b32 s16, s8
	v_cmp_ne_u32_e64 s8, 0, v6
	s_wait_alu 0xfffe
	s_add_co_i32 s12, s12, s13
	s_bcnt1_i32_b32 s6, s6
	s_bcnt1_i32_b32 s36, s9
	v_cmp_ne_u32_e64 s9, 0, v7
	s_add_co_i32 s13, s15, s14
	s_bcnt1_i32_b32 s7, s7
	s_wait_alu 0xfffe
	s_add_co_i32 s64, s12, s6
	s_add_co_i32 s11, s11, s16
	s_bcnt1_i32_b32 s8, s8
	s_wait_alu 0xfffe
	s_add_nc_u64 s[82:83], s[82:83], s[64:65]
	s_add_co_i32 s64, s13, s7
	s_add_co_i32 s10, s10, s36
	s_bcnt1_i32_b32 s9, s9
	s_wait_alu 0xfffe
	s_add_nc_u64 s[80:81], s[80:81], s[64:65]
	s_add_co_i32 s64, s11, s8
	v_mov_b32_e32 v4, s82
	s_wait_alu 0xfffe
	s_add_nc_u64 s[78:79], s[78:79], s[64:65]
	s_add_co_i32 s64, s10, s9
	v_mov_b32_e32 v6, s80
	s_wait_alu 0xfffe
	s_add_nc_u64 s[76:77], s[76:77], s[64:65]
	v_mov_b32_e32 v8, s78
	s_wait_alu 0xfffe
	v_dual_mov_b32 v10, s76 :: v_dual_mov_b32 v5, s83
	v_mov_b32_e32 v7, s81
	v_mov_b32_e32 v9, s79
	;; [unrolled: 1-line block ×3, first 2 shown]
	s_or_b32 s19, vcc_lo, s19
	s_wait_alu 0xfffe
	s_and_not1_b32 exec_lo, exec_lo, s19
	s_cbranch_execnz .LBB134_79
; %bb.80:                               ;   in Loop: Header=BB134_32 Depth=1
	s_or_b32 exec_lo, exec_lo, s19
.LBB134_81:                             ;   in Loop: Header=BB134_32 Depth=1
	s_wait_alu 0xfffe
	s_or_b32 exec_lo, exec_lo, s17
	v_add_co_u32 v21, s6, s74, v0
	v_and_b32_e32 v2, 0xffff, v2
	s_wait_alu 0xf1ff
	v_add_co_ci_u32_e64 v22, null, s75, 0, s6
	s_mov_b32 s10, exec_lo
	v_cmpx_gt_u64_e64 s[20:21], v[21:22]
	s_cbranch_execz .LBB134_87
; %bb.82:                               ;   in Loop: Header=BB134_32 Depth=1
	v_mul_lo_u32 v36, v22, s46
	v_mul_lo_u32 v37, v21, s47
	v_mad_co_u64_u32 v[23:24], null, v21, s46, 0
	s_mov_b32 s11, 0
	v_add3_u32 v24, v24, v37, v36
	s_delay_alu instid0(VALU_DEP_1) | instskip(NEXT) | instid1(VALU_DEP_1)
	v_lshlrev_b64_e32 v[23:24], 1, v[23:24]
	v_add_co_u32 v23, vcc_lo, s54, v23
	s_wait_alu 0xfffd
	s_delay_alu instid0(VALU_DEP_2)
	v_add_co_ci_u32_e64 v24, null, s55, v24, vcc_lo
	global_load_u16 v24, v[23:24], off
	s_branch .LBB134_84
.LBB134_83:                             ;   in Loop: Header=BB134_84 Depth=2
	s_wait_alu 0xfffe
	s_or_b32 exec_lo, exec_lo, s7
	s_wait_loadcnt 0x0
	v_cmp_lt_i16_e64 s6, -1, v24
	v_and_b32_e32 v36, 0xffff, v24
	s_and_b32 s7, exec_lo, vcc_lo
	s_wait_alu 0xfffe
	s_or_b32 s11, s7, s11
	v_cndmask_b32_e64 v37, 0xffff, v33, s6
	v_cmp_o_f16_e64 s6, v24, v24
	s_delay_alu instid0(VALU_DEP_2) | instskip(SKIP_1) | instid1(VALU_DEP_1)
	v_xor_b32_e32 v36, v37, v36
	s_wait_alu 0xf1ff
	v_cndmask_b32_e64 v24, 0xffff, v36, s6
	s_delay_alu instid0(VALU_DEP_1) | instskip(SKIP_1) | instid1(VALU_DEP_2)
	v_and_b32_e32 v36, v24, v34
	v_bfe_u32 v24, v24, s94, 2
	v_cmp_eq_u32_e32 vcc_lo, v36, v30
	s_delay_alu instid0(VALU_DEP_2)
	v_cmp_eq_u32_e64 s6, 0, v24
	v_cmp_eq_u32_e64 s7, 1, v24
	;; [unrolled: 1-line block ×4, first 2 shown]
	s_and_b32 s6, vcc_lo, s6
	s_wait_alu 0xfffe
	v_cndmask_b32_e64 v24, 0, 1, s6
	s_and_b32 s6, vcc_lo, s7
	s_wait_alu 0xfffe
	v_cndmask_b32_e64 v36, 0, 1, s6
	s_and_b32 s6, vcc_lo, s8
	s_wait_alu 0xfffe
	v_cndmask_b32_e64 v37, 0, 1, s6
	s_and_b32 s6, vcc_lo, s9
	v_cmp_ne_u32_e32 vcc_lo, 0, v24
	s_wait_alu 0xfffe
	v_cndmask_b32_e64 v38, 0, 1, s6
	v_cmp_ne_u32_e64 s6, 0, v36
	v_cmp_ne_u32_e64 s7, 0, v37
	v_mov_b32_e32 v24, v23
	s_bcnt1_i32_b32 s9, vcc_lo
	v_cmp_ne_u32_e64 s8, 0, v38
	s_bcnt1_i32_b32 s6, s6
	s_wait_alu 0xfffe
	v_add_co_u32 v4, vcc_lo, v4, s9
	s_bcnt1_i32_b32 s7, s7
	s_wait_alu 0xfffd
	v_add_co_ci_u32_e64 v5, null, 0, v5, vcc_lo
	v_add_co_u32 v6, vcc_lo, v6, s6
	s_wait_alu 0xfffd
	v_add_co_ci_u32_e64 v7, null, 0, v7, vcc_lo
	s_wait_alu 0xfffe
	v_add_co_u32 v8, vcc_lo, v8, s7
	s_bcnt1_i32_b32 s6, s8
	s_wait_alu 0xfffd
	v_add_co_ci_u32_e64 v9, null, 0, v9, vcc_lo
	s_wait_alu 0xfffe
	v_add_co_u32 v10, vcc_lo, v10, s6
	s_wait_alu 0xfffd
	v_add_co_ci_u32_e64 v11, null, 0, v11, vcc_lo
	s_and_not1_b32 exec_lo, exec_lo, s11
	s_cbranch_execz .LBB134_86
.LBB134_84:                             ;   Parent Loop BB134_32 Depth=1
                                        ; =>  This Inner Loop Header: Depth=2
	v_add_co_u32 v21, vcc_lo, v21, v2
	s_wait_alu 0xfffd
	v_add_co_ci_u32_e64 v22, null, 0, v22, vcc_lo
	v_mov_b32_e32 v23, 0
	s_mov_b32 s7, exec_lo
	s_delay_alu instid0(VALU_DEP_2)
	v_cmp_le_u64_e32 vcc_lo, s[20:21], v[21:22]
	v_cmpx_gt_u64_e64 s[20:21], v[21:22]
	s_cbranch_execz .LBB134_83
; %bb.85:                               ;   in Loop: Header=BB134_84 Depth=2
	v_mul_lo_u32 v23, v22, s46
	v_mul_lo_u32 v38, v21, s47
	v_mad_co_u64_u32 v[36:37], null, v21, s46, 0
	s_delay_alu instid0(VALU_DEP_1) | instskip(NEXT) | instid1(VALU_DEP_1)
	v_add3_u32 v37, v37, v38, v23
	v_lshlrev_b64_e32 v[36:37], 1, v[36:37]
	s_delay_alu instid0(VALU_DEP_1) | instskip(SKIP_1) | instid1(VALU_DEP_2)
	v_add_co_u32 v36, s6, s54, v36
	s_wait_alu 0xf1ff
	v_add_co_ci_u32_e64 v37, null, s55, v37, s6
	global_load_u16 v23, v[36:37], off
	s_branch .LBB134_83
.LBB134_86:                             ;   in Loop: Header=BB134_32 Depth=1
	s_or_b32 exec_lo, exec_lo, s11
.LBB134_87:                             ;   in Loop: Header=BB134_32 Depth=1
	s_wait_alu 0xfffe
	s_or_b32 exec_lo, exec_lo, s10
	s_branch .LBB134_66
.LBB134_88:                             ;   in Loop: Header=BB134_32 Depth=1
	global_load_u16 v2, v3, s[70:71]
	v_mov_b32_e32 v6, 0
	v_mov_b32_e32 v8, 0
	v_dual_mov_b32 v10, 0 :: v_dual_mov_b32 v9, 0
	v_mov_b32_e32 v11, 0
	s_mov_b32 s104, exec_lo
	v_mov_b32_e32 v7, 0
	s_wait_loadcnt 0x0
	v_readfirstlane_b32 s6, v2
	v_and_b32_e32 v2, 0xffff, v2
	s_and_b32 s73, 0xffff, s6
	s_wait_alu 0xfffe
	s_lshl_b32 s83, s73, 2
	s_wait_alu 0xfffe
	s_cvt_f32_u32 s6, s83
	s_sub_co_i32 s7, 0, s83
	s_wait_alu 0xfffe
	s_delay_alu instid0(SALU_CYCLE_1) | instskip(NEXT) | instid1(TRANS32_DEP_1)
	v_rcp_iflag_f32_e32 v4, s6
	v_readfirstlane_b32 s6, v4
	s_mul_f32 s6, s6, 0x4f7ffffe
	s_wait_alu 0xfffe
	s_delay_alu instid0(SALU_CYCLE_2) | instskip(SKIP_1) | instid1(SALU_CYCLE_2)
	s_cvt_u32_f32 s6, s6
	s_wait_alu 0xfffe
	s_mul_i32 s7, s7, s6
	s_wait_alu 0xfffe
	s_mul_hi_u32 s7, s6, s7
	s_wait_alu 0xfffe
	s_add_co_i32 s6, s6, s7
	s_wait_alu 0xfffe
	s_mul_hi_u32 s6, s72, s6
	s_wait_alu 0xfffe
	s_mul_i32 s7, s6, s83
	s_add_co_i32 s8, s6, 1
	s_wait_alu 0xfffe
	s_sub_co_i32 s7, s72, s7
	s_wait_alu 0xfffe
	s_sub_co_i32 s9, s7, s83
	s_cmp_ge_u32 s7, s83
	s_cselect_b32 s6, s8, s6
	s_wait_alu 0xfffe
	s_cselect_b32 s7, s9, s7
	s_add_co_i32 s8, s6, 1
	s_wait_alu 0xfffe
	s_cmp_ge_u32 s7, s83
	s_cselect_b32 s82, s8, s6
	s_wait_alu 0xfffe
	v_mul_hi_u32 v5, s82, v2
	v_mul_lo_u32 v4, s82, v2
	s_delay_alu instid0(VALU_DEP_1) | instskip(SKIP_2) | instid1(VALU_DEP_3)
	v_lshlrev_b64_e32 v[21:22], 2, v[4:5]
	v_mov_b32_e32 v4, 0
	v_mov_b32_e32 v5, 0
	v_cmpx_gt_u64_e64 v[21:22], v[12:13]
	s_cbranch_execz .LBB134_92
; %bb.89:                               ;   in Loop: Header=BB134_32 Depth=1
	v_mov_b32_e32 v24, v13
	v_dual_mov_b32 v36, v31 :: v_dual_mov_b32 v23, v12
	s_lshl_b32 vcc_hi, s73, 3
	s_mov_b64 s[74:75], 0
	s_mov_b32 s52, 0
	s_mov_b64 s[76:77], 0
	s_mov_b64 s[78:79], 0
	s_mov_b64 s[80:81], 0
.LBB134_90:                             ;   Parent Loop BB134_32 Depth=1
                                        ; =>  This Inner Loop Header: Depth=2
	ds_load_b64 v[4:5], v36
	v_add_co_u32 v23, vcc_lo, v23, s83
	s_wait_alu 0xfffd
	v_add_co_ci_u32_e64 v24, null, 0, v24, vcc_lo
	s_delay_alu instid0(VALU_DEP_1)
	v_cmp_ge_u64_e32 vcc_lo, v[23:24], v[21:22]
	s_wait_dscnt 0x0
	v_cmp_lt_i16_e64 s6, -1, v4
	v_lshrrev_b32_e32 v6, 16, v4
	v_and_b32_e32 v7, 0xffff, v4
	v_and_b32_e32 v8, 0xffff, v5
	v_cmp_lt_i16_e64 s7, -1, v5
	v_cmp_o_f16_e64 s8, v5, v5
	v_cmp_o_f16_e64 s9, v4, v4
	v_lshrrev_b32_e32 v4, 16, v5
	s_wait_alu 0xf1ff
	v_cndmask_b32_e64 v5, 0xffff, v33, s6
	v_cmp_lt_i16_e64 s6, -1, v6
	v_cmp_o_f16_e64 s11, v6, v6
	v_cmp_o_f16_e64 s10, v4, v4
	s_delay_alu instid0(VALU_DEP_4) | instskip(SKIP_2) | instid1(VALU_DEP_3)
	v_xor_b32_e32 v5, v5, v7
	v_cndmask_b32_e64 v7, 0xffff, v33, s7
	v_cmp_lt_i16_e64 s7, -1, v4
	v_cndmask_b32_e64 v5, 0xffff, v5, s9
	s_delay_alu instid0(VALU_DEP_3) | instskip(SKIP_2) | instid1(VALU_DEP_2)
	v_xor_b32_e32 v7, v7, v8
	s_wait_alu 0xf1ff
	v_cndmask_b32_e64 v8, 0xffff, v33, s6
	v_cndmask_b32_e64 v7, 0xffff, v7, s8
	s_delay_alu instid0(VALU_DEP_2) | instskip(SKIP_1) | instid1(VALU_DEP_2)
	v_xor_b32_e32 v6, v8, v6
	v_cndmask_b32_e64 v8, 0xffff, v33, s7
	v_cndmask_b32_e64 v6, 0xffff, v6, s11
	s_delay_alu instid0(VALU_DEP_2) | instskip(SKIP_2) | instid1(VALU_DEP_3)
	v_xor_b32_e32 v4, v8, v4
	v_and_b32_e32 v8, v5, v34
	v_bfe_u32 v5, v5, s94, 2
	v_cndmask_b32_e64 v4, 0xffff, v4, s10
	s_delay_alu instid0(VALU_DEP_3)
	v_cmp_eq_u32_e64 s6, v8, v30
	v_and_b32_e32 v8, v7, v34
	v_bfe_u32 v7, v7, s94, 2
	v_cmp_eq_u32_e64 s9, 1, v5
	v_cmp_eq_u32_e64 s8, 0, v5
	;; [unrolled: 1-line block ×5, first 2 shown]
	v_and_b32_e32 v8, v6, v34
	v_cmp_eq_u32_e64 s11, 3, v5
	v_and_b32_e32 v5, v4, v34
	v_bfe_u32 v6, v6, s94, 2
	v_bfe_u32 v4, v4, s94, 2
	v_cmp_eq_u32_e64 s13, 1, v7
	v_cmp_eq_u32_e64 s14, 2, v7
	;; [unrolled: 1-line block ×3, first 2 shown]
	s_and_b32 s64, s7, s12
	s_and_b32 s58, s6, s9
	v_cmp_eq_u32_e64 s16, v8, v30
	v_cmp_eq_u32_e64 s17, v5, v30
	;; [unrolled: 1-line block ×4, first 2 shown]
	s_and_b32 s53, s6, s8
	v_cmp_eq_u32_e64 s8, 1, v6
	v_cmp_eq_u32_e64 s9, 2, v6
	s_and_b32 s36, s6, s10
	v_cmp_eq_u32_e64 s10, 3, v6
	s_wait_alu 0xfffe
	v_cndmask_b32_e64 v5, 0, 1, s64
	v_cndmask_b32_e64 v6, 0, 1, s58
	v_cmp_eq_u32_e64 s12, 1, v4
	s_and_b32 s59, s7, s13
	v_cmp_eq_u32_e64 s13, 2, v4
	s_and_b32 s37, s7, s14
	v_cmp_eq_u32_e64 s14, 3, v4
	v_cndmask_b32_e64 v4, 0, 1, s53
	v_cndmask_b32_e64 v8, 0, 1, s36
	s_and_b32 s11, s6, s11
	s_and_b32 s15, s7, s15
	s_wait_alu 0xfffe
	v_cndmask_b32_e64 v7, 0, 1, s59
	v_cmp_ne_u32_e64 s7, 0, v5
	v_cndmask_b32_e64 v5, 0, 1, s11
	v_cmp_ne_u32_e64 s11, 0, v6
	v_cndmask_b32_e64 v6, 0, 1, s15
	s_and_b32 s15, s16, s18
	s_and_b32 s18, s17, s19
	v_cmp_ne_u32_e64 s6, 0, v4
	v_cndmask_b32_e64 v4, 0, 1, s37
	s_and_b32 s37, s16, s9
	v_cmp_ne_u32_e64 s9, 0, v8
	s_wait_alu 0xfffe
	v_cndmask_b32_e64 v8, 0, 1, s18
	s_and_b32 s19, s16, s8
	s_and_b32 s16, s16, s10
	v_cmp_ne_u32_e64 s8, 0, v7
	v_cndmask_b32_e64 v7, 0, 1, s15
	v_cmp_ne_u32_e64 s10, 0, v4
	s_wait_alu 0xfffe
	v_cndmask_b32_e64 v4, 0, 1, s19
	v_cmp_ne_u32_e64 s15, 0, v8
	v_cndmask_b32_e64 v8, 0, 1, s16
	s_and_b32 s36, s17, s12
	s_and_b32 s38, s17, s13
	v_cmp_ne_u32_e64 s13, 0, v6
	v_cndmask_b32_e64 v6, 0, 1, s37
	s_and_b32 s17, s17, s14
	v_cmp_ne_u32_e64 s14, 0, v7
	v_cmp_ne_u32_e64 s12, 0, v5
	s_wait_alu 0xfffe
	v_cndmask_b32_e64 v5, 0, 1, s36
	v_cmp_ne_u32_e64 s16, 0, v4
	s_bcnt1_i32_b32 s36, s9
	v_cmp_ne_u32_e64 s9, 0, v8
	v_cndmask_b32_e64 v7, 0, 1, s38
	s_bcnt1_i32_b32 s18, s7
	v_cmp_ne_u32_e64 s7, 0, v6
	v_cndmask_b32_e64 v4, 0, 1, s17
	s_bcnt1_i32_b32 s17, s6
	s_bcnt1_i32_b32 s14, s14
	v_cmp_ne_u32_e64 s6, 0, v5
	s_bcnt1_i32_b32 s11, s11
	s_bcnt1_i32_b32 s12, s12
	;; [unrolled: 1-line block ×4, first 2 shown]
	s_wait_alu 0xfffe
	s_add_co_i32 s14, s14, s17
	s_bcnt1_i32_b32 s19, s8
	v_cmp_ne_u32_e64 s8, 0, v7
	s_bcnt1_i32_b32 s15, s15
	s_bcnt1_i32_b32 s7, s7
	s_add_co_i32 s11, s16, s11
	s_add_co_i32 s9, s9, s12
	s_wait_alu 0xfffe
	s_add_co_i32 s12, s14, s18
	s_bcnt1_i32_b32 s37, s10
	v_cmp_ne_u32_e64 s10, 0, v4
	s_bcnt1_i32_b32 s6, s6
	s_add_co_i32 s7, s7, s36
	s_add_co_i32 s11, s11, s19
	s_wait_alu 0xfffe
	s_add_co_i32 s64, s12, s15
	s_bcnt1_i32_b32 s13, s13
	s_bcnt1_i32_b32 s8, s8
	s_add_co_i32 s7, s7, s37
	s_wait_alu 0xfffe
	s_add_nc_u64 s[80:81], s[80:81], s[64:65]
	s_add_co_i32 s64, s11, s6
	s_bcnt1_i32_b32 s10, s10
	s_add_co_i32 s9, s9, s13
	s_wait_alu 0xfffe
	s_add_nc_u64 s[78:79], s[78:79], s[64:65]
	s_add_co_i32 s64, s7, s8
	v_mov_b32_e32 v4, s80
	s_wait_alu 0xfffe
	s_add_nc_u64 s[76:77], s[76:77], s[64:65]
	s_add_co_i32 s64, s9, s10
	v_mov_b32_e32 v6, s78
	s_wait_alu 0xfffe
	s_add_nc_u64 s[74:75], s[74:75], s[64:65]
	v_mov_b32_e32 v8, s76
	s_wait_alu 0xfffe
	v_mov_b32_e32 v10, s74
	s_wait_alu 0xfffd
	v_dual_mov_b32 v5, s81 :: v_dual_add_nc_u32 v36, vcc_hi, v36
	v_mov_b32_e32 v7, s79
	v_mov_b32_e32 v9, s77
	v_mov_b32_e32 v11, s75
	s_or_b32 s52, vcc_lo, s52
	s_wait_alu 0xfffe
	s_and_not1_b32 exec_lo, exec_lo, s52
	s_cbranch_execnz .LBB134_90
; %bb.91:                               ;   in Loop: Header=BB134_32 Depth=1
	s_or_b32 exec_lo, exec_lo, s52
.LBB134_92:                             ;   in Loop: Header=BB134_32 Depth=1
	s_delay_alu instid0(SALU_CYCLE_1)
	s_or_b32 exec_lo, exec_lo, s104
	v_add_co_u32 v21, vcc_lo, v21, v0
	s_wait_alu 0xfffd
	v_add_co_ci_u32_e64 v22, null, 0, v22, vcc_lo
	s_and_b32 s64, s72, 0x7fffffff
	s_mov_b32 s11, exec_lo
	s_wait_alu 0xfffe
	v_cmpx_gt_u64_e64 s[64:65], v[21:22]
	s_cbranch_execz .LBB134_96
; %bb.93:                               ;   in Loop: Header=BB134_32 Depth=1
	s_mul_i32 s82, s82, s73
	s_lshl_b32 s13, s73, 1
	s_wait_alu 0xfffe
	v_lshl_add_u32 v23, s82, 3, v26
	s_mov_b32 s12, 0
.LBB134_94:                             ;   Parent Loop BB134_32 Depth=1
                                        ; =>  This Inner Loop Header: Depth=2
	ds_load_u16 v24, v23
	v_add_co_u32 v21, vcc_lo, v21, v2
	s_wait_alu 0xfffd
	v_add_co_ci_u32_e64 v22, null, 0, v22, vcc_lo
	v_add_nc_u32_e32 v23, s13, v23
	s_delay_alu instid0(VALU_DEP_2) | instskip(SKIP_4) | instid1(VALU_DEP_2)
	v_cmp_le_u64_e32 vcc_lo, s[64:65], v[21:22]
	s_wait_dscnt 0x0
	v_cmp_lt_i16_e64 s6, -1, v24
	v_and_b32_e32 v36, 0xffff, v24
	s_wait_alu 0xf1ff
	v_cndmask_b32_e64 v37, 0xffff, v33, s6
	v_cmp_o_f16_e64 s6, v24, v24
	s_delay_alu instid0(VALU_DEP_2) | instskip(SKIP_1) | instid1(VALU_DEP_1)
	v_xor_b32_e32 v36, v37, v36
	s_wait_alu 0xf1ff
	v_cndmask_b32_e64 v24, 0xffff, v36, s6
	s_delay_alu instid0(VALU_DEP_1) | instskip(SKIP_1) | instid1(VALU_DEP_2)
	v_and_b32_e32 v36, v24, v34
	v_bfe_u32 v24, v24, s94, 2
	v_cmp_eq_u32_e64 s6, v36, v30
	s_delay_alu instid0(VALU_DEP_2)
	v_cmp_eq_u32_e64 s7, 0, v24
	v_cmp_eq_u32_e64 s8, 1, v24
	;; [unrolled: 1-line block ×4, first 2 shown]
	s_and_b32 s7, s6, s7
	s_wait_alu 0xfffe
	v_cndmask_b32_e64 v24, 0, 1, s7
	s_and_b32 s7, s6, s8
	s_wait_alu 0xfffe
	v_cndmask_b32_e64 v36, 0, 1, s7
	s_and_b32 s7, s6, s9
	s_and_b32 s6, s6, s10
	s_wait_alu 0xfffe
	v_cndmask_b32_e64 v37, 0, 1, s7
	v_cndmask_b32_e64 v38, 0, 1, s6
	v_cmp_ne_u32_e64 s6, 0, v24
	v_cmp_ne_u32_e64 s7, 0, v36
	s_delay_alu instid0(VALU_DEP_4) | instskip(NEXT) | instid1(VALU_DEP_4)
	v_cmp_ne_u32_e64 s8, 0, v37
	v_cmp_ne_u32_e64 s9, 0, v38
	s_bcnt1_i32_b32 s6, s6
	s_bcnt1_i32_b32 s7, s7
	s_wait_alu 0xfffe
	v_add_co_u32 v4, s6, v4, s6
	s_bcnt1_i32_b32 s8, s8
	v_add_co_ci_u32_e64 v5, null, 0, v5, s6
	v_add_co_u32 v6, s6, v6, s7
	s_bcnt1_i32_b32 s9, s9
	v_add_co_ci_u32_e64 v7, null, 0, v7, s6
	s_wait_alu 0xfffe
	v_add_co_u32 v8, s6, v8, s8
	s_wait_alu 0xf1ff
	v_add_co_ci_u32_e64 v9, null, 0, v9, s6
	v_add_co_u32 v10, s6, v10, s9
	s_wait_alu 0xf1ff
	v_add_co_ci_u32_e64 v11, null, 0, v11, s6
	s_or_b32 s12, vcc_lo, s12
	s_wait_alu 0xfffe
	s_and_not1_b32 exec_lo, exec_lo, s12
	s_cbranch_execnz .LBB134_94
; %bb.95:                               ;   in Loop: Header=BB134_32 Depth=1
	s_or_b32 exec_lo, exec_lo, s12
.LBB134_96:                             ;   in Loop: Header=BB134_32 Depth=1
	s_delay_alu instid0(SALU_CYCLE_1)
	s_or_b32 exec_lo, exec_lo, s11
	s_lshl_b32 s6, s97, 7
	s_and_saveexec_b32 s7, s1
	s_cbranch_execnz .LBB134_67
	s_branch .LBB134_68
.LBB134_97:                             ;   in Loop: Header=BB134_32 Depth=1
                                        ; implicit-def: $sgpr6_sgpr7
	s_branch .LBB134_76
.LBB134_98:                             ;   in Loop: Header=BB134_32 Depth=1
	s_mov_b32 s8, 0
	s_and_not1_b32 vcc_lo, exec_lo, s91
	s_wait_alu 0xfffe
	s_cbranch_vccnz .LBB134_101
.LBB134_99:                             ;   in Loop: Header=BB134_32 Depth=1
	s_lshl_b32 s9, s97, 10
	s_lshl_b32 s8, s8, 5
	s_wait_alu 0xfffe
	v_add3_u32 v2, s9, s8, v32
	s_mov_b32 s8, s87
.LBB134_100:                            ;   Parent Loop BB134_32 Depth=1
                                        ; =>  This Inner Loop Header: Depth=2
	ds_load_b64 v[6:7], v2
	v_add_nc_u32_e32 v2, 32, v2
	s_wait_alu 0xfffe
	s_add_co_i32 s8, s8, -1
	s_wait_alu 0xfffe
	s_cmp_lg_u32 s8, 0
	s_wait_dscnt 0x0
	v_add_co_u32 v4, vcc_lo, v6, v4
	s_wait_alu 0xfffd
	v_add_co_ci_u32_e64 v5, null, v7, v5, vcc_lo
	s_cbranch_scc1 .LBB134_100
.LBB134_101:                            ;   in Loop: Header=BB134_32 Depth=1
	v_add_lshl_u32 v2, s6, v25, 3
	ds_store_b64 v2, v[4:5] offset:3072
.LBB134_102:                            ;   in Loop: Header=BB134_32 Depth=1
	s_wait_alu 0xfffe
	s_or_b32 exec_lo, exec_lo, s7
	s_lshl_b32 s6, s6, 3
	s_wait_loadcnt_dscnt 0x0
	s_wait_alu 0xfffe
	v_mov_b32_e32 v2, s6
	s_barrier_signal -1
	s_barrier_wait -1
	global_inv scope:SCOPE_SE
	v_cmp_eq_u64_e32 vcc_lo, 1, v[19:20]
	ds_load_b128 v[4:7], v2 offset:3072
	ds_load_b128 v[8:11], v2 offset:3088
	s_lshl_b32 s16, 3, s94
	s_mov_b32 s18, -1
	s_wait_alu 0xfffe
	s_not_b32 s72, s16
                                        ; implicit-def: $sgpr74
                                        ; implicit-def: $sgpr73
	s_wait_dscnt 0x1
	v_cmp_eq_u64_e64 s6, 1, v[4:5]
	s_wait_dscnt 0x0
	v_readfirstlane_b32 s10, v8
	v_readfirstlane_b32 s11, v9
	;; [unrolled: 1-line block ×4, first 2 shown]
	s_and_b32 s19, s6, vcc_lo
	s_mov_b32 s6, -1
	s_wait_alu 0xfffe
	s_and_saveexec_b32 s17, s19
	s_cbranch_execz .LBB134_136
; %bb.103:                              ;   in Loop: Header=BB134_32 Depth=1
	ds_load_b64 v[8:9], v3 offset:5120
	s_wait_loadcnt_dscnt 0x0
	s_barrier_signal -1
	s_barrier_wait -1
	global_inv scope:SCOPE_SE
	v_readfirstlane_b32 s6, v8
	v_readfirstlane_b32 s7, v9
	s_and_saveexec_b32 s12, s0
; %bb.104:                              ;   in Loop: Header=BB134_32 Depth=1
	ds_store_b16 v27, v3
; %bb.105:                              ;   in Loop: Header=BB134_32 Depth=1
	s_wait_alu 0xfffe
	s_or_b32 exec_lo, exec_lo, s12
	v_and_b32_e32 v30, s72, v30
	v_or_b32_e32 v34, s16, v34
	s_mov_b32 s73, -1
	s_mov_b32 s74, 0
	s_cmp_eq_u64 s[6:7], 0
	s_mov_b32 s14, 0
	s_mov_b32 s15, -1
	s_wait_loadcnt_dscnt 0x0
	s_barrier_signal -1
	s_barrier_wait -1
	global_inv scope:SCOPE_SE
                                        ; implicit-def: $vgpr35
	s_cbranch_scc1 .LBB134_120
; %bb.106:                              ;   in Loop: Header=BB134_32 Depth=1
	s_add_nc_u64 s[12:13], s[6:7], s[66:67]
	s_mov_b32 s14, s65
	s_wait_alu 0xfffe
	s_mov_b32 s15, s13
	s_wait_alu 0xfffe
	s_cmp_lg_u64 s[14:15], 0
	s_cbranch_scc0 .LBB134_163
; %bb.107:                              ;   in Loop: Header=BB134_32 Depth=1
	s_cvt_f32_u32 s14, s62
	s_sub_nc_u64 s[52:53], 0, s[62:63]
	s_wait_alu 0xfffe
	s_delay_alu instid0(SALU_CYCLE_1) | instskip(SKIP_1) | instid1(SALU_CYCLE_2)
	s_fmamk_f32 s14, s93, 0x0, s14
	s_wait_alu 0xfffe
	v_s_rcp_f32 s14, s14
	s_delay_alu instid0(TRANS32_DEP_1) | instskip(SKIP_1) | instid1(SALU_CYCLE_2)
	s_mul_f32 s14, s14, 0x5f7ffffc
	s_wait_alu 0xfffe
	s_mul_f32 s15, s14, 0x2f800000
	s_wait_alu 0xfffe
	s_delay_alu instid0(SALU_CYCLE_2) | instskip(SKIP_1) | instid1(SALU_CYCLE_2)
	s_trunc_f32 s15, s15
	s_wait_alu 0xfffe
	s_fmamk_f32 s14, s15, 0xcf800000, s14
	s_cvt_u32_f32 s15, s15
	s_wait_alu 0xfffe
	s_delay_alu instid0(SALU_CYCLE_1) | instskip(SKIP_1) | instid1(SALU_CYCLE_2)
	s_cvt_u32_f32 s14, s14
	s_wait_alu 0xfffe
	s_mul_u64 s[76:77], s[52:53], s[14:15]
	s_wait_alu 0xfffe
	s_mul_hi_u32 s79, s14, s77
	s_mul_i32 s78, s14, s77
	s_mul_hi_u32 s64, s14, s76
	s_mul_i32 s37, s15, s76
	s_wait_alu 0xfffe
	s_add_nc_u64 s[78:79], s[64:65], s[78:79]
	s_mul_hi_u32 s36, s15, s76
	s_mul_hi_u32 s38, s15, s77
	s_wait_alu 0xfffe
	s_add_co_u32 s37, s78, s37
	s_add_co_ci_u32 s64, s79, s36
	s_mul_i32 s76, s15, s77
	s_add_co_ci_u32 s77, s38, 0
	s_wait_alu 0xfffe
	s_add_nc_u64 s[76:77], s[64:65], s[76:77]
	s_wait_alu 0xfffe
	s_add_co_u32 s14, s14, s76
	s_cselect_b32 s36, -1, 0
	s_wait_alu 0xfffe
	s_cmp_lg_u32 s36, 0
	s_add_co_ci_u32 s15, s15, s77
	s_wait_alu 0xfffe
	s_mul_u64 s[52:53], s[52:53], s[14:15]
	s_wait_alu 0xfffe
	s_mul_hi_u32 s77, s14, s53
	s_mul_i32 s76, s14, s53
	s_mul_hi_u32 s64, s14, s52
	s_mul_i32 s37, s15, s52
	s_wait_alu 0xfffe
	s_add_nc_u64 s[76:77], s[64:65], s[76:77]
	s_mul_hi_u32 s36, s15, s52
	s_mul_hi_u32 s38, s15, s53
	s_wait_alu 0xfffe
	s_add_co_u32 s37, s76, s37
	s_add_co_ci_u32 s64, s77, s36
	s_mul_i32 s52, s15, s53
	s_add_co_ci_u32 s53, s38, 0
	s_wait_alu 0xfffe
	s_add_nc_u64 s[52:53], s[64:65], s[52:53]
	s_wait_alu 0xfffe
	s_add_co_u32 s14, s14, s52
	s_cselect_b32 s36, -1, 0
	s_wait_alu 0xfffe
	s_mul_hi_u32 s64, s12, s14
	s_cmp_lg_u32 s36, 0
	s_mul_hi_u32 s36, s13, s14
	s_add_co_ci_u32 s37, s15, s53
	s_mul_i32 s38, s13, s14
	s_wait_alu 0xfffe
	s_mul_hi_u32 s15, s12, s37
	s_mul_i32 s14, s12, s37
	s_mul_hi_u32 s39, s13, s37
	s_wait_alu 0xfffe
	s_add_nc_u64 s[14:15], s[64:65], s[14:15]
	s_mul_i32 s52, s13, s37
	s_wait_alu 0xfffe
	s_add_co_u32 s14, s14, s38
	s_add_co_ci_u32 s64, s15, s36
	s_add_co_ci_u32 s53, s39, 0
	s_wait_alu 0xfffe
	s_add_nc_u64 s[14:15], s[64:65], s[52:53]
	s_wait_alu 0xfffe
	s_mul_u64 s[14:15], s[62:63], s[14:15]
	s_wait_alu 0xfffe
	s_sub_co_u32 s14, s12, s14
	s_cselect_b32 s36, -1, 0
	s_wait_alu 0xfffe
	s_cmp_lg_u32 s36, 0
	s_sub_co_ci_u32 s15, s13, s15
	s_sub_co_u32 s36, s14, s62
	s_cselect_b32 s37, -1, 0
	s_wait_alu 0xfffe
	s_cmp_lg_u32 s37, 0
	s_sub_co_ci_u32 s37, s15, 0
	;; [unrolled: 5-line block ×3, first 2 shown]
	s_cmp_ge_u32 s36, s62
	s_cselect_b32 s52, -1, 0
	s_cmp_eq_u32 s37, 0
	s_wait_alu 0xfffe
	s_cselect_b32 s52, s52, -1
	s_wait_alu 0xfffe
	s_cmp_lg_u32 s52, 0
	s_cselect_b32 s37, s39, s37
	s_cselect_b32 s36, s38, s36
	s_cmp_ge_u32 s14, s62
	s_cselect_b32 s38, -1, 0
	s_cmp_eq_u32 s15, 0
	s_wait_alu 0xfffe
	s_cselect_b32 s38, s38, -1
	s_wait_alu 0xfffe
	s_cmp_lg_u32 s38, 0
	s_cselect_b32 s15, s37, s15
	s_cselect_b32 s14, s36, s14
	s_cbranch_execnz .LBB134_109
.LBB134_108:                            ;   in Loop: Header=BB134_32 Depth=1
	v_cvt_f32_u32_e32 v2, s62
	s_sub_co_i32 s15, 0, s62
	s_delay_alu instid0(VALU_DEP_1) | instskip(NEXT) | instid1(TRANS32_DEP_1)
	v_rcp_iflag_f32_e32 v2, v2
	v_mul_f32_e32 v2, 0x4f7ffffe, v2
	s_delay_alu instid0(VALU_DEP_1) | instskip(NEXT) | instid1(VALU_DEP_1)
	v_cvt_u32_f32_e32 v2, v2
	v_readfirstlane_b32 s14, v2
	s_wait_alu 0xfffe
	s_mul_i32 s15, s15, s14
	s_wait_alu 0xfffe
	s_mul_hi_u32 s15, s14, s15
	s_wait_alu 0xfffe
	s_add_co_i32 s14, s14, s15
	s_wait_alu 0xfffe
	s_mul_hi_u32 s14, s12, s14
	s_wait_alu 0xfffe
	s_mul_i32 s14, s14, s62
	s_wait_alu 0xfffe
	s_sub_co_i32 s14, s12, s14
	s_wait_alu 0xfffe
	s_sub_co_i32 s15, s14, s62
	s_cmp_ge_u32 s14, s62
	s_wait_alu 0xfffe
	s_cselect_b32 s14, s15, s14
	s_wait_alu 0xfffe
	s_sub_co_i32 s15, s14, s62
	s_cmp_ge_u32 s14, s62
	s_wait_alu 0xfffe
	s_cselect_b32 s64, s15, s14
	s_wait_alu 0xfffe
	s_mov_b64 s[14:15], s[64:65]
.LBB134_109:                            ;   in Loop: Header=BB134_32 Depth=1
	s_wait_alu 0xfffe
	s_sub_nc_u64 s[12:13], s[12:13], s[14:15]
	s_mov_b32 s15, 0
	s_mov_b32 s14, 0
	s_mov_b32 s52, exec_lo
                                        ; implicit-def: $vgpr35
	s_wait_alu 0xfffe
	v_cmpx_gt_u64_e64 s[12:13], v[0:1]
	s_cbranch_execz .LBB134_119
; %bb.110:                              ;   in Loop: Header=BB134_32 Depth=1
	v_dual_mov_b32 v2, v26 :: v_dual_mov_b32 v9, v1
	v_mov_b32_e32 v8, v0
                                        ; implicit-def: $sgpr53
	s_branch .LBB134_114
.LBB134_111:                            ;   in Loop: Header=BB134_114 Depth=2
	s_wait_alu 0xfffe
	s_or_b32 exec_lo, exec_lo, s64
	s_wait_loadcnt_dscnt 0x0
	s_barrier_signal -1
	s_barrier_wait -1
	global_inv scope:SCOPE_SE
	ds_load_b32 v10, v3 offset:3072
	s_wait_loadcnt_dscnt 0x0
	s_barrier_signal -1
	s_barrier_wait -1
	global_inv scope:SCOPE_SE
	v_cmp_neq_f16_e32 vcc_lo, 0, v10
	s_cbranch_vccnz .LBB134_117
; %bb.112:                              ;   in Loop: Header=BB134_114 Depth=2
	v_add_co_u32 v8, vcc_lo, v8, s62
	s_wait_alu 0xfffd
	v_add_co_ci_u32_e64 v9, null, 0, v9, vcc_lo
	v_add_nc_u32_e32 v2, s92, v2
	s_mov_b32 s64, 0
	s_delay_alu instid0(VALU_DEP_2)
	v_cmp_le_u64_e32 vcc_lo, s[12:13], v[8:9]
	s_or_not1_b32 s75, vcc_lo, exec_lo
.LBB134_113:                            ;   in Loop: Header=BB134_114 Depth=2
	s_wait_alu 0xfffe
	s_and_b32 s36, exec_lo, s75
	s_wait_alu 0xfffe
	s_or_b32 s14, s36, s14
	s_and_not1_b32 s36, s53, exec_lo
	s_and_b32 s37, s64, exec_lo
	s_wait_alu 0xfffe
	s_or_b32 s53, s36, s37
	s_and_not1_b32 exec_lo, exec_lo, s14
	s_cbranch_execz .LBB134_118
.LBB134_114:                            ;   Parent Loop BB134_32 Depth=1
                                        ; =>  This Inner Loop Header: Depth=2
	s_mov_b32 s64, exec_lo
	s_delay_alu instid0(VALU_DEP_1)
	v_cmpx_gt_u64_e64 s[6:7], v[8:9]
	s_cbranch_execz .LBB134_111
; %bb.115:                              ;   in Loop: Header=BB134_114 Depth=2
	ds_load_u16 v10, v2
	s_wait_dscnt 0x0
	v_cmp_lt_i16_e32 vcc_lo, -1, v10
	v_and_b32_e32 v11, 0xffff, v10
	s_wait_alu 0xfffd
	v_cndmask_b32_e32 v21, 0xffff, v33, vcc_lo
	v_cmp_o_f16_e32 vcc_lo, v10, v10
	s_delay_alu instid0(VALU_DEP_2) | instskip(SKIP_1) | instid1(VALU_DEP_1)
	v_xor_b32_e32 v11, v21, v11
	s_wait_alu 0xfffd
	v_cndmask_b32_e32 v11, 0xffff, v11, vcc_lo
	s_delay_alu instid0(VALU_DEP_1) | instskip(NEXT) | instid1(VALU_DEP_1)
	v_and_b32_e32 v11, v11, v34
	v_cmp_eq_u32_e32 vcc_lo, v11, v30
	s_and_b32 exec_lo, exec_lo, vcc_lo
	s_cbranch_execz .LBB134_111
; %bb.116:                              ;   in Loop: Header=BB134_114 Depth=2
	v_perm_b32 v10, v10, s96, 0x5040100
	ds_store_b32 v3, v10 offset:3072
	s_branch .LBB134_111
.LBB134_117:                            ;   in Loop: Header=BB134_114 Depth=2
	s_mov_b32 s75, -1
	s_mov_b32 s64, -1
                                        ; implicit-def: $vgpr8_vgpr9
                                        ; implicit-def: $vgpr2
	s_branch .LBB134_113
.LBB134_118:                            ;   in Loop: Header=BB134_32 Depth=1
	s_or_b32 exec_lo, exec_lo, s14
	v_lshrrev_b32_e32 v35, 16, v10
	s_wait_alu 0xfffe
	s_and_b32 s14, s53, exec_lo
.LBB134_119:                            ;   in Loop: Header=BB134_32 Depth=1
	s_or_b32 exec_lo, exec_lo, s52
.LBB134_120:                            ;   in Loop: Header=BB134_32 Depth=1
	s_wait_alu 0xfffe
	s_and_b32 vcc_lo, exec_lo, s15
	s_wait_alu 0xfffe
	s_cbranch_vccz .LBB134_135
; %bb.121:                              ;   in Loop: Header=BB134_32 Depth=1
	s_mov_b32 s6, s65
	s_mov_b32 s7, s69
	s_wait_alu 0xfffe
	s_cmp_lg_u64 s[6:7], 0
	s_cbranch_scc0 .LBB134_167
; %bb.122:                              ;   in Loop: Header=BB134_32 Depth=1
	s_cvt_f32_u32 s6, s62
	s_sub_nc_u64 s[12:13], 0, s[62:63]
	s_wait_alu 0xfffe
	s_delay_alu instid0(SALU_CYCLE_1) | instskip(SKIP_1) | instid1(SALU_CYCLE_2)
	s_fmamk_f32 s6, s93, 0x0, s6
	s_wait_alu 0xfffe
	v_s_rcp_f32 s6, s6
	s_delay_alu instid0(TRANS32_DEP_1) | instskip(SKIP_1) | instid1(SALU_CYCLE_2)
	s_mul_f32 s6, s6, 0x5f7ffffc
	s_wait_alu 0xfffe
	s_mul_f32 s7, s6, 0x2f800000
	s_wait_alu 0xfffe
	s_delay_alu instid0(SALU_CYCLE_2) | instskip(SKIP_1) | instid1(SALU_CYCLE_2)
	s_trunc_f32 s7, s7
	s_wait_alu 0xfffe
	s_fmamk_f32 s6, s7, 0xcf800000, s6
	s_cvt_u32_f32 s7, s7
	s_wait_alu 0xfffe
	s_delay_alu instid0(SALU_CYCLE_1) | instskip(SKIP_1) | instid1(SALU_CYCLE_2)
	s_cvt_u32_f32 s6, s6
	s_wait_alu 0xfffe
	s_mul_u64 s[52:53], s[12:13], s[6:7]
	s_wait_alu 0xfffe
	s_mul_hi_u32 s75, s6, s53
	s_mul_i32 s74, s6, s53
	s_mul_hi_u32 s64, s6, s52
	s_mul_i32 s36, s7, s52
	s_wait_alu 0xfffe
	s_add_nc_u64 s[74:75], s[64:65], s[74:75]
	s_mul_hi_u32 s15, s7, s52
	s_mul_hi_u32 s37, s7, s53
	s_wait_alu 0xfffe
	s_add_co_u32 s36, s74, s36
	s_add_co_ci_u32 s64, s75, s15
	s_mul_i32 s52, s7, s53
	s_add_co_ci_u32 s53, s37, 0
	s_wait_alu 0xfffe
	s_add_nc_u64 s[52:53], s[64:65], s[52:53]
	s_wait_alu 0xfffe
	s_add_co_u32 s6, s6, s52
	s_cselect_b32 s15, -1, 0
	s_wait_alu 0xfffe
	s_cmp_lg_u32 s15, 0
	s_add_co_ci_u32 s7, s7, s53
	s_wait_alu 0xfffe
	s_mul_u64 s[12:13], s[12:13], s[6:7]
	s_wait_alu 0xfffe
	s_mul_hi_u32 s53, s6, s13
	s_mul_i32 s52, s6, s13
	s_mul_hi_u32 s64, s6, s12
	s_mul_i32 s36, s7, s12
	s_wait_alu 0xfffe
	s_add_nc_u64 s[52:53], s[64:65], s[52:53]
	s_mul_hi_u32 s15, s7, s12
	s_mul_hi_u32 s37, s7, s13
	s_mul_i32 s12, s7, s13
	s_wait_alu 0xfffe
	s_add_co_u32 s13, s52, s36
	s_add_co_ci_u32 s64, s53, s15
	s_add_co_ci_u32 s13, s37, 0
	s_wait_alu 0xfffe
	s_add_nc_u64 s[12:13], s[64:65], s[12:13]
	s_wait_alu 0xfffe
	s_add_co_u32 s6, s6, s12
	s_cselect_b32 s12, -1, 0
	s_wait_alu 0xfffe
	s_mul_hi_u32 s64, s68, s6
	s_cmp_lg_u32 s12, 0
	s_mul_hi_u32 s15, s69, s6
	s_add_co_ci_u32 s12, s7, s13
	s_mul_i32 s13, s69, s6
	s_wait_alu 0xfffe
	s_mul_hi_u32 s7, s68, s12
	s_mul_i32 s6, s68, s12
	s_mul_hi_u32 s36, s69, s12
	s_wait_alu 0xfffe
	s_add_nc_u64 s[6:7], s[64:65], s[6:7]
	s_mul_i32 s12, s69, s12
	s_wait_alu 0xfffe
	s_add_co_u32 s6, s6, s13
	s_add_co_ci_u32 s64, s7, s15
	s_add_co_ci_u32 s13, s36, 0
	s_wait_alu 0xfffe
	s_add_nc_u64 s[6:7], s[64:65], s[12:13]
	s_wait_alu 0xfffe
	s_mul_u64 s[6:7], s[62:63], s[6:7]
	s_wait_alu 0xfffe
	s_sub_co_u32 s6, s68, s6
	s_cselect_b32 s12, -1, 0
	s_wait_alu 0xfffe
	s_cmp_lg_u32 s12, 0
	s_sub_co_ci_u32 s7, s69, s7
	s_sub_co_u32 s12, s6, s62
	s_cselect_b32 s13, -1, 0
	s_wait_alu 0xfffe
	s_cmp_lg_u32 s13, 0
	s_sub_co_ci_u32 s13, s7, 0
	;; [unrolled: 5-line block ×3, first 2 shown]
	s_cmp_ge_u32 s12, s62
	s_cselect_b32 s37, -1, 0
	s_cmp_eq_u32 s13, 0
	s_wait_alu 0xfffe
	s_cselect_b32 s37, s37, -1
	s_wait_alu 0xfffe
	s_cmp_lg_u32 s37, 0
	s_cselect_b32 s13, s36, s13
	s_cselect_b32 s12, s15, s12
	s_cmp_ge_u32 s6, s62
	s_cselect_b32 s15, -1, 0
	s_cmp_eq_u32 s7, 0
	s_wait_alu 0xfffe
	s_cselect_b32 s15, s15, -1
	s_wait_alu 0xfffe
	s_cmp_lg_u32 s15, 0
	s_cselect_b32 s7, s13, s7
	s_cselect_b32 s6, s12, s6
	s_cbranch_execnz .LBB134_124
.LBB134_123:                            ;   in Loop: Header=BB134_32 Depth=1
	v_cvt_f32_u32_e32 v2, s62
	s_sub_co_i32 s7, 0, s62
	s_delay_alu instid0(VALU_DEP_1) | instskip(NEXT) | instid1(TRANS32_DEP_1)
	v_rcp_iflag_f32_e32 v2, v2
	v_mul_f32_e32 v2, 0x4f7ffffe, v2
	s_delay_alu instid0(VALU_DEP_1) | instskip(NEXT) | instid1(VALU_DEP_1)
	v_cvt_u32_f32_e32 v2, v2
	v_readfirstlane_b32 s6, v2
	s_wait_alu 0xfffe
	s_mul_i32 s7, s7, s6
	s_wait_alu 0xfffe
	s_mul_hi_u32 s7, s6, s7
	s_wait_alu 0xfffe
	s_add_co_i32 s6, s6, s7
	s_wait_alu 0xfffe
	s_mul_hi_u32 s6, s68, s6
	s_wait_alu 0xfffe
	s_mul_i32 s6, s6, s62
	s_wait_alu 0xfffe
	s_sub_co_i32 s6, s68, s6
	s_wait_alu 0xfffe
	s_sub_co_i32 s7, s6, s62
	s_cmp_ge_u32 s6, s62
	s_wait_alu 0xfffe
	s_cselect_b32 s6, s7, s6
	s_wait_alu 0xfffe
	s_sub_co_i32 s7, s6, s62
	s_cmp_ge_u32 s6, s62
	s_wait_alu 0xfffe
	s_cselect_b32 s64, s7, s6
	s_wait_alu 0xfffe
	s_mov_b64 s[6:7], s[64:65]
.LBB134_124:                            ;   in Loop: Header=BB134_32 Depth=1
	s_wait_alu 0xfffe
	s_sub_nc_u64 s[6:7], s[68:69], s[6:7]
	s_mov_b32 s12, exec_lo
                                        ; implicit-def: $vgpr35
	s_wait_alu 0xfffe
	v_cmpx_gt_u64_e64 s[6:7], v[0:1]
	s_cbranch_execz .LBB134_134
; %bb.125:                              ;   in Loop: Header=BB134_32 Depth=1
	v_dual_mov_b32 v9, v1 :: v_dual_mov_b32 v8, v0
	s_mov_b32 s13, 0
                                        ; implicit-def: $sgpr15
	s_branch .LBB134_129
.LBB134_126:                            ;   in Loop: Header=BB134_129 Depth=2
	s_wait_alu 0xfffe
	s_or_b32 exec_lo, exec_lo, s52
	s_wait_loadcnt_dscnt 0x0
	s_barrier_signal -1
	s_barrier_wait -1
	global_inv scope:SCOPE_SE
	ds_load_b32 v2, v3 offset:3072
	s_wait_loadcnt_dscnt 0x0
	s_barrier_signal -1
	s_barrier_wait -1
	global_inv scope:SCOPE_SE
	v_cmp_neq_f16_e32 vcc_lo, 0, v2
	s_cbranch_vccnz .LBB134_132
; %bb.127:                              ;   in Loop: Header=BB134_129 Depth=2
	v_add_co_u32 v8, vcc_lo, v8, s62
	s_wait_alu 0xfffd
	v_add_co_ci_u32_e64 v9, null, 0, v9, vcc_lo
	s_mov_b32 s52, 0
	v_cmp_le_u64_e32 vcc_lo, s[6:7], v[8:9]
	s_or_not1_b32 s53, vcc_lo, exec_lo
.LBB134_128:                            ;   in Loop: Header=BB134_129 Depth=2
	s_wait_alu 0xfffe
	s_and_b32 s36, exec_lo, s53
	s_wait_alu 0xfffe
	s_or_b32 s13, s36, s13
	s_and_not1_b32 s15, s15, exec_lo
	s_and_b32 s36, s52, exec_lo
	s_wait_alu 0xfffe
	s_or_b32 s15, s15, s36
	s_and_not1_b32 exec_lo, exec_lo, s13
	s_cbranch_execz .LBB134_133
.LBB134_129:                            ;   Parent Loop BB134_32 Depth=1
                                        ; =>  This Inner Loop Header: Depth=2
	s_mov_b32 s52, exec_lo
	s_delay_alu instid0(VALU_DEP_1)
	v_cmpx_gt_u64_e64 s[20:21], v[8:9]
	s_cbranch_execz .LBB134_126
; %bb.130:                              ;   in Loop: Header=BB134_129 Depth=2
	v_mul_lo_u32 v2, v9, s46
	v_mul_lo_u32 v21, v8, s47
	v_mad_co_u64_u32 v[10:11], null, v8, s46, 0
	s_delay_alu instid0(VALU_DEP_1) | instskip(NEXT) | instid1(VALU_DEP_1)
	v_add3_u32 v11, v11, v21, v2
	v_lshlrev_b64_e32 v[10:11], 1, v[10:11]
	s_delay_alu instid0(VALU_DEP_1) | instskip(SKIP_1) | instid1(VALU_DEP_2)
	v_add_co_u32 v10, vcc_lo, s54, v10
	s_wait_alu 0xfffd
	v_add_co_ci_u32_e64 v11, null, s55, v11, vcc_lo
	global_load_u16 v2, v[10:11], off
	s_wait_loadcnt 0x0
	v_cmp_lt_i16_e32 vcc_lo, -1, v2
	s_wait_alu 0xfffd
	v_dual_cndmask_b32 v11, 0xffff, v33 :: v_dual_and_b32 v10, 0xffff, v2
	v_cmp_o_f16_e32 vcc_lo, v2, v2
	s_delay_alu instid0(VALU_DEP_2) | instskip(SKIP_1) | instid1(VALU_DEP_1)
	v_xor_b32_e32 v10, v11, v10
	s_wait_alu 0xfffd
	v_cndmask_b32_e32 v10, 0xffff, v10, vcc_lo
	s_delay_alu instid0(VALU_DEP_1) | instskip(NEXT) | instid1(VALU_DEP_1)
	v_and_b32_e32 v10, v10, v34
	v_cmp_eq_u32_e32 vcc_lo, v10, v30
	s_and_b32 exec_lo, exec_lo, vcc_lo
	s_cbranch_execz .LBB134_126
; %bb.131:                              ;   in Loop: Header=BB134_129 Depth=2
	v_perm_b32 v2, v2, s96, 0x5040100
	ds_store_b32 v3, v2 offset:3072
	s_branch .LBB134_126
.LBB134_132:                            ;   in Loop: Header=BB134_129 Depth=2
	s_mov_b32 s53, -1
	s_mov_b32 s52, -1
                                        ; implicit-def: $vgpr8_vgpr9
	s_branch .LBB134_128
.LBB134_133:                            ;   in Loop: Header=BB134_32 Depth=1
	s_or_b32 exec_lo, exec_lo, s13
	v_lshrrev_b32_e32 v35, 16, v2
	s_and_not1_b32 s6, s14, exec_lo
	s_wait_alu 0xfffe
	s_and_b32 s7, s15, exec_lo
	s_wait_alu 0xfffe
	s_or_b32 s14, s6, s7
.LBB134_134:                            ;   in Loop: Header=BB134_32 Depth=1
	s_or_b32 exec_lo, exec_lo, s12
	s_mov_b32 s73, 0
	s_mov_b32 s74, -1
.LBB134_135:                            ;   in Loop: Header=BB134_32 Depth=1
	s_wait_alu 0xfffe
	s_or_not1_b32 s6, s14, exec_lo
.LBB134_136:                            ;   in Loop: Header=BB134_32 Depth=1
	s_wait_alu 0xfffe
	s_or_b32 exec_lo, exec_lo, s17
	s_delay_alu instid0(SALU_CYCLE_1)
	s_and_not1_b32 s7, s102, exec_lo
	s_and_b32 s12, s74, exec_lo
	s_and_not1_b32 s13, s100, exec_lo
	s_and_b32 s14, s73, exec_lo
	s_and_not1_b32 s99, s99, exec_lo
	s_wait_alu 0xfffe
	s_or_b32 s102, s7, s12
	s_or_b32 s100, s13, s14
                                        ; implicit-def: $vgpr8_vgpr9
	s_and_saveexec_b32 s17, s6
	s_cbranch_execz .LBB134_31
; %bb.137:                              ;   in Loop: Header=BB134_32 Depth=1
	v_mov_b32_e32 v8, 1
	v_dual_mov_b32 v9, 0 :: v_dual_mov_b32 v2, 1
	s_xor_b32 s12, s19, -1
	s_mov_b32 s7, 0
	s_wait_alu 0xfffe
	s_and_saveexec_b32 s6, s12
	s_cbranch_execz .LBB134_146
; %bb.138:                              ;   in Loop: Header=BB134_32 Depth=1
	s_mov_b32 s7, exec_lo
	v_cmpx_le_u64_e64 v[19:20], v[4:5]
	s_wait_alu 0xfffe
	s_xor_b32 s7, exec_lo, s7
	s_cbranch_execz .LBB134_143
; %bb.139:                              ;   in Loop: Header=BB134_32 Depth=1
	ds_load_b64 v[8:9], v3 offset:5120
	v_and_b32_e32 v30, s72, v30
	v_or_b32_e32 v34, s16, v34
	s_wait_dscnt 0x0
	v_cmp_ne_u64_e32 vcc_lo, 0, v[8:9]
	s_cbranch_vccnz .LBB134_143
; %bb.140:                              ;   in Loop: Header=BB134_32 Depth=1
	s_and_saveexec_b32 s12, s3
; %bb.141:                              ;   in Loop: Header=BB134_32 Depth=1
	ds_store_b64 v3, v[4:5] offset:5128
; %bb.142:                              ;   in Loop: Header=BB134_32 Depth=1
	s_wait_alu 0xfffe
	s_or_b32 exec_lo, exec_lo, s12
	s_wait_loadcnt_dscnt 0x0
	s_barrier_signal -1
	s_barrier_wait -1
	global_inv scope:SCOPE_SE
.LBB134_143:                            ;   in Loop: Header=BB134_32 Depth=1
	s_wait_alu 0xfffe
	s_or_saveexec_b32 s7, s7
	v_mov_b32_e32 v2, 8
	s_mov_b32 s12, 0
	s_wait_alu 0xfffe
	s_xor_b32 exec_lo, exec_lo, s7
; %bb.144:                              ;   in Loop: Header=BB134_32 Depth=1
	v_sub_co_u32 v19, vcc_lo, v19, v4
	s_wait_alu 0xfffd
	v_sub_co_ci_u32_e64 v20, null, v20, v5, vcc_lo
	v_mov_b32_e32 v2, 0
	s_mov_b32 s12, exec_lo
; %bb.145:                              ;   in Loop: Header=BB134_32 Depth=1
	s_or_b32 exec_lo, exec_lo, s7
	s_delay_alu instid0(VALU_DEP_2)
	v_dual_mov_b32 v8, v19 :: v_dual_mov_b32 v9, v20
	s_wait_alu 0xfffe
	s_and_b32 s7, s12, exec_lo
.LBB134_146:                            ;   in Loop: Header=BB134_32 Depth=1
	s_wait_alu 0xfffe
	s_or_b32 exec_lo, exec_lo, s6
	s_mov_b32 s18, -1
	s_mov_b32 s6, -1
                                        ; implicit-def: $sgpr73
                                        ; implicit-def: $sgpr74
	s_and_saveexec_b32 s12, s7
	s_wait_alu 0xfffe
	s_xor_b32 s19, exec_lo, s12
	s_cbranch_execz .LBB134_297
; %bb.147:                              ;   in Loop: Header=BB134_32 Depth=1
	v_cmp_eq_u64_e32 vcc_lo, 1, v[6:7]
	v_cmp_eq_u64_e64 s6, 1, v[8:9]
                                        ; implicit-def: $sgpr74
                                        ; implicit-def: $sgpr73
	s_and_b32 s76, vcc_lo, s6
	s_mov_b32 s6, -1
	s_wait_alu 0xfffe
	s_and_saveexec_b32 s75, s76
	s_cbranch_execz .LBB134_186
; %bb.148:                              ;   in Loop: Header=BB134_32 Depth=1
	ds_load_b64 v[4:5], v3 offset:5120
	s_wait_loadcnt_dscnt 0x0
	s_barrier_signal -1
	s_barrier_wait -1
	global_inv scope:SCOPE_SE
	v_readfirstlane_b32 s6, v4
	v_readfirstlane_b32 s7, v5
	s_and_saveexec_b32 s12, s0
; %bb.149:                              ;   in Loop: Header=BB134_32 Depth=1
	ds_store_b16 v27, v3
; %bb.150:                              ;   in Loop: Header=BB134_32 Depth=1
	s_wait_alu 0xfffe
	s_or_b32 exec_lo, exec_lo, s12
	s_lshl_b32 s12, 1, s94
	v_or_b32_e32 v34, s16, v34
	s_wait_alu 0xfffe
	v_and_or_b32 v30, v30, s72, s12
	s_mov_b32 s73, -1
	s_mov_b32 s74, 0
	s_cmp_eq_u64 s[6:7], 0
	s_mov_b32 s14, 0
	s_mov_b32 s15, -1
	s_wait_loadcnt_dscnt 0x0
	s_barrier_signal -1
	s_barrier_wait -1
	global_inv scope:SCOPE_SE
                                        ; implicit-def: $vgpr35
	s_cbranch_scc1 .LBB134_170
; %bb.151:                              ;   in Loop: Header=BB134_32 Depth=1
	s_add_nc_u64 s[12:13], s[6:7], s[66:67]
	s_mov_b32 s14, s65
	s_wait_alu 0xfffe
	s_mov_b32 s15, s13
	s_wait_alu 0xfffe
	s_cmp_lg_u64 s[14:15], 0
	s_cbranch_scc0 .LBB134_214
; %bb.152:                              ;   in Loop: Header=BB134_32 Depth=1
	s_cvt_f32_u32 s14, s62
	s_sub_nc_u64 s[52:53], 0, s[62:63]
	s_wait_alu 0xfffe
	s_delay_alu instid0(SALU_CYCLE_1) | instskip(SKIP_1) | instid1(SALU_CYCLE_2)
	s_fmamk_f32 s14, s93, 0x0, s14
	s_wait_alu 0xfffe
	v_s_rcp_f32 s14, s14
	s_delay_alu instid0(TRANS32_DEP_1) | instskip(SKIP_1) | instid1(SALU_CYCLE_2)
	s_mul_f32 s14, s14, 0x5f7ffffc
	s_wait_alu 0xfffe
	s_mul_f32 s15, s14, 0x2f800000
	s_wait_alu 0xfffe
	s_delay_alu instid0(SALU_CYCLE_2) | instskip(SKIP_1) | instid1(SALU_CYCLE_2)
	s_trunc_f32 s15, s15
	s_wait_alu 0xfffe
	s_fmamk_f32 s14, s15, 0xcf800000, s14
	s_cvt_u32_f32 s15, s15
	s_wait_alu 0xfffe
	s_delay_alu instid0(SALU_CYCLE_1) | instskip(SKIP_1) | instid1(SALU_CYCLE_2)
	s_cvt_u32_f32 s14, s14
	s_wait_alu 0xfffe
	s_mul_u64 s[78:79], s[52:53], s[14:15]
	s_wait_alu 0xfffe
	s_mul_hi_u32 s81, s14, s79
	s_mul_i32 s80, s14, s79
	s_mul_hi_u32 s64, s14, s78
	s_mul_i32 s37, s15, s78
	s_wait_alu 0xfffe
	s_add_nc_u64 s[80:81], s[64:65], s[80:81]
	s_mul_hi_u32 s36, s15, s78
	s_mul_hi_u32 s38, s15, s79
	s_wait_alu 0xfffe
	s_add_co_u32 s37, s80, s37
	s_add_co_ci_u32 s64, s81, s36
	s_mul_i32 s78, s15, s79
	s_add_co_ci_u32 s79, s38, 0
	s_wait_alu 0xfffe
	s_add_nc_u64 s[78:79], s[64:65], s[78:79]
	s_wait_alu 0xfffe
	s_add_co_u32 s14, s14, s78
	s_cselect_b32 s36, -1, 0
	s_wait_alu 0xfffe
	s_cmp_lg_u32 s36, 0
	s_add_co_ci_u32 s15, s15, s79
	s_wait_alu 0xfffe
	s_mul_u64 s[52:53], s[52:53], s[14:15]
	s_wait_alu 0xfffe
	s_mul_hi_u32 s79, s14, s53
	s_mul_i32 s78, s14, s53
	s_mul_hi_u32 s64, s14, s52
	s_mul_i32 s37, s15, s52
	s_wait_alu 0xfffe
	s_add_nc_u64 s[78:79], s[64:65], s[78:79]
	s_mul_hi_u32 s36, s15, s52
	s_mul_hi_u32 s38, s15, s53
	s_wait_alu 0xfffe
	s_add_co_u32 s37, s78, s37
	s_add_co_ci_u32 s64, s79, s36
	s_mul_i32 s52, s15, s53
	s_add_co_ci_u32 s53, s38, 0
	s_wait_alu 0xfffe
	s_add_nc_u64 s[52:53], s[64:65], s[52:53]
	s_wait_alu 0xfffe
	s_add_co_u32 s14, s14, s52
	s_cselect_b32 s36, -1, 0
	s_wait_alu 0xfffe
	s_mul_hi_u32 s64, s12, s14
	s_cmp_lg_u32 s36, 0
	s_mul_hi_u32 s36, s13, s14
	s_add_co_ci_u32 s37, s15, s53
	s_mul_i32 s38, s13, s14
	s_wait_alu 0xfffe
	s_mul_hi_u32 s15, s12, s37
	s_mul_i32 s14, s12, s37
	s_mul_hi_u32 s39, s13, s37
	s_wait_alu 0xfffe
	s_add_nc_u64 s[14:15], s[64:65], s[14:15]
	s_mul_i32 s52, s13, s37
	s_wait_alu 0xfffe
	s_add_co_u32 s14, s14, s38
	s_add_co_ci_u32 s64, s15, s36
	s_add_co_ci_u32 s53, s39, 0
	s_wait_alu 0xfffe
	s_add_nc_u64 s[14:15], s[64:65], s[52:53]
	s_wait_alu 0xfffe
	s_mul_u64 s[14:15], s[62:63], s[14:15]
	s_wait_alu 0xfffe
	s_sub_co_u32 s14, s12, s14
	s_cselect_b32 s36, -1, 0
	s_wait_alu 0xfffe
	s_cmp_lg_u32 s36, 0
	s_sub_co_ci_u32 s15, s13, s15
	s_sub_co_u32 s36, s14, s62
	s_cselect_b32 s37, -1, 0
	s_wait_alu 0xfffe
	s_cmp_lg_u32 s37, 0
	s_sub_co_ci_u32 s37, s15, 0
	;; [unrolled: 5-line block ×3, first 2 shown]
	s_cmp_ge_u32 s36, s62
	s_cselect_b32 s52, -1, 0
	s_cmp_eq_u32 s37, 0
	s_wait_alu 0xfffe
	s_cselect_b32 s52, s52, -1
	s_wait_alu 0xfffe
	s_cmp_lg_u32 s52, 0
	s_cselect_b32 s37, s39, s37
	s_cselect_b32 s36, s38, s36
	s_cmp_ge_u32 s14, s62
	s_cselect_b32 s38, -1, 0
	s_cmp_eq_u32 s15, 0
	s_wait_alu 0xfffe
	s_cselect_b32 s38, s38, -1
	s_wait_alu 0xfffe
	s_cmp_lg_u32 s38, 0
	s_cselect_b32 s15, s37, s15
	s_cselect_b32 s14, s36, s14
	s_cbranch_execnz .LBB134_154
.LBB134_153:                            ;   in Loop: Header=BB134_32 Depth=1
	v_cvt_f32_u32_e32 v4, s62
	s_sub_co_i32 s15, 0, s62
	s_delay_alu instid0(VALU_DEP_1) | instskip(NEXT) | instid1(TRANS32_DEP_1)
	v_rcp_iflag_f32_e32 v4, v4
	v_mul_f32_e32 v4, 0x4f7ffffe, v4
	s_delay_alu instid0(VALU_DEP_1) | instskip(NEXT) | instid1(VALU_DEP_1)
	v_cvt_u32_f32_e32 v4, v4
	v_readfirstlane_b32 s14, v4
	s_wait_alu 0xfffe
	s_mul_i32 s15, s15, s14
	s_wait_alu 0xfffe
	s_mul_hi_u32 s15, s14, s15
	s_wait_alu 0xfffe
	s_add_co_i32 s14, s14, s15
	s_wait_alu 0xfffe
	s_mul_hi_u32 s14, s12, s14
	s_wait_alu 0xfffe
	s_mul_i32 s14, s14, s62
	s_wait_alu 0xfffe
	s_sub_co_i32 s14, s12, s14
	s_wait_alu 0xfffe
	s_sub_co_i32 s15, s14, s62
	s_cmp_ge_u32 s14, s62
	s_wait_alu 0xfffe
	s_cselect_b32 s14, s15, s14
	s_wait_alu 0xfffe
	s_sub_co_i32 s15, s14, s62
	s_cmp_ge_u32 s14, s62
	s_wait_alu 0xfffe
	s_cselect_b32 s64, s15, s14
	s_wait_alu 0xfffe
	s_mov_b64 s[14:15], s[64:65]
.LBB134_154:                            ;   in Loop: Header=BB134_32 Depth=1
	s_wait_alu 0xfffe
	s_sub_nc_u64 s[12:13], s[12:13], s[14:15]
	s_mov_b32 s15, 0
	s_mov_b32 s14, 0
	s_mov_b32 s52, exec_lo
                                        ; implicit-def: $vgpr35
	s_wait_alu 0xfffe
	v_cmpx_gt_u64_e64 s[12:13], v[0:1]
	s_cbranch_execz .LBB134_169
; %bb.155:                              ;   in Loop: Header=BB134_32 Depth=1
	v_dual_mov_b32 v10, v26 :: v_dual_mov_b32 v5, v1
	v_mov_b32_e32 v4, v0
                                        ; implicit-def: $sgpr53
	s_branch .LBB134_159
.LBB134_156:                            ;   in Loop: Header=BB134_159 Depth=2
	s_wait_alu 0xfffe
	s_or_b32 exec_lo, exec_lo, s64
	s_wait_loadcnt_dscnt 0x0
	s_barrier_signal -1
	s_barrier_wait -1
	global_inv scope:SCOPE_SE
	ds_load_b32 v11, v3 offset:3072
	s_wait_loadcnt_dscnt 0x0
	s_barrier_signal -1
	s_barrier_wait -1
	global_inv scope:SCOPE_SE
	v_cmp_neq_f16_e32 vcc_lo, 0, v11
	s_cbranch_vccnz .LBB134_162
; %bb.157:                              ;   in Loop: Header=BB134_159 Depth=2
	v_add_co_u32 v4, vcc_lo, v4, s62
	s_wait_alu 0xfffd
	v_add_co_ci_u32_e64 v5, null, 0, v5, vcc_lo
	v_add_nc_u32_e32 v10, s92, v10
	s_mov_b32 s64, 0
	s_delay_alu instid0(VALU_DEP_2)
	v_cmp_le_u64_e32 vcc_lo, s[12:13], v[4:5]
	s_or_not1_b32 s77, vcc_lo, exec_lo
.LBB134_158:                            ;   in Loop: Header=BB134_159 Depth=2
	s_wait_alu 0xfffe
	s_and_b32 s36, exec_lo, s77
	s_wait_alu 0xfffe
	s_or_b32 s14, s36, s14
	s_and_not1_b32 s36, s53, exec_lo
	s_and_b32 s37, s64, exec_lo
	s_wait_alu 0xfffe
	s_or_b32 s53, s36, s37
	s_and_not1_b32 exec_lo, exec_lo, s14
	s_cbranch_execz .LBB134_168
.LBB134_159:                            ;   Parent Loop BB134_32 Depth=1
                                        ; =>  This Inner Loop Header: Depth=2
	s_mov_b32 s64, exec_lo
	s_delay_alu instid0(VALU_DEP_1)
	v_cmpx_gt_u64_e64 s[6:7], v[4:5]
	s_cbranch_execz .LBB134_156
; %bb.160:                              ;   in Loop: Header=BB134_159 Depth=2
	ds_load_u16 v11, v10
	s_wait_dscnt 0x0
	v_cmp_lt_i16_e32 vcc_lo, -1, v11
	s_wait_alu 0xfffd
	v_dual_cndmask_b32 v20, 0xffff, v33 :: v_dual_and_b32 v19, 0xffff, v11
	v_cmp_o_f16_e32 vcc_lo, v11, v11
	s_delay_alu instid0(VALU_DEP_2) | instskip(SKIP_1) | instid1(VALU_DEP_1)
	v_xor_b32_e32 v19, v20, v19
	s_wait_alu 0xfffd
	v_cndmask_b32_e32 v19, 0xffff, v19, vcc_lo
	s_delay_alu instid0(VALU_DEP_1) | instskip(NEXT) | instid1(VALU_DEP_1)
	v_and_b32_e32 v19, v19, v34
	v_cmp_eq_u32_e32 vcc_lo, v19, v30
	s_and_b32 exec_lo, exec_lo, vcc_lo
	s_cbranch_execz .LBB134_156
; %bb.161:                              ;   in Loop: Header=BB134_159 Depth=2
	v_perm_b32 v11, v11, s96, 0x5040100
	ds_store_b32 v3, v11 offset:3072
	s_branch .LBB134_156
.LBB134_162:                            ;   in Loop: Header=BB134_159 Depth=2
	s_mov_b32 s77, -1
	s_mov_b32 s64, -1
                                        ; implicit-def: $vgpr4_vgpr5
                                        ; implicit-def: $vgpr10
	s_branch .LBB134_158
.LBB134_163:                            ;   in Loop: Header=BB134_32 Depth=1
                                        ; implicit-def: $sgpr14_sgpr15
	s_branch .LBB134_108
.LBB134_164:                            ;   in Loop: Header=BB134_32 Depth=1
	s_or_b32 exec_lo, exec_lo, s9
	s_wait_dscnt 0x0
	s_barrier_signal -1
	s_barrier_wait -1
	global_inv scope:SCOPE_SE
	s_and_saveexec_b32 s6, s3
	s_cbranch_execz .LBB134_166
; %bb.165:                              ;   in Loop: Header=BB134_32 Depth=1
	ds_load_b32 v4, v3 offset:5144
	s_wait_dscnt 0x0
	v_ashrrev_i32_e32 v5, 31, v4
	ds_store_b64 v3, v[4:5] offset:5120
.LBB134_166:                            ;   in Loop: Header=BB134_32 Depth=1
	s_wait_alu 0xfffe
	s_or_b32 exec_lo, exec_lo, s6
	s_wait_loadcnt_dscnt 0x0
	s_barrier_signal -1
	s_mov_b32 s6, -1
	s_barrier_wait -1
	s_and_b32 vcc_lo, exec_lo, s8
	s_wait_alu 0xfffe
	s_cbranch_vccnz .LBB134_47
	s_branch .LBB134_62
.LBB134_167:                            ;   in Loop: Header=BB134_32 Depth=1
                                        ; implicit-def: $sgpr6_sgpr7
	s_branch .LBB134_123
.LBB134_168:                            ;   in Loop: Header=BB134_32 Depth=1
	s_or_b32 exec_lo, exec_lo, s14
	v_lshrrev_b32_e32 v35, 16, v11
	s_wait_alu 0xfffe
	s_and_b32 s14, s53, exec_lo
.LBB134_169:                            ;   in Loop: Header=BB134_32 Depth=1
	s_or_b32 exec_lo, exec_lo, s52
.LBB134_170:                            ;   in Loop: Header=BB134_32 Depth=1
	s_wait_alu 0xfffe
	s_and_b32 vcc_lo, exec_lo, s15
	s_wait_alu 0xfffe
	s_cbranch_vccz .LBB134_185
; %bb.171:                              ;   in Loop: Header=BB134_32 Depth=1
	s_mov_b32 s6, s65
	s_mov_b32 s7, s69
	s_wait_alu 0xfffe
	s_cmp_lg_u64 s[6:7], 0
	s_cbranch_scc0 .LBB134_215
; %bb.172:                              ;   in Loop: Header=BB134_32 Depth=1
	s_cvt_f32_u32 s6, s62
	s_sub_nc_u64 s[12:13], 0, s[62:63]
	s_wait_alu 0xfffe
	s_delay_alu instid0(SALU_CYCLE_1) | instskip(SKIP_1) | instid1(SALU_CYCLE_2)
	s_fmamk_f32 s6, s93, 0x0, s6
	s_wait_alu 0xfffe
	v_s_rcp_f32 s6, s6
	s_delay_alu instid0(TRANS32_DEP_1) | instskip(SKIP_1) | instid1(SALU_CYCLE_2)
	s_mul_f32 s6, s6, 0x5f7ffffc
	s_wait_alu 0xfffe
	s_mul_f32 s7, s6, 0x2f800000
	s_wait_alu 0xfffe
	s_delay_alu instid0(SALU_CYCLE_2) | instskip(SKIP_1) | instid1(SALU_CYCLE_2)
	s_trunc_f32 s7, s7
	s_wait_alu 0xfffe
	s_fmamk_f32 s6, s7, 0xcf800000, s6
	s_cvt_u32_f32 s7, s7
	s_wait_alu 0xfffe
	s_delay_alu instid0(SALU_CYCLE_1) | instskip(SKIP_1) | instid1(SALU_CYCLE_2)
	s_cvt_u32_f32 s6, s6
	s_wait_alu 0xfffe
	s_mul_u64 s[52:53], s[12:13], s[6:7]
	s_wait_alu 0xfffe
	s_mul_hi_u32 s79, s6, s53
	s_mul_i32 s78, s6, s53
	s_mul_hi_u32 s64, s6, s52
	s_mul_i32 s36, s7, s52
	s_wait_alu 0xfffe
	s_add_nc_u64 s[78:79], s[64:65], s[78:79]
	s_mul_hi_u32 s15, s7, s52
	s_mul_hi_u32 s37, s7, s53
	s_wait_alu 0xfffe
	s_add_co_u32 s36, s78, s36
	s_add_co_ci_u32 s64, s79, s15
	s_mul_i32 s52, s7, s53
	s_add_co_ci_u32 s53, s37, 0
	s_wait_alu 0xfffe
	s_add_nc_u64 s[52:53], s[64:65], s[52:53]
	s_wait_alu 0xfffe
	s_add_co_u32 s6, s6, s52
	s_cselect_b32 s15, -1, 0
	s_wait_alu 0xfffe
	s_cmp_lg_u32 s15, 0
	s_add_co_ci_u32 s7, s7, s53
	s_wait_alu 0xfffe
	s_mul_u64 s[12:13], s[12:13], s[6:7]
	s_wait_alu 0xfffe
	s_mul_hi_u32 s53, s6, s13
	s_mul_i32 s52, s6, s13
	s_mul_hi_u32 s64, s6, s12
	s_mul_i32 s36, s7, s12
	s_wait_alu 0xfffe
	s_add_nc_u64 s[52:53], s[64:65], s[52:53]
	s_mul_hi_u32 s15, s7, s12
	s_mul_hi_u32 s37, s7, s13
	s_mul_i32 s12, s7, s13
	s_wait_alu 0xfffe
	s_add_co_u32 s13, s52, s36
	s_add_co_ci_u32 s64, s53, s15
	s_add_co_ci_u32 s13, s37, 0
	s_wait_alu 0xfffe
	s_add_nc_u64 s[12:13], s[64:65], s[12:13]
	s_wait_alu 0xfffe
	s_add_co_u32 s6, s6, s12
	s_cselect_b32 s12, -1, 0
	s_wait_alu 0xfffe
	s_mul_hi_u32 s64, s68, s6
	s_cmp_lg_u32 s12, 0
	s_mul_hi_u32 s15, s69, s6
	s_add_co_ci_u32 s12, s7, s13
	s_mul_i32 s13, s69, s6
	s_wait_alu 0xfffe
	s_mul_hi_u32 s7, s68, s12
	s_mul_i32 s6, s68, s12
	s_mul_hi_u32 s36, s69, s12
	s_wait_alu 0xfffe
	s_add_nc_u64 s[6:7], s[64:65], s[6:7]
	s_mul_i32 s12, s69, s12
	s_wait_alu 0xfffe
	s_add_co_u32 s6, s6, s13
	s_add_co_ci_u32 s64, s7, s15
	s_add_co_ci_u32 s13, s36, 0
	s_wait_alu 0xfffe
	s_add_nc_u64 s[6:7], s[64:65], s[12:13]
	s_wait_alu 0xfffe
	s_mul_u64 s[6:7], s[62:63], s[6:7]
	s_wait_alu 0xfffe
	s_sub_co_u32 s6, s68, s6
	s_cselect_b32 s12, -1, 0
	s_wait_alu 0xfffe
	s_cmp_lg_u32 s12, 0
	s_sub_co_ci_u32 s7, s69, s7
	s_sub_co_u32 s12, s6, s62
	s_cselect_b32 s13, -1, 0
	s_wait_alu 0xfffe
	s_cmp_lg_u32 s13, 0
	s_sub_co_ci_u32 s13, s7, 0
	;; [unrolled: 5-line block ×3, first 2 shown]
	s_cmp_ge_u32 s12, s62
	s_cselect_b32 s37, -1, 0
	s_cmp_eq_u32 s13, 0
	s_wait_alu 0xfffe
	s_cselect_b32 s37, s37, -1
	s_wait_alu 0xfffe
	s_cmp_lg_u32 s37, 0
	s_cselect_b32 s13, s36, s13
	s_cselect_b32 s12, s15, s12
	s_cmp_ge_u32 s6, s62
	s_cselect_b32 s15, -1, 0
	s_cmp_eq_u32 s7, 0
	s_wait_alu 0xfffe
	s_cselect_b32 s15, s15, -1
	s_wait_alu 0xfffe
	s_cmp_lg_u32 s15, 0
	s_cselect_b32 s7, s13, s7
	s_cselect_b32 s6, s12, s6
	s_cbranch_execnz .LBB134_174
.LBB134_173:                            ;   in Loop: Header=BB134_32 Depth=1
	v_cvt_f32_u32_e32 v4, s62
	s_sub_co_i32 s7, 0, s62
	s_delay_alu instid0(VALU_DEP_1) | instskip(NEXT) | instid1(TRANS32_DEP_1)
	v_rcp_iflag_f32_e32 v4, v4
	v_mul_f32_e32 v4, 0x4f7ffffe, v4
	s_delay_alu instid0(VALU_DEP_1) | instskip(NEXT) | instid1(VALU_DEP_1)
	v_cvt_u32_f32_e32 v4, v4
	v_readfirstlane_b32 s6, v4
	s_wait_alu 0xfffe
	s_mul_i32 s7, s7, s6
	s_wait_alu 0xfffe
	s_mul_hi_u32 s7, s6, s7
	s_wait_alu 0xfffe
	s_add_co_i32 s6, s6, s7
	s_wait_alu 0xfffe
	s_mul_hi_u32 s6, s68, s6
	s_wait_alu 0xfffe
	s_mul_i32 s6, s6, s62
	s_wait_alu 0xfffe
	s_sub_co_i32 s6, s68, s6
	s_wait_alu 0xfffe
	s_sub_co_i32 s7, s6, s62
	s_cmp_ge_u32 s6, s62
	s_wait_alu 0xfffe
	s_cselect_b32 s6, s7, s6
	s_wait_alu 0xfffe
	s_sub_co_i32 s7, s6, s62
	s_cmp_ge_u32 s6, s62
	s_wait_alu 0xfffe
	s_cselect_b32 s64, s7, s6
	s_wait_alu 0xfffe
	s_mov_b64 s[6:7], s[64:65]
.LBB134_174:                            ;   in Loop: Header=BB134_32 Depth=1
	s_wait_alu 0xfffe
	s_sub_nc_u64 s[6:7], s[68:69], s[6:7]
	s_mov_b32 s12, exec_lo
                                        ; implicit-def: $vgpr35
	s_wait_alu 0xfffe
	v_cmpx_gt_u64_e64 s[6:7], v[0:1]
	s_cbranch_execz .LBB134_184
; %bb.175:                              ;   in Loop: Header=BB134_32 Depth=1
	v_dual_mov_b32 v5, v1 :: v_dual_mov_b32 v4, v0
	s_mov_b32 s13, 0
                                        ; implicit-def: $sgpr15
	s_branch .LBB134_179
.LBB134_176:                            ;   in Loop: Header=BB134_179 Depth=2
	s_wait_alu 0xfffe
	s_or_b32 exec_lo, exec_lo, s52
	s_wait_loadcnt_dscnt 0x0
	s_barrier_signal -1
	s_barrier_wait -1
	global_inv scope:SCOPE_SE
	ds_load_b32 v10, v3 offset:3072
	s_wait_loadcnt_dscnt 0x0
	s_barrier_signal -1
	s_barrier_wait -1
	global_inv scope:SCOPE_SE
	v_cmp_eq_f16_e32 vcc_lo, 0, v10
	s_cbranch_vccz .LBB134_182
; %bb.177:                              ;   in Loop: Header=BB134_179 Depth=2
	v_add_co_u32 v4, vcc_lo, v4, s62
	s_wait_alu 0xfffd
	v_add_co_ci_u32_e64 v5, null, 0, v5, vcc_lo
	s_mov_b32 s52, 0
	v_cmp_le_u64_e32 vcc_lo, s[6:7], v[4:5]
	s_or_not1_b32 s53, vcc_lo, exec_lo
.LBB134_178:                            ;   in Loop: Header=BB134_179 Depth=2
	s_wait_alu 0xfffe
	s_and_b32 s36, exec_lo, s53
	s_wait_alu 0xfffe
	s_or_b32 s13, s36, s13
	s_and_not1_b32 s15, s15, exec_lo
	s_and_b32 s36, s52, exec_lo
	s_wait_alu 0xfffe
	s_or_b32 s15, s15, s36
	s_and_not1_b32 exec_lo, exec_lo, s13
	s_cbranch_execz .LBB134_183
.LBB134_179:                            ;   Parent Loop BB134_32 Depth=1
                                        ; =>  This Inner Loop Header: Depth=2
	s_mov_b32 s52, exec_lo
	s_delay_alu instid0(VALU_DEP_1)
	v_cmpx_gt_u64_e64 s[20:21], v[4:5]
	s_cbranch_execz .LBB134_176
; %bb.180:                              ;   in Loop: Header=BB134_179 Depth=2
	v_mul_lo_u32 v19, v5, s46
	v_mul_lo_u32 v20, v4, s47
	v_mad_co_u64_u32 v[10:11], null, v4, s46, 0
	s_delay_alu instid0(VALU_DEP_1) | instskip(NEXT) | instid1(VALU_DEP_1)
	v_add3_u32 v11, v11, v20, v19
	v_lshlrev_b64_e32 v[10:11], 1, v[10:11]
	s_delay_alu instid0(VALU_DEP_1) | instskip(SKIP_1) | instid1(VALU_DEP_2)
	v_add_co_u32 v10, vcc_lo, s54, v10
	s_wait_alu 0xfffd
	v_add_co_ci_u32_e64 v11, null, s55, v11, vcc_lo
	global_load_u16 v10, v[10:11], off
	s_wait_loadcnt 0x0
	v_cmp_lt_i16_e32 vcc_lo, -1, v10
	v_and_b32_e32 v11, 0xffff, v10
	s_wait_alu 0xfffd
	v_cndmask_b32_e32 v19, 0xffff, v33, vcc_lo
	v_cmp_o_f16_e32 vcc_lo, v10, v10
	s_delay_alu instid0(VALU_DEP_2) | instskip(SKIP_1) | instid1(VALU_DEP_1)
	v_xor_b32_e32 v11, v19, v11
	s_wait_alu 0xfffd
	v_cndmask_b32_e32 v11, 0xffff, v11, vcc_lo
	s_delay_alu instid0(VALU_DEP_1) | instskip(NEXT) | instid1(VALU_DEP_1)
	v_and_b32_e32 v11, v11, v34
	v_cmp_eq_u32_e32 vcc_lo, v11, v30
	s_and_b32 exec_lo, exec_lo, vcc_lo
	s_cbranch_execz .LBB134_176
; %bb.181:                              ;   in Loop: Header=BB134_179 Depth=2
	v_perm_b32 v10, v10, s96, 0x5040100
	ds_store_b32 v3, v10 offset:3072
	s_branch .LBB134_176
.LBB134_182:                            ;   in Loop: Header=BB134_179 Depth=2
	s_mov_b32 s53, -1
	s_mov_b32 s52, -1
                                        ; implicit-def: $vgpr4_vgpr5
	s_branch .LBB134_178
.LBB134_183:                            ;   in Loop: Header=BB134_32 Depth=1
	s_or_b32 exec_lo, exec_lo, s13
	v_lshrrev_b32_e32 v35, 16, v10
	s_and_not1_b32 s6, s14, exec_lo
	s_wait_alu 0xfffe
	s_and_b32 s7, s15, exec_lo
	s_wait_alu 0xfffe
	s_or_b32 s14, s6, s7
.LBB134_184:                            ;   in Loop: Header=BB134_32 Depth=1
	s_or_b32 exec_lo, exec_lo, s12
	s_mov_b32 s73, 0
	s_mov_b32 s74, -1
.LBB134_185:                            ;   in Loop: Header=BB134_32 Depth=1
	s_wait_alu 0xfffe
	s_or_not1_b32 s6, s14, exec_lo
.LBB134_186:                            ;   in Loop: Header=BB134_32 Depth=1
	s_wait_alu 0xfffe
	s_or_b32 exec_lo, exec_lo, s75
	s_mov_b32 s7, 0
	s_and_saveexec_b32 s75, s6
	s_cbranch_execz .LBB134_296
; %bb.187:                              ;   in Loop: Header=BB134_32 Depth=1
	v_mov_b32_e32 v4, 1
	v_dual_mov_b32 v5, 0 :: v_dual_mov_b32 v2, 1
	s_xor_b32 s12, s76, -1
	s_wait_alu 0xfffe
	s_and_saveexec_b32 s6, s12
	s_cbranch_execz .LBB134_197
; %bb.188:                              ;   in Loop: Header=BB134_32 Depth=1
	s_mov_b32 s7, exec_lo
	v_cmpx_le_u64_e64 v[8:9], v[6:7]
	s_wait_alu 0xfffe
	s_xor_b32 s7, exec_lo, s7
	s_cbranch_execz .LBB134_194
; %bb.189:                              ;   in Loop: Header=BB134_32 Depth=1
	ds_load_b64 v[4:5], v3 offset:5120
	s_lshl_b32 s12, 1, s94
	v_or_b32_e32 v34, s16, v34
	s_wait_alu 0xfffe
	v_and_or_b32 v30, v30, s72, s12
	s_wait_dscnt 0x0
	v_cmp_ne_u64_e32 vcc_lo, 0, v[4:5]
	s_cbranch_vccnz .LBB134_193
; %bb.190:                              ;   in Loop: Header=BB134_32 Depth=1
	s_and_saveexec_b32 s12, s3
; %bb.191:                              ;   in Loop: Header=BB134_32 Depth=1
	ds_store_b64 v3, v[6:7] offset:5128
; %bb.192:                              ;   in Loop: Header=BB134_32 Depth=1
	s_wait_alu 0xfffe
	s_or_b32 exec_lo, exec_lo, s12
	s_wait_loadcnt_dscnt 0x0
	s_barrier_signal -1
	s_barrier_wait -1
	global_inv scope:SCOPE_SE
.LBB134_193:                            ;   in Loop: Header=BB134_32 Depth=1
                                        ; implicit-def: $vgpr4_vgpr5_vgpr6_vgpr7
.LBB134_194:                            ;   in Loop: Header=BB134_32 Depth=1
	s_wait_alu 0xfffe
	s_or_saveexec_b32 s7, s7
	v_mov_b32_e32 v2, 8
	s_mov_b32 s12, 0
	s_wait_alu 0xfffe
	s_xor_b32 exec_lo, exec_lo, s7
; %bb.195:                              ;   in Loop: Header=BB134_32 Depth=1
	v_sub_co_u32 v8, vcc_lo, v8, v6
	s_wait_alu 0xfffd
	v_sub_co_ci_u32_e64 v9, null, v9, v7, vcc_lo
	v_mov_b32_e32 v2, 0
	s_mov_b32 s12, exec_lo
; %bb.196:                              ;   in Loop: Header=BB134_32 Depth=1
	s_or_b32 exec_lo, exec_lo, s7
	s_delay_alu instid0(VALU_DEP_2)
	v_dual_mov_b32 v4, v8 :: v_dual_mov_b32 v5, v9
	s_wait_alu 0xfffe
	s_and_b32 s7, s12, exec_lo
.LBB134_197:                            ;   in Loop: Header=BB134_32 Depth=1
	s_wait_alu 0xfffe
	s_or_b32 exec_lo, exec_lo, s6
	s_mov_b32 s6, -1
                                        ; implicit-def: $sgpr77
                                        ; implicit-def: $sgpr78
	s_and_saveexec_b32 s76, s7
	s_cbranch_execz .LBB134_295
; %bb.198:                              ;   in Loop: Header=BB134_32 Depth=1
	v_cmp_eq_u64_e32 vcc_lo, 1, v[4:5]
	s_cmp_eq_u64 s[10:11], 1
                                        ; implicit-def: $sgpr78
                                        ; implicit-def: $sgpr77
	s_cselect_b32 s6, -1, 0
	s_wait_alu 0xfffe
	s_and_b32 s79, s6, vcc_lo
	s_mov_b32 s6, -1
	s_wait_alu 0xfffe
	s_and_saveexec_b32 s80, s79
	s_cbranch_execz .LBB134_234
; %bb.199:                              ;   in Loop: Header=BB134_32 Depth=1
	ds_load_b64 v[6:7], v3 offset:5120
	s_wait_loadcnt_dscnt 0x0
	s_barrier_signal -1
	s_barrier_wait -1
	global_inv scope:SCOPE_SE
	v_readfirstlane_b32 s6, v6
	v_readfirstlane_b32 s7, v7
	s_and_saveexec_b32 s12, s0
; %bb.200:                              ;   in Loop: Header=BB134_32 Depth=1
	ds_store_b16 v27, v3
; %bb.201:                              ;   in Loop: Header=BB134_32 Depth=1
	s_wait_alu 0xfffe
	s_or_b32 exec_lo, exec_lo, s12
	s_lshl_b32 s12, 2, s94
	v_or_b32_e32 v34, s16, v34
	s_wait_alu 0xfffe
	v_and_or_b32 v30, v30, s72, s12
	s_mov_b32 s77, -1
	s_mov_b32 s78, 0
	s_cmp_eq_u64 s[6:7], 0
	s_mov_b32 s14, 0
	s_mov_b32 s15, -1
	s_wait_loadcnt_dscnt 0x0
	s_barrier_signal -1
	s_barrier_wait -1
	global_inv scope:SCOPE_SE
                                        ; implicit-def: $vgpr35
	s_cbranch_scc1 .LBB134_218
; %bb.202:                              ;   in Loop: Header=BB134_32 Depth=1
	s_add_nc_u64 s[12:13], s[6:7], s[66:67]
	s_mov_b32 s14, s65
	s_wait_alu 0xfffe
	s_mov_b32 s15, s13
	s_wait_alu 0xfffe
	s_cmp_lg_u64 s[14:15], 0
	s_cbranch_scc0 .LBB134_261
; %bb.203:                              ;   in Loop: Header=BB134_32 Depth=1
	s_cvt_f32_u32 s14, s62
	s_sub_nc_u64 s[52:53], 0, s[62:63]
	s_wait_alu 0xfffe
	s_delay_alu instid0(SALU_CYCLE_1) | instskip(SKIP_1) | instid1(SALU_CYCLE_2)
	s_fmamk_f32 s14, s93, 0x0, s14
	s_wait_alu 0xfffe
	v_s_rcp_f32 s14, s14
	s_delay_alu instid0(TRANS32_DEP_1) | instskip(SKIP_1) | instid1(SALU_CYCLE_2)
	s_mul_f32 s14, s14, 0x5f7ffffc
	s_wait_alu 0xfffe
	s_mul_f32 s15, s14, 0x2f800000
	s_wait_alu 0xfffe
	s_delay_alu instid0(SALU_CYCLE_2) | instskip(SKIP_1) | instid1(SALU_CYCLE_2)
	s_trunc_f32 s15, s15
	s_wait_alu 0xfffe
	s_fmamk_f32 s14, s15, 0xcf800000, s14
	s_cvt_u32_f32 s15, s15
	s_wait_alu 0xfffe
	s_delay_alu instid0(SALU_CYCLE_1) | instskip(SKIP_1) | instid1(SALU_CYCLE_2)
	s_cvt_u32_f32 s14, s14
	s_wait_alu 0xfffe
	s_mul_u64 s[82:83], s[52:53], s[14:15]
	s_wait_alu 0xfffe
	s_mul_hi_u32 vcc_hi, s14, s83
	s_mul_i32 vcc_lo, s14, s83
	s_mul_hi_u32 s64, s14, s82
	s_mul_i32 s37, s15, s82
	s_wait_alu 0xfffe
	s_add_nc_u64 vcc, s[64:65], vcc
	s_mul_hi_u32 s36, s15, s82
	s_mul_hi_u32 s38, s15, s83
	s_wait_alu 0xfffe
	s_add_co_u32 s37, vcc_lo, s37
	s_add_co_ci_u32 s64, vcc_hi, s36
	s_mul_i32 s82, s15, s83
	s_add_co_ci_u32 s83, s38, 0
	s_wait_alu 0xfffe
	s_add_nc_u64 s[82:83], s[64:65], s[82:83]
	s_wait_alu 0xfffe
	s_add_co_u32 s14, s14, s82
	s_cselect_b32 s36, -1, 0
	s_wait_alu 0xfffe
	s_cmp_lg_u32 s36, 0
	s_add_co_ci_u32 s15, s15, s83
	s_wait_alu 0xfffe
	s_mul_u64 s[52:53], s[52:53], s[14:15]
	s_wait_alu 0xfffe
	s_mul_hi_u32 s83, s14, s53
	s_mul_i32 s82, s14, s53
	s_mul_hi_u32 s64, s14, s52
	s_mul_i32 s37, s15, s52
	s_wait_alu 0xfffe
	s_add_nc_u64 s[82:83], s[64:65], s[82:83]
	s_mul_hi_u32 s36, s15, s52
	s_mul_hi_u32 s38, s15, s53
	s_wait_alu 0xfffe
	s_add_co_u32 s37, s82, s37
	s_add_co_ci_u32 s64, s83, s36
	s_mul_i32 s52, s15, s53
	s_add_co_ci_u32 s53, s38, 0
	s_wait_alu 0xfffe
	s_add_nc_u64 s[52:53], s[64:65], s[52:53]
	s_wait_alu 0xfffe
	s_add_co_u32 s14, s14, s52
	s_cselect_b32 s36, -1, 0
	s_wait_alu 0xfffe
	s_mul_hi_u32 s64, s12, s14
	s_cmp_lg_u32 s36, 0
	s_mul_hi_u32 s36, s13, s14
	s_add_co_ci_u32 s37, s15, s53
	s_mul_i32 s38, s13, s14
	s_wait_alu 0xfffe
	s_mul_hi_u32 s15, s12, s37
	s_mul_i32 s14, s12, s37
	s_mul_hi_u32 s39, s13, s37
	s_wait_alu 0xfffe
	s_add_nc_u64 s[14:15], s[64:65], s[14:15]
	s_mul_i32 s52, s13, s37
	s_wait_alu 0xfffe
	s_add_co_u32 s14, s14, s38
	s_add_co_ci_u32 s64, s15, s36
	s_add_co_ci_u32 s53, s39, 0
	s_wait_alu 0xfffe
	s_add_nc_u64 s[14:15], s[64:65], s[52:53]
	s_wait_alu 0xfffe
	s_mul_u64 s[14:15], s[62:63], s[14:15]
	s_wait_alu 0xfffe
	s_sub_co_u32 s14, s12, s14
	s_cselect_b32 s36, -1, 0
	s_wait_alu 0xfffe
	s_cmp_lg_u32 s36, 0
	s_sub_co_ci_u32 s15, s13, s15
	s_sub_co_u32 s36, s14, s62
	s_cselect_b32 s37, -1, 0
	s_wait_alu 0xfffe
	s_cmp_lg_u32 s37, 0
	s_sub_co_ci_u32 s37, s15, 0
	;; [unrolled: 5-line block ×3, first 2 shown]
	s_cmp_ge_u32 s36, s62
	s_cselect_b32 s52, -1, 0
	s_cmp_eq_u32 s37, 0
	s_wait_alu 0xfffe
	s_cselect_b32 s52, s52, -1
	s_wait_alu 0xfffe
	s_cmp_lg_u32 s52, 0
	s_cselect_b32 s37, s39, s37
	s_cselect_b32 s36, s38, s36
	s_cmp_ge_u32 s14, s62
	s_cselect_b32 s38, -1, 0
	s_cmp_eq_u32 s15, 0
	s_wait_alu 0xfffe
	s_cselect_b32 s38, s38, -1
	s_wait_alu 0xfffe
	s_cmp_lg_u32 s38, 0
	s_cselect_b32 s15, s37, s15
	s_cselect_b32 s14, s36, s14
	s_cbranch_execnz .LBB134_205
.LBB134_204:                            ;   in Loop: Header=BB134_32 Depth=1
	v_cvt_f32_u32_e32 v6, s62
	s_sub_co_i32 s15, 0, s62
	s_delay_alu instid0(VALU_DEP_1) | instskip(NEXT) | instid1(TRANS32_DEP_1)
	v_rcp_iflag_f32_e32 v6, v6
	v_mul_f32_e32 v6, 0x4f7ffffe, v6
	s_delay_alu instid0(VALU_DEP_1) | instskip(NEXT) | instid1(VALU_DEP_1)
	v_cvt_u32_f32_e32 v6, v6
	v_readfirstlane_b32 s14, v6
	s_wait_alu 0xfffe
	s_mul_i32 s15, s15, s14
	s_wait_alu 0xfffe
	s_mul_hi_u32 s15, s14, s15
	s_wait_alu 0xfffe
	s_add_co_i32 s14, s14, s15
	s_wait_alu 0xfffe
	s_mul_hi_u32 s14, s12, s14
	s_wait_alu 0xfffe
	s_mul_i32 s14, s14, s62
	s_wait_alu 0xfffe
	s_sub_co_i32 s14, s12, s14
	s_wait_alu 0xfffe
	s_sub_co_i32 s15, s14, s62
	s_cmp_ge_u32 s14, s62
	s_wait_alu 0xfffe
	s_cselect_b32 s14, s15, s14
	s_wait_alu 0xfffe
	s_sub_co_i32 s15, s14, s62
	s_cmp_ge_u32 s14, s62
	s_wait_alu 0xfffe
	s_cselect_b32 s64, s15, s14
	s_wait_alu 0xfffe
	s_mov_b64 s[14:15], s[64:65]
.LBB134_205:                            ;   in Loop: Header=BB134_32 Depth=1
	s_wait_alu 0xfffe
	s_sub_nc_u64 s[12:13], s[12:13], s[14:15]
	s_mov_b32 s15, 0
	s_mov_b32 s14, 0
	s_mov_b32 s52, exec_lo
                                        ; implicit-def: $vgpr35
	s_wait_alu 0xfffe
	v_cmpx_gt_u64_e64 s[12:13], v[0:1]
	s_cbranch_execz .LBB134_217
; %bb.206:                              ;   in Loop: Header=BB134_32 Depth=1
	v_dual_mov_b32 v8, v26 :: v_dual_mov_b32 v7, v1
	v_mov_b32_e32 v6, v0
                                        ; implicit-def: $sgpr53
	s_branch .LBB134_210
.LBB134_207:                            ;   in Loop: Header=BB134_210 Depth=2
	s_wait_alu 0xfffe
	s_or_b32 exec_lo, exec_lo, s64
	s_wait_loadcnt_dscnt 0x0
	s_barrier_signal -1
	s_barrier_wait -1
	global_inv scope:SCOPE_SE
	ds_load_b32 v9, v3 offset:3072
	s_wait_loadcnt_dscnt 0x0
	s_barrier_signal -1
	s_barrier_wait -1
	global_inv scope:SCOPE_SE
	v_cmp_neq_f16_e32 vcc_lo, 0, v9
	s_cbranch_vccnz .LBB134_213
; %bb.208:                              ;   in Loop: Header=BB134_210 Depth=2
	v_add_co_u32 v6, vcc_lo, v6, s62
	s_wait_alu 0xfffd
	v_add_co_ci_u32_e64 v7, null, 0, v7, vcc_lo
	v_add_nc_u32_e32 v8, s92, v8
	s_mov_b32 s64, 0
	s_delay_alu instid0(VALU_DEP_2)
	v_cmp_le_u64_e32 vcc_lo, s[12:13], v[6:7]
	s_or_not1_b32 s81, vcc_lo, exec_lo
.LBB134_209:                            ;   in Loop: Header=BB134_210 Depth=2
	s_wait_alu 0xfffe
	s_and_b32 s36, exec_lo, s81
	s_wait_alu 0xfffe
	s_or_b32 s14, s36, s14
	s_and_not1_b32 s36, s53, exec_lo
	s_and_b32 s37, s64, exec_lo
	s_wait_alu 0xfffe
	s_or_b32 s53, s36, s37
	s_and_not1_b32 exec_lo, exec_lo, s14
	s_cbranch_execz .LBB134_216
.LBB134_210:                            ;   Parent Loop BB134_32 Depth=1
                                        ; =>  This Inner Loop Header: Depth=2
	s_mov_b32 s64, exec_lo
	s_delay_alu instid0(VALU_DEP_1)
	v_cmpx_gt_u64_e64 s[6:7], v[6:7]
	s_cbranch_execz .LBB134_207
; %bb.211:                              ;   in Loop: Header=BB134_210 Depth=2
	ds_load_u16 v9, v8
	s_wait_dscnt 0x0
	v_cmp_lt_i16_e32 vcc_lo, -1, v9
	v_and_b32_e32 v10, 0xffff, v9
	s_wait_alu 0xfffd
	v_cndmask_b32_e32 v11, 0xffff, v33, vcc_lo
	v_cmp_o_f16_e32 vcc_lo, v9, v9
	s_delay_alu instid0(VALU_DEP_2) | instskip(SKIP_1) | instid1(VALU_DEP_1)
	v_xor_b32_e32 v10, v11, v10
	s_wait_alu 0xfffd
	v_cndmask_b32_e32 v10, 0xffff, v10, vcc_lo
	s_delay_alu instid0(VALU_DEP_1) | instskip(NEXT) | instid1(VALU_DEP_1)
	v_and_b32_e32 v10, v10, v34
	v_cmp_eq_u32_e32 vcc_lo, v10, v30
	s_and_b32 exec_lo, exec_lo, vcc_lo
	s_cbranch_execz .LBB134_207
; %bb.212:                              ;   in Loop: Header=BB134_210 Depth=2
	v_perm_b32 v9, v9, s96, 0x5040100
	ds_store_b32 v3, v9 offset:3072
	s_branch .LBB134_207
.LBB134_213:                            ;   in Loop: Header=BB134_210 Depth=2
	s_mov_b32 s81, -1
	s_mov_b32 s64, -1
                                        ; implicit-def: $vgpr6_vgpr7
                                        ; implicit-def: $vgpr8
	s_branch .LBB134_209
.LBB134_214:                            ;   in Loop: Header=BB134_32 Depth=1
                                        ; implicit-def: $sgpr14_sgpr15
	s_branch .LBB134_153
.LBB134_215:                            ;   in Loop: Header=BB134_32 Depth=1
                                        ; implicit-def: $sgpr6_sgpr7
	s_branch .LBB134_173
.LBB134_216:                            ;   in Loop: Header=BB134_32 Depth=1
	s_or_b32 exec_lo, exec_lo, s14
	v_lshrrev_b32_e32 v35, 16, v9
	s_wait_alu 0xfffe
	s_and_b32 s14, s53, exec_lo
.LBB134_217:                            ;   in Loop: Header=BB134_32 Depth=1
	s_or_b32 exec_lo, exec_lo, s52
.LBB134_218:                            ;   in Loop: Header=BB134_32 Depth=1
	s_wait_alu 0xfffe
	s_and_b32 vcc_lo, exec_lo, s15
	s_wait_alu 0xfffe
	s_cbranch_vccz .LBB134_233
; %bb.219:                              ;   in Loop: Header=BB134_32 Depth=1
	s_mov_b32 s6, s65
	s_mov_b32 s7, s69
	s_wait_alu 0xfffe
	s_cmp_lg_u64 s[6:7], 0
	s_cbranch_scc0 .LBB134_262
; %bb.220:                              ;   in Loop: Header=BB134_32 Depth=1
	s_cvt_f32_u32 s6, s62
	s_sub_nc_u64 s[12:13], 0, s[62:63]
	s_wait_alu 0xfffe
	s_delay_alu instid0(SALU_CYCLE_1) | instskip(SKIP_1) | instid1(SALU_CYCLE_2)
	s_fmamk_f32 s6, s93, 0x0, s6
	s_wait_alu 0xfffe
	v_s_rcp_f32 s6, s6
	s_delay_alu instid0(TRANS32_DEP_1) | instskip(SKIP_1) | instid1(SALU_CYCLE_2)
	s_mul_f32 s6, s6, 0x5f7ffffc
	s_wait_alu 0xfffe
	s_mul_f32 s7, s6, 0x2f800000
	s_wait_alu 0xfffe
	s_delay_alu instid0(SALU_CYCLE_2) | instskip(SKIP_1) | instid1(SALU_CYCLE_2)
	s_trunc_f32 s7, s7
	s_wait_alu 0xfffe
	s_fmamk_f32 s6, s7, 0xcf800000, s6
	s_cvt_u32_f32 s7, s7
	s_wait_alu 0xfffe
	s_delay_alu instid0(SALU_CYCLE_1) | instskip(SKIP_1) | instid1(SALU_CYCLE_2)
	s_cvt_u32_f32 s6, s6
	s_wait_alu 0xfffe
	s_mul_u64 s[52:53], s[12:13], s[6:7]
	s_wait_alu 0xfffe
	s_mul_hi_u32 s83, s6, s53
	s_mul_i32 s82, s6, s53
	s_mul_hi_u32 s64, s6, s52
	s_mul_i32 s36, s7, s52
	s_wait_alu 0xfffe
	s_add_nc_u64 s[82:83], s[64:65], s[82:83]
	s_mul_hi_u32 s15, s7, s52
	s_mul_hi_u32 s37, s7, s53
	s_wait_alu 0xfffe
	s_add_co_u32 s36, s82, s36
	s_add_co_ci_u32 s64, s83, s15
	s_mul_i32 s52, s7, s53
	s_add_co_ci_u32 s53, s37, 0
	s_wait_alu 0xfffe
	s_add_nc_u64 s[52:53], s[64:65], s[52:53]
	s_wait_alu 0xfffe
	s_add_co_u32 s6, s6, s52
	s_cselect_b32 s15, -1, 0
	s_wait_alu 0xfffe
	s_cmp_lg_u32 s15, 0
	s_add_co_ci_u32 s7, s7, s53
	s_wait_alu 0xfffe
	s_mul_u64 s[12:13], s[12:13], s[6:7]
	s_wait_alu 0xfffe
	s_mul_hi_u32 s53, s6, s13
	s_mul_i32 s52, s6, s13
	s_mul_hi_u32 s64, s6, s12
	s_mul_i32 s36, s7, s12
	s_wait_alu 0xfffe
	s_add_nc_u64 s[52:53], s[64:65], s[52:53]
	s_mul_hi_u32 s15, s7, s12
	s_mul_hi_u32 s37, s7, s13
	s_mul_i32 s12, s7, s13
	s_wait_alu 0xfffe
	s_add_co_u32 s13, s52, s36
	s_add_co_ci_u32 s64, s53, s15
	s_add_co_ci_u32 s13, s37, 0
	s_wait_alu 0xfffe
	s_add_nc_u64 s[12:13], s[64:65], s[12:13]
	s_wait_alu 0xfffe
	s_add_co_u32 s6, s6, s12
	s_cselect_b32 s12, -1, 0
	s_wait_alu 0xfffe
	s_mul_hi_u32 s64, s68, s6
	s_cmp_lg_u32 s12, 0
	s_mul_hi_u32 s15, s69, s6
	s_add_co_ci_u32 s12, s7, s13
	s_mul_i32 s13, s69, s6
	s_wait_alu 0xfffe
	s_mul_hi_u32 s7, s68, s12
	s_mul_i32 s6, s68, s12
	s_mul_hi_u32 s36, s69, s12
	s_wait_alu 0xfffe
	s_add_nc_u64 s[6:7], s[64:65], s[6:7]
	s_mul_i32 s12, s69, s12
	s_wait_alu 0xfffe
	s_add_co_u32 s6, s6, s13
	s_add_co_ci_u32 s64, s7, s15
	s_add_co_ci_u32 s13, s36, 0
	s_wait_alu 0xfffe
	s_add_nc_u64 s[6:7], s[64:65], s[12:13]
	s_wait_alu 0xfffe
	s_mul_u64 s[6:7], s[62:63], s[6:7]
	s_wait_alu 0xfffe
	s_sub_co_u32 s6, s68, s6
	s_cselect_b32 s12, -1, 0
	s_wait_alu 0xfffe
	s_cmp_lg_u32 s12, 0
	s_sub_co_ci_u32 s7, s69, s7
	s_sub_co_u32 s12, s6, s62
	s_cselect_b32 s13, -1, 0
	s_wait_alu 0xfffe
	s_cmp_lg_u32 s13, 0
	s_sub_co_ci_u32 s13, s7, 0
	;; [unrolled: 5-line block ×3, first 2 shown]
	s_cmp_ge_u32 s12, s62
	s_cselect_b32 s37, -1, 0
	s_cmp_eq_u32 s13, 0
	s_wait_alu 0xfffe
	s_cselect_b32 s37, s37, -1
	s_wait_alu 0xfffe
	s_cmp_lg_u32 s37, 0
	s_cselect_b32 s13, s36, s13
	s_cselect_b32 s12, s15, s12
	s_cmp_ge_u32 s6, s62
	s_cselect_b32 s15, -1, 0
	s_cmp_eq_u32 s7, 0
	s_wait_alu 0xfffe
	s_cselect_b32 s15, s15, -1
	s_wait_alu 0xfffe
	s_cmp_lg_u32 s15, 0
	s_cselect_b32 s7, s13, s7
	s_cselect_b32 s6, s12, s6
	s_cbranch_execnz .LBB134_222
.LBB134_221:                            ;   in Loop: Header=BB134_32 Depth=1
	v_cvt_f32_u32_e32 v6, s62
	s_sub_co_i32 s7, 0, s62
	s_delay_alu instid0(VALU_DEP_1) | instskip(NEXT) | instid1(TRANS32_DEP_1)
	v_rcp_iflag_f32_e32 v6, v6
	v_mul_f32_e32 v6, 0x4f7ffffe, v6
	s_delay_alu instid0(VALU_DEP_1) | instskip(NEXT) | instid1(VALU_DEP_1)
	v_cvt_u32_f32_e32 v6, v6
	v_readfirstlane_b32 s6, v6
	s_wait_alu 0xfffe
	s_mul_i32 s7, s7, s6
	s_wait_alu 0xfffe
	s_mul_hi_u32 s7, s6, s7
	s_wait_alu 0xfffe
	s_add_co_i32 s6, s6, s7
	s_wait_alu 0xfffe
	s_mul_hi_u32 s6, s68, s6
	s_wait_alu 0xfffe
	s_mul_i32 s6, s6, s62
	s_wait_alu 0xfffe
	s_sub_co_i32 s6, s68, s6
	s_wait_alu 0xfffe
	s_sub_co_i32 s7, s6, s62
	s_cmp_ge_u32 s6, s62
	s_wait_alu 0xfffe
	s_cselect_b32 s6, s7, s6
	s_wait_alu 0xfffe
	s_sub_co_i32 s7, s6, s62
	s_cmp_ge_u32 s6, s62
	s_wait_alu 0xfffe
	s_cselect_b32 s64, s7, s6
	s_wait_alu 0xfffe
	s_mov_b64 s[6:7], s[64:65]
.LBB134_222:                            ;   in Loop: Header=BB134_32 Depth=1
	s_wait_alu 0xfffe
	s_sub_nc_u64 s[6:7], s[68:69], s[6:7]
	s_mov_b32 s12, exec_lo
                                        ; implicit-def: $vgpr35
	s_wait_alu 0xfffe
	v_cmpx_gt_u64_e64 s[6:7], v[0:1]
	s_cbranch_execz .LBB134_232
; %bb.223:                              ;   in Loop: Header=BB134_32 Depth=1
	v_dual_mov_b32 v7, v1 :: v_dual_mov_b32 v6, v0
	s_mov_b32 s13, 0
                                        ; implicit-def: $sgpr15
	s_branch .LBB134_227
.LBB134_224:                            ;   in Loop: Header=BB134_227 Depth=2
	s_wait_alu 0xfffe
	s_or_b32 exec_lo, exec_lo, s52
	s_wait_loadcnt_dscnt 0x0
	s_barrier_signal -1
	s_barrier_wait -1
	global_inv scope:SCOPE_SE
	ds_load_b32 v8, v3 offset:3072
	s_wait_loadcnt_dscnt 0x0
	s_barrier_signal -1
	s_barrier_wait -1
	global_inv scope:SCOPE_SE
	v_cmp_eq_f16_e32 vcc_lo, 0, v8
	s_cbranch_vccz .LBB134_230
; %bb.225:                              ;   in Loop: Header=BB134_227 Depth=2
	v_add_co_u32 v6, vcc_lo, v6, s62
	s_wait_alu 0xfffd
	v_add_co_ci_u32_e64 v7, null, 0, v7, vcc_lo
	s_mov_b32 s52, 0
	v_cmp_le_u64_e32 vcc_lo, s[6:7], v[6:7]
	s_or_not1_b32 s53, vcc_lo, exec_lo
.LBB134_226:                            ;   in Loop: Header=BB134_227 Depth=2
	s_wait_alu 0xfffe
	s_and_b32 s36, exec_lo, s53
	s_wait_alu 0xfffe
	s_or_b32 s13, s36, s13
	s_and_not1_b32 s15, s15, exec_lo
	s_and_b32 s36, s52, exec_lo
	s_wait_alu 0xfffe
	s_or_b32 s15, s15, s36
	s_and_not1_b32 exec_lo, exec_lo, s13
	s_cbranch_execz .LBB134_231
.LBB134_227:                            ;   Parent Loop BB134_32 Depth=1
                                        ; =>  This Inner Loop Header: Depth=2
	s_mov_b32 s52, exec_lo
	s_delay_alu instid0(VALU_DEP_1)
	v_cmpx_gt_u64_e64 s[20:21], v[6:7]
	s_cbranch_execz .LBB134_224
; %bb.228:                              ;   in Loop: Header=BB134_227 Depth=2
	v_mul_lo_u32 v10, v7, s46
	v_mul_lo_u32 v11, v6, s47
	v_mad_co_u64_u32 v[8:9], null, v6, s46, 0
	s_delay_alu instid0(VALU_DEP_1) | instskip(NEXT) | instid1(VALU_DEP_1)
	v_add3_u32 v9, v9, v11, v10
	v_lshlrev_b64_e32 v[8:9], 1, v[8:9]
	s_delay_alu instid0(VALU_DEP_1) | instskip(SKIP_1) | instid1(VALU_DEP_2)
	v_add_co_u32 v8, vcc_lo, s54, v8
	s_wait_alu 0xfffd
	v_add_co_ci_u32_e64 v9, null, s55, v9, vcc_lo
	global_load_u16 v8, v[8:9], off
	s_wait_loadcnt 0x0
	v_cmp_lt_i16_e32 vcc_lo, -1, v8
	s_wait_alu 0xfffd
	v_dual_cndmask_b32 v10, 0xffff, v33 :: v_dual_and_b32 v9, 0xffff, v8
	v_cmp_o_f16_e32 vcc_lo, v8, v8
	s_delay_alu instid0(VALU_DEP_2) | instskip(SKIP_1) | instid1(VALU_DEP_1)
	v_xor_b32_e32 v9, v10, v9
	s_wait_alu 0xfffd
	v_cndmask_b32_e32 v9, 0xffff, v9, vcc_lo
	s_delay_alu instid0(VALU_DEP_1) | instskip(NEXT) | instid1(VALU_DEP_1)
	v_and_b32_e32 v9, v9, v34
	v_cmp_eq_u32_e32 vcc_lo, v9, v30
	s_and_b32 exec_lo, exec_lo, vcc_lo
	s_cbranch_execz .LBB134_224
; %bb.229:                              ;   in Loop: Header=BB134_227 Depth=2
	v_perm_b32 v8, v8, s96, 0x5040100
	ds_store_b32 v3, v8 offset:3072
	s_branch .LBB134_224
.LBB134_230:                            ;   in Loop: Header=BB134_227 Depth=2
	s_mov_b32 s53, -1
	s_mov_b32 s52, -1
                                        ; implicit-def: $vgpr6_vgpr7
	s_branch .LBB134_226
.LBB134_231:                            ;   in Loop: Header=BB134_32 Depth=1
	s_or_b32 exec_lo, exec_lo, s13
	v_lshrrev_b32_e32 v35, 16, v8
	s_and_not1_b32 s6, s14, exec_lo
	s_wait_alu 0xfffe
	s_and_b32 s7, s15, exec_lo
	s_wait_alu 0xfffe
	s_or_b32 s14, s6, s7
.LBB134_232:                            ;   in Loop: Header=BB134_32 Depth=1
	s_or_b32 exec_lo, exec_lo, s12
	s_mov_b32 s77, 0
	s_mov_b32 s78, -1
.LBB134_233:                            ;   in Loop: Header=BB134_32 Depth=1
	s_wait_alu 0xfffe
	s_or_not1_b32 s6, s14, exec_lo
.LBB134_234:                            ;   in Loop: Header=BB134_32 Depth=1
	s_wait_alu 0xfffe
	s_or_b32 exec_lo, exec_lo, s80
	s_mov_b32 s7, 0
	s_and_saveexec_b32 s14, s6
	s_cbranch_execz .LBB134_294
; %bb.235:                              ;   in Loop: Header=BB134_32 Depth=1
	v_mov_b32_e32 v6, 1
	v_dual_mov_b32 v7, 0 :: v_dual_mov_b32 v2, 1
	s_xor_b32 s12, s79, -1
	s_wait_alu 0xfffe
	s_and_saveexec_b32 s6, s12
	s_cbranch_execz .LBB134_244
; %bb.236:                              ;   in Loop: Header=BB134_32 Depth=1
	s_mov_b32 s7, exec_lo
	v_cmpx_ge_u64_e64 s[10:11], v[4:5]
	s_wait_alu 0xfffe
	s_xor_b32 s7, exec_lo, s7
	s_cbranch_execz .LBB134_241
; %bb.237:                              ;   in Loop: Header=BB134_32 Depth=1
	ds_load_b64 v[6:7], v3 offset:5120
	s_lshl_b32 s12, 2, s94
	v_or_b32_e32 v34, s16, v34
	s_wait_alu 0xfffe
	v_and_or_b32 v30, v30, s72, s12
	s_wait_dscnt 0x0
	v_cmp_ne_u64_e32 vcc_lo, 0, v[6:7]
	s_cbranch_vccnz .LBB134_241
; %bb.238:                              ;   in Loop: Header=BB134_32 Depth=1
	s_and_saveexec_b32 s12, s3
; %bb.239:                              ;   in Loop: Header=BB134_32 Depth=1
	v_dual_mov_b32 v6, s10 :: v_dual_mov_b32 v7, s11
	ds_store_b64 v3, v[6:7] offset:5128
; %bb.240:                              ;   in Loop: Header=BB134_32 Depth=1
	s_wait_alu 0xfffe
	s_or_b32 exec_lo, exec_lo, s12
	s_wait_loadcnt_dscnt 0x0
	s_barrier_signal -1
	s_barrier_wait -1
	global_inv scope:SCOPE_SE
.LBB134_241:                            ;   in Loop: Header=BB134_32 Depth=1
	s_wait_alu 0xfffe
	s_or_saveexec_b32 s7, s7
	v_mov_b32_e32 v2, 8
	s_mov_b32 s12, 0
	s_wait_alu 0xfffe
	s_xor_b32 exec_lo, exec_lo, s7
; %bb.242:                              ;   in Loop: Header=BB134_32 Depth=1
	v_sub_co_u32 v4, vcc_lo, v4, s10
	s_wait_alu 0xfffd
	v_subrev_co_ci_u32_e64 v5, null, s11, v5, vcc_lo
	v_mov_b32_e32 v2, 0
	s_mov_b32 s12, exec_lo
; %bb.243:                              ;   in Loop: Header=BB134_32 Depth=1
	s_or_b32 exec_lo, exec_lo, s7
	s_delay_alu instid0(VALU_DEP_2)
	v_dual_mov_b32 v7, v5 :: v_dual_mov_b32 v6, v4
	s_wait_alu 0xfffe
	s_and_b32 s7, s12, exec_lo
.LBB134_244:                            ;   in Loop: Header=BB134_32 Depth=1
	s_wait_alu 0xfffe
	s_or_b32 exec_lo, exec_lo, s6
	s_mov_b32 s6, -1
                                        ; implicit-def: $sgpr81
                                        ; implicit-def: $sgpr80
	s_and_saveexec_b32 s15, s7
	s_cbranch_execz .LBB134_293
; %bb.245:                              ;   in Loop: Header=BB134_32 Depth=1
	v_cmp_eq_u64_e32 vcc_lo, 1, v[6:7]
	s_cmp_eq_u64 s[8:9], 1
	s_mov_b32 s7, -1
	s_cselect_b32 s6, -1, 0
                                        ; implicit-def: $sgpr81
                                        ; implicit-def: $sgpr80
	s_wait_alu 0xfffe
	s_and_b32 s72, s6, vcc_lo
	s_wait_alu 0xfffe
	s_and_saveexec_b32 s79, s72
	s_cbranch_execz .LBB134_281
; %bb.246:                              ;   in Loop: Header=BB134_32 Depth=1
	ds_load_b64 v[4:5], v3 offset:5120
	s_wait_loadcnt_dscnt 0x0
	s_barrier_signal -1
	s_barrier_wait -1
	global_inv scope:SCOPE_SE
	v_readfirstlane_b32 s6, v4
	v_readfirstlane_b32 s7, v5
	s_and_saveexec_b32 s10, s0
; %bb.247:                              ;   in Loop: Header=BB134_32 Depth=1
	ds_store_b16 v27, v3
; %bb.248:                              ;   in Loop: Header=BB134_32 Depth=1
	s_wait_alu 0xfffe
	s_or_b32 exec_lo, exec_lo, s10
	v_or_b32_e32 v30, s16, v30
	v_or_b32_e32 v34, s16, v34
	s_mov_b32 s80, -1
	s_mov_b32 s81, 0
	s_cmp_eq_u64 s[6:7], 0
	s_mov_b32 s12, 0
	s_mov_b32 s13, -1
	s_wait_loadcnt_dscnt 0x0
	s_barrier_signal -1
	s_barrier_wait -1
	global_inv scope:SCOPE_SE
                                        ; implicit-def: $vgpr35
	s_cbranch_scc1 .LBB134_265
; %bb.249:                              ;   in Loop: Header=BB134_32 Depth=1
	s_add_nc_u64 s[10:11], s[6:7], s[66:67]
	s_mov_b32 s12, s65
	s_wait_alu 0xfffe
	s_mov_b32 s13, s11
	s_wait_alu 0xfffe
	s_cmp_lg_u64 s[12:13], 0
	s_cbranch_scc0 .LBB134_300
; %bb.250:                              ;   in Loop: Header=BB134_32 Depth=1
	s_cvt_f32_u32 s12, s62
	s_sub_nc_u64 s[52:53], 0, s[62:63]
	s_wait_alu 0xfffe
	s_delay_alu instid0(SALU_CYCLE_1) | instskip(SKIP_1) | instid1(SALU_CYCLE_2)
	s_fmamk_f32 s12, s93, 0x0, s12
	s_wait_alu 0xfffe
	v_s_rcp_f32 s12, s12
	s_delay_alu instid0(TRANS32_DEP_1) | instskip(SKIP_1) | instid1(SALU_CYCLE_2)
	s_mul_f32 s12, s12, 0x5f7ffffc
	s_wait_alu 0xfffe
	s_mul_f32 s13, s12, 0x2f800000
	s_wait_alu 0xfffe
	s_delay_alu instid0(SALU_CYCLE_2) | instskip(SKIP_1) | instid1(SALU_CYCLE_2)
	s_trunc_f32 s13, s13
	s_wait_alu 0xfffe
	s_fmamk_f32 s12, s13, 0xcf800000, s12
	s_cvt_u32_f32 s13, s13
	s_wait_alu 0xfffe
	s_delay_alu instid0(SALU_CYCLE_1) | instskip(SKIP_1) | instid1(SALU_CYCLE_2)
	s_cvt_u32_f32 s12, s12
	s_wait_alu 0xfffe
	s_mul_u64 s[82:83], s[52:53], s[12:13]
	s_wait_alu 0xfffe
	s_mul_hi_u32 vcc_hi, s12, s83
	s_mul_i32 vcc_lo, s12, s83
	s_mul_hi_u32 s64, s12, s82
	s_mul_i32 s37, s13, s82
	s_wait_alu 0xfffe
	s_add_nc_u64 vcc, s[64:65], vcc
	s_mul_hi_u32 s36, s13, s82
	s_mul_hi_u32 s38, s13, s83
	s_wait_alu 0xfffe
	s_add_co_u32 s37, vcc_lo, s37
	s_add_co_ci_u32 s64, vcc_hi, s36
	s_mul_i32 s82, s13, s83
	s_add_co_ci_u32 s83, s38, 0
	s_wait_alu 0xfffe
	s_add_nc_u64 s[82:83], s[64:65], s[82:83]
	s_wait_alu 0xfffe
	s_add_co_u32 s12, s12, s82
	s_cselect_b32 s36, -1, 0
	s_wait_alu 0xfffe
	s_cmp_lg_u32 s36, 0
	s_add_co_ci_u32 s13, s13, s83
	s_wait_alu 0xfffe
	s_mul_u64 s[52:53], s[52:53], s[12:13]
	s_wait_alu 0xfffe
	s_mul_hi_u32 s83, s12, s53
	s_mul_i32 s82, s12, s53
	s_mul_hi_u32 s64, s12, s52
	s_mul_i32 s37, s13, s52
	s_wait_alu 0xfffe
	s_add_nc_u64 s[82:83], s[64:65], s[82:83]
	s_mul_hi_u32 s36, s13, s52
	s_mul_hi_u32 s38, s13, s53
	s_wait_alu 0xfffe
	s_add_co_u32 s37, s82, s37
	s_add_co_ci_u32 s64, s83, s36
	s_mul_i32 s52, s13, s53
	s_add_co_ci_u32 s53, s38, 0
	s_wait_alu 0xfffe
	s_add_nc_u64 s[52:53], s[64:65], s[52:53]
	s_wait_alu 0xfffe
	s_add_co_u32 s12, s12, s52
	s_cselect_b32 s36, -1, 0
	s_wait_alu 0xfffe
	s_mul_hi_u32 s64, s10, s12
	s_cmp_lg_u32 s36, 0
	s_mul_hi_u32 s36, s11, s12
	s_add_co_ci_u32 s37, s13, s53
	s_mul_i32 s38, s11, s12
	s_wait_alu 0xfffe
	s_mul_hi_u32 s13, s10, s37
	s_mul_i32 s12, s10, s37
	s_mul_hi_u32 s39, s11, s37
	s_wait_alu 0xfffe
	s_add_nc_u64 s[12:13], s[64:65], s[12:13]
	s_mul_i32 s52, s11, s37
	s_wait_alu 0xfffe
	s_add_co_u32 s12, s12, s38
	s_add_co_ci_u32 s64, s13, s36
	s_add_co_ci_u32 s53, s39, 0
	s_wait_alu 0xfffe
	s_add_nc_u64 s[12:13], s[64:65], s[52:53]
	s_wait_alu 0xfffe
	s_mul_u64 s[12:13], s[62:63], s[12:13]
	s_wait_alu 0xfffe
	s_sub_co_u32 s12, s10, s12
	s_cselect_b32 s36, -1, 0
	s_wait_alu 0xfffe
	s_cmp_lg_u32 s36, 0
	s_sub_co_ci_u32 s13, s11, s13
	s_sub_co_u32 s36, s12, s62
	s_cselect_b32 s37, -1, 0
	s_wait_alu 0xfffe
	s_cmp_lg_u32 s37, 0
	s_sub_co_ci_u32 s37, s13, 0
	;; [unrolled: 5-line block ×3, first 2 shown]
	s_cmp_ge_u32 s36, s62
	s_cselect_b32 s52, -1, 0
	s_cmp_eq_u32 s37, 0
	s_wait_alu 0xfffe
	s_cselect_b32 s52, s52, -1
	s_wait_alu 0xfffe
	s_cmp_lg_u32 s52, 0
	s_cselect_b32 s37, s39, s37
	s_cselect_b32 s36, s38, s36
	s_cmp_ge_u32 s12, s62
	s_cselect_b32 s38, -1, 0
	s_cmp_eq_u32 s13, 0
	s_wait_alu 0xfffe
	s_cselect_b32 s38, s38, -1
	s_wait_alu 0xfffe
	s_cmp_lg_u32 s38, 0
	s_cselect_b32 s13, s37, s13
	s_cselect_b32 s12, s36, s12
	s_cbranch_execnz .LBB134_252
.LBB134_251:                            ;   in Loop: Header=BB134_32 Depth=1
	v_cvt_f32_u32_e32 v4, s62
	s_sub_co_i32 s13, 0, s62
	s_delay_alu instid0(VALU_DEP_1) | instskip(NEXT) | instid1(TRANS32_DEP_1)
	v_rcp_iflag_f32_e32 v4, v4
	v_mul_f32_e32 v4, 0x4f7ffffe, v4
	s_delay_alu instid0(VALU_DEP_1) | instskip(NEXT) | instid1(VALU_DEP_1)
	v_cvt_u32_f32_e32 v4, v4
	v_readfirstlane_b32 s12, v4
	s_wait_alu 0xfffe
	s_mul_i32 s13, s13, s12
	s_wait_alu 0xfffe
	s_mul_hi_u32 s13, s12, s13
	s_wait_alu 0xfffe
	s_add_co_i32 s12, s12, s13
	s_wait_alu 0xfffe
	s_mul_hi_u32 s12, s10, s12
	s_wait_alu 0xfffe
	s_mul_i32 s12, s12, s62
	s_wait_alu 0xfffe
	s_sub_co_i32 s12, s10, s12
	s_wait_alu 0xfffe
	s_sub_co_i32 s13, s12, s62
	s_cmp_ge_u32 s12, s62
	s_wait_alu 0xfffe
	s_cselect_b32 s12, s13, s12
	s_wait_alu 0xfffe
	s_sub_co_i32 s13, s12, s62
	s_cmp_ge_u32 s12, s62
	s_wait_alu 0xfffe
	s_cselect_b32 s64, s13, s12
	s_wait_alu 0xfffe
	s_mov_b64 s[12:13], s[64:65]
.LBB134_252:                            ;   in Loop: Header=BB134_32 Depth=1
	s_wait_alu 0xfffe
	s_sub_nc_u64 s[10:11], s[10:11], s[12:13]
	s_mov_b32 s13, 0
	s_mov_b32 s12, 0
	s_mov_b32 s52, exec_lo
                                        ; implicit-def: $vgpr35
	s_wait_alu 0xfffe
	v_cmpx_gt_u64_e64 s[10:11], v[0:1]
	s_cbranch_execz .LBB134_264
; %bb.253:                              ;   in Loop: Header=BB134_32 Depth=1
	v_dual_mov_b32 v8, v26 :: v_dual_mov_b32 v5, v1
	v_mov_b32_e32 v4, v0
                                        ; implicit-def: $sgpr53
	s_branch .LBB134_257
.LBB134_254:                            ;   in Loop: Header=BB134_257 Depth=2
	s_wait_alu 0xfffe
	s_or_b32 exec_lo, exec_lo, s64
	s_wait_loadcnt_dscnt 0x0
	s_barrier_signal -1
	s_barrier_wait -1
	global_inv scope:SCOPE_SE
	ds_load_b32 v9, v3 offset:3072
	s_wait_loadcnt_dscnt 0x0
	s_barrier_signal -1
	s_barrier_wait -1
	global_inv scope:SCOPE_SE
	v_cmp_neq_f16_e32 vcc_lo, 0, v9
	s_cbranch_vccnz .LBB134_260
; %bb.255:                              ;   in Loop: Header=BB134_257 Depth=2
	v_add_co_u32 v4, vcc_lo, v4, s62
	s_wait_alu 0xfffd
	v_add_co_ci_u32_e64 v5, null, 0, v5, vcc_lo
	v_add_nc_u32_e32 v8, s92, v8
	s_mov_b32 s64, 0
	s_delay_alu instid0(VALU_DEP_2)
	v_cmp_le_u64_e32 vcc_lo, s[10:11], v[4:5]
	s_or_not1_b32 s82, vcc_lo, exec_lo
.LBB134_256:                            ;   in Loop: Header=BB134_257 Depth=2
	s_wait_alu 0xfffe
	s_and_b32 s36, exec_lo, s82
	s_wait_alu 0xfffe
	s_or_b32 s12, s36, s12
	s_and_not1_b32 s36, s53, exec_lo
	s_and_b32 s37, s64, exec_lo
	s_wait_alu 0xfffe
	s_or_b32 s53, s36, s37
	s_and_not1_b32 exec_lo, exec_lo, s12
	s_cbranch_execz .LBB134_263
.LBB134_257:                            ;   Parent Loop BB134_32 Depth=1
                                        ; =>  This Inner Loop Header: Depth=2
	s_mov_b32 s64, exec_lo
	s_delay_alu instid0(VALU_DEP_1)
	v_cmpx_gt_u64_e64 s[6:7], v[4:5]
	s_cbranch_execz .LBB134_254
; %bb.258:                              ;   in Loop: Header=BB134_257 Depth=2
	ds_load_u16 v9, v8
	s_wait_dscnt 0x0
	v_cmp_lt_i16_e32 vcc_lo, -1, v9
	v_and_b32_e32 v10, 0xffff, v9
	s_wait_alu 0xfffd
	v_cndmask_b32_e32 v11, 0xffff, v33, vcc_lo
	v_cmp_o_f16_e32 vcc_lo, v9, v9
	s_delay_alu instid0(VALU_DEP_2) | instskip(SKIP_1) | instid1(VALU_DEP_1)
	v_xor_b32_e32 v10, v11, v10
	s_wait_alu 0xfffd
	v_cndmask_b32_e32 v10, 0xffff, v10, vcc_lo
	s_delay_alu instid0(VALU_DEP_1) | instskip(NEXT) | instid1(VALU_DEP_1)
	v_and_b32_e32 v10, v10, v34
	v_cmp_eq_u32_e32 vcc_lo, v10, v30
	s_and_b32 exec_lo, exec_lo, vcc_lo
	s_cbranch_execz .LBB134_254
; %bb.259:                              ;   in Loop: Header=BB134_257 Depth=2
	v_perm_b32 v9, v9, s96, 0x5040100
	ds_store_b32 v3, v9 offset:3072
	s_branch .LBB134_254
.LBB134_260:                            ;   in Loop: Header=BB134_257 Depth=2
	s_mov_b32 s82, -1
	s_mov_b32 s64, -1
                                        ; implicit-def: $vgpr4_vgpr5
                                        ; implicit-def: $vgpr8
	s_branch .LBB134_256
.LBB134_261:                            ;   in Loop: Header=BB134_32 Depth=1
                                        ; implicit-def: $sgpr14_sgpr15
	s_branch .LBB134_204
.LBB134_262:                            ;   in Loop: Header=BB134_32 Depth=1
                                        ; implicit-def: $sgpr6_sgpr7
	s_branch .LBB134_221
.LBB134_263:                            ;   in Loop: Header=BB134_32 Depth=1
	s_or_b32 exec_lo, exec_lo, s12
	v_lshrrev_b32_e32 v35, 16, v9
	s_wait_alu 0xfffe
	s_and_b32 s12, s53, exec_lo
.LBB134_264:                            ;   in Loop: Header=BB134_32 Depth=1
	s_or_b32 exec_lo, exec_lo, s52
.LBB134_265:                            ;   in Loop: Header=BB134_32 Depth=1
	s_wait_alu 0xfffe
	s_and_b32 vcc_lo, exec_lo, s13
	s_wait_alu 0xfffe
	s_cbranch_vccz .LBB134_280
; %bb.266:                              ;   in Loop: Header=BB134_32 Depth=1
	s_mov_b32 s6, s65
	s_mov_b32 s7, s69
	s_wait_alu 0xfffe
	s_cmp_lg_u64 s[6:7], 0
	s_cbranch_scc0 .LBB134_301
; %bb.267:                              ;   in Loop: Header=BB134_32 Depth=1
	s_cvt_f32_u32 s6, s62
	s_sub_nc_u64 s[10:11], 0, s[62:63]
	s_wait_alu 0xfffe
	s_delay_alu instid0(SALU_CYCLE_1) | instskip(SKIP_1) | instid1(SALU_CYCLE_2)
	s_fmamk_f32 s6, s93, 0x0, s6
	s_wait_alu 0xfffe
	v_s_rcp_f32 s6, s6
	s_delay_alu instid0(TRANS32_DEP_1) | instskip(SKIP_1) | instid1(SALU_CYCLE_2)
	s_mul_f32 s6, s6, 0x5f7ffffc
	s_wait_alu 0xfffe
	s_mul_f32 s7, s6, 0x2f800000
	s_wait_alu 0xfffe
	s_delay_alu instid0(SALU_CYCLE_2) | instskip(SKIP_1) | instid1(SALU_CYCLE_2)
	s_trunc_f32 s7, s7
	s_wait_alu 0xfffe
	s_fmamk_f32 s6, s7, 0xcf800000, s6
	s_cvt_u32_f32 s7, s7
	s_wait_alu 0xfffe
	s_delay_alu instid0(SALU_CYCLE_1) | instskip(SKIP_1) | instid1(SALU_CYCLE_2)
	s_cvt_u32_f32 s6, s6
	s_wait_alu 0xfffe
	s_mul_u64 s[52:53], s[10:11], s[6:7]
	s_wait_alu 0xfffe
	s_mul_hi_u32 s81, s6, s53
	s_mul_i32 s80, s6, s53
	s_mul_hi_u32 s64, s6, s52
	s_mul_i32 s36, s7, s52
	s_wait_alu 0xfffe
	s_add_nc_u64 s[80:81], s[64:65], s[80:81]
	s_mul_hi_u32 s13, s7, s52
	s_mul_hi_u32 s37, s7, s53
	s_wait_alu 0xfffe
	s_add_co_u32 s36, s80, s36
	s_add_co_ci_u32 s64, s81, s13
	s_mul_i32 s52, s7, s53
	s_add_co_ci_u32 s53, s37, 0
	s_wait_alu 0xfffe
	s_add_nc_u64 s[52:53], s[64:65], s[52:53]
	s_wait_alu 0xfffe
	s_add_co_u32 s6, s6, s52
	s_cselect_b32 s13, -1, 0
	s_wait_alu 0xfffe
	s_cmp_lg_u32 s13, 0
	s_add_co_ci_u32 s7, s7, s53
	s_wait_alu 0xfffe
	s_mul_u64 s[10:11], s[10:11], s[6:7]
	s_wait_alu 0xfffe
	s_mul_hi_u32 s53, s6, s11
	s_mul_i32 s52, s6, s11
	s_mul_hi_u32 s64, s6, s10
	s_mul_i32 s36, s7, s10
	s_wait_alu 0xfffe
	s_add_nc_u64 s[52:53], s[64:65], s[52:53]
	s_mul_hi_u32 s13, s7, s10
	s_mul_hi_u32 s37, s7, s11
	s_mul_i32 s10, s7, s11
	s_wait_alu 0xfffe
	s_add_co_u32 s11, s52, s36
	s_add_co_ci_u32 s64, s53, s13
	s_add_co_ci_u32 s11, s37, 0
	s_wait_alu 0xfffe
	s_add_nc_u64 s[10:11], s[64:65], s[10:11]
	s_wait_alu 0xfffe
	s_add_co_u32 s6, s6, s10
	s_cselect_b32 s10, -1, 0
	s_wait_alu 0xfffe
	s_mul_hi_u32 s64, s68, s6
	s_cmp_lg_u32 s10, 0
	s_mul_hi_u32 s13, s69, s6
	s_add_co_ci_u32 s10, s7, s11
	s_mul_i32 s11, s69, s6
	s_wait_alu 0xfffe
	s_mul_hi_u32 s7, s68, s10
	s_mul_i32 s6, s68, s10
	s_mul_hi_u32 s36, s69, s10
	s_wait_alu 0xfffe
	s_add_nc_u64 s[6:7], s[64:65], s[6:7]
	s_mul_i32 s10, s69, s10
	s_wait_alu 0xfffe
	s_add_co_u32 s6, s6, s11
	s_add_co_ci_u32 s64, s7, s13
	s_add_co_ci_u32 s11, s36, 0
	s_wait_alu 0xfffe
	s_add_nc_u64 s[6:7], s[64:65], s[10:11]
	s_wait_alu 0xfffe
	s_mul_u64 s[6:7], s[62:63], s[6:7]
	s_wait_alu 0xfffe
	s_sub_co_u32 s6, s68, s6
	s_cselect_b32 s10, -1, 0
	s_wait_alu 0xfffe
	s_cmp_lg_u32 s10, 0
	s_sub_co_ci_u32 s7, s69, s7
	s_sub_co_u32 s10, s6, s62
	s_cselect_b32 s11, -1, 0
	s_wait_alu 0xfffe
	s_cmp_lg_u32 s11, 0
	s_sub_co_ci_u32 s11, s7, 0
	;; [unrolled: 5-line block ×3, first 2 shown]
	s_cmp_ge_u32 s10, s62
	s_cselect_b32 s37, -1, 0
	s_cmp_eq_u32 s11, 0
	s_wait_alu 0xfffe
	s_cselect_b32 s37, s37, -1
	s_wait_alu 0xfffe
	s_cmp_lg_u32 s37, 0
	s_cselect_b32 s11, s36, s11
	s_cselect_b32 s10, s13, s10
	s_cmp_ge_u32 s6, s62
	s_cselect_b32 s13, -1, 0
	s_cmp_eq_u32 s7, 0
	s_wait_alu 0xfffe
	s_cselect_b32 s13, s13, -1
	s_wait_alu 0xfffe
	s_cmp_lg_u32 s13, 0
	s_cselect_b32 s7, s11, s7
	s_cselect_b32 s6, s10, s6
	s_cbranch_execnz .LBB134_269
.LBB134_268:                            ;   in Loop: Header=BB134_32 Depth=1
	v_cvt_f32_u32_e32 v4, s62
	s_sub_co_i32 s7, 0, s62
	s_delay_alu instid0(VALU_DEP_1) | instskip(NEXT) | instid1(TRANS32_DEP_1)
	v_rcp_iflag_f32_e32 v4, v4
	v_mul_f32_e32 v4, 0x4f7ffffe, v4
	s_delay_alu instid0(VALU_DEP_1) | instskip(NEXT) | instid1(VALU_DEP_1)
	v_cvt_u32_f32_e32 v4, v4
	v_readfirstlane_b32 s6, v4
	s_wait_alu 0xfffe
	s_mul_i32 s7, s7, s6
	s_wait_alu 0xfffe
	s_mul_hi_u32 s7, s6, s7
	s_wait_alu 0xfffe
	s_add_co_i32 s6, s6, s7
	s_wait_alu 0xfffe
	s_mul_hi_u32 s6, s68, s6
	s_wait_alu 0xfffe
	s_mul_i32 s6, s6, s62
	s_wait_alu 0xfffe
	s_sub_co_i32 s6, s68, s6
	s_wait_alu 0xfffe
	s_sub_co_i32 s7, s6, s62
	s_cmp_ge_u32 s6, s62
	s_wait_alu 0xfffe
	s_cselect_b32 s6, s7, s6
	s_wait_alu 0xfffe
	s_sub_co_i32 s7, s6, s62
	s_cmp_ge_u32 s6, s62
	s_wait_alu 0xfffe
	s_cselect_b32 s64, s7, s6
	s_wait_alu 0xfffe
	s_mov_b64 s[6:7], s[64:65]
.LBB134_269:                            ;   in Loop: Header=BB134_32 Depth=1
	s_wait_alu 0xfffe
	s_sub_nc_u64 s[6:7], s[68:69], s[6:7]
	s_mov_b32 s10, exec_lo
                                        ; implicit-def: $vgpr35
	s_wait_alu 0xfffe
	v_cmpx_gt_u64_e64 s[6:7], v[0:1]
	s_cbranch_execz .LBB134_279
; %bb.270:                              ;   in Loop: Header=BB134_32 Depth=1
	v_dual_mov_b32 v5, v1 :: v_dual_mov_b32 v4, v0
	s_mov_b32 s11, 0
                                        ; implicit-def: $sgpr13
	s_branch .LBB134_274
.LBB134_271:                            ;   in Loop: Header=BB134_274 Depth=2
	s_wait_alu 0xfffe
	s_or_b32 exec_lo, exec_lo, s52
	s_wait_loadcnt_dscnt 0x0
	s_barrier_signal -1
	s_barrier_wait -1
	global_inv scope:SCOPE_SE
	ds_load_b32 v8, v3 offset:3072
	s_wait_loadcnt_dscnt 0x0
	s_barrier_signal -1
	s_barrier_wait -1
	global_inv scope:SCOPE_SE
	v_cmp_eq_f16_e32 vcc_lo, 0, v8
	s_cbranch_vccz .LBB134_277
; %bb.272:                              ;   in Loop: Header=BB134_274 Depth=2
	v_add_co_u32 v4, vcc_lo, v4, s62
	s_wait_alu 0xfffd
	v_add_co_ci_u32_e64 v5, null, 0, v5, vcc_lo
	s_mov_b32 s52, 0
	v_cmp_le_u64_e32 vcc_lo, s[6:7], v[4:5]
	s_or_not1_b32 s53, vcc_lo, exec_lo
.LBB134_273:                            ;   in Loop: Header=BB134_274 Depth=2
	s_wait_alu 0xfffe
	s_and_b32 s36, exec_lo, s53
	s_wait_alu 0xfffe
	s_or_b32 s11, s36, s11
	s_and_not1_b32 s13, s13, exec_lo
	s_and_b32 s36, s52, exec_lo
	s_wait_alu 0xfffe
	s_or_b32 s13, s13, s36
	s_and_not1_b32 exec_lo, exec_lo, s11
	s_cbranch_execz .LBB134_278
.LBB134_274:                            ;   Parent Loop BB134_32 Depth=1
                                        ; =>  This Inner Loop Header: Depth=2
	s_mov_b32 s52, exec_lo
	s_delay_alu instid0(VALU_DEP_1)
	v_cmpx_gt_u64_e64 s[20:21], v[4:5]
	s_cbranch_execz .LBB134_271
; %bb.275:                              ;   in Loop: Header=BB134_274 Depth=2
	v_mul_lo_u32 v10, v5, s46
	v_mul_lo_u32 v11, v4, s47
	v_mad_co_u64_u32 v[8:9], null, v4, s46, 0
	s_delay_alu instid0(VALU_DEP_1) | instskip(NEXT) | instid1(VALU_DEP_1)
	v_add3_u32 v9, v9, v11, v10
	v_lshlrev_b64_e32 v[8:9], 1, v[8:9]
	s_delay_alu instid0(VALU_DEP_1) | instskip(SKIP_1) | instid1(VALU_DEP_2)
	v_add_co_u32 v8, vcc_lo, s54, v8
	s_wait_alu 0xfffd
	v_add_co_ci_u32_e64 v9, null, s55, v9, vcc_lo
	global_load_u16 v8, v[8:9], off
	s_wait_loadcnt 0x0
	v_cmp_lt_i16_e32 vcc_lo, -1, v8
	s_wait_alu 0xfffd
	v_dual_cndmask_b32 v10, 0xffff, v33 :: v_dual_and_b32 v9, 0xffff, v8
	v_cmp_o_f16_e32 vcc_lo, v8, v8
	s_delay_alu instid0(VALU_DEP_2) | instskip(SKIP_1) | instid1(VALU_DEP_1)
	v_xor_b32_e32 v9, v10, v9
	s_wait_alu 0xfffd
	v_cndmask_b32_e32 v9, 0xffff, v9, vcc_lo
	s_delay_alu instid0(VALU_DEP_1) | instskip(NEXT) | instid1(VALU_DEP_1)
	v_and_b32_e32 v9, v9, v34
	v_cmp_eq_u32_e32 vcc_lo, v9, v30
	s_and_b32 exec_lo, exec_lo, vcc_lo
	s_cbranch_execz .LBB134_271
; %bb.276:                              ;   in Loop: Header=BB134_274 Depth=2
	v_perm_b32 v8, v8, s96, 0x5040100
	ds_store_b32 v3, v8 offset:3072
	s_branch .LBB134_271
.LBB134_277:                            ;   in Loop: Header=BB134_274 Depth=2
	s_mov_b32 s53, -1
	s_mov_b32 s52, -1
                                        ; implicit-def: $vgpr4_vgpr5
	s_branch .LBB134_273
.LBB134_278:                            ;   in Loop: Header=BB134_32 Depth=1
	s_or_b32 exec_lo, exec_lo, s11
	v_lshrrev_b32_e32 v35, 16, v8
	s_and_not1_b32 s6, s12, exec_lo
	s_wait_alu 0xfffe
	s_and_b32 s7, s13, exec_lo
	s_wait_alu 0xfffe
	s_or_b32 s12, s6, s7
.LBB134_279:                            ;   in Loop: Header=BB134_32 Depth=1
	s_or_b32 exec_lo, exec_lo, s10
	s_mov_b32 s80, 0
	s_mov_b32 s81, -1
.LBB134_280:                            ;   in Loop: Header=BB134_32 Depth=1
	s_wait_alu 0xfffe
	s_or_not1_b32 s7, s12, exec_lo
.LBB134_281:                            ;   in Loop: Header=BB134_32 Depth=1
	s_wait_alu 0xfffe
	s_or_b32 exec_lo, exec_lo, s79
	s_mov_b32 s10, 0
	s_and_saveexec_b32 s6, s7
	s_cbranch_execz .LBB134_292
; %bb.282:                              ;   in Loop: Header=BB134_32 Depth=1
	v_mov_b32_e32 v4, 1
	v_dual_mov_b32 v5, 0 :: v_dual_mov_b32 v2, 1
	s_xor_b32 s10, s72, -1
	s_wait_alu 0xfffe
	s_and_saveexec_b32 s7, s10
	s_cbranch_execz .LBB134_291
; %bb.283:                              ;   in Loop: Header=BB134_32 Depth=1
	s_mov_b32 s10, exec_lo
	v_cmpx_ge_u64_e64 s[8:9], v[6:7]
	s_wait_alu 0xfffe
	s_xor_b32 s10, exec_lo, s10
	s_cbranch_execz .LBB134_288
; %bb.284:                              ;   in Loop: Header=BB134_32 Depth=1
	ds_load_b64 v[4:5], v3 offset:5120
	v_or_b32_e32 v30, s16, v30
	v_or_b32_e32 v34, s16, v34
	s_wait_dscnt 0x0
	v_cmp_ne_u64_e32 vcc_lo, 0, v[4:5]
	s_cbranch_vccnz .LBB134_288
; %bb.285:                              ;   in Loop: Header=BB134_32 Depth=1
	s_and_saveexec_b32 s11, s3
; %bb.286:                              ;   in Loop: Header=BB134_32 Depth=1
	v_dual_mov_b32 v4, s8 :: v_dual_mov_b32 v5, s9
	ds_store_b64 v3, v[4:5] offset:5128
; %bb.287:                              ;   in Loop: Header=BB134_32 Depth=1
	s_wait_alu 0xfffe
	s_or_b32 exec_lo, exec_lo, s11
	s_wait_loadcnt_dscnt 0x0
	s_barrier_signal -1
	s_barrier_wait -1
	global_inv scope:SCOPE_SE
.LBB134_288:                            ;   in Loop: Header=BB134_32 Depth=1
	s_wait_alu 0xfffe
	s_and_not1_saveexec_b32 s10, s10
; %bb.289:                              ;   in Loop: Header=BB134_32 Depth=1
	v_sub_co_u32 v6, vcc_lo, v6, s8
	s_wait_alu 0xfffd
	v_subrev_co_ci_u32_e64 v7, null, s9, v7, vcc_lo
; %bb.290:                              ;   in Loop: Header=BB134_32 Depth=1
	s_wait_alu 0xfffe
	s_or_b32 exec_lo, exec_lo, s10
	v_mov_b32_e32 v4, v6
	s_delay_alu instid0(VALU_DEP_2)
	v_dual_mov_b32 v2, 8 :: v_dual_mov_b32 v5, v7
.LBB134_291:                            ;   in Loop: Header=BB134_32 Depth=1
	s_wait_alu 0xfffe
	s_or_b32 exec_lo, exec_lo, s7
	s_delay_alu instid0(VALU_DEP_1)
	v_dual_mov_b32 v7, v5 :: v_dual_mov_b32 v6, v4
	s_mov_b32 s10, exec_lo
.LBB134_292:                            ;   in Loop: Header=BB134_32 Depth=1
	s_wait_alu 0xfffe
	s_or_b32 exec_lo, exec_lo, s6
	s_delay_alu instid0(SALU_CYCLE_1)
	s_or_not1_b32 s6, s10, exec_lo
.LBB134_293:                            ;   in Loop: Header=BB134_32 Depth=1
	s_wait_alu 0xfffe
	s_or_b32 exec_lo, exec_lo, s15
	v_dual_mov_b32 v4, v6 :: v_dual_mov_b32 v5, v7
	s_and_not1_b32 s7, s78, exec_lo
	s_and_b32 s8, s81, exec_lo
	s_and_not1_b32 s9, s77, exec_lo
	s_and_b32 s10, s80, exec_lo
	s_wait_alu 0xfffe
	s_or_b32 s78, s7, s8
	s_or_b32 s77, s9, s10
	s_and_b32 s7, s6, exec_lo
.LBB134_294:                            ;   in Loop: Header=BB134_32 Depth=1
	s_wait_alu 0xfffe
	s_or_b32 exec_lo, exec_lo, s14
	s_delay_alu instid0(SALU_CYCLE_1)
	s_or_not1_b32 s6, s7, exec_lo
.LBB134_295:                            ;   in Loop: Header=BB134_32 Depth=1
	s_wait_alu 0xfffe
	s_or_b32 exec_lo, exec_lo, s76
	v_dual_mov_b32 v9, v5 :: v_dual_mov_b32 v8, v4
	s_and_not1_b32 s7, s74, exec_lo
	s_and_b32 s8, s78, exec_lo
	s_and_not1_b32 s9, s73, exec_lo
	s_and_b32 s10, s77, exec_lo
	s_wait_alu 0xfffe
	s_or_b32 s74, s7, s8
	s_or_b32 s73, s9, s10
	s_and_b32 s7, s6, exec_lo
.LBB134_296:                            ;   in Loop: Header=BB134_32 Depth=1
	s_wait_alu 0xfffe
	s_or_b32 exec_lo, exec_lo, s75
	s_delay_alu instid0(SALU_CYCLE_1)
	s_or_not1_b32 s6, s7, exec_lo
.LBB134_297:                            ;   in Loop: Header=BB134_32 Depth=1
	s_wait_alu 0xfffe
	s_or_b32 exec_lo, exec_lo, s19
	s_mov_b32 s7, 0
	s_and_saveexec_b32 s8, s6
	s_wait_alu 0xfffe
	s_xor_b32 s6, exec_lo, s8
	s_cbranch_execz .LBB134_30
; %bb.298:                              ;   in Loop: Header=BB134_32 Depth=1
	v_and_b32_e32 v2, 7, v2
	s_mov_b32 s8, -1
	s_mov_b32 s7, -1
	s_mov_b32 s9, exec_lo
	s_delay_alu instid0(VALU_DEP_1)
	v_cmpx_eq_u32_e32 0, v2
	s_cbranch_execz .LBB134_29
; %bb.299:                              ;   in Loop: Header=BB134_32 Depth=1
	s_xor_b32 s97, s97, 1
	s_add_co_i32 s10, s94, -2
	s_cmp_eq_u32 s94, 0
	s_wait_alu 0xfffe
	s_mov_b32 s94, s10
	s_cselect_b32 s8, -1, 0
	s_xor_b32 s7, exec_lo, -1
	s_wait_alu 0xfffe
	s_or_not1_b32 s8, s8, exec_lo
	s_branch .LBB134_29
.LBB134_300:                            ;   in Loop: Header=BB134_32 Depth=1
                                        ; implicit-def: $sgpr12_sgpr13
	s_branch .LBB134_251
.LBB134_301:                            ;   in Loop: Header=BB134_32 Depth=1
                                        ; implicit-def: $sgpr6_sgpr7
	s_branch .LBB134_268
.LBB134_302:
	s_or_b32 exec_lo, exec_lo, s95
	s_xor_b32 s3, s103, -1
	s_xor_b32 s1, s101, -1
	;; [unrolled: 1-line block ×3, first 2 shown]
	s_mov_b32 s0, 0
	s_and_saveexec_b32 s5, s1
	s_wait_alu 0xfffe
	s_xor_b32 s1, exec_lo, s5
	s_cbranch_execnz .LBB134_307
; %bb.303:
	s_and_not1_saveexec_b32 s1, s1
	s_cbranch_execnz .LBB134_320
.LBB134_304:
	s_or_b32 exec_lo, exec_lo, s1
	s_and_saveexec_b32 s1, s0
.LBB134_305:
	; divergent unreachable
.LBB134_306:
	s_endpgm
.LBB134_307:
	s_and_saveexec_b32 s0, s3
	s_delay_alu instid0(SALU_CYCLE_1)
	s_xor_b32 s3, exec_lo, s0
	s_cbranch_execz .LBB134_318
; %bb.308:
	s_and_saveexec_b32 s0, s4
	s_delay_alu instid0(SALU_CYCLE_1)
	s_xor_b32 s0, exec_lo, s0
; %bb.309:
	v_and_b32_e32 v2, 0x8000, v30
	v_mov_b32_e32 v3, 0xffff
	s_delay_alu instid0(VALU_DEP_2) | instskip(SKIP_1) | instid1(VALU_DEP_2)
	v_cmp_eq_u32_e32 vcc_lo, 0, v2
	s_wait_alu 0xfffd
	v_cndmask_b32_e32 v2, 0x8000, v3, vcc_lo
	s_delay_alu instid0(VALU_DEP_1)
	v_xor_b32_e32 v35, v2, v30
; %bb.310:
	s_or_b32 exec_lo, exec_lo, s0
	s_mul_u64 s[4:5], s[50:51], s[28:29]
	s_mul_u64 s[6:7], s[50:51], s[40:41]
	s_wait_alu 0xfffe
	s_sub_nc_u64 s[4:5], s[48:49], s[4:5]
	s_mul_u64 s[8:9], s[48:49], s[30:31]
	s_wait_alu 0xfffe
	s_mul_u64 s[4:5], s[4:5], s[42:43]
	s_lshl_b64 s[6:7], s[6:7], 1
	s_sub_nc_u64 s[8:9], s[34:35], s[8:9]
	s_wait_alu 0xfffe
	s_add_nc_u64 s[6:7], s[60:61], s[6:7]
	s_lshl_b64 s[4:5], s[4:5], 1
	s_mul_u64 s[8:9], s[8:9], s[56:57]
	v_mov_b32_e32 v2, 0
	s_wait_alu 0xfffe
	s_add_nc_u64 s[4:5], s[6:7], s[4:5]
	s_lshl_b64 s[6:7], s[8:9], 1
	s_wait_alu 0xfffe
	s_add_nc_u64 s[4:5], s[4:5], s[6:7]
	global_store_b16 v2, v35, s[4:5]
	s_and_saveexec_b32 s4, s2
	s_cbranch_execz .LBB134_317
; %bb.311:
	v_cmp_u_f16_e32 vcc_lo, v35, v35
	s_mov_b32 s2, 0
                                        ; implicit-def: $sgpr5
                                        ; implicit-def: $sgpr8
                                        ; implicit-def: $sgpr7
	s_xor_b32 s6, vcc_lo, -1
	s_branch .LBB134_313
.LBB134_312:                            ;   in Loop: Header=BB134_313 Depth=1
	s_or_b32 exec_lo, exec_lo, s0
	s_wait_alu 0xfffe
	s_and_b32 s0, exec_lo, s8
	s_delay_alu instid0(SALU_CYCLE_1)
	s_or_b32 s2, s0, s2
	s_and_not1_b32 s0, s5, exec_lo
	s_and_b32 s5, s7, exec_lo
	s_wait_alu 0xfffe
	s_or_b32 s5, s0, s5
	s_and_not1_b32 exec_lo, exec_lo, s2
	s_cbranch_execz .LBB134_315
.LBB134_313:                            ; =>This Inner Loop Header: Depth=1
	v_dual_mov_b32 v3, v1 :: v_dual_mov_b32 v2, v0
	s_or_b32 s7, s7, exec_lo
	s_or_b32 s8, s8, exec_lo
	s_delay_alu instid0(VALU_DEP_1) | instskip(NEXT) | instid1(VALU_DEP_2)
	v_mul_lo_u32 v4, v3, s46
	v_mul_lo_u32 v5, v2, s47
	v_mad_co_u64_u32 v[0:1], null, v2, s46, 0
	s_delay_alu instid0(VALU_DEP_1) | instskip(NEXT) | instid1(VALU_DEP_1)
	v_add3_u32 v1, v1, v5, v4
	v_lshlrev_b64_e32 v[0:1], 1, v[0:1]
	s_delay_alu instid0(VALU_DEP_1) | instskip(SKIP_1) | instid1(VALU_DEP_2)
	v_add_co_u32 v0, vcc_lo, s54, v0
	s_wait_alu 0xfffd
	v_add_co_ci_u32_e64 v1, null, s55, v1, vcc_lo
	global_load_u16 v0, v[0:1], off
	s_wait_loadcnt 0x0
	v_cmp_o_f16_e32 vcc_lo, v0, v0
	v_cmp_neq_f16_e64 s0, v0, v35
                                        ; implicit-def: $vgpr0_vgpr1
	s_wait_alu 0xfffe
	s_or_b32 s9, s6, vcc_lo
	s_wait_alu 0xfffe
	s_and_b32 s9, s0, s9
	s_wait_alu 0xfffe
	s_and_saveexec_b32 s0, s9
	s_cbranch_execz .LBB134_312
; %bb.314:                              ;   in Loop: Header=BB134_313 Depth=1
	v_add_co_u32 v0, vcc_lo, v2, s62
	s_wait_alu 0xfffd
	v_add_co_ci_u32_e64 v1, null, 0, v3, vcc_lo
	s_and_not1_b32 s8, s8, exec_lo
	s_and_not1_b32 s7, s7, exec_lo
	v_cmp_le_u64_e32 vcc_lo, s[20:21], v[0:1]
	s_and_b32 s9, vcc_lo, exec_lo
	s_wait_alu 0xfffe
	s_or_b32 s8, s8, s9
	s_branch .LBB134_312
.LBB134_315:
	s_or_b32 exec_lo, exec_lo, s2
	s_wait_alu 0xfffe
	s_and_saveexec_b32 s0, s5
	s_delay_alu instid0(SALU_CYCLE_1)
	s_xor_b32 s0, exec_lo, s0
	s_cbranch_execz .LBB134_317
; %bb.316:
	v_readlane_b32 s12, v40, 2
	v_readlane_b32 s13, v40, 3
	v_readlane_b32 s14, v40, 4
	v_readlane_b32 s15, v40, 5
	s_mul_u64 s[6:7], s[44:45], s[24:25]
	s_mul_u64 s[10:11], s[22:23], s[26:27]
	;; [unrolled: 1-line block ×3, first 2 shown]
	v_readlane_b32 s12, v40, 6
	v_readlane_b32 s13, v40, 7
	s_wait_alu 0xfffe
	s_lshl_b64 s[8:9], s[8:9], 3
	s_sub_nc_u64 s[6:7], s[22:23], s[6:7]
	s_sub_nc_u64 s[10:11], s[34:35], s[10:11]
	s_wait_alu 0xfffe
	s_mul_u64 s[6:7], s[6:7], s[14:15]
	s_add_nc_u64 s[8:9], s[12:13], s[8:9]
	v_readlane_b32 s12, v40, 0
	v_readlane_b32 s13, v40, 1
	s_wait_alu 0xfffe
	s_lshl_b64 s[6:7], s[6:7], 3
	v_mov_b32_e32 v0, 0
	s_wait_alu 0xfffe
	s_add_nc_u64 s[6:7], s[8:9], s[6:7]
	s_mul_u64 s[10:11], s[10:11], s[12:13]
	s_wait_alu 0xfffe
	s_lshl_b64 s[8:9], s[10:11], 3
	s_wait_alu 0xfffe
	s_add_nc_u64 s[6:7], s[6:7], s[8:9]
	global_store_b64 v0, v[2:3], s[6:7]
.LBB134_317:
	s_wait_alu 0xfffe
	s_or_b32 exec_lo, exec_lo, s4
.LBB134_318:
	s_wait_alu 0xfffe
	s_or_saveexec_b32 s0, s3
	s_mov_b32 s2, 0
	s_xor_b32 exec_lo, exec_lo, s0
	s_cbranch_execnz .LBB134_321
.LBB134_319:
	s_or_b32 exec_lo, exec_lo, s0
	s_wait_alu 0xfffe
	s_and_b32 s0, s2, exec_lo
	s_and_not1_saveexec_b32 s1, s1
	s_cbranch_execz .LBB134_304
.LBB134_320:
	s_or_b32 s0, s0, exec_lo
	s_trap 2
	s_or_b32 exec_lo, exec_lo, s1
	s_and_saveexec_b32 s1, s0
	s_cbranch_execnz .LBB134_305
	s_branch .LBB134_306
.LBB134_321:
	s_mov_b32 s2, exec_lo
	s_trap 2
	s_branch .LBB134_319
	.section	.rodata,"a",@progbits
	.p2align	6, 0x0
	.amdhsa_kernel _ZN2at6native12_GLOBAL__N_112gatherMedianIN3c104HalfEmLi3EEEvNS_4cuda6detail10TensorInfoIT_T0_EENS7_IlS9_EENS7_IKS8_S9_EES9_S9_S9_b
		.amdhsa_group_segment_fixed_size 5152
		.amdhsa_private_segment_fixed_size 0
		.amdhsa_kernarg_size 1536
		.amdhsa_user_sgpr_count 2
		.amdhsa_user_sgpr_dispatch_ptr 0
		.amdhsa_user_sgpr_queue_ptr 0
		.amdhsa_user_sgpr_kernarg_segment_ptr 1
		.amdhsa_user_sgpr_dispatch_id 0
		.amdhsa_user_sgpr_private_segment_size 0
		.amdhsa_wavefront_size32 1
		.amdhsa_uses_dynamic_stack 0
		.amdhsa_enable_private_segment 0
		.amdhsa_system_sgpr_workgroup_id_x 1
		.amdhsa_system_sgpr_workgroup_id_y 1
		.amdhsa_system_sgpr_workgroup_id_z 1
		.amdhsa_system_sgpr_workgroup_info 0
		.amdhsa_system_vgpr_workitem_id 0
		.amdhsa_next_free_vgpr 41
		.amdhsa_next_free_sgpr 105
		.amdhsa_reserve_vcc 1
		.amdhsa_float_round_mode_32 0
		.amdhsa_float_round_mode_16_64 0
		.amdhsa_float_denorm_mode_32 3
		.amdhsa_float_denorm_mode_16_64 3
		.amdhsa_fp16_overflow 0
		.amdhsa_workgroup_processor_mode 1
		.amdhsa_memory_ordered 1
		.amdhsa_forward_progress 1
		.amdhsa_inst_pref_size 159
		.amdhsa_round_robin_scheduling 0
		.amdhsa_exception_fp_ieee_invalid_op 0
		.amdhsa_exception_fp_denorm_src 0
		.amdhsa_exception_fp_ieee_div_zero 0
		.amdhsa_exception_fp_ieee_overflow 0
		.amdhsa_exception_fp_ieee_underflow 0
		.amdhsa_exception_fp_ieee_inexact 0
		.amdhsa_exception_int_div_zero 0
	.end_amdhsa_kernel
	.section	.text._ZN2at6native12_GLOBAL__N_112gatherMedianIN3c104HalfEmLi3EEEvNS_4cuda6detail10TensorInfoIT_T0_EENS7_IlS9_EENS7_IKS8_S9_EES9_S9_S9_b,"axG",@progbits,_ZN2at6native12_GLOBAL__N_112gatherMedianIN3c104HalfEmLi3EEEvNS_4cuda6detail10TensorInfoIT_T0_EENS7_IlS9_EENS7_IKS8_S9_EES9_S9_S9_b,comdat
.Lfunc_end134:
	.size	_ZN2at6native12_GLOBAL__N_112gatherMedianIN3c104HalfEmLi3EEEvNS_4cuda6detail10TensorInfoIT_T0_EENS7_IlS9_EENS7_IKS8_S9_EES9_S9_S9_b, .Lfunc_end134-_ZN2at6native12_GLOBAL__N_112gatherMedianIN3c104HalfEmLi3EEEvNS_4cuda6detail10TensorInfoIT_T0_EENS7_IlS9_EENS7_IKS8_S9_EES9_S9_S9_b
                                        ; -- End function
	.set _ZN2at6native12_GLOBAL__N_112gatherMedianIN3c104HalfEmLi3EEEvNS_4cuda6detail10TensorInfoIT_T0_EENS7_IlS9_EENS7_IKS8_S9_EES9_S9_S9_b.num_vgpr, 41
	.set _ZN2at6native12_GLOBAL__N_112gatherMedianIN3c104HalfEmLi3EEEvNS_4cuda6detail10TensorInfoIT_T0_EENS7_IlS9_EENS7_IKS8_S9_EES9_S9_S9_b.num_agpr, 0
	.set _ZN2at6native12_GLOBAL__N_112gatherMedianIN3c104HalfEmLi3EEEvNS_4cuda6detail10TensorInfoIT_T0_EENS7_IlS9_EENS7_IKS8_S9_EES9_S9_S9_b.numbered_sgpr, 105
	.set _ZN2at6native12_GLOBAL__N_112gatherMedianIN3c104HalfEmLi3EEEvNS_4cuda6detail10TensorInfoIT_T0_EENS7_IlS9_EENS7_IKS8_S9_EES9_S9_S9_b.num_named_barrier, 0
	.set _ZN2at6native12_GLOBAL__N_112gatherMedianIN3c104HalfEmLi3EEEvNS_4cuda6detail10TensorInfoIT_T0_EENS7_IlS9_EENS7_IKS8_S9_EES9_S9_S9_b.private_seg_size, 0
	.set _ZN2at6native12_GLOBAL__N_112gatherMedianIN3c104HalfEmLi3EEEvNS_4cuda6detail10TensorInfoIT_T0_EENS7_IlS9_EENS7_IKS8_S9_EES9_S9_S9_b.uses_vcc, 1
	.set _ZN2at6native12_GLOBAL__N_112gatherMedianIN3c104HalfEmLi3EEEvNS_4cuda6detail10TensorInfoIT_T0_EENS7_IlS9_EENS7_IKS8_S9_EES9_S9_S9_b.uses_flat_scratch, 0
	.set _ZN2at6native12_GLOBAL__N_112gatherMedianIN3c104HalfEmLi3EEEvNS_4cuda6detail10TensorInfoIT_T0_EENS7_IlS9_EENS7_IKS8_S9_EES9_S9_S9_b.has_dyn_sized_stack, 0
	.set _ZN2at6native12_GLOBAL__N_112gatherMedianIN3c104HalfEmLi3EEEvNS_4cuda6detail10TensorInfoIT_T0_EENS7_IlS9_EENS7_IKS8_S9_EES9_S9_S9_b.has_recursion, 0
	.set _ZN2at6native12_GLOBAL__N_112gatherMedianIN3c104HalfEmLi3EEEvNS_4cuda6detail10TensorInfoIT_T0_EENS7_IlS9_EENS7_IKS8_S9_EES9_S9_S9_b.has_indirect_call, 0
	.section	.AMDGPU.csdata,"",@progbits
; Kernel info:
; codeLenInByte = 20348
; TotalNumSgprs: 107
; NumVgprs: 41
; ScratchSize: 0
; MemoryBound: 0
; FloatMode: 240
; IeeeMode: 1
; LDSByteSize: 5152 bytes/workgroup (compile time only)
; SGPRBlocks: 0
; VGPRBlocks: 5
; NumSGPRsForWavesPerEU: 107
; NumVGPRsForWavesPerEU: 41
; Occupancy: 16
; WaveLimiterHint : 1
; COMPUTE_PGM_RSRC2:SCRATCH_EN: 0
; COMPUTE_PGM_RSRC2:USER_SGPR: 2
; COMPUTE_PGM_RSRC2:TRAP_HANDLER: 0
; COMPUTE_PGM_RSRC2:TGID_X_EN: 1
; COMPUTE_PGM_RSRC2:TGID_Y_EN: 1
; COMPUTE_PGM_RSRC2:TGID_Z_EN: 1
; COMPUTE_PGM_RSRC2:TIDIG_COMP_CNT: 0
	.section	.text._ZN2at6native12_GLOBAL__N_112gatherMedianIN3c104HalfEmLin1EEEvNS_4cuda6detail10TensorInfoIT_T0_EENS7_IlS9_EENS7_IKS8_S9_EES9_S9_S9_b,"axG",@progbits,_ZN2at6native12_GLOBAL__N_112gatherMedianIN3c104HalfEmLin1EEEvNS_4cuda6detail10TensorInfoIT_T0_EENS7_IlS9_EENS7_IKS8_S9_EES9_S9_S9_b,comdat
	.globl	_ZN2at6native12_GLOBAL__N_112gatherMedianIN3c104HalfEmLin1EEEvNS_4cuda6detail10TensorInfoIT_T0_EENS7_IlS9_EENS7_IKS8_S9_EES9_S9_S9_b ; -- Begin function _ZN2at6native12_GLOBAL__N_112gatherMedianIN3c104HalfEmLin1EEEvNS_4cuda6detail10TensorInfoIT_T0_EENS7_IlS9_EENS7_IKS8_S9_EES9_S9_S9_b
	.p2align	8
	.type	_ZN2at6native12_GLOBAL__N_112gatherMedianIN3c104HalfEmLin1EEEvNS_4cuda6detail10TensorInfoIT_T0_EENS7_IlS9_EENS7_IKS8_S9_EES9_S9_S9_b,@function
_ZN2at6native12_GLOBAL__N_112gatherMedianIN3c104HalfEmLin1EEEvNS_4cuda6detail10TensorInfoIT_T0_EENS7_IlS9_EENS7_IKS8_S9_EES9_S9_S9_b: ; @_ZN2at6native12_GLOBAL__N_112gatherMedianIN3c104HalfEmLin1EEEvNS_4cuda6detail10TensorInfoIT_T0_EENS7_IlS9_EENS7_IKS8_S9_EES9_S9_S9_b
; %bb.0:
	s_clause 0x1
	s_load_b64 s[6:7], s[0:1], 0x500
	s_load_b128 s[28:31], s[0:1], 0x4e0
	s_lshr_b32 s2, ttmp7, 16
	s_and_b32 s3, ttmp7, 0xffff
	s_wait_kmcnt 0x0
	s_mul_i32 s2, s7, s2
	s_delay_alu instid0(SALU_CYCLE_1) | instskip(SKIP_2) | instid1(SALU_CYCLE_1)
	s_add_co_i32 s2, s2, s3
	s_mov_b32 s3, 0
	s_mul_i32 s2, s2, s6
	s_add_co_i32 s2, s2, ttmp9
	s_delay_alu instid0(SALU_CYCLE_1)
	v_cmp_le_u64_e64 s4, s[30:31], s[2:3]
	s_and_b32 vcc_lo, exec_lo, s4
	s_cbranch_vccnz .LBB135_319
; %bb.1:
	s_clause 0x1
	s_load_b32 s5, s[0:1], 0x198
	s_load_b64 s[30:31], s[0:1], 0x4f0
	s_mov_b64 s[26:27], 0
	s_mov_b64 s[36:37], s[2:3]
	s_wait_kmcnt 0x0
	s_cmp_lt_i32 s5, 2
	s_cbranch_scc1 .LBB135_9
; %bb.2:
	s_mov_b32 s4, 0
	s_add_co_i32 s8, s5, -1
	s_mov_b32 s9, s4
	s_add_co_i32 s7, s5, 1
	s_lshl_b64 s[8:9], s[8:9], 3
	s_mov_b64 s[10:11], s[2:3]
	s_add_nc_u64 s[8:9], s[0:1], s[8:9]
	s_delay_alu instid0(SALU_CYCLE_1)
	s_add_nc_u64 s[8:9], s[8:9], 8
.LBB135_3:                              ; =>This Inner Loop Header: Depth=1
	s_load_b64 s[12:13], s[8:9], 0x0
                                        ; implicit-def: $sgpr36_sgpr37
	s_wait_kmcnt 0x0
	s_or_b64 s[14:15], s[10:11], s[12:13]
	s_delay_alu instid0(SALU_CYCLE_1)
	s_mov_b32 s5, s15
	s_wait_alu 0xfffe
	s_cmp_lg_u64 s[4:5], 0
	s_mov_b32 s5, -1
	s_cbranch_scc0 .LBB135_5
; %bb.4:                                ;   in Loop: Header=BB135_3 Depth=1
	s_cvt_f32_u32 s5, s12
	s_cvt_f32_u32 s14, s13
	s_sub_nc_u64 s[16:17], 0, s[12:13]
	s_mov_b32 s19, s4
	s_mov_b32 s23, s4
	s_wait_alu 0xfffe
	s_fmamk_f32 s5, s14, 0x4f800000, s5
	s_wait_alu 0xfffe
	s_delay_alu instid0(SALU_CYCLE_2) | instskip(NEXT) | instid1(TRANS32_DEP_1)
	v_s_rcp_f32 s5, s5
	s_mul_f32 s5, s5, 0x5f7ffffc
	s_wait_alu 0xfffe
	s_delay_alu instid0(SALU_CYCLE_2) | instskip(NEXT) | instid1(SALU_CYCLE_3)
	s_mul_f32 s14, s5, 0x2f800000
	s_trunc_f32 s14, s14
	s_delay_alu instid0(SALU_CYCLE_3) | instskip(SKIP_2) | instid1(SALU_CYCLE_1)
	s_fmamk_f32 s5, s14, 0xcf800000, s5
	s_cvt_u32_f32 s15, s14
	s_wait_alu 0xfffe
	s_cvt_u32_f32 s14, s5
	s_delay_alu instid0(SALU_CYCLE_3) | instskip(NEXT) | instid1(SALU_CYCLE_1)
	s_mul_u64 s[20:21], s[16:17], s[14:15]
	s_mul_hi_u32 s25, s14, s21
	s_mul_i32 s24, s14, s21
	s_mul_hi_u32 s18, s14, s20
	s_mul_i32 s22, s15, s20
	s_add_nc_u64 s[18:19], s[18:19], s[24:25]
	s_mul_hi_u32 s5, s15, s20
	s_mul_hi_u32 s33, s15, s21
	s_add_co_u32 s18, s18, s22
	s_wait_alu 0xfffe
	s_add_co_ci_u32 s22, s19, s5
	s_mul_i32 s20, s15, s21
	s_add_co_ci_u32 s21, s33, 0
	s_delay_alu instid0(SALU_CYCLE_1)
	s_add_nc_u64 s[18:19], s[22:23], s[20:21]
	s_mov_b32 s21, s4
	s_add_co_u32 s14, s14, s18
	s_cselect_b32 s5, -1, 0
	s_wait_alu 0xfffe
	s_cmp_lg_u32 s5, 0
	s_add_co_ci_u32 s15, s15, s19
	s_mov_b32 s19, s4
	s_mul_u64 s[16:17], s[16:17], s[14:15]
	s_delay_alu instid0(SALU_CYCLE_1)
	s_mul_hi_u32 s23, s14, s17
	s_mul_i32 s22, s14, s17
	s_mul_hi_u32 s18, s14, s16
	s_mul_i32 s20, s15, s16
	s_add_nc_u64 s[18:19], s[18:19], s[22:23]
	s_mul_hi_u32 s5, s15, s16
	s_mul_hi_u32 s24, s15, s17
	s_mul_i32 s16, s15, s17
	s_add_co_u32 s17, s18, s20
	s_wait_alu 0xfffe
	s_add_co_ci_u32 s20, s19, s5
	s_add_co_ci_u32 s17, s24, 0
	s_mov_b32 s19, s4
	s_add_nc_u64 s[16:17], s[20:21], s[16:17]
	s_delay_alu instid0(SALU_CYCLE_1)
	s_add_co_u32 s5, s14, s16
	s_cselect_b32 s14, -1, 0
	s_wait_alu 0xfffe
	s_mul_hi_u32 s18, s10, s5
	s_cmp_lg_u32 s14, 0
	s_mul_hi_u32 s20, s11, s5
	s_add_co_ci_u32 s16, s15, s17
	s_mul_i32 s5, s11, s5
	s_mul_hi_u32 s15, s10, s16
	s_mul_i32 s14, s10, s16
	s_mul_hi_u32 s17, s11, s16
	s_add_nc_u64 s[14:15], s[18:19], s[14:15]
	s_mul_i32 s16, s11, s16
	s_wait_alu 0xfffe
	s_add_co_u32 s5, s14, s5
	s_add_co_ci_u32 s20, s15, s20
	s_add_co_ci_u32 s17, s17, 0
	s_delay_alu instid0(SALU_CYCLE_1) | instskip(NEXT) | instid1(SALU_CYCLE_1)
	s_add_nc_u64 s[14:15], s[20:21], s[16:17]
	s_mul_u64 s[16:17], s[12:13], s[14:15]
	s_delay_alu instid0(SALU_CYCLE_1)
	s_sub_co_u32 s5, s10, s16
	s_cselect_b32 s16, -1, 0
	s_sub_co_i32 s18, s11, s17
	s_cmp_lg_u32 s16, 0
	s_sub_co_ci_u32 s18, s18, s13
	s_wait_alu 0xfffe
	s_sub_co_u32 s19, s5, s12
	s_cselect_b32 s20, -1, 0
	s_delay_alu instid0(SALU_CYCLE_1) | instskip(SKIP_1) | instid1(SALU_CYCLE_1)
	s_cmp_lg_u32 s20, 0
	s_sub_co_ci_u32 s18, s18, 0
	s_cmp_ge_u32 s18, s13
	s_cselect_b32 s20, -1, 0
	s_cmp_ge_u32 s19, s12
	s_cselect_b32 s21, -1, 0
	s_cmp_eq_u32 s18, s13
	s_add_nc_u64 s[18:19], s[14:15], 1
	s_cselect_b32 s22, s21, s20
	s_add_nc_u64 s[20:21], s[14:15], 2
	s_cmp_lg_u32 s22, 0
	s_cselect_b32 s18, s20, s18
	s_cselect_b32 s19, s21, s19
	s_cmp_lg_u32 s16, 0
	s_sub_co_ci_u32 s16, s11, s17
	s_delay_alu instid0(SALU_CYCLE_1)
	s_cmp_ge_u32 s16, s13
	s_cselect_b32 s17, -1, 0
	s_cmp_ge_u32 s5, s12
	s_cselect_b32 s5, -1, 0
	s_cmp_eq_u32 s16, s13
	s_wait_alu 0xfffe
	s_cselect_b32 s5, s5, s17
	s_wait_alu 0xfffe
	s_cmp_lg_u32 s5, 0
	s_mov_b32 s5, 0
	s_cselect_b32 s37, s19, s15
	s_cselect_b32 s36, s18, s14
.LBB135_5:                              ;   in Loop: Header=BB135_3 Depth=1
	s_wait_alu 0xfffe
	s_and_not1_b32 vcc_lo, exec_lo, s5
	s_cbranch_vccnz .LBB135_7
; %bb.6:                                ;   in Loop: Header=BB135_3 Depth=1
	v_cvt_f32_u32_e32 v1, s12
	s_sub_co_i32 s14, 0, s12
	s_mov_b32 s37, s4
	s_delay_alu instid0(VALU_DEP_1) | instskip(NEXT) | instid1(TRANS32_DEP_1)
	v_rcp_iflag_f32_e32 v1, v1
	v_mul_f32_e32 v1, 0x4f7ffffe, v1
	s_delay_alu instid0(VALU_DEP_1) | instskip(NEXT) | instid1(VALU_DEP_1)
	v_cvt_u32_f32_e32 v1, v1
	v_readfirstlane_b32 s5, v1
	s_mul_i32 s14, s14, s5
	s_delay_alu instid0(SALU_CYCLE_1) | instskip(NEXT) | instid1(SALU_CYCLE_1)
	s_mul_hi_u32 s14, s5, s14
	s_add_co_i32 s5, s5, s14
	s_wait_alu 0xfffe
	s_mul_hi_u32 s5, s10, s5
	s_wait_alu 0xfffe
	s_mul_i32 s14, s5, s12
	s_add_co_i32 s15, s5, 1
	s_sub_co_i32 s14, s10, s14
	s_delay_alu instid0(SALU_CYCLE_1)
	s_sub_co_i32 s16, s14, s12
	s_cmp_ge_u32 s14, s12
	s_cselect_b32 s5, s15, s5
	s_cselect_b32 s14, s16, s14
	s_wait_alu 0xfffe
	s_add_co_i32 s15, s5, 1
	s_cmp_ge_u32 s14, s12
	s_cselect_b32 s36, s15, s5
.LBB135_7:                              ;   in Loop: Header=BB135_3 Depth=1
	s_load_b64 s[14:15], s[8:9], 0xc8
	s_mul_u64 s[12:13], s[36:37], s[12:13]
	s_add_co_i32 s7, s7, -1
	s_wait_alu 0xfffe
	s_sub_nc_u64 s[10:11], s[10:11], s[12:13]
	s_cmp_gt_u32 s7, 2
	s_add_nc_u64 s[8:9], s[8:9], -8
	s_wait_kmcnt 0x0
	s_mul_u64 s[10:11], s[14:15], s[10:11]
	s_delay_alu instid0(SALU_CYCLE_1)
	s_add_nc_u64 s[26:27], s[10:11], s[26:27]
	s_cbranch_scc0 .LBB135_9
; %bb.8:                                ;   in Loop: Header=BB135_3 Depth=1
	s_mov_b64 s[10:11], s[36:37]
	s_branch .LBB135_3
.LBB135_9:
	s_load_b32 s7, s[0:1], 0x338
	s_add_nc_u64 s[8:9], s[0:1], 0x500
	s_add_nc_u64 s[4:5], s[0:1], 0x1a0
	s_mov_b64 s[34:35], 0
	s_mov_b64 s[38:39], s[2:3]
	s_wait_kmcnt 0x0
	s_cmp_lt_i32 s7, 2
	s_cbranch_scc1 .LBB135_17
; %bb.10:
	s_mov_b32 s10, 0
	s_add_co_i32 s12, s7, -1
	s_mov_b32 s13, s10
	s_add_co_i32 s7, s7, 1
	s_wait_alu 0xfffe
	s_lshl_b64 s[12:13], s[12:13], 3
	s_mov_b64 s[14:15], s[2:3]
	s_wait_alu 0xfffe
	s_add_nc_u64 s[12:13], s[4:5], s[12:13]
	s_wait_alu 0xfffe
	s_add_nc_u64 s[12:13], s[12:13], 8
.LBB135_11:                             ; =>This Inner Loop Header: Depth=1
	s_load_b64 s[16:17], s[12:13], 0x0
                                        ; implicit-def: $sgpr38_sgpr39
	s_wait_kmcnt 0x0
	s_or_b64 s[18:19], s[14:15], s[16:17]
	s_delay_alu instid0(SALU_CYCLE_1)
	s_mov_b32 s11, s19
	s_wait_alu 0xfffe
	s_cmp_lg_u64 s[10:11], 0
	s_mov_b32 s11, -1
	s_cbranch_scc0 .LBB135_13
; %bb.12:                               ;   in Loop: Header=BB135_11 Depth=1
	s_cvt_f32_u32 s11, s16
	s_cvt_f32_u32 s18, s17
	s_sub_nc_u64 s[20:21], 0, s[16:17]
	s_mov_b32 s23, s10
	s_mov_b32 s39, s10
	s_wait_alu 0xfffe
	s_fmamk_f32 s11, s18, 0x4f800000, s11
	s_wait_alu 0xfffe
	s_delay_alu instid0(SALU_CYCLE_2) | instskip(NEXT) | instid1(TRANS32_DEP_1)
	v_s_rcp_f32 s11, s11
	s_mul_f32 s11, s11, 0x5f7ffffc
	s_wait_alu 0xfffe
	s_delay_alu instid0(SALU_CYCLE_2) | instskip(NEXT) | instid1(SALU_CYCLE_3)
	s_mul_f32 s18, s11, 0x2f800000
	s_trunc_f32 s18, s18
	s_delay_alu instid0(SALU_CYCLE_3) | instskip(SKIP_2) | instid1(SALU_CYCLE_1)
	s_fmamk_f32 s11, s18, 0xcf800000, s11
	s_cvt_u32_f32 s19, s18
	s_wait_alu 0xfffe
	s_cvt_u32_f32 s18, s11
	s_delay_alu instid0(SALU_CYCLE_3) | instskip(NEXT) | instid1(SALU_CYCLE_1)
	s_mul_u64 s[24:25], s[20:21], s[18:19]
	s_mul_hi_u32 s41, s18, s25
	s_mul_i32 s40, s18, s25
	s_mul_hi_u32 s22, s18, s24
	s_mul_i32 s33, s19, s24
	s_add_nc_u64 s[22:23], s[22:23], s[40:41]
	s_mul_hi_u32 s11, s19, s24
	s_mul_hi_u32 s42, s19, s25
	s_add_co_u32 s22, s22, s33
	s_wait_alu 0xfffe
	s_add_co_ci_u32 s38, s23, s11
	s_mul_i32 s24, s19, s25
	s_add_co_ci_u32 s25, s42, 0
	s_delay_alu instid0(SALU_CYCLE_1)
	s_add_nc_u64 s[22:23], s[38:39], s[24:25]
	s_mov_b32 s25, s10
	s_add_co_u32 s18, s18, s22
	s_cselect_b32 s11, -1, 0
	s_wait_alu 0xfffe
	s_cmp_lg_u32 s11, 0
	s_add_co_ci_u32 s19, s19, s23
	s_mov_b32 s23, s10
	s_mul_u64 s[20:21], s[20:21], s[18:19]
	s_delay_alu instid0(SALU_CYCLE_1)
	s_mul_hi_u32 s39, s18, s21
	s_mul_i32 s38, s18, s21
	s_mul_hi_u32 s22, s18, s20
	s_mul_i32 s24, s19, s20
	s_add_nc_u64 s[22:23], s[22:23], s[38:39]
	s_mul_hi_u32 s11, s19, s20
	s_mul_hi_u32 s33, s19, s21
	s_mul_i32 s20, s19, s21
	s_add_co_u32 s21, s22, s24
	s_wait_alu 0xfffe
	s_add_co_ci_u32 s24, s23, s11
	s_add_co_ci_u32 s21, s33, 0
	s_mov_b32 s23, s10
	s_add_nc_u64 s[20:21], s[24:25], s[20:21]
	s_delay_alu instid0(SALU_CYCLE_1)
	s_add_co_u32 s11, s18, s20
	s_cselect_b32 s18, -1, 0
	s_wait_alu 0xfffe
	s_mul_hi_u32 s22, s14, s11
	s_cmp_lg_u32 s18, 0
	s_mul_hi_u32 s24, s15, s11
	s_add_co_ci_u32 s20, s19, s21
	s_mul_i32 s11, s15, s11
	s_mul_hi_u32 s19, s14, s20
	s_mul_i32 s18, s14, s20
	s_mul_hi_u32 s21, s15, s20
	s_add_nc_u64 s[18:19], s[22:23], s[18:19]
	s_mul_i32 s20, s15, s20
	s_wait_alu 0xfffe
	s_add_co_u32 s11, s18, s11
	s_add_co_ci_u32 s24, s19, s24
	s_add_co_ci_u32 s21, s21, 0
	s_delay_alu instid0(SALU_CYCLE_1) | instskip(NEXT) | instid1(SALU_CYCLE_1)
	s_add_nc_u64 s[18:19], s[24:25], s[20:21]
	s_mul_u64 s[20:21], s[16:17], s[18:19]
	s_delay_alu instid0(SALU_CYCLE_1)
	s_sub_co_u32 s11, s14, s20
	s_cselect_b32 s20, -1, 0
	s_sub_co_i32 s22, s15, s21
	s_cmp_lg_u32 s20, 0
	s_sub_co_ci_u32 s22, s22, s17
	s_wait_alu 0xfffe
	s_sub_co_u32 s23, s11, s16
	s_cselect_b32 s24, -1, 0
	s_delay_alu instid0(SALU_CYCLE_1) | instskip(SKIP_1) | instid1(SALU_CYCLE_1)
	s_cmp_lg_u32 s24, 0
	s_sub_co_ci_u32 s22, s22, 0
	s_cmp_ge_u32 s22, s17
	s_cselect_b32 s24, -1, 0
	s_cmp_ge_u32 s23, s16
	s_cselect_b32 s25, -1, 0
	s_cmp_eq_u32 s22, s17
	s_add_nc_u64 s[22:23], s[18:19], 1
	s_cselect_b32 s33, s25, s24
	s_add_nc_u64 s[24:25], s[18:19], 2
	s_cmp_lg_u32 s33, 0
	s_cselect_b32 s22, s24, s22
	s_cselect_b32 s23, s25, s23
	s_cmp_lg_u32 s20, 0
	s_sub_co_ci_u32 s20, s15, s21
	s_delay_alu instid0(SALU_CYCLE_1)
	s_cmp_ge_u32 s20, s17
	s_cselect_b32 s21, -1, 0
	s_cmp_ge_u32 s11, s16
	s_cselect_b32 s11, -1, 0
	s_cmp_eq_u32 s20, s17
	s_wait_alu 0xfffe
	s_cselect_b32 s11, s11, s21
	s_wait_alu 0xfffe
	s_cmp_lg_u32 s11, 0
	s_mov_b32 s11, 0
	s_cselect_b32 s39, s23, s19
	s_cselect_b32 s38, s22, s18
.LBB135_13:                             ;   in Loop: Header=BB135_11 Depth=1
	s_wait_alu 0xfffe
	s_and_not1_b32 vcc_lo, exec_lo, s11
	s_cbranch_vccnz .LBB135_15
; %bb.14:                               ;   in Loop: Header=BB135_11 Depth=1
	v_cvt_f32_u32_e32 v1, s16
	s_sub_co_i32 s18, 0, s16
	s_mov_b32 s39, s10
	s_delay_alu instid0(VALU_DEP_1) | instskip(NEXT) | instid1(TRANS32_DEP_1)
	v_rcp_iflag_f32_e32 v1, v1
	v_mul_f32_e32 v1, 0x4f7ffffe, v1
	s_delay_alu instid0(VALU_DEP_1) | instskip(NEXT) | instid1(VALU_DEP_1)
	v_cvt_u32_f32_e32 v1, v1
	v_readfirstlane_b32 s11, v1
	s_mul_i32 s18, s18, s11
	s_delay_alu instid0(SALU_CYCLE_1) | instskip(NEXT) | instid1(SALU_CYCLE_1)
	s_mul_hi_u32 s18, s11, s18
	s_add_co_i32 s11, s11, s18
	s_wait_alu 0xfffe
	s_mul_hi_u32 s11, s14, s11
	s_wait_alu 0xfffe
	s_mul_i32 s18, s11, s16
	s_add_co_i32 s19, s11, 1
	s_sub_co_i32 s18, s14, s18
	s_delay_alu instid0(SALU_CYCLE_1)
	s_sub_co_i32 s20, s18, s16
	s_cmp_ge_u32 s18, s16
	s_cselect_b32 s11, s19, s11
	s_cselect_b32 s18, s20, s18
	s_wait_alu 0xfffe
	s_add_co_i32 s19, s11, 1
	s_cmp_ge_u32 s18, s16
	s_cselect_b32 s38, s19, s11
.LBB135_15:                             ;   in Loop: Header=BB135_11 Depth=1
	s_load_b64 s[18:19], s[12:13], 0xc8
	s_mul_u64 s[16:17], s[38:39], s[16:17]
	s_add_co_i32 s7, s7, -1
	s_wait_alu 0xfffe
	s_sub_nc_u64 s[14:15], s[14:15], s[16:17]
	s_cmp_gt_u32 s7, 2
	s_add_nc_u64 s[12:13], s[12:13], -8
	s_wait_kmcnt 0x0
	s_mul_u64 s[14:15], s[18:19], s[14:15]
	s_delay_alu instid0(SALU_CYCLE_1)
	s_add_nc_u64 s[34:35], s[14:15], s[34:35]
	s_cbranch_scc0 .LBB135_17
; %bb.16:                               ;   in Loop: Header=BB135_11 Depth=1
	s_mov_b64 s[14:15], s[38:39]
	s_branch .LBB135_11
.LBB135_17:
	s_clause 0x1
	s_load_b64 s[40:41], s[0:1], 0xd0
	s_load_b32 s7, s[0:1], 0x4d8
	s_mov_b64 s[10:11], 0
	s_wait_kmcnt 0x0
	s_cmp_lt_i32 s7, 2
	s_cbranch_scc1 .LBB135_25
; %bb.18:
	s_mov_b32 s12, 0
	s_add_co_i32 s10, s7, -1
	s_wait_alu 0xfffe
	s_mov_b32 s11, s12
	s_add_nc_u64 s[14:15], s[0:1], 0x340
	s_wait_alu 0xfffe
	s_lshl_b64 s[10:11], s[10:11], 3
	s_add_co_i32 s7, s7, 1
	s_wait_alu 0xfffe
	s_add_nc_u64 s[10:11], s[14:15], s[10:11]
	s_wait_alu 0xfffe
	s_add_nc_u64 s[14:15], s[10:11], 8
	s_mov_b64 s[10:11], 0
.LBB135_19:                             ; =>This Inner Loop Header: Depth=1
	s_load_b64 s[16:17], s[14:15], 0x0
	s_wait_kmcnt 0x0
	s_or_b64 s[18:19], s[2:3], s[16:17]
	s_delay_alu instid0(SALU_CYCLE_1)
	s_mov_b32 s13, s19
                                        ; implicit-def: $sgpr18_sgpr19
	s_wait_alu 0xfffe
	s_cmp_lg_u64 s[12:13], 0
	s_mov_b32 s13, -1
	s_cbranch_scc0 .LBB135_21
; %bb.20:                               ;   in Loop: Header=BB135_19 Depth=1
	s_cvt_f32_u32 s13, s16
	s_cvt_f32_u32 s18, s17
	s_sub_nc_u64 s[20:21], 0, s[16:17]
	s_mov_b32 s23, s12
	s_mov_b32 s43, s12
	s_wait_alu 0xfffe
	s_fmamk_f32 s13, s18, 0x4f800000, s13
	s_wait_alu 0xfffe
	s_delay_alu instid0(SALU_CYCLE_2) | instskip(NEXT) | instid1(TRANS32_DEP_1)
	v_s_rcp_f32 s13, s13
	s_mul_f32 s13, s13, 0x5f7ffffc
	s_wait_alu 0xfffe
	s_delay_alu instid0(SALU_CYCLE_2) | instskip(NEXT) | instid1(SALU_CYCLE_3)
	s_mul_f32 s18, s13, 0x2f800000
	s_trunc_f32 s18, s18
	s_delay_alu instid0(SALU_CYCLE_3) | instskip(SKIP_2) | instid1(SALU_CYCLE_1)
	s_fmamk_f32 s13, s18, 0xcf800000, s13
	s_cvt_u32_f32 s19, s18
	s_wait_alu 0xfffe
	s_cvt_u32_f32 s18, s13
	s_delay_alu instid0(SALU_CYCLE_3) | instskip(NEXT) | instid1(SALU_CYCLE_1)
	s_mul_u64 s[24:25], s[20:21], s[18:19]
	s_mul_hi_u32 s45, s18, s25
	s_mul_i32 s44, s18, s25
	s_mul_hi_u32 s22, s18, s24
	s_mul_i32 s33, s19, s24
	s_add_nc_u64 s[22:23], s[22:23], s[44:45]
	s_mul_hi_u32 s13, s19, s24
	s_mul_hi_u32 s46, s19, s25
	s_add_co_u32 s22, s22, s33
	s_wait_alu 0xfffe
	s_add_co_ci_u32 s42, s23, s13
	s_mul_i32 s24, s19, s25
	s_add_co_ci_u32 s25, s46, 0
	s_delay_alu instid0(SALU_CYCLE_1)
	s_add_nc_u64 s[22:23], s[42:43], s[24:25]
	s_mov_b32 s25, s12
	s_add_co_u32 s18, s18, s22
	s_cselect_b32 s13, -1, 0
	s_wait_alu 0xfffe
	s_cmp_lg_u32 s13, 0
	s_add_co_ci_u32 s19, s19, s23
	s_mov_b32 s23, s12
	s_mul_u64 s[20:21], s[20:21], s[18:19]
	s_delay_alu instid0(SALU_CYCLE_1)
	s_mul_hi_u32 s43, s18, s21
	s_mul_i32 s42, s18, s21
	s_mul_hi_u32 s22, s18, s20
	s_mul_i32 s24, s19, s20
	s_add_nc_u64 s[22:23], s[22:23], s[42:43]
	s_mul_hi_u32 s13, s19, s20
	s_mul_hi_u32 s33, s19, s21
	s_mul_i32 s20, s19, s21
	s_add_co_u32 s21, s22, s24
	s_wait_alu 0xfffe
	s_add_co_ci_u32 s24, s23, s13
	s_add_co_ci_u32 s21, s33, 0
	s_mov_b32 s23, s12
	s_add_nc_u64 s[20:21], s[24:25], s[20:21]
	s_delay_alu instid0(SALU_CYCLE_1)
	s_add_co_u32 s13, s18, s20
	s_cselect_b32 s18, -1, 0
	s_wait_alu 0xfffe
	s_mul_hi_u32 s22, s2, s13
	s_cmp_lg_u32 s18, 0
	s_mul_hi_u32 s24, s3, s13
	s_add_co_ci_u32 s20, s19, s21
	s_mul_i32 s13, s3, s13
	s_mul_hi_u32 s19, s2, s20
	s_mul_i32 s18, s2, s20
	s_mul_hi_u32 s21, s3, s20
	s_add_nc_u64 s[18:19], s[22:23], s[18:19]
	s_mul_i32 s20, s3, s20
	s_wait_alu 0xfffe
	s_add_co_u32 s13, s18, s13
	s_add_co_ci_u32 s24, s19, s24
	s_add_co_ci_u32 s21, s21, 0
	s_delay_alu instid0(SALU_CYCLE_1) | instskip(NEXT) | instid1(SALU_CYCLE_1)
	s_add_nc_u64 s[18:19], s[24:25], s[20:21]
	s_mul_u64 s[20:21], s[16:17], s[18:19]
	s_delay_alu instid0(SALU_CYCLE_1)
	s_sub_co_u32 s13, s2, s20
	s_cselect_b32 s20, -1, 0
	s_sub_co_i32 s22, s3, s21
	s_cmp_lg_u32 s20, 0
	s_sub_co_ci_u32 s22, s22, s17
	s_wait_alu 0xfffe
	s_sub_co_u32 s23, s13, s16
	s_cselect_b32 s24, -1, 0
	s_delay_alu instid0(SALU_CYCLE_1) | instskip(SKIP_1) | instid1(SALU_CYCLE_1)
	s_cmp_lg_u32 s24, 0
	s_sub_co_ci_u32 s22, s22, 0
	s_cmp_ge_u32 s22, s17
	s_cselect_b32 s24, -1, 0
	s_cmp_ge_u32 s23, s16
	s_cselect_b32 s25, -1, 0
	s_cmp_eq_u32 s22, s17
	s_add_nc_u64 s[22:23], s[18:19], 1
	s_cselect_b32 s33, s25, s24
	s_add_nc_u64 s[24:25], s[18:19], 2
	s_cmp_lg_u32 s33, 0
	s_cselect_b32 s22, s24, s22
	s_cselect_b32 s23, s25, s23
	s_cmp_lg_u32 s20, 0
	s_sub_co_ci_u32 s20, s3, s21
	s_delay_alu instid0(SALU_CYCLE_1)
	s_cmp_ge_u32 s20, s17
	s_cselect_b32 s21, -1, 0
	s_cmp_ge_u32 s13, s16
	s_cselect_b32 s13, -1, 0
	s_cmp_eq_u32 s20, s17
	s_wait_alu 0xfffe
	s_cselect_b32 s13, s13, s21
	s_wait_alu 0xfffe
	s_cmp_lg_u32 s13, 0
	s_mov_b32 s13, 0
	s_cselect_b32 s19, s23, s19
	s_cselect_b32 s18, s22, s18
.LBB135_21:                             ;   in Loop: Header=BB135_19 Depth=1
	s_wait_alu 0xfffe
	s_and_not1_b32 vcc_lo, exec_lo, s13
	s_cbranch_vccnz .LBB135_23
; %bb.22:                               ;   in Loop: Header=BB135_19 Depth=1
	v_cvt_f32_u32_e32 v1, s16
	s_sub_co_i32 s18, 0, s16
	s_delay_alu instid0(VALU_DEP_1) | instskip(NEXT) | instid1(TRANS32_DEP_1)
	v_rcp_iflag_f32_e32 v1, v1
	v_mul_f32_e32 v1, 0x4f7ffffe, v1
	s_delay_alu instid0(VALU_DEP_1) | instskip(NEXT) | instid1(VALU_DEP_1)
	v_cvt_u32_f32_e32 v1, v1
	v_readfirstlane_b32 s13, v1
	s_mul_i32 s18, s18, s13
	s_delay_alu instid0(SALU_CYCLE_1) | instskip(NEXT) | instid1(SALU_CYCLE_1)
	s_mul_hi_u32 s18, s13, s18
	s_add_co_i32 s13, s13, s18
	s_wait_alu 0xfffe
	s_mul_hi_u32 s13, s2, s13
	s_wait_alu 0xfffe
	s_mul_i32 s18, s13, s16
	s_add_co_i32 s19, s13, 1
	s_sub_co_i32 s18, s2, s18
	s_delay_alu instid0(SALU_CYCLE_1)
	s_sub_co_i32 s20, s18, s16
	s_cmp_ge_u32 s18, s16
	s_cselect_b32 s13, s19, s13
	s_cselect_b32 s18, s20, s18
	s_wait_alu 0xfffe
	s_add_co_i32 s19, s13, 1
	s_cmp_ge_u32 s18, s16
	s_cselect_b32 s18, s19, s13
	s_mov_b32 s19, s12
.LBB135_23:                             ;   in Loop: Header=BB135_19 Depth=1
	s_load_b64 s[20:21], s[14:15], 0xc8
	s_mul_u64 s[16:17], s[18:19], s[16:17]
	s_add_co_i32 s7, s7, -1
	s_wait_alu 0xfffe
	s_sub_nc_u64 s[2:3], s[2:3], s[16:17]
	s_cmp_gt_u32 s7, 2
	s_add_nc_u64 s[14:15], s[14:15], -8
	s_wait_kmcnt 0x0
	s_wait_alu 0xfffe
	s_mul_u64 s[2:3], s[20:21], s[2:3]
	s_wait_alu 0xfffe
	s_add_nc_u64 s[10:11], s[2:3], s[10:11]
	s_cbranch_scc0 .LBB135_26
; %bb.24:                               ;   in Loop: Header=BB135_19 Depth=1
	s_mov_b64 s[2:3], s[18:19]
	s_branch .LBB135_19
.LBB135_25:
	s_mov_b64 s[18:19], s[2:3]
.LBB135_26:
	s_clause 0x2
	s_load_b64 s[42:43], s[4:5], 0xd0
	s_load_b64 s[4:5], s[0:1], 0x410
	;; [unrolled: 1-line block ×3, first 2 shown]
	v_dual_mov_b32 v1, 0 :: v_dual_mov_b32 v2, 0
	v_mov_b32_e32 v3, 0
	s_delay_alu instid0(VALU_DEP_2)
	v_cmp_gt_u64_e64 s2, s[28:29], v[0:1]
	s_wait_kmcnt 0x0
	s_mul_u64 s[4:5], s[4:5], s[18:19]
	s_and_saveexec_b32 s7, s2
	s_cbranch_execz .LBB135_30
; %bb.27:
	v_mad_co_u64_u32 v[2:3], null, s30, v0, 0
	s_load_b32 s3, s[8:9], 0xc
	s_lshl_b64 s[18:19], s[10:11], 1
	s_lshl_b64 s[16:17], s[4:5], 1
	s_add_nc_u64 s[18:19], s[12:13], s[18:19]
	s_mov_b32 s15, 0
	s_wait_alu 0xfffe
	s_add_nc_u64 s[16:17], s[18:19], s[16:17]
	v_mad_co_u64_u32 v[3:4], null, s31, v0, v[3:4]
	v_dual_mov_b32 v7, v1 :: v_dual_mov_b32 v6, v0
	s_delay_alu instid0(VALU_DEP_2)
	v_lshlrev_b64_e32 v[4:5], 1, v[2:3]
	v_mov_b32_e32 v2, 0
	v_mov_b32_e32 v3, 0
	s_wait_kmcnt 0x0
	s_and_b32 s14, s3, 0xffff
	s_wait_alu 0xfffe
	v_add_co_u32 v4, vcc_lo, s16, v4
	s_delay_alu instid0(VALU_DEP_1)
	v_add_co_ci_u32_e64 v5, null, s17, v5, vcc_lo
	s_mul_u64 s[16:17], s[30:31], s[14:15]
	s_wait_alu 0xfffe
	s_lshl_b64 s[16:17], s[16:17], 1
.LBB135_28:                             ; =>This Inner Loop Header: Depth=1
	global_load_u16 v8, v[4:5], off
	v_add_co_u32 v6, vcc_lo, v6, s14
	s_wait_alu 0xfffd
	v_add_co_ci_u32_e64 v7, null, 0, v7, vcc_lo
	s_wait_alu 0xfffe
	v_add_co_u32 v4, vcc_lo, v4, s16
	s_wait_alu 0xfffd
	v_add_co_ci_u32_e64 v5, null, s17, v5, vcc_lo
	s_wait_loadcnt 0x0
	v_cmp_u_f16_e32 vcc_lo, v8, v8
	s_wait_alu 0xfffd
	v_cndmask_b32_e64 v8, 0, 1, vcc_lo
	v_cmp_le_u64_e32 vcc_lo, s[28:29], v[6:7]
	s_delay_alu instid0(VALU_DEP_2)
	v_add_co_u32 v2, s3, v2, v8
	s_wait_alu 0xf1ff
	v_add_co_ci_u32_e64 v3, null, 0, v3, s3
	s_or_b32 s15, vcc_lo, s15
	s_wait_alu 0xfffe
	s_and_not1_b32 exec_lo, exec_lo, s15
	s_cbranch_execnz .LBB135_28
; %bb.29:
	s_or_b32 exec_lo, exec_lo, s15
.LBB135_30:
	s_delay_alu instid0(SALU_CYCLE_1)
	s_or_b32 exec_lo, exec_lo, s7
	s_clause 0x1
	s_load_b64 s[46:47], s[0:1], 0x0
	s_load_b64 s[44:45], s[0:1], 0x1a0
	v_cmp_eq_u32_e64 s3, 0, v0
	s_and_saveexec_b32 s7, s3
; %bb.31:
	v_mov_b32_e32 v4, 0
	s_delay_alu instid0(VALU_DEP_1)
	v_mov_b32_e32 v5, v4
	ds_store_b64 v4, v[4:5] offset:5136
; %bb.32:
	s_or_b32 exec_lo, exec_lo, s7
	s_mov_b64 s[14:15], 0
	s_mov_b32 s7, exec_lo
	s_wait_dscnt 0x0
	s_barrier_signal -1
	s_barrier_wait -1
	global_inv scope:SCOPE_SE
	v_cmpx_ne_u64_e32 0, v[2:3]
	s_cbranch_execz .LBB135_37
; %bb.33:
	s_mov_b32 s16, exec_lo
.LBB135_34:                             ; =>This Inner Loop Header: Depth=1
	s_wait_alu 0xfffe
	s_ctz_i32_b32 s17, s16
	s_wait_alu 0xfffe
	v_readlane_b32 s19, v3, s17
	v_readlane_b32 s18, v2, s17
	s_lshl_b32 s17, 1, s17
	s_wait_alu 0xfffe
	s_and_not1_b32 s16, s16, s17
	s_wait_alu 0xfffe
	s_cmp_lg_u32 s16, 0
	s_add_nc_u64 s[14:15], s[14:15], s[18:19]
	s_cbranch_scc1 .LBB135_34
; %bb.35:
	v_mbcnt_lo_u32_b32 v2, exec_lo, 0
	s_mov_b32 s16, exec_lo
	s_delay_alu instid0(VALU_DEP_1)
	v_cmpx_eq_u32_e32 0, v2
	s_wait_alu 0xfffe
	s_xor_b32 s16, exec_lo, s16
; %bb.36:
	v_mov_b32_e32 v2, s14
	v_dual_mov_b32 v4, 0 :: v_dual_mov_b32 v3, s15
	ds_add_u64 v4, v[2:3] offset:5136
.LBB135_37:
	s_or_b32 exec_lo, exec_lo, s7
	v_mov_b32_e32 v2, 0
	v_mov_b32_e32 v30, s29
	s_wait_loadcnt_dscnt 0x0
	s_barrier_signal -1
	s_barrier_wait -1
	global_inv scope:SCOPE_SE
	v_mov_b32_e32 v29, s28
	ds_load_b64 v[2:3], v2 offset:5136
	s_load_b32 s0, s[0:1], 0x4f8
	s_wait_dscnt 0x0
	v_cmp_gt_i64_e32 vcc_lo, 1, v[2:3]
	s_wait_kmcnt 0x0
	s_bitcmp1_b32 s0, 0
	s_cselect_b32 s0, -1, 0
	s_delay_alu instid0(SALU_CYCLE_1) | instskip(NEXT) | instid1(SALU_CYCLE_1)
	s_or_b32 s0, s0, vcc_lo
	s_and_not1_b32 vcc_lo, exec_lo, s0
	s_wait_alu 0xfffe
	s_cbranch_vccnz .LBB135_39
; %bb.38:
	v_not_b32_e32 v2, v2
	v_not_b32_e32 v3, v3
	s_delay_alu instid0(VALU_DEP_2) | instskip(SKIP_1) | instid1(VALU_DEP_2)
	v_add_co_u32 v2, vcc_lo, s28, v2
	s_wait_alu 0xfffd
	v_add_co_ci_u32_e64 v3, null, s29, v3, vcc_lo
	s_delay_alu instid0(VALU_DEP_1) | instskip(NEXT) | instid1(VALU_DEP_1)
	v_lshrrev_b64 v[2:3], 1, v[2:3]
	v_add_co_u32 v29, vcc_lo, v2, 1
	s_wait_alu 0xfffd
	s_delay_alu instid0(VALU_DEP_2)
	v_add_co_ci_u32_e64 v30, null, 0, v3, vcc_lo
.LBB135_39:
	s_and_saveexec_b32 s0, s3
	s_cbranch_execz .LBB135_41
; %bb.40:
	v_dual_mov_b32 v2, 0 :: v_dual_mov_b32 v5, s29
	s_delay_alu instid0(VALU_DEP_1)
	v_dual_mov_b32 v4, s28 :: v_dual_mov_b32 v3, v2
	ds_store_b32 v2, v2 offset:5144
	ds_store_b128 v2, v[2:5] offset:5120
.LBB135_41:
	s_or_b32 exec_lo, exec_lo, s0
	v_mad_co_u64_u32 v[4:5], null, s30, v0, 0
	v_mbcnt_lo_u32_b32 v41, -1, 0
	s_lshl_b64 s[14:15], s[4:5], 1
	v_cmp_gt_u32_e32 vcc_lo, 32, v0
	s_lshl_b64 s[50:51], s[10:11], 1
	s_wait_alu 0xfffe
	s_add_nc_u64 s[10:11], s[12:13], s[14:15]
	v_cmp_gt_i32_e64 s4, 4, v41
	v_mov_b32_e32 v2, v5
	s_wait_alu 0xfffe
	s_add_nc_u64 s[56:57], s[10:11], s[50:51]
	v_lshlrev_b64_e64 v[8:9], v41, -1
	s_wait_loadcnt_dscnt 0x0
	s_and_b32 s84, vcc_lo, s4
	v_mad_co_u64_u32 v[2:3], null, s31, v0, v[2:3]
	v_dual_mov_b32 v3, 0 :: v_dual_lshlrev_b32 v42, 1, v0
	s_delay_alu instid0(VALU_DEP_3) | instskip(SKIP_3) | instid1(VALU_DEP_4)
	v_not_b32_e32 v44, v8
	v_not_b32_e32 v8, v0
	s_barrier_signal -1
	s_barrier_wait -1
	v_dual_mov_b32 v5, v2 :: v_dual_add_nc_u32 v2, 2, v0
	v_mov_b32_e32 v17, v3
	global_inv scope:SCOPE_SE
	s_load_b32 s5, s[8:9], 0xc
	v_lshlrev_b64_e32 v[6:7], 1, v[4:5]
	s_movk_i32 s4, 0x3e0
	v_lshlrev_b64_e32 v[4:5], 3, v[4:5]
	s_wait_alu 0xfffe
	v_and_or_b32 v45, v0, s4, 0xc00
	s_mov_b32 s53, 0
	v_cmp_lt_u64_e64 s33, 0x600, s[28:29]
	v_add_co_u32 v14, vcc_lo, s56, v6
	s_wait_alu 0xfffd
	v_add_co_ci_u32_e64 v15, null, s57, v7, vcc_lo
	v_cmp_gt_u64_e32 vcc_lo, s[28:29], v[2:3]
	s_mov_b32 s49, s53
	v_cmp_gt_u32_e64 s0, 2, v0
	v_cmp_eq_u32_e64 s1, 0, v41
	v_lshl_or_b32 v48, v41, 3, 0xc00
	v_mov_b32_e32 v50, 0x8000
	s_wait_alu 0xfffd
	v_cndmask_b32_e64 v2, v2, s28, vcc_lo
	v_cndmask_b32_e64 v9, 0, s29, vcc_lo
	v_mov_b32_e32 v52, 0
	s_wait_kmcnt 0x0
	s_and_b32 s48, s5, 0xffff
	s_bfe_u32 s7, s5, 0xb0005
	v_add_co_u32 v8, vcc_lo, v2, v8
	s_wait_alu 0xfffd
	v_add_co_ci_u32_e64 v9, null, -1, v9, vcc_lo
	s_cmp_gt_u32 s48, 31
	v_and_b32_e32 v18, -2, v8
	s_cselect_b32 s85, -1, 0
	s_cmp_lt_u32 ttmp9, s6
	v_dual_mov_b32 v19, v9 :: v_dual_lshlrev_b32 v16, 2, v0
	s_delay_alu instid0(VALU_DEP_2)
	v_add_co_u32 v20, vcc_lo, v18, v0
	s_wait_alu 0xfffd
	v_add_co_ci_u32_e64 v2, null, 0, v9, vcc_lo
	v_dual_mov_b32 v51, 0 :: v_dual_lshlrev_b32 v2, 3, v0
	s_cselect_b32 s52, 12, 18
	s_add_co_i32 s5, s7, -1
	s_bfe_u32 s88, s48, 0x30005
	s_delay_alu instid0(VALU_DEP_1)
	v_or_b32_e32 v10, 6, v2
	v_or_b32_e32 v12, 4, v2
	;; [unrolled: 1-line block ×3, first 2 shown]
	s_wait_alu 0xfffe
	s_and_b32 s5, s5, 0xffff
	v_cmp_lt_u64_e64 s4, 1, v[8:9]
	v_mad_co_u64_u32 v[21:22], null, s30, v10, s[10:11]
	v_add_nc_u32_e32 v43, 0xc00, v42
	v_mad_co_u64_u32 v[23:24], null, s30, v12, s[10:11]
	v_mad_co_u64_u32 v[25:26], null, s30, v13, s[10:11]
	s_wait_alu 0xfffe
	s_cmp_gt_u32 s5, 6
	s_delay_alu instid0(VALU_DEP_4)
	v_mov_b32_e32 v2, v22
	v_cmp_ne_u64_e64 s5, v[8:9], v[18:19]
	s_cselect_b32 s89, -1, 0
	v_dual_mov_b32 v8, v24 :: v_dual_lshlrev_b32 v47, 3, v0
	v_mad_co_u64_u32 v[10:11], null, s31, v10, v[2:3]
	v_mov_b32_e32 v9, v26
	s_and_b32 s90, s7, 0x7f8
	s_add_nc_u64 s[6:7], s[14:15], s[50:51]
	s_cmp_lg_u32 s88, 0
	s_add_nc_u64 s[62:63], s[12:13], s[6:7]
	v_mad_co_u64_u32 v[11:12], null, s31, v12, v[8:9]
	s_delay_alu instid0(VALU_DEP_3)
	v_mad_co_u64_u32 v[8:9], null, s31, v13, v[9:10]
	s_add_nc_u64 s[6:7], s[12:13], s[50:51]
	s_cselect_b32 s91, -1, 0
	s_lshl_b64 s[64:65], s[30:31], 1
	v_add_co_u32 v27, vcc_lo, s10, v4
	s_add_nc_u64 s[6:7], s[6:7], s[14:15]
	v_mul_lo_u32 v49, 0, s64
	s_wait_alu 0xfffd
	v_add_co_ci_u32_e64 v28, null, s11, v5, vcc_lo
	v_add_co_u32 v12, vcc_lo, s6, v6
	v_mov_b32_e32 v22, v10
	v_mov_b32_e32 v24, v11
	;; [unrolled: 1-line block ×3, first 2 shown]
	s_wait_alu 0xfffd
	v_add_co_ci_u32_e64 v13, null, s7, v7, vcc_lo
	v_mov_b32_e32 v46, 0
	s_add_nc_u64 s[58:59], s[48:49], -1
	s_mul_u64 s[10:11], s[30:31], s[48:49]
	s_add_nc_u64 s[60:61], s[58:59], s[28:29]
	s_mov_b32 s86, s30
	s_mov_b32 s87, s31
	s_lshl_b64 s[66:67], s[30:31], 3
	s_lshl_b32 s92, s48, 1
	s_wait_alu 0xfffe
	s_lshl_b64 s[54:55], s[10:11], 1
	s_mov_b32 s95, 14
	s_mov_b32 s93, 0x4f800000
	s_movk_i32 s94, 0x3c00
	s_add_nc_u64 s[68:69], s[8:9], s[52:53]
	s_mov_b32 s96, 0
	s_mov_b32 s97, 0
                                        ; implicit-def: $sgpr101
                                        ; implicit-def: $sgpr103
                                        ; implicit-def: $sgpr98
                                        ; implicit-def: $sgpr100
                                        ; implicit-def: $sgpr102
                                        ; implicit-def: $sgpr99
	s_branch .LBB135_45
.LBB135_42:                             ;   in Loop: Header=BB135_45 Depth=1
	s_wait_alu 0xfffe
	s_or_b32 exec_lo, exec_lo, s9
	s_delay_alu instid0(SALU_CYCLE_1)
	s_and_b32 s7, s7, exec_lo
	s_and_not1_b32 s22, s22, exec_lo
	s_and_not1_b32 s21, s21, exec_lo
	s_or_not1_b32 s18, s8, exec_lo
.LBB135_43:                             ;   in Loop: Header=BB135_45 Depth=1
	s_wait_alu 0xfffe
	s_or_b32 exec_lo, exec_lo, s6
	s_delay_alu instid0(SALU_CYCLE_1)
	s_and_not1_b32 s6, s99, exec_lo
	s_and_b32 s7, s7, exec_lo
	s_and_not1_b32 s8, s100, exec_lo
	s_wait_alu 0xfffe
	s_or_b32 s99, s6, s7
	s_and_not1_b32 s6, s102, exec_lo
	s_and_b32 s7, s22, exec_lo
	s_and_b32 s9, s21, exec_lo
	s_wait_alu 0xfffe
	s_or_b32 s102, s6, s7
	s_or_b32 s100, s8, s9
	s_or_not1_b32 s18, s18, exec_lo
.LBB135_44:                             ;   in Loop: Header=BB135_45 Depth=1
	s_wait_alu 0xfffe
	s_or_b32 exec_lo, exec_lo, s17
	s_delay_alu instid0(SALU_CYCLE_1)
	s_and_b32 s6, exec_lo, s18
	v_dual_mov_b32 v30, v9 :: v_dual_mov_b32 v29, v8
	s_wait_alu 0xfffe
	s_or_b32 s96, s6, s96
	s_and_not1_b32 s6, s98, exec_lo
	s_and_b32 s7, s99, exec_lo
	s_and_not1_b32 s8, s103, exec_lo
	s_wait_alu 0xfffe
	s_or_b32 s98, s6, s7
	s_and_b32 s6, s102, exec_lo
	s_and_not1_b32 s7, s101, exec_lo
	s_and_b32 s9, s100, exec_lo
	s_wait_alu 0xfffe
	s_or_b32 s103, s8, s6
	s_or_b32 s101, s7, s9
	s_and_not1_b32 exec_lo, exec_lo, s96
	s_cbranch_execz .LBB135_315
.LBB135_45:                             ; =>This Loop Header: Depth=1
                                        ;     Child Loop BB135_50 Depth 2
                                        ;     Child Loop BB135_64 Depth 2
	;; [unrolled: 1-line block ×17, first 2 shown]
	ds_load_b128 v[4:7], v3 offset:5120
	s_wait_dscnt 0x0
	v_readfirstlane_b32 s71, v5
	v_readfirstlane_b32 s70, v4
	s_cmp_lg_u64 s[70:71], 0
	s_cbranch_scc1 .LBB135_77
; %bb.46:                               ;   in Loop: Header=BB135_45 Depth=1
	s_and_b32 vcc_lo, exec_lo, s33
	s_wait_alu 0xfffe
	s_cbranch_vccz .LBB135_58
; %bb.47:                               ;   in Loop: Header=BB135_45 Depth=1
	v_cmp_gt_u64_e32 vcc_lo, 0x601, v[6:7]
	s_mov_b32 s8, 0
	s_mov_b32 s6, 0
	s_cbranch_vccz .LBB135_59
; %bb.48:                               ;   in Loop: Header=BB135_45 Depth=1
	global_load_u16 v2, v3, s[68:69]
	global_load_u16 v8, v[14:15], off
	s_mov_b32 s9, 0
	s_wait_loadcnt 0x1
	v_and_b32_e32 v2, 0xffff, v2
	s_delay_alu instid0(VALU_DEP_1) | instskip(SKIP_2) | instid1(VALU_DEP_3)
	v_add_nc_u32_e32 v6, v0, v2
	v_mul_lo_u32 v7, v2, s65
	v_mul_hi_u32 v10, v2, s64
	v_mad_co_u64_u32 v[4:5], null, s64, v6, s[62:63]
	s_delay_alu instid0(VALU_DEP_1) | instskip(NEXT) | instid1(VALU_DEP_4)
	v_mad_co_u64_u32 v[5:6], null, s65, v6, v[5:6]
	v_add_nc_u32_e32 v6, v7, v49
	s_delay_alu instid0(VALU_DEP_1)
	v_dual_mov_b32 v7, v1 :: v_dual_add_nc_u32 v10, v6, v10
	v_mul_lo_u32 v9, v2, s64
	v_mov_b32_e32 v6, v0
	s_branch .LBB135_50
.LBB135_49:                             ;   in Loop: Header=BB135_50 Depth=2
	s_wait_alu 0xfffe
	s_or_b32 exec_lo, exec_lo, s7
	v_add_co_u32 v4, vcc_lo, v4, v9
	s_wait_alu 0xfffd
	v_add_co_ci_u32_e64 v5, null, v5, v10, vcc_lo
	v_mov_b32_e32 v8, v11
	s_and_not1_b32 exec_lo, exec_lo, s9
	s_cbranch_execz .LBB135_177
.LBB135_50:                             ;   Parent Loop BB135_45 Depth=1
                                        ; =>  This Inner Loop Header: Depth=2
	s_delay_alu instid0(VALU_DEP_1)
	v_add_co_u32 v6, vcc_lo, v6, v2
	s_wait_alu 0xfffd
	v_add_co_ci_u32_e64 v7, null, 0, v7, vcc_lo
	s_wait_dscnt 0x0
	v_mov_b32_e32 v31, 0
	v_mov_b32_e32 v11, 0
	s_mov_b32 s7, exec_lo
	v_cmp_le_u64_e32 vcc_lo, s[28:29], v[6:7]
	v_cmpx_gt_u64_e64 s[28:29], v[6:7]
	s_cbranch_execz .LBB135_52
; %bb.51:                               ;   in Loop: Header=BB135_50 Depth=2
	global_load_u16 v11, v[4:5], off
.LBB135_52:                             ;   in Loop: Header=BB135_50 Depth=2
	s_wait_alu 0xfffe
	s_or_b32 exec_lo, exec_lo, s7
	s_wait_loadcnt 0x0
	v_cmp_lt_i16_e64 s6, -1, v8
	v_and_b32_e32 v32, 0xffff, v8
	s_wait_alu 0xf1ff
	s_delay_alu instid0(VALU_DEP_2) | instskip(SKIP_1) | instid1(VALU_DEP_2)
	v_cndmask_b32_e64 v33, 0xffff, v50, s6
	v_cmp_o_f16_e64 s6, v8, v8
	v_xor_b32_e32 v32, v33, v32
	s_wait_alu 0xf1ff
	s_delay_alu instid0(VALU_DEP_1) | instskip(NEXT) | instid1(VALU_DEP_1)
	v_cndmask_b32_e64 v32, 0xffff, v32, s6
	v_and_b32_e32 v32, v32, v51
	s_delay_alu instid0(VALU_DEP_1)
	v_cmp_eq_u32_e64 s6, v32, v46
	s_cmp_lg_u32 s6, 0
	s_cselect_b32 s7, -1, 0
	s_wait_alu 0xfffe
	s_and_b32 s7, s1, s7
	s_wait_alu 0xfffe
	s_and_saveexec_b32 s10, s7
	s_cbranch_execz .LBB135_56
; %bb.53:                               ;   in Loop: Header=BB135_50 Depth=2
	s_mov_b32 s13, exec_lo
	s_bcnt1_i32_b32 s11, s6
	s_wait_alu 0xfffe
	v_mbcnt_lo_u32_b32 v31, s13, 0
	s_mov_b32 s12, exec_lo
                                        ; implicit-def: $vgpr32
	s_delay_alu instid0(VALU_DEP_1)
	v_cmpx_eq_u32_e32 0, v31
; %bb.54:                               ;   in Loop: Header=BB135_50 Depth=2
	s_bcnt1_i32_b32 s7, s13
	s_wait_alu 0xfffe
	s_mul_i32 s7, s11, s7
	s_wait_alu 0xfffe
	v_mov_b32_e32 v32, s7
	ds_add_rtn_u32 v32, v3, v32 offset:5144
; %bb.55:                               ;   in Loop: Header=BB135_50 Depth=2
	s_or_b32 exec_lo, exec_lo, s12
	s_wait_dscnt 0x0
	v_readfirstlane_b32 s7, v32
	s_wait_alu 0xf1ff
	s_delay_alu instid0(VALU_DEP_1)
	v_mad_u32_u24 v31, s11, v31, s7
.LBB135_56:                             ;   in Loop: Header=BB135_50 Depth=2
	s_wait_alu 0xfffe
	s_or_b32 exec_lo, exec_lo, s10
	ds_bpermute_b32 v31, v3, v31
	s_and_b32 s7, exec_lo, vcc_lo
	s_wait_alu 0xfffe
	s_or_b32 s9, s7, s9
	s_and_saveexec_b32 s7, s6
	s_cbranch_execz .LBB135_49
; %bb.57:                               ;   in Loop: Header=BB135_50 Depth=2
	v_and_b32_e32 v32, s6, v44
	s_delay_alu instid0(VALU_DEP_1) | instskip(NEXT) | instid1(VALU_DEP_1)
	v_bcnt_u32_b32 v32, v32, 0
	v_lshlrev_b32_e32 v32, 1, v32
	s_wait_dscnt 0x0
	s_delay_alu instid0(VALU_DEP_1)
	v_lshl_add_u32 v31, v31, 1, v32
	ds_store_b16 v31, v8
	s_branch .LBB135_49
.LBB135_58:                             ;   in Loop: Header=BB135_45 Depth=1
	s_mov_b32 s8, -1
	s_mov_b32 s6, 0
.LBB135_59:                             ;   in Loop: Header=BB135_45 Depth=1
	s_wait_alu 0xfffe
	s_and_b32 vcc_lo, exec_lo, s8
	s_wait_alu 0xfffe
	s_cbranch_vccz .LBB135_75
.LBB135_60:                             ;   in Loop: Header=BB135_45 Depth=1
	s_and_saveexec_b32 s7, s2
	s_cbranch_execz .LBB135_72
; %bb.61:                               ;   in Loop: Header=BB135_45 Depth=1
	global_load_u16 v4, v3, s[68:69]
	global_load_u16 v31, v[14:15], off
	v_mov_b32_e32 v6, v0
	s_mov_b32 s12, exec_lo
	s_wait_loadcnt 0x1
	v_and_b32_e32 v2, 0xffff, v4
	v_readfirstlane_b32 s6, v4
	s_delay_alu instid0(VALU_DEP_2) | instskip(NEXT) | instid1(VALU_DEP_1)
	v_add_nc_u32_e32 v2, v2, v0
	v_cmpx_gt_u64_e64 s[28:29], v[2:3]
	s_cbranch_execz .LBB135_71
; %bb.62:                               ;   in Loop: Header=BB135_45 Depth=1
	s_and_b32 s52, s6, 0xffff
	v_dual_mov_b32 v9, v1 :: v_dual_mov_b32 v8, v0
	s_wait_alu 0xfffe
	s_cmp_eq_u32 s52, 1
	v_dual_mov_b32 v5, v3 :: v_dual_mov_b32 v4, v2
	s_cselect_b32 s6, -1, 0
                                        ; implicit-def: $vgpr6_vgpr7
	s_wait_alu 0xfffe
	s_and_b32 s9, s4, s6
	s_mov_b32 s6, -1
	s_wait_alu 0xfffe
	s_and_saveexec_b32 s8, s9
	s_cbranch_execz .LBB135_66
; %bb.63:                               ;   in Loop: Header=BB135_45 Depth=1
	v_add_co_u32 v4, s6, v2, 1
	s_wait_alu 0xf1ff
	v_add_co_ci_u32_e64 v5, null, 0, 0, s6
	s_wait_loadcnt 0x0
	v_dual_mov_b32 v8, v18 :: v_dual_lshlrev_b32 v11, 16, v31
	v_dual_mov_b32 v9, v19 :: v_dual_mov_b32 v10, v42
	s_delay_alu instid0(VALU_DEP_3)
	v_mov_b32_e32 v7, v5
	v_dual_mov_b32 v6, v4 :: v_dual_mov_b32 v5, v3
	v_mov_b32_e32 v4, v2
	s_mov_b32 s9, 0
.LBB135_64:                             ;   Parent Loop BB135_45 Depth=1
                                        ; =>  This Inner Loop Header: Depth=2
	s_delay_alu instid0(VALU_DEP_2) | instskip(NEXT) | instid1(VALU_DEP_2)
	v_mul_lo_u32 v35, v5, s30
	v_mul_lo_u32 v36, v4, s31
	v_mad_co_u64_u32 v[31:32], null, v4, s30, 0
	v_mul_lo_u32 v37, v7, s86
	v_mul_lo_u32 v38, v6, s87
	v_mad_co_u64_u32 v[33:34], null, v6, s86, 0
	s_delay_alu instid0(VALU_DEP_4) | instskip(NEXT) | instid1(VALU_DEP_2)
	v_add3_u32 v32, v32, v36, v35
	v_add3_u32 v34, v34, v38, v37
	s_delay_alu instid0(VALU_DEP_2) | instskip(NEXT) | instid1(VALU_DEP_2)
	v_lshlrev_b64_e32 v[31:32], 1, v[31:32]
	v_lshlrev_b64_e32 v[33:34], 1, v[33:34]
	s_delay_alu instid0(VALU_DEP_2) | instskip(SKIP_1) | instid1(VALU_DEP_3)
	v_add_co_u32 v31, vcc_lo, s56, v31
	s_wait_alu 0xfffd
	v_add_co_ci_u32_e64 v32, null, s57, v32, vcc_lo
	s_delay_alu instid0(VALU_DEP_3)
	v_add_co_u32 v33, vcc_lo, s56, v33
	s_wait_alu 0xfffd
	v_add_co_ci_u32_e64 v34, null, s57, v34, vcc_lo
	s_clause 0x1
	global_load_u16 v32, v[31:32], off
	global_load_u16 v31, v[33:34], off
	v_add_co_u32 v8, vcc_lo, v8, -2
	s_wait_alu 0xfffd
	v_add_co_ci_u32_e64 v9, null, -1, v9, vcc_lo
	v_add_co_u32 v6, vcc_lo, v6, 2
	s_wait_alu 0xfffd
	v_add_co_ci_u32_e64 v7, null, 0, v7, vcc_lo
	s_delay_alu instid0(VALU_DEP_3) | instskip(SKIP_4) | instid1(VALU_DEP_3)
	v_cmp_eq_u64_e64 s6, 0, v[8:9]
	v_add_co_u32 v4, vcc_lo, v4, 2
	s_wait_alu 0xfffd
	v_add_co_ci_u32_e64 v5, null, 0, v5, vcc_lo
	s_wait_alu 0xfffe
	s_or_b32 s9, s6, s9
	s_wait_loadcnt 0x1
	v_alignbit_b32 v11, v32, v11, 16
	s_wait_loadcnt 0x0
	v_perm_b32 v32, v31, v32, 0x5040100
	ds_store_b32 v10, v11
	v_dual_mov_b32 v11, v32 :: v_dual_add_nc_u32 v10, 4, v10
	s_wait_alu 0xfffe
	s_and_not1_b32 exec_lo, exec_lo, s9
	s_cbranch_execnz .LBB135_64
; %bb.65:                               ;   in Loop: Header=BB135_45 Depth=1
	s_or_b32 exec_lo, exec_lo, s9
	v_add_co_u32 v4, vcc_lo, v2, v18
	s_wait_alu 0xfffd
	v_add_co_ci_u32_e64 v5, null, 0, v19, vcc_lo
	v_dual_mov_b32 v8, v20 :: v_dual_mov_b32 v9, v21
	s_delay_alu instid0(VALU_DEP_3)
	v_add_co_u32 v6, vcc_lo, v4, -1
	s_or_not1_b32 s6, s5, exec_lo
	s_wait_alu 0xfffd
	v_add_co_ci_u32_e64 v2, null, -1, v5, vcc_lo
.LBB135_66:                             ;   in Loop: Header=BB135_45 Depth=1
	s_wait_alu 0xfffe
	s_or_b32 exec_lo, exec_lo, s8
	s_and_saveexec_b32 s13, s6
	s_cbranch_execz .LBB135_70
; %bb.67:                               ;   in Loop: Header=BB135_45 Depth=1
	v_mad_co_u64_u32 v[10:11], null, s64, v4, s[62:63]
	v_mul_lo_u32 v2, s64, v5
	v_mul_lo_u32 v6, s65, v4
	s_sub_nc_u64 s[8:9], 0, s[52:53]
	s_mul_u64 s[10:11], s[64:65], s[52:53]
	s_mov_b32 s14, 0
	s_delay_alu instid0(VALU_DEP_1)
	v_add3_u32 v11, v6, v11, v2
.LBB135_68:                             ;   Parent Loop BB135_45 Depth=1
                                        ; =>  This Inner Loop Header: Depth=2
	s_wait_loadcnt 0x0
	v_dual_mov_b32 v2, v31 :: v_dual_mov_b32 v33, v5
	global_load_u16 v31, v[10:11], off
	v_dual_mov_b32 v32, v4 :: v_dual_lshlrev_b32 v7, 1, v8
	s_delay_alu instid0(VALU_DEP_1)
	v_add_co_u32 v4, vcc_lo, v32, s52
	s_wait_alu 0xfffd
	v_add_co_ci_u32_e64 v5, null, 0, v33, vcc_lo
	s_wait_alu 0xfffe
	v_add_co_u32 v10, vcc_lo, v10, s10
	s_wait_alu 0xfffd
	v_add_co_ci_u32_e64 v11, null, s11, v11, vcc_lo
	v_cmp_le_u64_e32 vcc_lo, s[28:29], v[4:5]
	v_add_co_u32 v6, s6, s8, v4
	s_wait_alu 0xf1ff
	v_add_co_ci_u32_e64 v8, null, s9, v5, s6
	v_dual_mov_b32 v8, v32 :: v_dual_mov_b32 v9, v33
	s_or_b32 s14, vcc_lo, s14
	ds_store_b16 v7, v2
	s_wait_alu 0xfffe
	s_and_not1_b32 exec_lo, exec_lo, s14
	s_cbranch_execnz .LBB135_68
; %bb.69:                               ;   in Loop: Header=BB135_45 Depth=1
	s_or_b32 exec_lo, exec_lo, s14
.LBB135_70:                             ;   in Loop: Header=BB135_45 Depth=1
	s_wait_alu 0xfffe
	s_or_b32 exec_lo, exec_lo, s13
.LBB135_71:                             ;   in Loop: Header=BB135_45 Depth=1
	s_wait_alu 0xfffe
	s_or_b32 exec_lo, exec_lo, s12
	v_lshlrev_b32_e32 v2, 1, v6
	s_wait_loadcnt 0x0
	ds_store_b16 v2, v31
.LBB135_72:                             ;   in Loop: Header=BB135_45 Depth=1
	s_wait_alu 0xfffe
	s_or_b32 exec_lo, exec_lo, s7
	s_wait_loadcnt_dscnt 0x0
	s_barrier_signal -1
	s_barrier_wait -1
	global_inv scope:SCOPE_SE
	s_and_saveexec_b32 s6, s3
; %bb.73:                               ;   in Loop: Header=BB135_45 Depth=1
	v_dual_mov_b32 v4, s28 :: v_dual_mov_b32 v5, s29
	ds_store_b64 v3, v[4:5] offset:5120
; %bb.74:                               ;   in Loop: Header=BB135_45 Depth=1
	s_wait_alu 0xfffe
	s_or_b32 exec_lo, exec_lo, s6
	s_mov_b32 s6, -1
	s_wait_loadcnt_dscnt 0x0
	s_barrier_signal -1
	s_barrier_wait -1
.LBB135_75:                             ;   in Loop: Header=BB135_45 Depth=1
	s_wait_alu 0xfffe
	s_and_b32 vcc_lo, exec_lo, s6
	s_mov_b64 s[70:71], 0
	s_wait_alu 0xfffe
	s_cbranch_vccz .LBB135_77
; %bb.76:                               ;   in Loop: Header=BB135_45 Depth=1
	s_wait_loadcnt 0x0
	global_inv scope:SCOPE_SE
	ds_load_b64 v[4:5], v3 offset:5120
	s_wait_dscnt 0x0
	v_readfirstlane_b32 s70, v4
.LBB135_77:                             ;   in Loop: Header=BB135_45 Depth=1
	s_delay_alu instid0(VALU_DEP_1)
	s_cmp_lt_i32 s70, 1
	s_mov_b32 s6, -1
                                        ; implicit-def: $vgpr4_vgpr5
                                        ; implicit-def: $vgpr8_vgpr9
	s_cbranch_scc1 .LBB135_87
; %bb.78:                               ;   in Loop: Header=BB135_45 Depth=1
	s_wait_alu 0xfffe
	s_and_b32 vcc_lo, exec_lo, s6
	s_wait_alu 0xfffe
	s_cbranch_vccnz .LBB135_101
.LBB135_79:                             ;   in Loop: Header=BB135_45 Depth=1
	s_lshl_b32 s6, s97, 7
	s_and_saveexec_b32 s7, s1
	s_cbranch_execz .LBB135_81
.LBB135_80:                             ;   in Loop: Header=BB135_45 Depth=1
	s_wait_alu 0xfffe
	v_lshl_add_u32 v2, s6, 3, v45
	ds_store_b128 v2, v[4:7]
	ds_store_b128 v2, v[8:11] offset:16
.LBB135_81:                             ;   in Loop: Header=BB135_45 Depth=1
	s_wait_alu 0xfffe
	s_or_b32 exec_lo, exec_lo, s7
	s_wait_loadcnt_dscnt 0x0
	s_barrier_signal -1
	s_barrier_wait -1
	global_inv scope:SCOPE_SE
	s_and_saveexec_b32 s7, s84
	s_cbranch_execz .LBB135_115
; %bb.82:                               ;   in Loop: Header=BB135_45 Depth=1
	v_mov_b32_e32 v4, 0
	v_mov_b32_e32 v5, 0
	s_and_not1_b32 vcc_lo, exec_lo, s85
	s_wait_alu 0xfffe
	s_cbranch_vccnz .LBB135_114
; %bb.83:                               ;   in Loop: Header=BB135_45 Depth=1
	v_mov_b32_e32 v4, 0
	v_mov_b32_e32 v5, 0
	s_and_not1_b32 vcc_lo, exec_lo, s89
	s_wait_alu 0xfffe
	s_cbranch_vccnz .LBB135_111
; %bb.84:                               ;   in Loop: Header=BB135_45 Depth=1
	v_lshl_add_u32 v2, s97, 10, v48
	s_mov_b32 s8, 0
.LBB135_85:                             ;   Parent Loop BB135_45 Depth=1
                                        ; =>  This Inner Loop Header: Depth=2
	ds_load_2addr_b64 v[6:9], v2 offset1:4
	ds_load_2addr_b64 v[31:34], v2 offset0:8 offset1:12
	ds_load_2addr_b64 v[35:38], v2 offset0:16 offset1:20
	s_wait_alu 0xfffe
	s_add_co_i32 s8, s8, 8
	s_wait_alu 0xfffe
	s_cmp_eq_u32 s90, s8
	s_wait_dscnt 0x2
	v_add_co_u32 v4, vcc_lo, v6, v4
	s_wait_alu 0xfffd
	v_add_co_ci_u32_e64 v5, null, v7, v5, vcc_lo
	s_delay_alu instid0(VALU_DEP_2) | instskip(SKIP_1) | instid1(VALU_DEP_2)
	v_add_co_u32 v8, vcc_lo, v8, v4
	s_wait_alu 0xfffd
	v_add_co_ci_u32_e64 v9, null, v9, v5, vcc_lo
	ds_load_2addr_b64 v[4:7], v2 offset0:24 offset1:28
	s_wait_dscnt 0x2
	v_add_co_u32 v8, vcc_lo, v31, v8
	s_wait_alu 0xfffd
	v_add_co_ci_u32_e64 v9, null, v32, v9, vcc_lo
	v_add_nc_u32_e32 v2, 0x100, v2
	s_delay_alu instid0(VALU_DEP_3) | instskip(SKIP_1) | instid1(VALU_DEP_3)
	v_add_co_u32 v8, vcc_lo, v33, v8
	s_wait_alu 0xfffd
	v_add_co_ci_u32_e64 v9, null, v34, v9, vcc_lo
	s_wait_dscnt 0x1
	s_delay_alu instid0(VALU_DEP_2) | instskip(SKIP_1) | instid1(VALU_DEP_2)
	v_add_co_u32 v8, vcc_lo, v35, v8
	s_wait_alu 0xfffd
	v_add_co_ci_u32_e64 v9, null, v36, v9, vcc_lo
	s_delay_alu instid0(VALU_DEP_2) | instskip(SKIP_1) | instid1(VALU_DEP_2)
	v_add_co_u32 v8, vcc_lo, v37, v8
	s_wait_alu 0xfffd
	v_add_co_ci_u32_e64 v9, null, v38, v9, vcc_lo
	s_wait_dscnt 0x0
	s_delay_alu instid0(VALU_DEP_2) | instskip(SKIP_1) | instid1(VALU_DEP_2)
	v_add_co_u32 v4, vcc_lo, v4, v8
	s_wait_alu 0xfffd
	v_add_co_ci_u32_e64 v5, null, v5, v9, vcc_lo
	s_delay_alu instid0(VALU_DEP_2) | instskip(SKIP_1) | instid1(VALU_DEP_2)
	v_add_co_u32 v4, vcc_lo, v6, v4
	s_wait_alu 0xfffd
	v_add_co_ci_u32_e64 v5, null, v7, v5, vcc_lo
	s_cbranch_scc0 .LBB135_85
; %bb.86:                               ;   in Loop: Header=BB135_45 Depth=1
	s_mov_b32 s8, s90
	s_and_not1_b32 vcc_lo, exec_lo, s91
	s_wait_alu 0xfffe
	s_cbranch_vccz .LBB135_112
	s_branch .LBB135_114
.LBB135_87:                             ;   in Loop: Header=BB135_45 Depth=1
	global_load_u16 v2, v3, s[68:69]
	s_mov_b32 s7, s29
	s_wait_loadcnt 0x0
	v_readfirstlane_b32 s6, v2
	s_wait_alu 0xfffe
	s_and_b32 s8, 0xffff, s6
	s_mov_b32 s6, s53
	s_wait_alu 0xfffe
	s_lshl_b32 s72, s8, 2
	s_cmp_lg_u64 s[6:7], 0
	s_cbranch_scc0 .LBB135_110
; %bb.88:                               ;   in Loop: Header=BB135_45 Depth=1
	s_wait_alu 0xfffe
	s_cvt_f32_u32 s6, s72
	s_mov_b32 s73, s53
	s_wait_alu 0xfffe
	s_sub_nc_u64 s[8:9], 0, s[72:73]
	s_fmamk_f32 s6, s93, 0x0, s6
	s_wait_alu 0xfffe
	s_delay_alu instid0(SALU_CYCLE_2) | instskip(NEXT) | instid1(TRANS32_DEP_1)
	v_s_rcp_f32 s6, s6
	s_mul_f32 s6, s6, 0x5f7ffffc
	s_wait_alu 0xfffe
	s_delay_alu instid0(SALU_CYCLE_2) | instskip(SKIP_1) | instid1(SALU_CYCLE_2)
	s_mul_f32 s7, s6, 0x2f800000
	s_wait_alu 0xfffe
	s_trunc_f32 s7, s7
	s_wait_alu 0xfffe
	s_delay_alu instid0(SALU_CYCLE_2) | instskip(SKIP_2) | instid1(SALU_CYCLE_1)
	s_fmamk_f32 s6, s7, 0xcf800000, s6
	s_cvt_u32_f32 s7, s7
	s_wait_alu 0xfffe
	s_cvt_u32_f32 s6, s6
	s_wait_alu 0xfffe
	s_delay_alu instid0(SALU_CYCLE_2)
	s_mul_u64 s[10:11], s[8:9], s[6:7]
	s_wait_alu 0xfffe
	s_mul_hi_u32 s13, s6, s11
	s_mul_i32 s12, s6, s11
	s_mul_hi_u32 s52, s6, s10
	s_mul_i32 s15, s7, s10
	s_wait_alu 0xfffe
	s_add_nc_u64 s[12:13], s[52:53], s[12:13]
	s_mul_hi_u32 s14, s7, s10
	s_mul_hi_u32 s16, s7, s11
	s_mul_i32 s10, s7, s11
	s_wait_alu 0xfffe
	s_add_co_u32 s11, s12, s15
	s_add_co_ci_u32 s52, s13, s14
	s_add_co_ci_u32 s11, s16, 0
	s_wait_alu 0xfffe
	s_add_nc_u64 s[10:11], s[52:53], s[10:11]
	s_wait_alu 0xfffe
	s_add_co_u32 s6, s6, s10
	s_cselect_b32 s10, -1, 0
	s_wait_alu 0xfffe
	s_cmp_lg_u32 s10, 0
	s_add_co_ci_u32 s7, s7, s11
	s_wait_alu 0xfffe
	s_mul_u64 s[8:9], s[8:9], s[6:7]
	s_wait_alu 0xfffe
	s_mul_hi_u32 s11, s6, s9
	s_mul_i32 s10, s6, s9
	s_mul_hi_u32 s52, s6, s8
	s_mul_i32 s13, s7, s8
	s_wait_alu 0xfffe
	s_add_nc_u64 s[10:11], s[52:53], s[10:11]
	s_mul_hi_u32 s12, s7, s8
	s_mul_hi_u32 s14, s7, s9
	s_mul_i32 s8, s7, s9
	s_wait_alu 0xfffe
	s_add_co_u32 s9, s10, s13
	s_add_co_ci_u32 s52, s11, s12
	s_add_co_ci_u32 s9, s14, 0
	s_wait_alu 0xfffe
	s_add_nc_u64 s[8:9], s[52:53], s[8:9]
	s_wait_alu 0xfffe
	s_add_co_u32 s6, s6, s8
	s_cselect_b32 s8, -1, 0
	s_wait_alu 0xfffe
	s_mul_hi_u32 s52, s28, s6
	s_cmp_lg_u32 s8, 0
	s_mul_hi_u32 s10, s29, s6
	s_add_co_ci_u32 s8, s7, s9
	s_mul_i32 s9, s29, s6
	s_wait_alu 0xfffe
	s_mul_hi_u32 s7, s28, s8
	s_mul_i32 s6, s28, s8
	s_mul_hi_u32 s11, s29, s8
	s_wait_alu 0xfffe
	s_add_nc_u64 s[6:7], s[52:53], s[6:7]
	s_mul_i32 s8, s29, s8
	s_wait_alu 0xfffe
	s_add_co_u32 s6, s6, s9
	s_add_co_ci_u32 s52, s7, s10
	s_add_co_ci_u32 s9, s11, 0
	s_wait_alu 0xfffe
	s_add_nc_u64 s[6:7], s[52:53], s[8:9]
	s_wait_alu 0xfffe
	s_mul_u64 s[6:7], s[72:73], s[6:7]
	s_wait_alu 0xfffe
	s_sub_co_u32 s6, s28, s6
	s_cselect_b32 s8, -1, 0
	s_wait_alu 0xfffe
	s_cmp_lg_u32 s8, 0
	s_sub_co_ci_u32 s7, s29, s7
	s_sub_co_u32 s8, s6, s72
	s_cselect_b32 s9, -1, 0
	s_wait_alu 0xfffe
	s_cmp_lg_u32 s9, 0
	s_sub_co_ci_u32 s9, s7, 0
	;; [unrolled: 5-line block ×3, first 2 shown]
	s_cmp_ge_u32 s8, s72
	s_cselect_b32 s12, -1, 0
	s_cmp_eq_u32 s9, 0
	s_wait_alu 0xfffe
	s_cselect_b32 s12, s12, -1
	s_wait_alu 0xfffe
	s_cmp_lg_u32 s12, 0
	s_cselect_b32 s9, s11, s9
	s_cselect_b32 s8, s10, s8
	s_cmp_ge_u32 s6, s72
	s_cselect_b32 s10, -1, 0
	s_cmp_eq_u32 s7, 0
	s_wait_alu 0xfffe
	s_cselect_b32 s10, s10, -1
	s_wait_alu 0xfffe
	s_cmp_lg_u32 s10, 0
	s_cselect_b32 s7, s9, s7
	s_cselect_b32 s6, s8, s6
	s_cbranch_execnz .LBB135_90
.LBB135_89:                             ;   in Loop: Header=BB135_45 Depth=1
	s_wait_alu 0xfffe
	v_cvt_f32_u32_e32 v4, s72
	s_sub_co_i32 s7, 0, s72
	s_delay_alu instid0(VALU_DEP_1) | instskip(NEXT) | instid1(TRANS32_DEP_1)
	v_rcp_iflag_f32_e32 v4, v4
	v_mul_f32_e32 v4, 0x4f7ffffe, v4
	s_delay_alu instid0(VALU_DEP_1) | instskip(NEXT) | instid1(VALU_DEP_1)
	v_cvt_u32_f32_e32 v4, v4
	v_readfirstlane_b32 s6, v4
	s_wait_alu 0xfffe
	s_mul_i32 s7, s7, s6
	s_wait_alu 0xfffe
	s_mul_hi_u32 s7, s6, s7
	s_wait_alu 0xfffe
	s_add_co_i32 s6, s6, s7
	s_wait_alu 0xfffe
	s_mul_hi_u32 s6, s28, s6
	s_wait_alu 0xfffe
	s_mul_i32 s6, s6, s72
	s_wait_alu 0xfffe
	s_sub_co_i32 s6, s28, s6
	s_wait_alu 0xfffe
	s_sub_co_i32 s7, s6, s72
	s_cmp_ge_u32 s6, s72
	s_wait_alu 0xfffe
	s_cselect_b32 s6, s7, s6
	s_wait_alu 0xfffe
	s_sub_co_i32 s7, s6, s72
	s_cmp_ge_u32 s6, s72
	s_wait_alu 0xfffe
	s_cselect_b32 s52, s7, s6
	s_wait_alu 0xfffe
	s_mov_b64 s[6:7], s[52:53]
.LBB135_90:                             ;   in Loop: Header=BB135_45 Depth=1
	v_mov_b32_e32 v4, 0
	v_dual_mov_b32 v8, 0 :: v_dual_mov_b32 v5, 0
	v_dual_mov_b32 v6, 0 :: v_dual_mov_b32 v9, 0
	;; [unrolled: 1-line block ×3, first 2 shown]
	v_dual_mov_b32 v11, 0 :: v_dual_and_b32 v2, 0xffff, v2
	s_wait_alu 0xfffe
	s_sub_nc_u64 s[74:75], s[28:29], s[6:7]
	s_mov_b32 s71, exec_lo
	s_wait_alu 0xfffe
	v_cmpx_gt_u64_e64 s[74:75], v[16:17]
	s_cbranch_execz .LBB135_94
; %bb.91:                               ;   in Loop: Header=BB135_45 Depth=1
	v_mul_lo_u32 v4, v2, s67
	v_mul_lo_u32 v5, 0, s66
	v_mul_hi_u32 v6, v2, s66
	v_mul_lo_u32 v53, v2, s66
	v_mov_b32_e32 v32, v28
	v_mov_b32_e32 v34, v26
	;; [unrolled: 1-line block ×5, first 2 shown]
	v_dual_mov_b32 v31, v27 :: v_dual_add_nc_u32 v4, v4, v5
	v_mov_b32_e32 v33, v25
	v_mov_b32_e32 v35, v23
	s_delay_alu instid0(VALU_DEP_3)
	v_dual_mov_b32 v37, v21 :: v_dual_add_nc_u32 v54, v4, v6
	v_mov_b32_e32 v39, v16
	s_mov_b64 s[76:77], 0
	s_mov_b32 s73, 0
	s_mov_b64 s[78:79], 0
	s_mov_b64 s[80:81], 0
	;; [unrolled: 1-line block ×3, first 2 shown]
.LBB135_92:                             ;   Parent Loop BB135_45 Depth=1
                                        ; =>  This Inner Loop Header: Depth=2
	v_add_co_u32 v4, vcc_lo, v31, s50
	s_wait_alu 0xfffd
	v_add_co_ci_u32_e64 v5, null, s51, v32, vcc_lo
	v_add_co_u32 v6, vcc_lo, v33, s50
	s_wait_alu 0xfffd
	v_add_co_ci_u32_e64 v7, null, s51, v34, vcc_lo
	;; [unrolled: 3-line block ×4, first 2 shown]
	global_load_u16 v4, v[4:5], off
	global_load_u16 v5, v[6:7], off
	;; [unrolled: 1-line block ×4, first 2 shown]
	v_add_co_u32 v39, vcc_lo, v39, s72
	s_wait_alu 0xfffd
	v_add_co_ci_u32_e64 v40, null, 0, v40, vcc_lo
	v_add_co_u32 v37, vcc_lo, v37, v53
	s_wait_alu 0xfffd
	v_add_co_ci_u32_e64 v38, null, v38, v54, vcc_lo
	;; [unrolled: 3-line block ×5, first 2 shown]
	v_cmp_le_u64_e32 vcc_lo, s[74:75], v[39:40]
	s_wait_loadcnt 0x3
	v_cmp_lt_i16_e64 s6, -1, v4
	v_and_b32_e32 v8, 0xffff, v4
	s_wait_loadcnt 0x2
	v_and_b32_e32 v10, 0xffff, v5
	s_wait_loadcnt 0x1
	v_and_b32_e32 v55, 0xffff, v6
	v_cmp_o_f16_e64 s9, v4, v4
	s_wait_alu 0xf1ff
	v_cndmask_b32_e64 v9, 0xffff, v50, s6
	v_cmp_lt_i16_e64 s6, -1, v5
	s_wait_loadcnt 0x0
	v_and_b32_e32 v57, 0xffff, v7
	v_cmp_o_f16_e64 s7, v6, v6
	v_cmp_o_f16_e64 s8, v7, v7
	v_xor_b32_e32 v8, v9, v8
	s_wait_alu 0xf1ff
	v_cndmask_b32_e64 v11, 0xffff, v50, s6
	v_cmp_lt_i16_e64 s6, -1, v6
	s_delay_alu instid0(VALU_DEP_3) | instskip(NEXT) | instid1(VALU_DEP_3)
	v_cndmask_b32_e64 v4, 0xffff, v8, s9
	v_xor_b32_e32 v9, v11, v10
	s_wait_alu 0xf1ff
	s_delay_alu instid0(VALU_DEP_3) | instskip(SKIP_4) | instid1(VALU_DEP_3)
	v_cndmask_b32_e64 v56, 0xffff, v50, s6
	v_cmp_lt_i16_e64 s6, -1, v7
	v_and_b32_e32 v8, v4, v51
	v_bfe_u32 v4, v4, s95, 2
	s_wait_alu 0xf1ff
	v_cndmask_b32_e64 v58, 0xffff, v50, s6
	v_cmp_o_f16_e64 s6, v5, v5
	v_xor_b32_e32 v5, v56, v55
	v_cmp_eq_u32_e64 s10, 0, v4
	v_cmp_eq_u32_e64 s14, 1, v4
	v_xor_b32_e32 v6, v58, v57
	s_wait_alu 0xf1ff
	v_cndmask_b32_e64 v7, 0xffff, v9, s6
	v_cndmask_b32_e64 v5, 0xffff, v5, s7
	v_cmp_eq_u32_e64 s6, v8, v46
	v_cmp_eq_u32_e64 s18, 2, v4
	v_cndmask_b32_e64 v6, 0xffff, v6, s8
	v_and_b32_e32 v9, v7, v51
	v_bfe_u32 v7, v7, s95, 2
	v_and_b32_e32 v10, v5, v51
	v_bfe_u32 v5, v5, s95, 2
	;; [unrolled: 2-line block ×3, first 2 shown]
	v_cmp_eq_u32_e64 s7, v9, v46
	v_cmp_eq_u32_e64 s11, 0, v7
	;; [unrolled: 1-line block ×4, first 2 shown]
	s_and_b32 s10, s6, s10
	v_cmp_eq_u32_e64 s9, v11, v46
	v_cmp_eq_u32_e64 s13, 0, v6
	;; [unrolled: 1-line block ×3, first 2 shown]
	s_wait_alu 0xfffe
	v_cndmask_b32_e64 v4, 0, 1, s10
	s_and_b32 s10, s7, s11
	v_cmp_eq_u32_e64 s16, 1, v5
	v_cmp_eq_u32_e64 s20, 2, v5
	;; [unrolled: 1-line block ×3, first 2 shown]
	s_wait_alu 0xfffe
	v_cndmask_b32_e64 v5, 0, 1, s10
	s_and_b32 s10, s8, s12
	v_cmp_eq_u32_e64 s15, 1, v7
	v_cmp_eq_u32_e64 s17, 1, v6
	v_cmp_eq_u32_e64 s21, 2, v6
	v_cmp_eq_u32_e64 s25, 3, v6
	s_wait_alu 0xfffe
	v_cndmask_b32_e64 v6, 0, 1, s10
	s_and_b32 s10, s9, s13
	v_cmp_eq_u32_e64 s19, 2, v7
	v_cmp_eq_u32_e64 s23, 3, v7
	s_wait_alu 0xfffe
	v_cndmask_b32_e64 v7, 0, 1, s10
	s_and_b32 s10, s6, s14
	s_wait_alu 0xfffe
	v_cndmask_b32_e64 v8, 0, 1, s10
	s_and_b32 s10, s7, s15
	;; [unrolled: 3-line block ×4, first 2 shown]
	v_cmp_ne_u32_e64 s11, 0, v9
	s_wait_alu 0xfffe
	v_cndmask_b32_e64 v11, 0, 1, s10
	s_and_b32 s10, s6, s18
	s_and_b32 s6, s6, s22
	s_wait_alu 0xfffe
	v_cndmask_b32_e64 v55, 0, 1, s10
	v_cndmask_b32_e64 v59, 0, 1, s6
	s_and_b32 s6, s7, s23
	s_and_b32 s10, s7, s19
	s_wait_alu 0xfffe
	v_cndmask_b32_e64 v60, 0, 1, s6
	s_and_b32 s6, s8, s24
	v_cndmask_b32_e64 v56, 0, 1, s10
	s_and_b32 s10, s8, s20
	s_wait_alu 0xfffe
	v_cndmask_b32_e64 v61, 0, 1, s6
	s_and_b32 s6, s9, s25
	v_cndmask_b32_e64 v57, 0, 1, s10
	s_and_b32 s10, s9, s21
	s_wait_alu 0xfffe
	v_cndmask_b32_e64 v62, 0, 1, s6
	v_cmp_ne_u32_e64 s6, 0, v4
	v_cmp_ne_u32_e64 s7, 0, v5
	v_cndmask_b32_e64 v58, 0, 1, s10
	v_cmp_ne_u32_e64 s8, 0, v6
	v_cmp_ne_u32_e64 s10, 0, v8
	;; [unrolled: 1-line block ×6, first 2 shown]
	s_bcnt1_i32_b32 s6, s6
	s_bcnt1_i32_b32 s7, s7
	v_cmp_ne_u32_e64 s13, 0, v11
	v_cmp_ne_u32_e64 s16, 0, v57
	;; [unrolled: 1-line block ×4, first 2 shown]
	s_bcnt1_i32_b32 s8, s8
	s_bcnt1_i32_b32 s10, s10
	;; [unrolled: 1-line block ×3, first 2 shown]
	s_wait_alu 0xfffe
	s_add_co_i32 s6, s7, s6
	v_cmp_ne_u32_e64 s17, 0, v58
	v_cmp_ne_u32_e64 s20, 0, v61
	s_bcnt1_i32_b32 s9, s9
	s_bcnt1_i32_b32 s12, s12
	;; [unrolled: 1-line block ×4, first 2 shown]
	s_add_co_i32 s7, s11, s10
	s_wait_alu 0xfffe
	s_add_co_i32 s6, s6, s8
	v_cmp_ne_u32_e64 s21, 0, v62
	s_bcnt1_i32_b32 s13, s13
	s_bcnt1_i32_b32 s16, s16
	;; [unrolled: 1-line block ×4, first 2 shown]
	s_add_co_i32 s10, s15, s14
	s_add_co_i32 s7, s7, s12
	s_wait_alu 0xfffe
	s_add_co_i32 s52, s6, s9
	s_bcnt1_i32_b32 s17, s17
	s_bcnt1_i32_b32 s20, s20
	s_add_co_i32 s11, s19, s18
	s_add_co_i32 s8, s10, s16
	s_wait_alu 0xfffe
	s_add_nc_u64 s[82:83], s[82:83], s[52:53]
	s_add_co_i32 s52, s7, s13
	s_bcnt1_i32_b32 s21, s21
	s_add_co_i32 s10, s11, s20
	s_wait_alu 0xfffe
	s_add_nc_u64 s[80:81], s[80:81], s[52:53]
	s_add_co_i32 s52, s8, s17
	v_mov_b32_e32 v4, s82
	s_wait_alu 0xfffe
	s_add_nc_u64 s[78:79], s[78:79], s[52:53]
	s_add_co_i32 s52, s10, s21
	v_mov_b32_e32 v6, s80
	s_wait_alu 0xfffe
	s_add_nc_u64 s[76:77], s[76:77], s[52:53]
	v_mov_b32_e32 v8, s78
	s_wait_alu 0xfffe
	v_dual_mov_b32 v10, s76 :: v_dual_mov_b32 v5, s83
	v_mov_b32_e32 v7, s81
	v_mov_b32_e32 v9, s79
	;; [unrolled: 1-line block ×3, first 2 shown]
	s_or_b32 s73, vcc_lo, s73
	s_wait_alu 0xfffe
	s_and_not1_b32 exec_lo, exec_lo, s73
	s_cbranch_execnz .LBB135_92
; %bb.93:                               ;   in Loop: Header=BB135_45 Depth=1
	s_or_b32 exec_lo, exec_lo, s73
.LBB135_94:                             ;   in Loop: Header=BB135_45 Depth=1
	s_delay_alu instid0(SALU_CYCLE_1)
	s_or_b32 exec_lo, exec_lo, s71
	v_add_co_u32 v31, s6, s74, v0
	s_wait_alu 0xf1ff
	v_add_co_ci_u32_e64 v32, null, s75, 0, s6
	s_mov_b32 s10, exec_lo
	v_cmpx_gt_u64_e64 s[28:29], v[31:32]
	s_cbranch_execz .LBB135_100
; %bb.95:                               ;   in Loop: Header=BB135_45 Depth=1
	v_mul_lo_u32 v35, v32, s30
	v_mul_lo_u32 v36, v31, s31
	v_mad_co_u64_u32 v[33:34], null, v31, s30, 0
	s_mov_b32 s11, 0
	v_add3_u32 v34, v34, v36, v35
	s_delay_alu instid0(VALU_DEP_1) | instskip(NEXT) | instid1(VALU_DEP_1)
	v_lshlrev_b64_e32 v[33:34], 1, v[33:34]
	v_add_co_u32 v33, vcc_lo, s56, v33
	s_wait_alu 0xfffd
	s_delay_alu instid0(VALU_DEP_2)
	v_add_co_ci_u32_e64 v34, null, s57, v34, vcc_lo
	global_load_u16 v34, v[33:34], off
	s_branch .LBB135_97
.LBB135_96:                             ;   in Loop: Header=BB135_97 Depth=2
	s_wait_alu 0xfffe
	s_or_b32 exec_lo, exec_lo, s7
	s_wait_loadcnt 0x0
	v_cmp_lt_i16_e64 s6, -1, v34
	v_and_b32_e32 v35, 0xffff, v34
	s_and_b32 s7, exec_lo, vcc_lo
	s_wait_alu 0xfffe
	s_or_b32 s11, s7, s11
	v_cndmask_b32_e64 v36, 0xffff, v50, s6
	v_cmp_o_f16_e64 s6, v34, v34
	s_delay_alu instid0(VALU_DEP_2) | instskip(SKIP_1) | instid1(VALU_DEP_1)
	v_xor_b32_e32 v35, v36, v35
	s_wait_alu 0xf1ff
	v_cndmask_b32_e64 v34, 0xffff, v35, s6
	s_delay_alu instid0(VALU_DEP_1) | instskip(SKIP_1) | instid1(VALU_DEP_2)
	v_and_b32_e32 v35, v34, v51
	v_bfe_u32 v34, v34, s95, 2
	v_cmp_eq_u32_e32 vcc_lo, v35, v46
	s_delay_alu instid0(VALU_DEP_2)
	v_cmp_eq_u32_e64 s6, 0, v34
	v_cmp_eq_u32_e64 s7, 1, v34
	;; [unrolled: 1-line block ×4, first 2 shown]
	s_and_b32 s6, vcc_lo, s6
	s_wait_alu 0xfffe
	v_cndmask_b32_e64 v34, 0, 1, s6
	s_and_b32 s6, vcc_lo, s7
	s_wait_alu 0xfffe
	v_cndmask_b32_e64 v35, 0, 1, s6
	s_and_b32 s6, vcc_lo, s8
	s_wait_alu 0xfffe
	v_cndmask_b32_e64 v36, 0, 1, s6
	s_and_b32 s6, vcc_lo, s9
	v_cmp_ne_u32_e32 vcc_lo, 0, v34
	s_wait_alu 0xfffe
	v_cndmask_b32_e64 v37, 0, 1, s6
	v_cmp_ne_u32_e64 s6, 0, v35
	v_cmp_ne_u32_e64 s7, 0, v36
	v_mov_b32_e32 v34, v33
	s_bcnt1_i32_b32 s9, vcc_lo
	v_cmp_ne_u32_e64 s8, 0, v37
	s_bcnt1_i32_b32 s6, s6
	s_wait_alu 0xfffe
	v_add_co_u32 v4, vcc_lo, v4, s9
	s_bcnt1_i32_b32 s7, s7
	s_wait_alu 0xfffd
	v_add_co_ci_u32_e64 v5, null, 0, v5, vcc_lo
	v_add_co_u32 v6, vcc_lo, v6, s6
	s_wait_alu 0xfffd
	v_add_co_ci_u32_e64 v7, null, 0, v7, vcc_lo
	s_wait_alu 0xfffe
	v_add_co_u32 v8, vcc_lo, v8, s7
	s_bcnt1_i32_b32 s6, s8
	s_wait_alu 0xfffd
	v_add_co_ci_u32_e64 v9, null, 0, v9, vcc_lo
	s_wait_alu 0xfffe
	v_add_co_u32 v10, vcc_lo, v10, s6
	s_wait_alu 0xfffd
	v_add_co_ci_u32_e64 v11, null, 0, v11, vcc_lo
	s_and_not1_b32 exec_lo, exec_lo, s11
	s_cbranch_execz .LBB135_99
.LBB135_97:                             ;   Parent Loop BB135_45 Depth=1
                                        ; =>  This Inner Loop Header: Depth=2
	v_add_co_u32 v31, vcc_lo, v31, v2
	s_wait_alu 0xfffd
	v_add_co_ci_u32_e64 v32, null, 0, v32, vcc_lo
	v_mov_b32_e32 v33, 0
	s_mov_b32 s7, exec_lo
	s_delay_alu instid0(VALU_DEP_2)
	v_cmp_le_u64_e32 vcc_lo, s[28:29], v[31:32]
	v_cmpx_gt_u64_e64 s[28:29], v[31:32]
	s_cbranch_execz .LBB135_96
; %bb.98:                               ;   in Loop: Header=BB135_97 Depth=2
	v_mul_lo_u32 v33, v32, s30
	v_mul_lo_u32 v37, v31, s31
	v_mad_co_u64_u32 v[35:36], null, v31, s30, 0
	s_delay_alu instid0(VALU_DEP_1) | instskip(NEXT) | instid1(VALU_DEP_1)
	v_add3_u32 v36, v36, v37, v33
	v_lshlrev_b64_e32 v[35:36], 1, v[35:36]
	s_delay_alu instid0(VALU_DEP_1) | instskip(SKIP_1) | instid1(VALU_DEP_2)
	v_add_co_u32 v35, s6, s56, v35
	s_wait_alu 0xf1ff
	v_add_co_ci_u32_e64 v36, null, s57, v36, s6
	global_load_u16 v33, v[35:36], off
	s_branch .LBB135_96
.LBB135_99:                             ;   in Loop: Header=BB135_45 Depth=1
	s_or_b32 exec_lo, exec_lo, s11
.LBB135_100:                            ;   in Loop: Header=BB135_45 Depth=1
	s_wait_alu 0xfffe
	s_or_b32 exec_lo, exec_lo, s10
	s_branch .LBB135_79
.LBB135_101:                            ;   in Loop: Header=BB135_45 Depth=1
	global_load_u16 v2, v3, s[68:69]
	v_mov_b32_e32 v6, 0
	v_mov_b32_e32 v8, 0
	v_dual_mov_b32 v10, 0 :: v_dual_mov_b32 v9, 0
	v_mov_b32_e32 v11, 0
	s_mov_b32 s76, exec_lo
	v_mov_b32_e32 v7, 0
	s_wait_loadcnt 0x0
	v_readfirstlane_b32 s6, v2
	v_and_b32_e32 v2, 0xffff, v2
	s_and_b32 s71, 0xffff, s6
	s_delay_alu instid0(SALU_CYCLE_1) | instskip(SKIP_4) | instid1(SALU_CYCLE_1)
	s_lshl_b32 s75, s71, 2
	s_wait_alu 0xfffe
	s_cvt_f32_u32 s6, s75
	s_sub_co_i32 s7, 0, s75
	s_wait_alu 0xfffe
	v_rcp_iflag_f32_e32 v4, s6
	s_delay_alu instid0(TRANS32_DEP_1) | instskip(SKIP_2) | instid1(SALU_CYCLE_2)
	v_readfirstlane_b32 s6, v4
	s_mul_f32 s6, s6, 0x4f7ffffe
	s_wait_alu 0xfffe
	s_cvt_u32_f32 s6, s6
	s_wait_alu 0xfffe
	s_delay_alu instid0(SALU_CYCLE_2)
	s_mul_i32 s7, s7, s6
	s_wait_alu 0xfffe
	s_mul_hi_u32 s7, s6, s7
	s_wait_alu 0xfffe
	s_add_co_i32 s6, s6, s7
	s_wait_alu 0xfffe
	s_mul_hi_u32 s6, s70, s6
	s_wait_alu 0xfffe
	s_mul_i32 s7, s6, s75
	s_add_co_i32 s8, s6, 1
	s_wait_alu 0xfffe
	s_sub_co_i32 s7, s70, s7
	s_wait_alu 0xfffe
	s_sub_co_i32 s9, s7, s75
	s_cmp_ge_u32 s7, s75
	s_cselect_b32 s6, s8, s6
	s_wait_alu 0xfffe
	s_cselect_b32 s7, s9, s7
	s_add_co_i32 s8, s6, 1
	s_wait_alu 0xfffe
	s_cmp_ge_u32 s7, s75
	s_cselect_b32 s74, s8, s6
	s_wait_alu 0xfffe
	v_mul_hi_u32 v5, s74, v2
	v_mul_lo_u32 v4, s74, v2
	s_delay_alu instid0(VALU_DEP_1) | instskip(SKIP_2) | instid1(VALU_DEP_3)
	v_lshlrev_b64_e32 v[31:32], 2, v[4:5]
	v_mov_b32_e32 v4, 0
	v_mov_b32_e32 v5, 0
	v_cmpx_gt_u64_e64 v[31:32], v[16:17]
	s_cbranch_execz .LBB135_105
; %bb.102:                              ;   in Loop: Header=BB135_45 Depth=1
	v_dual_mov_b32 v35, v47 :: v_dual_mov_b32 v34, v17
	v_mov_b32_e32 v33, v16
	s_lshl_b32 s77, s71, 3
	s_mov_b64 s[20:21], 0
	s_mov_b32 s78, 0
	s_mov_b64 s[22:23], 0
	s_mov_b64 s[24:25], 0
	;; [unrolled: 1-line block ×3, first 2 shown]
.LBB135_103:                            ;   Parent Loop BB135_45 Depth=1
                                        ; =>  This Inner Loop Header: Depth=2
	ds_load_b64 v[4:5], v35
	v_add_co_u32 v33, vcc_lo, v33, s75
	s_wait_alu 0xfffd
	v_add_co_ci_u32_e64 v34, null, 0, v34, vcc_lo
	s_delay_alu instid0(VALU_DEP_1)
	v_cmp_ge_u64_e32 vcc_lo, v[33:34], v[31:32]
	s_wait_dscnt 0x0
	v_cmp_lt_i16_e64 s6, -1, v4
	v_lshrrev_b32_e32 v6, 16, v4
	v_lshrrev_b32_e32 v11, 16, v5
	v_and_b32_e32 v7, 0xffff, v4
	v_and_b32_e32 v9, 0xffff, v5
	s_wait_alu 0xf1ff
	v_cndmask_b32_e64 v8, 0xffff, v50, s6
	v_cmp_lt_i16_e64 s6, -1, v5
	v_cmp_lt_i16_e64 s7, -1, v11
	s_delay_alu instid0(VALU_DEP_3) | instskip(SKIP_1) | instid1(VALU_DEP_3)
	v_xor_b32_e32 v7, v8, v7
	s_wait_alu 0xf1ff
	v_cndmask_b32_e64 v10, 0xffff, v50, s6
	v_cmp_lt_i16_e64 s6, -1, v6
	s_delay_alu instid0(VALU_DEP_2) | instskip(SKIP_1) | instid1(VALU_DEP_2)
	v_xor_b32_e32 v9, v10, v9
	s_wait_alu 0xf1ff
	v_cndmask_b32_e64 v8, 0xffff, v50, s6
	v_cmp_o_f16_e64 s6, v5, v5
	v_cndmask_b32_e64 v5, 0xffff, v50, s7
	v_cmp_o_f16_e64 s7, v4, v4
	s_delay_alu instid0(VALU_DEP_2) | instskip(SKIP_1) | instid1(VALU_DEP_2)
	v_xor_b32_e32 v5, v5, v11
	s_wait_alu 0xf1ff
	v_cndmask_b32_e64 v4, 0xffff, v7, s7
	v_xor_b32_e32 v7, v8, v6
	v_cmp_o_f16_e64 s7, v6, v6
	v_cndmask_b32_e64 v8, 0xffff, v9, s6
	v_cmp_o_f16_e64 s6, v11, v11
	s_wait_alu 0xf1ff
	s_delay_alu instid0(VALU_DEP_3)
	v_cndmask_b32_e64 v6, 0xffff, v7, s7
	v_and_b32_e32 v7, v4, v51
	v_bfe_u32 v4, v4, s95, 2
	v_and_b32_e32 v9, v8, v51
	v_bfe_u32 v8, v8, s95, 2
	v_cndmask_b32_e64 v5, 0xffff, v5, s6
	v_cmp_eq_u32_e64 s6, v7, v46
	v_cmp_eq_u32_e64 s8, 0, v4
	v_and_b32_e32 v7, v6, v51
	v_cmp_eq_u32_e64 s7, v9, v46
	v_bfe_u32 v6, v6, s95, 2
	v_cmp_eq_u32_e64 s9, 0, v8
	v_cmp_eq_u32_e64 s10, 1, v4
	v_cmp_eq_u32_e64 s12, 2, v4
	v_and_b32_e32 v9, v5, v51
	v_bfe_u32 v5, v5, s95, 2
	v_cmp_eq_u32_e64 s11, 1, v8
	v_cmp_eq_u32_e64 s13, 2, v8
	;; [unrolled: 1-line block ×3, first 2 shown]
	s_and_b32 s8, s6, s8
	v_cmp_eq_u32_e64 s15, 3, v8
	v_cmp_eq_u32_e64 s16, v7, v46
	;; [unrolled: 1-line block ×3, first 2 shown]
	s_wait_alu 0xfffe
	v_cndmask_b32_e64 v4, 0, 1, s8
	s_and_b32 s8, s7, s9
	s_and_b32 s10, s6, s10
	;; [unrolled: 1-line block ×3, first 2 shown]
	v_cmp_eq_u32_e64 s17, v9, v46
	v_cmp_eq_u32_e64 s19, 0, v5
	s_wait_alu 0xfffe
	v_cndmask_b32_e64 v7, 0, 1, s8
	v_cmp_eq_u32_e64 s8, 1, v6
	v_cndmask_b32_e64 v8, 0, 1, s10
	s_and_b32 s10, s7, s11
	v_cndmask_b32_e64 v10, 0, 1, s12
	s_and_b32 s12, s7, s13
	s_and_b32 s6, s6, s14
	v_cmp_eq_u32_e64 s9, 1, v5
	s_wait_alu 0xfffe
	v_cndmask_b32_e64 v9, 0, 1, s10
	v_cmp_eq_u32_e64 s10, 2, v6
	v_cmp_eq_u32_e64 s11, 2, v5
	v_cndmask_b32_e64 v11, 0, 1, s12
	v_cmp_eq_u32_e64 s12, 3, v6
	v_cmp_eq_u32_e64 s13, 3, v5
	v_cndmask_b32_e64 v5, 0, 1, s6
	s_and_b32 s6, s7, s15
	s_and_b32 s7, s16, s18
	s_wait_alu 0xfffe
	v_cndmask_b32_e64 v6, 0, 1, s6
	v_cmp_ne_u32_e64 s6, 0, v4
	v_cndmask_b32_e64 v4, 0, 1, s7
	s_and_b32 s14, s17, s19
	s_and_b32 s8, s16, s8
	v_cmp_ne_u32_e64 s7, 0, v7
	s_wait_alu 0xfffe
	v_cndmask_b32_e64 v7, 0, 1, s14
	v_cmp_ne_u32_e64 s14, 0, v8
	v_cndmask_b32_e64 v8, 0, 1, s8
	s_and_b32 s9, s17, s9
	s_and_b32 s10, s16, s10
	;; [unrolled: 1-line block ×4, first 2 shown]
	v_cmp_ne_u32_e64 s8, 0, v9
	s_wait_alu 0xfffe
	v_cndmask_b32_e64 v9, 0, 1, s9
	v_cmp_ne_u32_e64 s9, 0, v10
	v_cndmask_b32_e64 v10, 0, 1, s10
	v_cmp_ne_u32_e64 s10, 0, v11
	;; [unrolled: 2-line block ×3, first 2 shown]
	v_cndmask_b32_e64 v5, 0, 1, s12
	s_and_b32 s13, s17, s13
	s_bcnt1_i32_b32 s15, s6
	v_cmp_ne_u32_e64 s6, 0, v4
	v_cmp_ne_u32_e64 s12, 0, v6
	s_wait_alu 0xfffe
	v_cndmask_b32_e64 v6, 0, 1, s13
	v_cmp_ne_u32_e64 s13, 0, v8
	s_bcnt1_i32_b32 s16, s7
	v_cmp_ne_u32_e64 s7, 0, v7
	s_bcnt1_i32_b32 s18, s9
	v_cmp_ne_u32_e64 s9, 0, v10
	s_bcnt1_i32_b32 s52, s11
	v_cmp_ne_u32_e64 s11, 0, v5
	s_bcnt1_i32_b32 s6, s6
	s_bcnt1_i32_b32 s17, s8
	v_cmp_ne_u32_e64 s8, 0, v9
	s_bcnt1_i32_b32 s14, s14
	s_bcnt1_i32_b32 s13, s13
	s_wait_alu 0xfffe
	s_add_co_i32 s6, s6, s15
	s_bcnt1_i32_b32 s19, s10
	v_cmp_ne_u32_e64 s10, 0, v11
	s_bcnt1_i32_b32 s7, s7
	s_bcnt1_i32_b32 s9, s9
	;; [unrolled: 1-line block ×3, first 2 shown]
	s_add_co_i32 s13, s13, s14
	s_wait_alu 0xfffe
	s_add_co_i32 s6, s6, s16
	s_bcnt1_i32_b32 s79, s12
	v_cmp_ne_u32_e64 s12, 0, v6
	s_bcnt1_i32_b32 s8, s8
	s_add_co_i32 s9, s9, s18
	s_add_co_i32 s11, s11, s52
	;; [unrolled: 1-line block ×3, first 2 shown]
	s_wait_alu 0xfffe
	s_add_co_i32 s52, s6, s7
	s_bcnt1_i32_b32 s10, s10
	s_add_co_i32 s9, s9, s19
	s_wait_alu 0xfffe
	s_add_nc_u64 s[72:73], s[72:73], s[52:53]
	s_add_co_i32 s52, s13, s8
	s_bcnt1_i32_b32 s12, s12
	s_add_co_i32 s11, s11, s79
	s_wait_alu 0xfffe
	s_add_nc_u64 s[24:25], s[24:25], s[52:53]
	s_add_co_i32 s52, s9, s10
	v_dual_mov_b32 v4, s72 :: v_dual_add_nc_u32 v35, s77, v35
	s_wait_alu 0xfffe
	s_add_nc_u64 s[22:23], s[22:23], s[52:53]
	s_add_co_i32 s52, s11, s12
	v_mov_b32_e32 v6, s24
	s_wait_alu 0xfffe
	s_add_nc_u64 s[20:21], s[20:21], s[52:53]
	v_mov_b32_e32 v8, s22
	s_wait_alu 0xfffe
	v_dual_mov_b32 v10, s20 :: v_dual_mov_b32 v5, s73
	v_mov_b32_e32 v7, s25
	v_mov_b32_e32 v9, s23
	;; [unrolled: 1-line block ×3, first 2 shown]
	s_or_b32 s78, vcc_lo, s78
	s_wait_alu 0xfffe
	s_and_not1_b32 exec_lo, exec_lo, s78
	s_cbranch_execnz .LBB135_103
; %bb.104:                              ;   in Loop: Header=BB135_45 Depth=1
	s_or_b32 exec_lo, exec_lo, s78
.LBB135_105:                            ;   in Loop: Header=BB135_45 Depth=1
	s_delay_alu instid0(SALU_CYCLE_1)
	s_or_b32 exec_lo, exec_lo, s76
	v_add_co_u32 v31, vcc_lo, v31, v0
	s_wait_alu 0xfffd
	v_add_co_ci_u32_e64 v32, null, 0, v32, vcc_lo
	s_and_b32 s52, s70, 0x7fffffff
	s_mov_b32 s11, exec_lo
	s_wait_alu 0xfffe
	v_cmpx_gt_u64_e64 s[52:53], v[31:32]
	s_cbranch_execz .LBB135_109
; %bb.106:                              ;   in Loop: Header=BB135_45 Depth=1
	s_mul_i32 s74, s74, s71
	s_lshl_b32 s13, s71, 1
	s_wait_alu 0xfffe
	v_lshl_add_u32 v33, s74, 3, v42
	s_mov_b32 s12, 0
.LBB135_107:                            ;   Parent Loop BB135_45 Depth=1
                                        ; =>  This Inner Loop Header: Depth=2
	ds_load_u16 v34, v33
	v_add_co_u32 v31, vcc_lo, v31, v2
	s_wait_alu 0xfffd
	v_add_co_ci_u32_e64 v32, null, 0, v32, vcc_lo
	v_add_nc_u32_e32 v33, s13, v33
	s_delay_alu instid0(VALU_DEP_2) | instskip(SKIP_4) | instid1(VALU_DEP_2)
	v_cmp_le_u64_e32 vcc_lo, s[52:53], v[31:32]
	s_wait_dscnt 0x0
	v_cmp_lt_i16_e64 s6, -1, v34
	v_and_b32_e32 v35, 0xffff, v34
	s_wait_alu 0xf1ff
	v_cndmask_b32_e64 v36, 0xffff, v50, s6
	v_cmp_o_f16_e64 s6, v34, v34
	s_delay_alu instid0(VALU_DEP_2) | instskip(SKIP_1) | instid1(VALU_DEP_1)
	v_xor_b32_e32 v35, v36, v35
	s_wait_alu 0xf1ff
	v_cndmask_b32_e64 v34, 0xffff, v35, s6
	s_delay_alu instid0(VALU_DEP_1) | instskip(SKIP_1) | instid1(VALU_DEP_2)
	v_and_b32_e32 v35, v34, v51
	v_bfe_u32 v34, v34, s95, 2
	v_cmp_eq_u32_e64 s6, v35, v46
	s_delay_alu instid0(VALU_DEP_2)
	v_cmp_eq_u32_e64 s7, 0, v34
	v_cmp_eq_u32_e64 s8, 1, v34
	;; [unrolled: 1-line block ×4, first 2 shown]
	s_and_b32 s7, s6, s7
	s_wait_alu 0xfffe
	v_cndmask_b32_e64 v34, 0, 1, s7
	s_and_b32 s7, s6, s8
	s_wait_alu 0xfffe
	v_cndmask_b32_e64 v35, 0, 1, s7
	s_and_b32 s7, s6, s9
	s_and_b32 s6, s6, s10
	s_wait_alu 0xfffe
	v_cndmask_b32_e64 v36, 0, 1, s7
	v_cndmask_b32_e64 v37, 0, 1, s6
	v_cmp_ne_u32_e64 s6, 0, v34
	v_cmp_ne_u32_e64 s7, 0, v35
	s_delay_alu instid0(VALU_DEP_4) | instskip(NEXT) | instid1(VALU_DEP_4)
	v_cmp_ne_u32_e64 s8, 0, v36
	v_cmp_ne_u32_e64 s9, 0, v37
	s_bcnt1_i32_b32 s6, s6
	s_bcnt1_i32_b32 s7, s7
	s_wait_alu 0xfffe
	v_add_co_u32 v4, s6, v4, s6
	s_bcnt1_i32_b32 s8, s8
	v_add_co_ci_u32_e64 v5, null, 0, v5, s6
	v_add_co_u32 v6, s6, v6, s7
	s_bcnt1_i32_b32 s9, s9
	v_add_co_ci_u32_e64 v7, null, 0, v7, s6
	s_wait_alu 0xfffe
	v_add_co_u32 v8, s6, v8, s8
	s_wait_alu 0xf1ff
	v_add_co_ci_u32_e64 v9, null, 0, v9, s6
	v_add_co_u32 v10, s6, v10, s9
	s_wait_alu 0xf1ff
	v_add_co_ci_u32_e64 v11, null, 0, v11, s6
	s_or_b32 s12, vcc_lo, s12
	s_wait_alu 0xfffe
	s_and_not1_b32 exec_lo, exec_lo, s12
	s_cbranch_execnz .LBB135_107
; %bb.108:                              ;   in Loop: Header=BB135_45 Depth=1
	s_or_b32 exec_lo, exec_lo, s12
.LBB135_109:                            ;   in Loop: Header=BB135_45 Depth=1
	s_delay_alu instid0(SALU_CYCLE_1)
	s_or_b32 exec_lo, exec_lo, s11
	s_lshl_b32 s6, s97, 7
	s_and_saveexec_b32 s7, s1
	s_cbranch_execnz .LBB135_80
	s_branch .LBB135_81
.LBB135_110:                            ;   in Loop: Header=BB135_45 Depth=1
                                        ; implicit-def: $sgpr6_sgpr7
	s_branch .LBB135_89
.LBB135_111:                            ;   in Loop: Header=BB135_45 Depth=1
	s_mov_b32 s8, 0
	s_and_not1_b32 vcc_lo, exec_lo, s91
	s_wait_alu 0xfffe
	s_cbranch_vccnz .LBB135_114
.LBB135_112:                            ;   in Loop: Header=BB135_45 Depth=1
	s_lshl_b32 s9, s97, 10
	s_lshl_b32 s8, s8, 5
	s_wait_alu 0xfffe
	v_add3_u32 v2, s9, s8, v48
	s_mov_b32 s8, s88
.LBB135_113:                            ;   Parent Loop BB135_45 Depth=1
                                        ; =>  This Inner Loop Header: Depth=2
	ds_load_b64 v[6:7], v2
	v_add_nc_u32_e32 v2, 32, v2
	s_wait_alu 0xfffe
	s_add_co_i32 s8, s8, -1
	s_wait_alu 0xfffe
	s_cmp_lg_u32 s8, 0
	s_wait_dscnt 0x0
	v_add_co_u32 v4, vcc_lo, v6, v4
	s_wait_alu 0xfffd
	v_add_co_ci_u32_e64 v5, null, v7, v5, vcc_lo
	s_cbranch_scc1 .LBB135_113
.LBB135_114:                            ;   in Loop: Header=BB135_45 Depth=1
	v_add_lshl_u32 v2, s6, v41, 3
	ds_store_b64 v2, v[4:5] offset:3072
.LBB135_115:                            ;   in Loop: Header=BB135_45 Depth=1
	s_wait_alu 0xfffe
	s_or_b32 exec_lo, exec_lo, s7
	s_lshl_b32 s6, s6, 3
	s_wait_loadcnt_dscnt 0x0
	s_wait_alu 0xfffe
	v_mov_b32_e32 v2, s6
	s_barrier_signal -1
	s_barrier_wait -1
	global_inv scope:SCOPE_SE
	v_cmp_eq_u64_e32 vcc_lo, 1, v[29:30]
	ds_load_b128 v[4:7], v2 offset:3072
	ds_load_b128 v[8:11], v2 offset:3088
	s_lshl_b32 s16, 3, s95
	s_mov_b32 s18, -1
	s_wait_alu 0xfffe
	s_not_b32 s20, s16
                                        ; implicit-def: $sgpr22
                                        ; implicit-def: $sgpr21
	s_wait_dscnt 0x1
	v_cmp_eq_u64_e64 s6, 1, v[4:5]
	s_wait_dscnt 0x0
	v_readfirstlane_b32 s10, v8
	v_readfirstlane_b32 s11, v9
	;; [unrolled: 1-line block ×4, first 2 shown]
	s_and_b32 s19, s6, vcc_lo
	s_mov_b32 s6, -1
	s_and_saveexec_b32 s17, s19
	s_cbranch_execz .LBB135_149
; %bb.116:                              ;   in Loop: Header=BB135_45 Depth=1
	ds_load_b64 v[8:9], v3 offset:5120
	s_wait_loadcnt_dscnt 0x0
	s_barrier_signal -1
	s_barrier_wait -1
	global_inv scope:SCOPE_SE
	v_readfirstlane_b32 s6, v8
	v_readfirstlane_b32 s7, v9
	s_and_saveexec_b32 s12, s0
; %bb.117:                              ;   in Loop: Header=BB135_45 Depth=1
	ds_store_b16 v43, v3
; %bb.118:                              ;   in Loop: Header=BB135_45 Depth=1
	s_wait_alu 0xfffe
	s_or_b32 exec_lo, exec_lo, s12
	v_and_b32_e32 v46, s20, v46
	v_or_b32_e32 v51, s16, v51
	s_mov_b32 s21, -1
	s_mov_b32 s22, 0
	s_cmp_eq_u64 s[6:7], 0
	s_mov_b32 s14, 0
	s_mov_b32 s15, -1
	s_wait_loadcnt_dscnt 0x0
	s_barrier_signal -1
	s_barrier_wait -1
	global_inv scope:SCOPE_SE
                                        ; implicit-def: $vgpr52
	s_cbranch_scc1 .LBB135_133
; %bb.119:                              ;   in Loop: Header=BB135_45 Depth=1
	s_add_nc_u64 s[12:13], s[6:7], s[58:59]
	s_mov_b32 s14, s53
	s_wait_alu 0xfffe
	s_mov_b32 s15, s13
	s_wait_alu 0xfffe
	s_cmp_lg_u64 s[14:15], 0
	s_cbranch_scc0 .LBB135_176
; %bb.120:                              ;   in Loop: Header=BB135_45 Depth=1
	s_cvt_f32_u32 s14, s48
	s_sub_nc_u64 s[24:25], 0, s[48:49]
	s_wait_alu 0xfffe
	s_delay_alu instid0(SALU_CYCLE_1) | instskip(SKIP_1) | instid1(SALU_CYCLE_2)
	s_fmamk_f32 s14, s93, 0x0, s14
	s_wait_alu 0xfffe
	v_s_rcp_f32 s14, s14
	s_delay_alu instid0(TRANS32_DEP_1) | instskip(SKIP_1) | instid1(SALU_CYCLE_2)
	s_mul_f32 s14, s14, 0x5f7ffffc
	s_wait_alu 0xfffe
	s_mul_f32 s15, s14, 0x2f800000
	s_wait_alu 0xfffe
	s_delay_alu instid0(SALU_CYCLE_2) | instskip(SKIP_1) | instid1(SALU_CYCLE_2)
	s_trunc_f32 s15, s15
	s_wait_alu 0xfffe
	s_fmamk_f32 s14, s15, 0xcf800000, s14
	s_cvt_u32_f32 s15, s15
	s_wait_alu 0xfffe
	s_delay_alu instid0(SALU_CYCLE_1) | instskip(SKIP_1) | instid1(SALU_CYCLE_2)
	s_cvt_u32_f32 s14, s14
	s_wait_alu 0xfffe
	s_mul_u64 s[70:71], s[24:25], s[14:15]
	s_delay_alu instid0(SALU_CYCLE_1)
	s_mul_hi_u32 s73, s14, s71
	s_mul_i32 s72, s14, s71
	s_mul_hi_u32 s52, s14, s70
	s_mul_i32 s74, s15, s70
	s_wait_alu 0xfffe
	s_add_nc_u64 s[72:73], s[52:53], s[72:73]
	s_mul_hi_u32 s23, s15, s70
	s_mul_hi_u32 s75, s15, s71
	s_wait_alu 0xfffe
	s_add_co_u32 s52, s72, s74
	s_add_co_ci_u32 s52, s73, s23
	s_mul_i32 s70, s15, s71
	s_add_co_ci_u32 s71, s75, 0
	s_wait_alu 0xfffe
	s_add_nc_u64 s[70:71], s[52:53], s[70:71]
	s_delay_alu instid0(SALU_CYCLE_1)
	s_add_co_u32 s14, s14, s70
	s_cselect_b32 s23, -1, 0
	s_wait_alu 0xfffe
	s_cmp_lg_u32 s23, 0
	s_add_co_ci_u32 s15, s15, s71
	s_wait_alu 0xfffe
	s_mul_u64 s[24:25], s[24:25], s[14:15]
	s_wait_alu 0xfffe
	s_mul_hi_u32 s71, s14, s25
	s_mul_i32 s70, s14, s25
	s_mul_hi_u32 s52, s14, s24
	s_mul_i32 s72, s15, s24
	s_wait_alu 0xfffe
	s_add_nc_u64 s[70:71], s[52:53], s[70:71]
	s_mul_hi_u32 s23, s15, s24
	s_mul_hi_u32 s73, s15, s25
	s_mul_i32 s24, s15, s25
	s_add_co_u32 s25, s70, s72
	s_wait_alu 0xfffe
	s_add_co_ci_u32 s52, s71, s23
	s_add_co_ci_u32 s25, s73, 0
	s_wait_alu 0xfffe
	s_add_nc_u64 s[24:25], s[52:53], s[24:25]
	s_wait_alu 0xfffe
	s_add_co_u32 s14, s14, s24
	s_cselect_b32 s23, -1, 0
	s_wait_alu 0xfffe
	s_mul_hi_u32 s52, s12, s14
	s_cmp_lg_u32 s23, 0
	s_mul_hi_u32 s23, s13, s14
	s_add_co_ci_u32 s24, s15, s25
	s_mul_i32 s25, s13, s14
	s_wait_alu 0xfffe
	s_mul_hi_u32 s15, s12, s24
	s_mul_i32 s14, s12, s24
	s_mul_hi_u32 s70, s13, s24
	s_wait_alu 0xfffe
	s_add_nc_u64 s[14:15], s[52:53], s[14:15]
	s_mul_i32 s24, s13, s24
	s_wait_alu 0xfffe
	s_add_co_u32 s14, s14, s25
	s_add_co_ci_u32 s52, s15, s23
	s_add_co_ci_u32 s25, s70, 0
	s_wait_alu 0xfffe
	s_add_nc_u64 s[14:15], s[52:53], s[24:25]
	s_wait_alu 0xfffe
	s_mul_u64 s[14:15], s[48:49], s[14:15]
	s_wait_alu 0xfffe
	s_sub_co_u32 s14, s12, s14
	s_cselect_b32 s23, -1, 0
	s_wait_alu 0xfffe
	s_cmp_lg_u32 s23, 0
	s_sub_co_ci_u32 s15, s13, s15
	s_sub_co_u32 s23, s14, s48
	s_cselect_b32 s24, -1, 0
	s_wait_alu 0xfffe
	s_cmp_lg_u32 s24, 0
	s_sub_co_ci_u32 s24, s15, 0
	;; [unrolled: 5-line block ×3, first 2 shown]
	s_cmp_ge_u32 s23, s48
	s_cselect_b32 s70, -1, 0
	s_cmp_eq_u32 s24, 0
	s_cselect_b32 s70, s70, -1
	s_delay_alu instid0(SALU_CYCLE_1)
	s_cmp_lg_u32 s70, 0
	s_wait_alu 0xfffe
	s_cselect_b32 s24, s52, s24
	s_cselect_b32 s23, s25, s23
	s_cmp_ge_u32 s14, s48
	s_cselect_b32 s25, -1, 0
	s_cmp_eq_u32 s15, 0
	s_wait_alu 0xfffe
	s_cselect_b32 s25, s25, -1
	s_wait_alu 0xfffe
	s_cmp_lg_u32 s25, 0
	s_cselect_b32 s15, s24, s15
	s_cselect_b32 s14, s23, s14
	s_cbranch_execnz .LBB135_122
.LBB135_121:                            ;   in Loop: Header=BB135_45 Depth=1
	v_cvt_f32_u32_e32 v2, s48
	s_sub_co_i32 s15, 0, s48
	s_delay_alu instid0(VALU_DEP_1) | instskip(NEXT) | instid1(TRANS32_DEP_1)
	v_rcp_iflag_f32_e32 v2, v2
	v_mul_f32_e32 v2, 0x4f7ffffe, v2
	s_delay_alu instid0(VALU_DEP_1) | instskip(NEXT) | instid1(VALU_DEP_1)
	v_cvt_u32_f32_e32 v2, v2
	v_readfirstlane_b32 s14, v2
	s_wait_alu 0xfffe
	s_mul_i32 s15, s15, s14
	s_wait_alu 0xfffe
	s_mul_hi_u32 s15, s14, s15
	s_wait_alu 0xfffe
	s_add_co_i32 s14, s14, s15
	s_wait_alu 0xfffe
	s_mul_hi_u32 s14, s12, s14
	s_wait_alu 0xfffe
	s_mul_i32 s14, s14, s48
	s_wait_alu 0xfffe
	s_sub_co_i32 s14, s12, s14
	s_wait_alu 0xfffe
	s_sub_co_i32 s15, s14, s48
	s_cmp_ge_u32 s14, s48
	s_wait_alu 0xfffe
	s_cselect_b32 s14, s15, s14
	s_wait_alu 0xfffe
	s_sub_co_i32 s15, s14, s48
	s_cmp_ge_u32 s14, s48
	s_wait_alu 0xfffe
	s_cselect_b32 s52, s15, s14
	s_wait_alu 0xfffe
	s_mov_b64 s[14:15], s[52:53]
.LBB135_122:                            ;   in Loop: Header=BB135_45 Depth=1
	s_wait_alu 0xfffe
	s_sub_nc_u64 s[12:13], s[12:13], s[14:15]
	s_mov_b32 s15, 0
	s_mov_b32 s14, 0
	s_mov_b32 s23, exec_lo
                                        ; implicit-def: $vgpr52
	s_wait_alu 0xfffe
	v_cmpx_gt_u64_e64 s[12:13], v[0:1]
	s_cbranch_execz .LBB135_132
; %bb.123:                              ;   in Loop: Header=BB135_45 Depth=1
	v_dual_mov_b32 v2, v42 :: v_dual_mov_b32 v9, v1
	v_mov_b32_e32 v8, v0
                                        ; implicit-def: $sgpr24
	s_branch .LBB135_127
.LBB135_124:                            ;   in Loop: Header=BB135_127 Depth=2
	s_wait_alu 0xfffe
	s_or_b32 exec_lo, exec_lo, s25
	s_wait_loadcnt_dscnt 0x0
	s_barrier_signal -1
	s_barrier_wait -1
	global_inv scope:SCOPE_SE
	ds_load_b32 v10, v3 offset:3072
	s_wait_loadcnt_dscnt 0x0
	s_barrier_signal -1
	s_barrier_wait -1
	global_inv scope:SCOPE_SE
	v_cmp_neq_f16_e32 vcc_lo, 0, v10
	s_cbranch_vccnz .LBB135_130
; %bb.125:                              ;   in Loop: Header=BB135_127 Depth=2
	v_add_co_u32 v8, vcc_lo, v8, s48
	s_wait_alu 0xfffd
	v_add_co_ci_u32_e64 v9, null, 0, v9, vcc_lo
	v_add_nc_u32_e32 v2, s92, v2
	s_mov_b32 s25, 0
	s_delay_alu instid0(VALU_DEP_2)
	v_cmp_le_u64_e32 vcc_lo, s[12:13], v[8:9]
	s_or_not1_b32 s52, vcc_lo, exec_lo
.LBB135_126:                            ;   in Loop: Header=BB135_127 Depth=2
	s_wait_alu 0xfffe
	s_and_b32 s52, exec_lo, s52
	s_wait_alu 0xfffe
	s_or_b32 s14, s52, s14
	s_and_not1_b32 s24, s24, exec_lo
	s_and_b32 s25, s25, exec_lo
	s_wait_alu 0xfffe
	s_or_b32 s24, s24, s25
	s_and_not1_b32 exec_lo, exec_lo, s14
	s_cbranch_execz .LBB135_131
.LBB135_127:                            ;   Parent Loop BB135_45 Depth=1
                                        ; =>  This Inner Loop Header: Depth=2
	s_mov_b32 s25, exec_lo
	s_delay_alu instid0(VALU_DEP_1)
	v_cmpx_gt_u64_e64 s[6:7], v[8:9]
	s_cbranch_execz .LBB135_124
; %bb.128:                              ;   in Loop: Header=BB135_127 Depth=2
	ds_load_u16 v10, v2
	s_wait_dscnt 0x0
	v_cmp_lt_i16_e32 vcc_lo, -1, v10
	v_and_b32_e32 v11, 0xffff, v10
	s_wait_alu 0xfffd
	v_cndmask_b32_e32 v31, 0xffff, v50, vcc_lo
	v_cmp_o_f16_e32 vcc_lo, v10, v10
	s_delay_alu instid0(VALU_DEP_2) | instskip(SKIP_1) | instid1(VALU_DEP_1)
	v_xor_b32_e32 v11, v31, v11
	s_wait_alu 0xfffd
	v_cndmask_b32_e32 v11, 0xffff, v11, vcc_lo
	s_delay_alu instid0(VALU_DEP_1) | instskip(NEXT) | instid1(VALU_DEP_1)
	v_and_b32_e32 v11, v11, v51
	v_cmp_eq_u32_e32 vcc_lo, v11, v46
	s_and_b32 exec_lo, exec_lo, vcc_lo
	s_cbranch_execz .LBB135_124
; %bb.129:                              ;   in Loop: Header=BB135_127 Depth=2
	v_perm_b32 v10, v10, s94, 0x5040100
	ds_store_b32 v3, v10 offset:3072
	s_branch .LBB135_124
.LBB135_130:                            ;   in Loop: Header=BB135_127 Depth=2
	s_mov_b32 s52, -1
	s_mov_b32 s25, -1
                                        ; implicit-def: $vgpr8_vgpr9
                                        ; implicit-def: $vgpr2
	s_branch .LBB135_126
.LBB135_131:                            ;   in Loop: Header=BB135_45 Depth=1
	s_or_b32 exec_lo, exec_lo, s14
	v_lshrrev_b32_e32 v52, 16, v10
	s_wait_alu 0xfffe
	s_and_b32 s14, s24, exec_lo
.LBB135_132:                            ;   in Loop: Header=BB135_45 Depth=1
	s_or_b32 exec_lo, exec_lo, s23
.LBB135_133:                            ;   in Loop: Header=BB135_45 Depth=1
	s_wait_alu 0xfffe
	s_and_b32 vcc_lo, exec_lo, s15
	s_wait_alu 0xfffe
	s_cbranch_vccz .LBB135_148
; %bb.134:                              ;   in Loop: Header=BB135_45 Depth=1
	s_mov_b32 s6, s53
	s_mov_b32 s7, s61
	s_wait_alu 0xfffe
	s_cmp_lg_u64 s[6:7], 0
	s_cbranch_scc0 .LBB135_180
; %bb.135:                              ;   in Loop: Header=BB135_45 Depth=1
	s_cvt_f32_u32 s6, s48
	s_sub_nc_u64 s[12:13], 0, s[48:49]
	s_wait_alu 0xfffe
	s_delay_alu instid0(SALU_CYCLE_1) | instskip(SKIP_1) | instid1(SALU_CYCLE_2)
	s_fmamk_f32 s6, s93, 0x0, s6
	s_wait_alu 0xfffe
	v_s_rcp_f32 s6, s6
	s_delay_alu instid0(TRANS32_DEP_1) | instskip(SKIP_1) | instid1(SALU_CYCLE_2)
	s_mul_f32 s6, s6, 0x5f7ffffc
	s_wait_alu 0xfffe
	s_mul_f32 s7, s6, 0x2f800000
	s_wait_alu 0xfffe
	s_delay_alu instid0(SALU_CYCLE_2) | instskip(SKIP_1) | instid1(SALU_CYCLE_2)
	s_trunc_f32 s7, s7
	s_wait_alu 0xfffe
	s_fmamk_f32 s6, s7, 0xcf800000, s6
	s_cvt_u32_f32 s7, s7
	s_wait_alu 0xfffe
	s_delay_alu instid0(SALU_CYCLE_1) | instskip(SKIP_1) | instid1(SALU_CYCLE_2)
	s_cvt_u32_f32 s6, s6
	s_wait_alu 0xfffe
	s_mul_u64 s[22:23], s[12:13], s[6:7]
	s_wait_alu 0xfffe
	s_mul_hi_u32 s25, s6, s23
	s_mul_i32 s24, s6, s23
	s_mul_hi_u32 s52, s6, s22
	s_mul_i32 s21, s7, s22
	s_wait_alu 0xfffe
	s_add_nc_u64 s[24:25], s[52:53], s[24:25]
	s_mul_hi_u32 s15, s7, s22
	s_mul_hi_u32 s70, s7, s23
	s_wait_alu 0xfffe
	s_add_co_u32 s21, s24, s21
	s_add_co_ci_u32 s52, s25, s15
	s_mul_i32 s22, s7, s23
	s_add_co_ci_u32 s23, s70, 0
	s_wait_alu 0xfffe
	s_add_nc_u64 s[22:23], s[52:53], s[22:23]
	s_wait_alu 0xfffe
	s_add_co_u32 s6, s6, s22
	s_cselect_b32 s15, -1, 0
	s_wait_alu 0xfffe
	s_cmp_lg_u32 s15, 0
	s_add_co_ci_u32 s7, s7, s23
	s_wait_alu 0xfffe
	s_mul_u64 s[12:13], s[12:13], s[6:7]
	s_wait_alu 0xfffe
	s_mul_hi_u32 s23, s6, s13
	s_mul_i32 s22, s6, s13
	s_mul_hi_u32 s52, s6, s12
	s_mul_i32 s21, s7, s12
	s_wait_alu 0xfffe
	s_add_nc_u64 s[22:23], s[52:53], s[22:23]
	s_mul_hi_u32 s15, s7, s12
	s_mul_hi_u32 s24, s7, s13
	s_mul_i32 s12, s7, s13
	s_wait_alu 0xfffe
	s_add_co_u32 s13, s22, s21
	s_add_co_ci_u32 s52, s23, s15
	s_add_co_ci_u32 s13, s24, 0
	s_wait_alu 0xfffe
	s_add_nc_u64 s[12:13], s[52:53], s[12:13]
	s_wait_alu 0xfffe
	s_add_co_u32 s6, s6, s12
	s_cselect_b32 s12, -1, 0
	s_wait_alu 0xfffe
	s_mul_hi_u32 s52, s60, s6
	s_cmp_lg_u32 s12, 0
	s_mul_hi_u32 s15, s61, s6
	s_add_co_ci_u32 s12, s7, s13
	s_mul_i32 s13, s61, s6
	s_wait_alu 0xfffe
	s_mul_hi_u32 s7, s60, s12
	s_mul_i32 s6, s60, s12
	s_mul_hi_u32 s21, s61, s12
	s_wait_alu 0xfffe
	s_add_nc_u64 s[6:7], s[52:53], s[6:7]
	s_mul_i32 s12, s61, s12
	s_wait_alu 0xfffe
	s_add_co_u32 s6, s6, s13
	s_add_co_ci_u32 s52, s7, s15
	s_add_co_ci_u32 s13, s21, 0
	s_wait_alu 0xfffe
	s_add_nc_u64 s[6:7], s[52:53], s[12:13]
	s_wait_alu 0xfffe
	s_mul_u64 s[6:7], s[48:49], s[6:7]
	s_wait_alu 0xfffe
	s_sub_co_u32 s6, s60, s6
	s_cselect_b32 s12, -1, 0
	s_wait_alu 0xfffe
	s_cmp_lg_u32 s12, 0
	s_sub_co_ci_u32 s7, s61, s7
	s_sub_co_u32 s12, s6, s48
	s_cselect_b32 s13, -1, 0
	s_wait_alu 0xfffe
	s_cmp_lg_u32 s13, 0
	s_sub_co_ci_u32 s13, s7, 0
	;; [unrolled: 5-line block ×3, first 2 shown]
	s_cmp_ge_u32 s12, s48
	s_cselect_b32 s22, -1, 0
	s_cmp_eq_u32 s13, 0
	s_wait_alu 0xfffe
	s_cselect_b32 s22, s22, -1
	s_wait_alu 0xfffe
	s_cmp_lg_u32 s22, 0
	s_cselect_b32 s13, s21, s13
	s_cselect_b32 s12, s15, s12
	s_cmp_ge_u32 s6, s48
	s_cselect_b32 s15, -1, 0
	s_cmp_eq_u32 s7, 0
	s_wait_alu 0xfffe
	s_cselect_b32 s15, s15, -1
	s_wait_alu 0xfffe
	s_cmp_lg_u32 s15, 0
	s_cselect_b32 s7, s13, s7
	s_cselect_b32 s6, s12, s6
	s_cbranch_execnz .LBB135_137
.LBB135_136:                            ;   in Loop: Header=BB135_45 Depth=1
	v_cvt_f32_u32_e32 v2, s48
	s_sub_co_i32 s7, 0, s48
	s_delay_alu instid0(VALU_DEP_1) | instskip(NEXT) | instid1(TRANS32_DEP_1)
	v_rcp_iflag_f32_e32 v2, v2
	v_mul_f32_e32 v2, 0x4f7ffffe, v2
	s_delay_alu instid0(VALU_DEP_1) | instskip(NEXT) | instid1(VALU_DEP_1)
	v_cvt_u32_f32_e32 v2, v2
	v_readfirstlane_b32 s6, v2
	s_wait_alu 0xfffe
	s_mul_i32 s7, s7, s6
	s_wait_alu 0xfffe
	s_mul_hi_u32 s7, s6, s7
	s_wait_alu 0xfffe
	s_add_co_i32 s6, s6, s7
	s_wait_alu 0xfffe
	s_mul_hi_u32 s6, s60, s6
	s_wait_alu 0xfffe
	s_mul_i32 s6, s6, s48
	s_wait_alu 0xfffe
	s_sub_co_i32 s6, s60, s6
	s_wait_alu 0xfffe
	s_sub_co_i32 s7, s6, s48
	s_cmp_ge_u32 s6, s48
	s_wait_alu 0xfffe
	s_cselect_b32 s6, s7, s6
	s_wait_alu 0xfffe
	s_sub_co_i32 s7, s6, s48
	s_cmp_ge_u32 s6, s48
	s_wait_alu 0xfffe
	s_cselect_b32 s52, s7, s6
	s_wait_alu 0xfffe
	s_mov_b64 s[6:7], s[52:53]
.LBB135_137:                            ;   in Loop: Header=BB135_45 Depth=1
	s_wait_alu 0xfffe
	s_sub_nc_u64 s[12:13], s[60:61], s[6:7]
	s_mov_b32 s7, exec_lo
                                        ; implicit-def: $vgpr52
	s_wait_alu 0xfffe
	v_cmpx_gt_u64_e64 s[12:13], v[0:1]
	s_cbranch_execz .LBB135_147
; %bb.138:                              ;   in Loop: Header=BB135_45 Depth=1
	v_dual_mov_b32 v8, v12 :: v_dual_mov_b32 v9, v13
	v_dual_mov_b32 v11, v1 :: v_dual_mov_b32 v10, v0
	s_mov_b32 s15, 0
                                        ; implicit-def: $sgpr21
	s_branch .LBB135_142
.LBB135_139:                            ;   in Loop: Header=BB135_142 Depth=2
	s_wait_alu 0xfffe
	s_or_b32 exec_lo, exec_lo, s6
	s_wait_loadcnt_dscnt 0x0
	s_barrier_signal -1
	s_barrier_wait -1
	global_inv scope:SCOPE_SE
	ds_load_b32 v2, v3 offset:3072
	s_wait_loadcnt_dscnt 0x0
	s_barrier_signal -1
	s_barrier_wait -1
	global_inv scope:SCOPE_SE
	v_cmp_neq_f16_e32 vcc_lo, 0, v2
	s_cbranch_vccnz .LBB135_145
; %bb.140:                              ;   in Loop: Header=BB135_142 Depth=2
	v_add_co_u32 v10, vcc_lo, v10, s48
	s_wait_alu 0xfffd
	v_add_co_ci_u32_e64 v11, null, 0, v11, vcc_lo
	v_add_co_u32 v8, s6, v8, s54
	s_wait_alu 0xf1ff
	v_add_co_ci_u32_e64 v9, null, s55, v9, s6
	s_delay_alu instid0(VALU_DEP_3)
	v_cmp_le_u64_e32 vcc_lo, s[12:13], v[10:11]
	s_mov_b32 s6, 0
	s_or_not1_b32 s22, vcc_lo, exec_lo
.LBB135_141:                            ;   in Loop: Header=BB135_142 Depth=2
	s_wait_alu 0xfffe
	s_and_b32 s22, exec_lo, s22
	s_wait_alu 0xfffe
	s_or_b32 s15, s22, s15
	s_and_not1_b32 s21, s21, exec_lo
	s_and_b32 s6, s6, exec_lo
	s_wait_alu 0xfffe
	s_or_b32 s21, s21, s6
	s_and_not1_b32 exec_lo, exec_lo, s15
	s_cbranch_execz .LBB135_146
.LBB135_142:                            ;   Parent Loop BB135_45 Depth=1
                                        ; =>  This Inner Loop Header: Depth=2
	s_mov_b32 s6, exec_lo
	s_delay_alu instid0(VALU_DEP_1)
	v_cmpx_gt_u64_e64 s[28:29], v[10:11]
	s_cbranch_execz .LBB135_139
; %bb.143:                              ;   in Loop: Header=BB135_142 Depth=2
	global_load_u16 v2, v[8:9], off
	s_wait_loadcnt 0x0
	v_cmp_lt_i16_e32 vcc_lo, -1, v2
	v_and_b32_e32 v31, 0xffff, v2
	s_wait_alu 0xfffd
	v_cndmask_b32_e32 v32, 0xffff, v50, vcc_lo
	v_cmp_o_f16_e32 vcc_lo, v2, v2
	s_delay_alu instid0(VALU_DEP_2) | instskip(SKIP_1) | instid1(VALU_DEP_1)
	v_xor_b32_e32 v31, v32, v31
	s_wait_alu 0xfffd
	v_cndmask_b32_e32 v31, 0xffff, v31, vcc_lo
	s_delay_alu instid0(VALU_DEP_1) | instskip(NEXT) | instid1(VALU_DEP_1)
	v_and_b32_e32 v31, v31, v51
	v_cmp_eq_u32_e32 vcc_lo, v31, v46
	s_and_b32 exec_lo, exec_lo, vcc_lo
	s_cbranch_execz .LBB135_139
; %bb.144:                              ;   in Loop: Header=BB135_142 Depth=2
	v_perm_b32 v2, v2, s94, 0x5040100
	ds_store_b32 v3, v2 offset:3072
	s_branch .LBB135_139
.LBB135_145:                            ;   in Loop: Header=BB135_142 Depth=2
	s_mov_b32 s22, -1
	s_mov_b32 s6, -1
                                        ; implicit-def: $vgpr10_vgpr11
                                        ; implicit-def: $vgpr8_vgpr9
	s_branch .LBB135_141
.LBB135_146:                            ;   in Loop: Header=BB135_45 Depth=1
	s_or_b32 exec_lo, exec_lo, s15
	v_lshrrev_b32_e32 v52, 16, v2
	s_and_not1_b32 s6, s14, exec_lo
	s_wait_alu 0xfffe
	s_and_b32 s12, s21, exec_lo
	s_wait_alu 0xfffe
	s_or_b32 s14, s6, s12
.LBB135_147:                            ;   in Loop: Header=BB135_45 Depth=1
	s_or_b32 exec_lo, exec_lo, s7
	s_mov_b32 s21, 0
	s_mov_b32 s22, -1
.LBB135_148:                            ;   in Loop: Header=BB135_45 Depth=1
	s_wait_alu 0xfffe
	s_or_not1_b32 s6, s14, exec_lo
.LBB135_149:                            ;   in Loop: Header=BB135_45 Depth=1
	s_wait_alu 0xfffe
	s_or_b32 exec_lo, exec_lo, s17
	s_delay_alu instid0(SALU_CYCLE_1)
	s_and_not1_b32 s7, s102, exec_lo
	s_and_b32 s12, s22, exec_lo
	s_and_not1_b32 s13, s100, exec_lo
	s_and_b32 s14, s21, exec_lo
	s_and_not1_b32 s99, s99, exec_lo
	s_wait_alu 0xfffe
	s_or_b32 s102, s7, s12
	s_or_b32 s100, s13, s14
                                        ; implicit-def: $vgpr8_vgpr9
	s_and_saveexec_b32 s17, s6
	s_cbranch_execz .LBB135_44
; %bb.150:                              ;   in Loop: Header=BB135_45 Depth=1
	v_mov_b32_e32 v8, 1
	v_dual_mov_b32 v9, 0 :: v_dual_mov_b32 v2, 1
	s_xor_b32 s12, s19, -1
	s_mov_b32 s7, 0
	s_wait_alu 0xfffe
	s_and_saveexec_b32 s6, s12
	s_cbranch_execz .LBB135_159
; %bb.151:                              ;   in Loop: Header=BB135_45 Depth=1
	s_mov_b32 s7, exec_lo
	v_cmpx_le_u64_e64 v[29:30], v[4:5]
	s_wait_alu 0xfffe
	s_xor_b32 s7, exec_lo, s7
	s_cbranch_execz .LBB135_156
; %bb.152:                              ;   in Loop: Header=BB135_45 Depth=1
	ds_load_b64 v[8:9], v3 offset:5120
	v_and_b32_e32 v46, s20, v46
	v_or_b32_e32 v51, s16, v51
	s_wait_dscnt 0x0
	v_cmp_ne_u64_e32 vcc_lo, 0, v[8:9]
	s_cbranch_vccnz .LBB135_156
; %bb.153:                              ;   in Loop: Header=BB135_45 Depth=1
	s_and_saveexec_b32 s12, s3
; %bb.154:                              ;   in Loop: Header=BB135_45 Depth=1
	ds_store_b64 v3, v[4:5] offset:5128
; %bb.155:                              ;   in Loop: Header=BB135_45 Depth=1
	s_wait_alu 0xfffe
	s_or_b32 exec_lo, exec_lo, s12
	s_wait_loadcnt_dscnt 0x0
	s_barrier_signal -1
	s_barrier_wait -1
	global_inv scope:SCOPE_SE
.LBB135_156:                            ;   in Loop: Header=BB135_45 Depth=1
	s_wait_alu 0xfffe
	s_or_saveexec_b32 s7, s7
	v_mov_b32_e32 v2, 8
	s_mov_b32 s12, 0
	s_wait_alu 0xfffe
	s_xor_b32 exec_lo, exec_lo, s7
; %bb.157:                              ;   in Loop: Header=BB135_45 Depth=1
	v_sub_co_u32 v29, vcc_lo, v29, v4
	s_wait_alu 0xfffd
	v_sub_co_ci_u32_e64 v30, null, v30, v5, vcc_lo
	v_mov_b32_e32 v2, 0
	s_mov_b32 s12, exec_lo
; %bb.158:                              ;   in Loop: Header=BB135_45 Depth=1
	s_or_b32 exec_lo, exec_lo, s7
	s_delay_alu instid0(VALU_DEP_2)
	v_dual_mov_b32 v8, v29 :: v_dual_mov_b32 v9, v30
	s_wait_alu 0xfffe
	s_and_b32 s7, s12, exec_lo
.LBB135_159:                            ;   in Loop: Header=BB135_45 Depth=1
	s_wait_alu 0xfffe
	s_or_b32 exec_lo, exec_lo, s6
	s_mov_b32 s18, -1
	s_mov_b32 s6, -1
                                        ; implicit-def: $sgpr21
                                        ; implicit-def: $sgpr22
	s_and_saveexec_b32 s12, s7
	s_wait_alu 0xfffe
	s_xor_b32 s19, exec_lo, s12
	s_cbranch_execz .LBB135_310
; %bb.160:                              ;   in Loop: Header=BB135_45 Depth=1
	v_cmp_eq_u64_e32 vcc_lo, 1, v[6:7]
	v_cmp_eq_u64_e64 s6, 1, v[8:9]
                                        ; implicit-def: $sgpr22
                                        ; implicit-def: $sgpr21
	s_and_b32 s24, vcc_lo, s6
	s_mov_b32 s6, -1
	s_wait_alu 0xfffe
	s_and_saveexec_b32 s23, s24
	s_cbranch_execz .LBB135_199
; %bb.161:                              ;   in Loop: Header=BB135_45 Depth=1
	ds_load_b64 v[4:5], v3 offset:5120
	s_wait_loadcnt_dscnt 0x0
	s_barrier_signal -1
	s_barrier_wait -1
	global_inv scope:SCOPE_SE
	v_readfirstlane_b32 s6, v4
	v_readfirstlane_b32 s7, v5
	s_and_saveexec_b32 s12, s0
; %bb.162:                              ;   in Loop: Header=BB135_45 Depth=1
	ds_store_b16 v43, v3
; %bb.163:                              ;   in Loop: Header=BB135_45 Depth=1
	s_wait_alu 0xfffe
	s_or_b32 exec_lo, exec_lo, s12
	s_lshl_b32 s12, 1, s95
	v_or_b32_e32 v51, s16, v51
	s_wait_alu 0xfffe
	v_and_or_b32 v46, v46, s20, s12
	s_mov_b32 s21, -1
	s_mov_b32 s22, 0
	s_cmp_eq_u64 s[6:7], 0
	s_mov_b32 s14, 0
	s_mov_b32 s15, -1
	s_wait_loadcnt_dscnt 0x0
	s_barrier_signal -1
	s_barrier_wait -1
	global_inv scope:SCOPE_SE
                                        ; implicit-def: $vgpr52
	s_cbranch_scc1 .LBB135_183
; %bb.164:                              ;   in Loop: Header=BB135_45 Depth=1
	s_add_nc_u64 s[12:13], s[6:7], s[58:59]
	s_mov_b32 s14, s53
	s_wait_alu 0xfffe
	s_mov_b32 s15, s13
	s_wait_alu 0xfffe
	s_cmp_lg_u64 s[14:15], 0
	s_cbranch_scc0 .LBB135_227
; %bb.165:                              ;   in Loop: Header=BB135_45 Depth=1
	s_cvt_f32_u32 s14, s48
	s_sub_nc_u64 s[70:71], 0, s[48:49]
	s_wait_alu 0xfffe
	s_delay_alu instid0(SALU_CYCLE_1) | instskip(SKIP_1) | instid1(SALU_CYCLE_2)
	s_fmamk_f32 s14, s93, 0x0, s14
	s_wait_alu 0xfffe
	v_s_rcp_f32 s14, s14
	s_delay_alu instid0(TRANS32_DEP_1) | instskip(SKIP_1) | instid1(SALU_CYCLE_2)
	s_mul_f32 s14, s14, 0x5f7ffffc
	s_wait_alu 0xfffe
	s_mul_f32 s15, s14, 0x2f800000
	s_wait_alu 0xfffe
	s_delay_alu instid0(SALU_CYCLE_2) | instskip(SKIP_1) | instid1(SALU_CYCLE_2)
	s_trunc_f32 s15, s15
	s_wait_alu 0xfffe
	s_fmamk_f32 s14, s15, 0xcf800000, s14
	s_cvt_u32_f32 s15, s15
	s_wait_alu 0xfffe
	s_delay_alu instid0(SALU_CYCLE_1) | instskip(SKIP_1) | instid1(SALU_CYCLE_2)
	s_cvt_u32_f32 s14, s14
	s_wait_alu 0xfffe
	s_mul_u64 s[72:73], s[70:71], s[14:15]
	s_wait_alu 0xfffe
	s_mul_hi_u32 s75, s14, s73
	s_mul_i32 s74, s14, s73
	s_mul_hi_u32 s52, s14, s72
	s_mul_i32 s76, s15, s72
	s_wait_alu 0xfffe
	s_add_nc_u64 s[74:75], s[52:53], s[74:75]
	s_mul_hi_u32 s25, s15, s72
	s_mul_hi_u32 s77, s15, s73
	s_wait_alu 0xfffe
	s_add_co_u32 s52, s74, s76
	s_add_co_ci_u32 s52, s75, s25
	s_mul_i32 s72, s15, s73
	s_add_co_ci_u32 s73, s77, 0
	s_wait_alu 0xfffe
	s_add_nc_u64 s[72:73], s[52:53], s[72:73]
	s_wait_alu 0xfffe
	s_add_co_u32 s14, s14, s72
	s_cselect_b32 s25, -1, 0
	s_wait_alu 0xfffe
	s_cmp_lg_u32 s25, 0
	s_add_co_ci_u32 s15, s15, s73
	s_wait_alu 0xfffe
	s_mul_u64 s[70:71], s[70:71], s[14:15]
	s_delay_alu instid0(SALU_CYCLE_1)
	s_mul_hi_u32 s73, s14, s71
	s_mul_i32 s72, s14, s71
	s_mul_hi_u32 s52, s14, s70
	s_mul_i32 s74, s15, s70
	s_wait_alu 0xfffe
	s_add_nc_u64 s[72:73], s[52:53], s[72:73]
	s_mul_hi_u32 s25, s15, s70
	s_mul_hi_u32 s75, s15, s71
	s_wait_alu 0xfffe
	s_add_co_u32 s52, s72, s74
	s_add_co_ci_u32 s52, s73, s25
	s_mul_i32 s70, s15, s71
	s_add_co_ci_u32 s71, s75, 0
	s_wait_alu 0xfffe
	s_add_nc_u64 s[70:71], s[52:53], s[70:71]
	s_delay_alu instid0(SALU_CYCLE_1)
	s_add_co_u32 s14, s14, s70
	s_cselect_b32 s25, -1, 0
	s_wait_alu 0xfffe
	s_mul_hi_u32 s52, s12, s14
	s_cmp_lg_u32 s25, 0
	s_mul_hi_u32 s25, s13, s14
	s_add_co_ci_u32 s70, s15, s71
	s_mul_i32 s71, s13, s14
	s_mul_hi_u32 s15, s12, s70
	s_mul_i32 s14, s12, s70
	s_mul_hi_u32 s72, s13, s70
	s_wait_alu 0xfffe
	s_add_nc_u64 s[14:15], s[52:53], s[14:15]
	s_mul_i32 s70, s13, s70
	s_wait_alu 0xfffe
	s_add_co_u32 s14, s14, s71
	s_add_co_ci_u32 s52, s15, s25
	s_add_co_ci_u32 s71, s72, 0
	s_wait_alu 0xfffe
	s_add_nc_u64 s[14:15], s[52:53], s[70:71]
	s_wait_alu 0xfffe
	s_mul_u64 s[14:15], s[48:49], s[14:15]
	s_wait_alu 0xfffe
	s_sub_co_u32 s14, s12, s14
	s_cselect_b32 s25, -1, 0
	s_wait_alu 0xfffe
	s_cmp_lg_u32 s25, 0
	s_sub_co_ci_u32 s15, s13, s15
	s_sub_co_u32 s25, s14, s48
	s_cselect_b32 s52, -1, 0
	s_wait_alu 0xfffe
	s_cmp_lg_u32 s52, 0
	s_sub_co_ci_u32 s52, s15, 0
	s_sub_co_u32 s70, s25, s48
	s_cselect_b32 s71, -1, 0
	s_delay_alu instid0(SALU_CYCLE_1)
	s_cmp_lg_u32 s71, 0
	s_wait_alu 0xfffe
	s_sub_co_ci_u32 s71, s52, 0
	s_cmp_ge_u32 s25, s48
	s_cselect_b32 s72, -1, 0
	s_cmp_eq_u32 s52, 0
	s_wait_alu 0xfffe
	s_cselect_b32 s72, s72, -1
	s_wait_alu 0xfffe
	s_cmp_lg_u32 s72, 0
	s_cselect_b32 s52, s71, s52
	s_cselect_b32 s25, s70, s25
	s_cmp_ge_u32 s14, s48
	s_cselect_b32 s70, -1, 0
	s_cmp_eq_u32 s15, 0
	s_cselect_b32 s70, s70, -1
	s_delay_alu instid0(SALU_CYCLE_1)
	s_cmp_lg_u32 s70, 0
	s_wait_alu 0xfffe
	s_cselect_b32 s15, s52, s15
	s_cselect_b32 s14, s25, s14
	s_cbranch_execnz .LBB135_167
.LBB135_166:                            ;   in Loop: Header=BB135_45 Depth=1
	v_cvt_f32_u32_e32 v4, s48
	s_sub_co_i32 s15, 0, s48
	s_delay_alu instid0(VALU_DEP_1) | instskip(NEXT) | instid1(TRANS32_DEP_1)
	v_rcp_iflag_f32_e32 v4, v4
	v_mul_f32_e32 v4, 0x4f7ffffe, v4
	s_delay_alu instid0(VALU_DEP_1) | instskip(NEXT) | instid1(VALU_DEP_1)
	v_cvt_u32_f32_e32 v4, v4
	v_readfirstlane_b32 s14, v4
	s_wait_alu 0xfffe
	s_mul_i32 s15, s15, s14
	s_wait_alu 0xfffe
	s_mul_hi_u32 s15, s14, s15
	s_wait_alu 0xfffe
	s_add_co_i32 s14, s14, s15
	s_wait_alu 0xfffe
	s_mul_hi_u32 s14, s12, s14
	s_wait_alu 0xfffe
	s_mul_i32 s14, s14, s48
	s_wait_alu 0xfffe
	s_sub_co_i32 s14, s12, s14
	s_wait_alu 0xfffe
	s_sub_co_i32 s15, s14, s48
	s_cmp_ge_u32 s14, s48
	s_wait_alu 0xfffe
	s_cselect_b32 s14, s15, s14
	s_wait_alu 0xfffe
	s_sub_co_i32 s15, s14, s48
	s_cmp_ge_u32 s14, s48
	s_wait_alu 0xfffe
	s_cselect_b32 s52, s15, s14
	s_wait_alu 0xfffe
	s_mov_b64 s[14:15], s[52:53]
.LBB135_167:                            ;   in Loop: Header=BB135_45 Depth=1
	s_wait_alu 0xfffe
	s_sub_nc_u64 s[12:13], s[12:13], s[14:15]
	s_mov_b32 s15, 0
	s_mov_b32 s14, 0
	s_mov_b32 s25, exec_lo
                                        ; implicit-def: $vgpr52
	s_wait_alu 0xfffe
	v_cmpx_gt_u64_e64 s[12:13], v[0:1]
	s_cbranch_execz .LBB135_182
; %bb.168:                              ;   in Loop: Header=BB135_45 Depth=1
	v_dual_mov_b32 v10, v42 :: v_dual_mov_b32 v5, v1
	v_mov_b32_e32 v4, v0
                                        ; implicit-def: $sgpr52
	s_branch .LBB135_172
.LBB135_169:                            ;   in Loop: Header=BB135_172 Depth=2
	s_or_b32 exec_lo, exec_lo, s70
	s_wait_loadcnt_dscnt 0x0
	s_barrier_signal -1
	s_barrier_wait -1
	global_inv scope:SCOPE_SE
	ds_load_b32 v11, v3 offset:3072
	s_wait_loadcnt_dscnt 0x0
	s_barrier_signal -1
	s_barrier_wait -1
	global_inv scope:SCOPE_SE
	v_cmp_neq_f16_e32 vcc_lo, 0, v11
	s_cbranch_vccnz .LBB135_175
; %bb.170:                              ;   in Loop: Header=BB135_172 Depth=2
	v_add_co_u32 v4, vcc_lo, v4, s48
	s_wait_alu 0xfffd
	v_add_co_ci_u32_e64 v5, null, 0, v5, vcc_lo
	v_add_nc_u32_e32 v10, s92, v10
	s_mov_b32 s70, 0
	s_delay_alu instid0(VALU_DEP_2)
	v_cmp_le_u64_e32 vcc_lo, s[12:13], v[4:5]
	s_or_not1_b32 s71, vcc_lo, exec_lo
.LBB135_171:                            ;   in Loop: Header=BB135_172 Depth=2
	s_delay_alu instid0(SALU_CYCLE_1) | instskip(NEXT) | instid1(SALU_CYCLE_1)
	s_and_b32 s71, exec_lo, s71
	s_or_b32 s14, s71, s14
	s_wait_alu 0xfffe
	s_and_not1_b32 s52, s52, exec_lo
	s_and_b32 s70, s70, exec_lo
	s_wait_alu 0xfffe
	s_or_b32 s52, s52, s70
	s_and_not1_b32 exec_lo, exec_lo, s14
	s_cbranch_execz .LBB135_181
.LBB135_172:                            ;   Parent Loop BB135_45 Depth=1
                                        ; =>  This Inner Loop Header: Depth=2
	s_mov_b32 s70, exec_lo
	s_delay_alu instid0(VALU_DEP_1)
	v_cmpx_gt_u64_e64 s[6:7], v[4:5]
	s_cbranch_execz .LBB135_169
; %bb.173:                              ;   in Loop: Header=BB135_172 Depth=2
	ds_load_u16 v11, v10
	s_wait_dscnt 0x0
	v_cmp_lt_i16_e32 vcc_lo, -1, v11
	s_wait_alu 0xfffd
	v_dual_cndmask_b32 v30, 0xffff, v50 :: v_dual_and_b32 v29, 0xffff, v11
	v_cmp_o_f16_e32 vcc_lo, v11, v11
	s_delay_alu instid0(VALU_DEP_2) | instskip(SKIP_1) | instid1(VALU_DEP_1)
	v_xor_b32_e32 v29, v30, v29
	s_wait_alu 0xfffd
	v_cndmask_b32_e32 v29, 0xffff, v29, vcc_lo
	s_delay_alu instid0(VALU_DEP_1) | instskip(NEXT) | instid1(VALU_DEP_1)
	v_and_b32_e32 v29, v29, v51
	v_cmp_eq_u32_e32 vcc_lo, v29, v46
	s_and_b32 exec_lo, exec_lo, vcc_lo
	s_cbranch_execz .LBB135_169
; %bb.174:                              ;   in Loop: Header=BB135_172 Depth=2
	v_perm_b32 v11, v11, s94, 0x5040100
	ds_store_b32 v3, v11 offset:3072
	s_branch .LBB135_169
.LBB135_175:                            ;   in Loop: Header=BB135_172 Depth=2
	s_mov_b32 s71, -1
	s_mov_b32 s70, -1
                                        ; implicit-def: $vgpr4_vgpr5
                                        ; implicit-def: $vgpr10
	s_branch .LBB135_171
.LBB135_176:                            ;   in Loop: Header=BB135_45 Depth=1
                                        ; implicit-def: $sgpr14_sgpr15
	s_branch .LBB135_121
.LBB135_177:                            ;   in Loop: Header=BB135_45 Depth=1
	s_or_b32 exec_lo, exec_lo, s9
	s_wait_dscnt 0x0
	s_barrier_signal -1
	s_barrier_wait -1
	global_inv scope:SCOPE_SE
	s_and_saveexec_b32 s6, s3
	s_cbranch_execz .LBB135_179
; %bb.178:                              ;   in Loop: Header=BB135_45 Depth=1
	ds_load_b32 v4, v3 offset:5144
	s_wait_dscnt 0x0
	v_ashrrev_i32_e32 v5, 31, v4
	ds_store_b64 v3, v[4:5] offset:5120
.LBB135_179:                            ;   in Loop: Header=BB135_45 Depth=1
	s_wait_alu 0xfffe
	s_or_b32 exec_lo, exec_lo, s6
	s_wait_loadcnt_dscnt 0x0
	s_barrier_signal -1
	s_mov_b32 s6, -1
	s_barrier_wait -1
	s_and_b32 vcc_lo, exec_lo, s8
	s_wait_alu 0xfffe
	s_cbranch_vccnz .LBB135_60
	s_branch .LBB135_75
.LBB135_180:                            ;   in Loop: Header=BB135_45 Depth=1
                                        ; implicit-def: $sgpr6_sgpr7
	s_branch .LBB135_136
.LBB135_181:                            ;   in Loop: Header=BB135_45 Depth=1
	s_or_b32 exec_lo, exec_lo, s14
	v_lshrrev_b32_e32 v52, 16, v11
	s_wait_alu 0xfffe
	s_and_b32 s14, s52, exec_lo
.LBB135_182:                            ;   in Loop: Header=BB135_45 Depth=1
	s_or_b32 exec_lo, exec_lo, s25
.LBB135_183:                            ;   in Loop: Header=BB135_45 Depth=1
	s_wait_alu 0xfffe
	s_and_b32 vcc_lo, exec_lo, s15
	s_wait_alu 0xfffe
	s_cbranch_vccz .LBB135_198
; %bb.184:                              ;   in Loop: Header=BB135_45 Depth=1
	s_mov_b32 s6, s53
	s_mov_b32 s7, s61
	s_wait_alu 0xfffe
	s_cmp_lg_u64 s[6:7], 0
	s_cbranch_scc0 .LBB135_228
; %bb.185:                              ;   in Loop: Header=BB135_45 Depth=1
	s_cvt_f32_u32 s6, s48
	s_sub_nc_u64 s[12:13], 0, s[48:49]
	s_wait_alu 0xfffe
	s_delay_alu instid0(SALU_CYCLE_1) | instskip(SKIP_1) | instid1(SALU_CYCLE_2)
	s_fmamk_f32 s6, s93, 0x0, s6
	s_wait_alu 0xfffe
	v_s_rcp_f32 s6, s6
	s_delay_alu instid0(TRANS32_DEP_1) | instskip(SKIP_1) | instid1(SALU_CYCLE_2)
	s_mul_f32 s6, s6, 0x5f7ffffc
	s_wait_alu 0xfffe
	s_mul_f32 s7, s6, 0x2f800000
	s_wait_alu 0xfffe
	s_delay_alu instid0(SALU_CYCLE_2) | instskip(SKIP_1) | instid1(SALU_CYCLE_2)
	s_trunc_f32 s7, s7
	s_wait_alu 0xfffe
	s_fmamk_f32 s6, s7, 0xcf800000, s6
	s_cvt_u32_f32 s7, s7
	s_wait_alu 0xfffe
	s_delay_alu instid0(SALU_CYCLE_1) | instskip(SKIP_1) | instid1(SALU_CYCLE_2)
	s_cvt_u32_f32 s6, s6
	s_wait_alu 0xfffe
	s_mul_u64 s[70:71], s[12:13], s[6:7]
	s_delay_alu instid0(SALU_CYCLE_1)
	s_mul_hi_u32 s73, s6, s71
	s_mul_i32 s72, s6, s71
	s_mul_hi_u32 s52, s6, s70
	s_mul_i32 s21, s7, s70
	s_wait_alu 0xfffe
	s_add_nc_u64 s[72:73], s[52:53], s[72:73]
	s_mul_hi_u32 s15, s7, s70
	s_mul_hi_u32 s22, s7, s71
	s_wait_alu 0xfffe
	s_add_co_u32 s21, s72, s21
	s_add_co_ci_u32 s52, s73, s15
	s_mul_i32 s70, s7, s71
	s_add_co_ci_u32 s71, s22, 0
	s_wait_alu 0xfffe
	s_add_nc_u64 s[70:71], s[52:53], s[70:71]
	s_delay_alu instid0(SALU_CYCLE_1)
	s_add_co_u32 s6, s6, s70
	s_cselect_b32 s15, -1, 0
	s_wait_alu 0xfffe
	s_cmp_lg_u32 s15, 0
	s_add_co_ci_u32 s7, s7, s71
	s_wait_alu 0xfffe
	s_mul_u64 s[12:13], s[12:13], s[6:7]
	s_wait_alu 0xfffe
	s_mul_hi_u32 s71, s6, s13
	s_mul_i32 s70, s6, s13
	s_mul_hi_u32 s52, s6, s12
	s_mul_i32 s21, s7, s12
	s_wait_alu 0xfffe
	s_add_nc_u64 s[70:71], s[52:53], s[70:71]
	s_mul_hi_u32 s15, s7, s12
	s_mul_hi_u32 s22, s7, s13
	s_mul_i32 s12, s7, s13
	s_add_co_u32 s13, s70, s21
	s_wait_alu 0xfffe
	s_add_co_ci_u32 s52, s71, s15
	s_add_co_ci_u32 s13, s22, 0
	s_wait_alu 0xfffe
	s_add_nc_u64 s[12:13], s[52:53], s[12:13]
	s_wait_alu 0xfffe
	s_add_co_u32 s6, s6, s12
	s_cselect_b32 s12, -1, 0
	s_wait_alu 0xfffe
	s_mul_hi_u32 s52, s60, s6
	s_cmp_lg_u32 s12, 0
	s_mul_hi_u32 s15, s61, s6
	s_add_co_ci_u32 s12, s7, s13
	s_mul_i32 s13, s61, s6
	s_wait_alu 0xfffe
	s_mul_hi_u32 s7, s60, s12
	s_mul_i32 s6, s60, s12
	s_mul_hi_u32 s21, s61, s12
	s_wait_alu 0xfffe
	s_add_nc_u64 s[6:7], s[52:53], s[6:7]
	s_mul_i32 s12, s61, s12
	s_wait_alu 0xfffe
	s_add_co_u32 s6, s6, s13
	s_add_co_ci_u32 s52, s7, s15
	s_add_co_ci_u32 s13, s21, 0
	s_wait_alu 0xfffe
	s_add_nc_u64 s[6:7], s[52:53], s[12:13]
	s_wait_alu 0xfffe
	s_mul_u64 s[6:7], s[48:49], s[6:7]
	s_wait_alu 0xfffe
	s_sub_co_u32 s6, s60, s6
	s_cselect_b32 s12, -1, 0
	s_wait_alu 0xfffe
	s_cmp_lg_u32 s12, 0
	s_sub_co_ci_u32 s7, s61, s7
	s_sub_co_u32 s12, s6, s48
	s_cselect_b32 s13, -1, 0
	s_wait_alu 0xfffe
	s_cmp_lg_u32 s13, 0
	s_sub_co_ci_u32 s13, s7, 0
	;; [unrolled: 5-line block ×3, first 2 shown]
	s_cmp_ge_u32 s12, s48
	s_cselect_b32 s22, -1, 0
	s_cmp_eq_u32 s13, 0
	s_wait_alu 0xfffe
	s_cselect_b32 s22, s22, -1
	s_wait_alu 0xfffe
	s_cmp_lg_u32 s22, 0
	s_cselect_b32 s13, s21, s13
	s_cselect_b32 s12, s15, s12
	s_cmp_ge_u32 s6, s48
	s_cselect_b32 s15, -1, 0
	s_cmp_eq_u32 s7, 0
	s_wait_alu 0xfffe
	s_cselect_b32 s15, s15, -1
	s_wait_alu 0xfffe
	s_cmp_lg_u32 s15, 0
	s_cselect_b32 s7, s13, s7
	s_cselect_b32 s6, s12, s6
	s_cbranch_execnz .LBB135_187
.LBB135_186:                            ;   in Loop: Header=BB135_45 Depth=1
	v_cvt_f32_u32_e32 v4, s48
	s_sub_co_i32 s7, 0, s48
	s_delay_alu instid0(VALU_DEP_1) | instskip(NEXT) | instid1(TRANS32_DEP_1)
	v_rcp_iflag_f32_e32 v4, v4
	v_mul_f32_e32 v4, 0x4f7ffffe, v4
	s_delay_alu instid0(VALU_DEP_1) | instskip(NEXT) | instid1(VALU_DEP_1)
	v_cvt_u32_f32_e32 v4, v4
	v_readfirstlane_b32 s6, v4
	s_wait_alu 0xfffe
	s_mul_i32 s7, s7, s6
	s_wait_alu 0xfffe
	s_mul_hi_u32 s7, s6, s7
	s_wait_alu 0xfffe
	s_add_co_i32 s6, s6, s7
	s_wait_alu 0xfffe
	s_mul_hi_u32 s6, s60, s6
	s_wait_alu 0xfffe
	s_mul_i32 s6, s6, s48
	s_wait_alu 0xfffe
	s_sub_co_i32 s6, s60, s6
	s_wait_alu 0xfffe
	s_sub_co_i32 s7, s6, s48
	s_cmp_ge_u32 s6, s48
	s_wait_alu 0xfffe
	s_cselect_b32 s6, s7, s6
	s_wait_alu 0xfffe
	s_sub_co_i32 s7, s6, s48
	s_cmp_ge_u32 s6, s48
	s_wait_alu 0xfffe
	s_cselect_b32 s52, s7, s6
	s_wait_alu 0xfffe
	s_mov_b64 s[6:7], s[52:53]
.LBB135_187:                            ;   in Loop: Header=BB135_45 Depth=1
	s_wait_alu 0xfffe
	s_sub_nc_u64 s[12:13], s[60:61], s[6:7]
	s_mov_b32 s7, exec_lo
                                        ; implicit-def: $vgpr52
	s_wait_alu 0xfffe
	v_cmpx_gt_u64_e64 s[12:13], v[0:1]
	s_cbranch_execz .LBB135_197
; %bb.188:                              ;   in Loop: Header=BB135_45 Depth=1
	v_dual_mov_b32 v4, v12 :: v_dual_mov_b32 v5, v13
	v_dual_mov_b32 v11, v1 :: v_dual_mov_b32 v10, v0
	s_mov_b32 s15, 0
                                        ; implicit-def: $sgpr21
	s_branch .LBB135_192
.LBB135_189:                            ;   in Loop: Header=BB135_192 Depth=2
	s_wait_alu 0xfffe
	s_or_b32 exec_lo, exec_lo, s6
	s_wait_loadcnt_dscnt 0x0
	s_barrier_signal -1
	s_barrier_wait -1
	global_inv scope:SCOPE_SE
	ds_load_b32 v29, v3 offset:3072
	s_wait_loadcnt_dscnt 0x0
	s_barrier_signal -1
	s_barrier_wait -1
	global_inv scope:SCOPE_SE
	v_cmp_eq_f16_e32 vcc_lo, 0, v29
	s_cbranch_vccz .LBB135_195
; %bb.190:                              ;   in Loop: Header=BB135_192 Depth=2
	v_add_co_u32 v10, vcc_lo, v10, s48
	s_wait_alu 0xfffd
	v_add_co_ci_u32_e64 v11, null, 0, v11, vcc_lo
	v_add_co_u32 v4, s6, v4, s54
	s_wait_alu 0xf1ff
	v_add_co_ci_u32_e64 v5, null, s55, v5, s6
	s_delay_alu instid0(VALU_DEP_3)
	v_cmp_le_u64_e32 vcc_lo, s[12:13], v[10:11]
	s_mov_b32 s6, 0
	s_or_not1_b32 s22, vcc_lo, exec_lo
.LBB135_191:                            ;   in Loop: Header=BB135_192 Depth=2
	s_wait_alu 0xfffe
	s_and_b32 s22, exec_lo, s22
	s_wait_alu 0xfffe
	s_or_b32 s15, s22, s15
	s_and_not1_b32 s21, s21, exec_lo
	s_and_b32 s6, s6, exec_lo
	s_wait_alu 0xfffe
	s_or_b32 s21, s21, s6
	s_and_not1_b32 exec_lo, exec_lo, s15
	s_cbranch_execz .LBB135_196
.LBB135_192:                            ;   Parent Loop BB135_45 Depth=1
                                        ; =>  This Inner Loop Header: Depth=2
	s_mov_b32 s6, exec_lo
	s_delay_alu instid0(VALU_DEP_1)
	v_cmpx_gt_u64_e64 s[28:29], v[10:11]
	s_cbranch_execz .LBB135_189
; %bb.193:                              ;   in Loop: Header=BB135_192 Depth=2
	global_load_u16 v29, v[4:5], off
	s_wait_loadcnt 0x0
	v_cmp_lt_i16_e32 vcc_lo, -1, v29
	s_wait_alu 0xfffd
	v_dual_cndmask_b32 v31, 0xffff, v50 :: v_dual_and_b32 v30, 0xffff, v29
	v_cmp_o_f16_e32 vcc_lo, v29, v29
	s_delay_alu instid0(VALU_DEP_2) | instskip(SKIP_1) | instid1(VALU_DEP_1)
	v_xor_b32_e32 v30, v31, v30
	s_wait_alu 0xfffd
	v_cndmask_b32_e32 v30, 0xffff, v30, vcc_lo
	s_delay_alu instid0(VALU_DEP_1) | instskip(NEXT) | instid1(VALU_DEP_1)
	v_and_b32_e32 v30, v30, v51
	v_cmp_eq_u32_e32 vcc_lo, v30, v46
	s_and_b32 exec_lo, exec_lo, vcc_lo
	s_cbranch_execz .LBB135_189
; %bb.194:                              ;   in Loop: Header=BB135_192 Depth=2
	v_perm_b32 v29, v29, s94, 0x5040100
	ds_store_b32 v3, v29 offset:3072
	s_branch .LBB135_189
.LBB135_195:                            ;   in Loop: Header=BB135_192 Depth=2
	s_mov_b32 s22, -1
	s_mov_b32 s6, -1
                                        ; implicit-def: $vgpr10_vgpr11
                                        ; implicit-def: $vgpr4_vgpr5
	s_branch .LBB135_191
.LBB135_196:                            ;   in Loop: Header=BB135_45 Depth=1
	s_or_b32 exec_lo, exec_lo, s15
	v_lshrrev_b32_e32 v52, 16, v29
	s_and_not1_b32 s6, s14, exec_lo
	s_wait_alu 0xfffe
	s_and_b32 s12, s21, exec_lo
	s_wait_alu 0xfffe
	s_or_b32 s14, s6, s12
.LBB135_197:                            ;   in Loop: Header=BB135_45 Depth=1
	s_or_b32 exec_lo, exec_lo, s7
	s_mov_b32 s21, 0
	s_mov_b32 s22, -1
.LBB135_198:                            ;   in Loop: Header=BB135_45 Depth=1
	s_wait_alu 0xfffe
	s_or_not1_b32 s6, s14, exec_lo
.LBB135_199:                            ;   in Loop: Header=BB135_45 Depth=1
	s_wait_alu 0xfffe
	s_or_b32 exec_lo, exec_lo, s23
	s_mov_b32 s7, 0
	s_and_saveexec_b32 s23, s6
	s_cbranch_execz .LBB135_309
; %bb.200:                              ;   in Loop: Header=BB135_45 Depth=1
	v_mov_b32_e32 v4, 1
	v_dual_mov_b32 v5, 0 :: v_dual_mov_b32 v2, 1
	s_xor_b32 s12, s24, -1
	s_wait_alu 0xfffe
	s_and_saveexec_b32 s6, s12
	s_cbranch_execz .LBB135_210
; %bb.201:                              ;   in Loop: Header=BB135_45 Depth=1
	s_mov_b32 s7, exec_lo
	v_cmpx_le_u64_e64 v[8:9], v[6:7]
	s_wait_alu 0xfffe
	s_xor_b32 s7, exec_lo, s7
	s_cbranch_execz .LBB135_207
; %bb.202:                              ;   in Loop: Header=BB135_45 Depth=1
	ds_load_b64 v[4:5], v3 offset:5120
	s_lshl_b32 s12, 1, s95
	v_or_b32_e32 v51, s16, v51
	s_wait_alu 0xfffe
	v_and_or_b32 v46, v46, s20, s12
	s_wait_dscnt 0x0
	v_cmp_ne_u64_e32 vcc_lo, 0, v[4:5]
	s_cbranch_vccnz .LBB135_206
; %bb.203:                              ;   in Loop: Header=BB135_45 Depth=1
	s_and_saveexec_b32 s12, s3
; %bb.204:                              ;   in Loop: Header=BB135_45 Depth=1
	ds_store_b64 v3, v[6:7] offset:5128
; %bb.205:                              ;   in Loop: Header=BB135_45 Depth=1
	s_wait_alu 0xfffe
	s_or_b32 exec_lo, exec_lo, s12
	s_wait_loadcnt_dscnt 0x0
	s_barrier_signal -1
	s_barrier_wait -1
	global_inv scope:SCOPE_SE
.LBB135_206:                            ;   in Loop: Header=BB135_45 Depth=1
                                        ; implicit-def: $vgpr4_vgpr5_vgpr6_vgpr7
.LBB135_207:                            ;   in Loop: Header=BB135_45 Depth=1
	s_wait_alu 0xfffe
	s_or_saveexec_b32 s7, s7
	v_mov_b32_e32 v2, 8
	s_mov_b32 s12, 0
	s_wait_alu 0xfffe
	s_xor_b32 exec_lo, exec_lo, s7
; %bb.208:                              ;   in Loop: Header=BB135_45 Depth=1
	v_sub_co_u32 v8, vcc_lo, v8, v6
	s_wait_alu 0xfffd
	v_sub_co_ci_u32_e64 v9, null, v9, v7, vcc_lo
	v_mov_b32_e32 v2, 0
	s_mov_b32 s12, exec_lo
; %bb.209:                              ;   in Loop: Header=BB135_45 Depth=1
	s_or_b32 exec_lo, exec_lo, s7
	s_delay_alu instid0(VALU_DEP_2)
	v_dual_mov_b32 v4, v8 :: v_dual_mov_b32 v5, v9
	s_wait_alu 0xfffe
	s_and_b32 s7, s12, exec_lo
.LBB135_210:                            ;   in Loop: Header=BB135_45 Depth=1
	s_wait_alu 0xfffe
	s_or_b32 exec_lo, exec_lo, s6
	s_mov_b32 s6, -1
                                        ; implicit-def: $sgpr25
                                        ; implicit-def: $sgpr70
	s_and_saveexec_b32 s24, s7
	s_cbranch_execz .LBB135_308
; %bb.211:                              ;   in Loop: Header=BB135_45 Depth=1
	v_cmp_eq_u64_e32 vcc_lo, 1, v[4:5]
	s_cmp_eq_u64 s[10:11], 1
                                        ; implicit-def: $sgpr70
                                        ; implicit-def: $sgpr25
	s_cselect_b32 s6, -1, 0
	s_wait_alu 0xfffe
	s_and_b32 s71, s6, vcc_lo
	s_mov_b32 s6, -1
	s_and_saveexec_b32 s72, s71
	s_cbranch_execz .LBB135_247
; %bb.212:                              ;   in Loop: Header=BB135_45 Depth=1
	ds_load_b64 v[6:7], v3 offset:5120
	s_wait_loadcnt_dscnt 0x0
	s_barrier_signal -1
	s_barrier_wait -1
	global_inv scope:SCOPE_SE
	v_readfirstlane_b32 s6, v6
	v_readfirstlane_b32 s7, v7
	s_and_saveexec_b32 s12, s0
; %bb.213:                              ;   in Loop: Header=BB135_45 Depth=1
	ds_store_b16 v43, v3
; %bb.214:                              ;   in Loop: Header=BB135_45 Depth=1
	s_wait_alu 0xfffe
	s_or_b32 exec_lo, exec_lo, s12
	s_lshl_b32 s12, 2, s95
	v_or_b32_e32 v51, s16, v51
	s_wait_alu 0xfffe
	v_and_or_b32 v46, v46, s20, s12
	s_mov_b32 s25, -1
	s_mov_b32 s70, 0
	s_cmp_eq_u64 s[6:7], 0
	s_mov_b32 s14, 0
	s_mov_b32 s15, -1
	s_wait_loadcnt_dscnt 0x0
	s_barrier_signal -1
	s_barrier_wait -1
	global_inv scope:SCOPE_SE
                                        ; implicit-def: $vgpr52
	s_cbranch_scc1 .LBB135_231
; %bb.215:                              ;   in Loop: Header=BB135_45 Depth=1
	s_add_nc_u64 s[12:13], s[6:7], s[58:59]
	s_mov_b32 s14, s53
	s_wait_alu 0xfffe
	s_mov_b32 s15, s13
	s_wait_alu 0xfffe
	s_cmp_lg_u64 s[14:15], 0
	s_cbranch_scc0 .LBB135_274
; %bb.216:                              ;   in Loop: Header=BB135_45 Depth=1
	s_cvt_f32_u32 s14, s48
	s_sub_nc_u64 s[74:75], 0, s[48:49]
	s_wait_alu 0xfffe
	s_delay_alu instid0(SALU_CYCLE_1) | instskip(SKIP_1) | instid1(SALU_CYCLE_2)
	s_fmamk_f32 s14, s93, 0x0, s14
	s_wait_alu 0xfffe
	v_s_rcp_f32 s14, s14
	s_delay_alu instid0(TRANS32_DEP_1) | instskip(SKIP_1) | instid1(SALU_CYCLE_2)
	s_mul_f32 s14, s14, 0x5f7ffffc
	s_wait_alu 0xfffe
	s_mul_f32 s15, s14, 0x2f800000
	s_wait_alu 0xfffe
	s_delay_alu instid0(SALU_CYCLE_2) | instskip(SKIP_1) | instid1(SALU_CYCLE_2)
	s_trunc_f32 s15, s15
	s_wait_alu 0xfffe
	s_fmamk_f32 s14, s15, 0xcf800000, s14
	s_cvt_u32_f32 s15, s15
	s_wait_alu 0xfffe
	s_delay_alu instid0(SALU_CYCLE_1) | instskip(SKIP_1) | instid1(SALU_CYCLE_2)
	s_cvt_u32_f32 s14, s14
	s_wait_alu 0xfffe
	s_mul_u64 s[76:77], s[74:75], s[14:15]
	s_wait_alu 0xfffe
	s_mul_hi_u32 s79, s14, s77
	s_mul_i32 s78, s14, s77
	s_mul_hi_u32 s52, s14, s76
	s_mul_i32 s80, s15, s76
	s_wait_alu 0xfffe
	s_add_nc_u64 s[78:79], s[52:53], s[78:79]
	s_mul_hi_u32 s73, s15, s76
	s_mul_hi_u32 s81, s15, s77
	s_wait_alu 0xfffe
	s_add_co_u32 s52, s78, s80
	s_add_co_ci_u32 s52, s79, s73
	s_mul_i32 s76, s15, s77
	s_add_co_ci_u32 s77, s81, 0
	s_wait_alu 0xfffe
	s_add_nc_u64 s[76:77], s[52:53], s[76:77]
	s_wait_alu 0xfffe
	s_add_co_u32 s14, s14, s76
	s_cselect_b32 s52, -1, 0
	s_wait_alu 0xfffe
	s_cmp_lg_u32 s52, 0
	s_add_co_ci_u32 s15, s15, s77
	s_wait_alu 0xfffe
	s_mul_u64 s[74:75], s[74:75], s[14:15]
	s_wait_alu 0xfffe
	s_mul_hi_u32 s77, s14, s75
	s_mul_i32 s76, s14, s75
	s_mul_hi_u32 s52, s14, s74
	s_mul_i32 s78, s15, s74
	s_wait_alu 0xfffe
	s_add_nc_u64 s[76:77], s[52:53], s[76:77]
	s_mul_hi_u32 s73, s15, s74
	s_mul_hi_u32 s79, s15, s75
	s_wait_alu 0xfffe
	s_add_co_u32 s52, s76, s78
	s_add_co_ci_u32 s52, s77, s73
	s_mul_i32 s74, s15, s75
	s_add_co_ci_u32 s75, s79, 0
	s_wait_alu 0xfffe
	s_add_nc_u64 s[74:75], s[52:53], s[74:75]
	s_wait_alu 0xfffe
	s_add_co_u32 s14, s14, s74
	s_cselect_b32 s73, -1, 0
	s_wait_alu 0xfffe
	s_mul_hi_u32 s52, s12, s14
	s_cmp_lg_u32 s73, 0
	s_mul_hi_u32 s73, s13, s14
	s_add_co_ci_u32 s74, s15, s75
	s_mul_i32 s75, s13, s14
	s_wait_alu 0xfffe
	s_mul_hi_u32 s15, s12, s74
	s_mul_i32 s14, s12, s74
	s_mul_hi_u32 s76, s13, s74
	s_wait_alu 0xfffe
	s_add_nc_u64 s[14:15], s[52:53], s[14:15]
	s_mul_i32 s74, s13, s74
	s_wait_alu 0xfffe
	s_add_co_u32 s14, s14, s75
	s_add_co_ci_u32 s52, s15, s73
	s_add_co_ci_u32 s75, s76, 0
	s_wait_alu 0xfffe
	s_add_nc_u64 s[14:15], s[52:53], s[74:75]
	s_wait_alu 0xfffe
	s_mul_u64 s[14:15], s[48:49], s[14:15]
	s_wait_alu 0xfffe
	s_sub_co_u32 s14, s12, s14
	s_cselect_b32 s52, -1, 0
	s_wait_alu 0xfffe
	s_cmp_lg_u32 s52, 0
	s_sub_co_ci_u32 s15, s13, s15
	s_sub_co_u32 s52, s14, s48
	s_cselect_b32 s73, -1, 0
	s_wait_alu 0xfffe
	s_cmp_lg_u32 s73, 0
	s_sub_co_ci_u32 s73, s15, 0
	;; [unrolled: 5-line block ×3, first 2 shown]
	s_cmp_ge_u32 s52, s48
	s_cselect_b32 s76, -1, 0
	s_cmp_eq_u32 s73, 0
	s_wait_alu 0xfffe
	s_cselect_b32 s76, s76, -1
	s_wait_alu 0xfffe
	s_cmp_lg_u32 s76, 0
	s_cselect_b32 s73, s75, s73
	s_cselect_b32 s52, s74, s52
	s_cmp_ge_u32 s14, s48
	s_cselect_b32 s74, -1, 0
	s_cmp_eq_u32 s15, 0
	s_wait_alu 0xfffe
	s_cselect_b32 s74, s74, -1
	s_wait_alu 0xfffe
	s_cmp_lg_u32 s74, 0
	s_cselect_b32 s15, s73, s15
	s_cselect_b32 s14, s52, s14
	s_cbranch_execnz .LBB135_218
.LBB135_217:                            ;   in Loop: Header=BB135_45 Depth=1
	v_cvt_f32_u32_e32 v6, s48
	s_sub_co_i32 s15, 0, s48
	s_delay_alu instid0(VALU_DEP_1) | instskip(NEXT) | instid1(TRANS32_DEP_1)
	v_rcp_iflag_f32_e32 v6, v6
	v_mul_f32_e32 v6, 0x4f7ffffe, v6
	s_delay_alu instid0(VALU_DEP_1) | instskip(NEXT) | instid1(VALU_DEP_1)
	v_cvt_u32_f32_e32 v6, v6
	v_readfirstlane_b32 s14, v6
	s_wait_alu 0xfffe
	s_mul_i32 s15, s15, s14
	s_wait_alu 0xfffe
	s_mul_hi_u32 s15, s14, s15
	s_wait_alu 0xfffe
	s_add_co_i32 s14, s14, s15
	s_wait_alu 0xfffe
	s_mul_hi_u32 s14, s12, s14
	s_wait_alu 0xfffe
	s_mul_i32 s14, s14, s48
	s_wait_alu 0xfffe
	s_sub_co_i32 s14, s12, s14
	s_wait_alu 0xfffe
	s_sub_co_i32 s15, s14, s48
	s_cmp_ge_u32 s14, s48
	s_wait_alu 0xfffe
	s_cselect_b32 s14, s15, s14
	s_wait_alu 0xfffe
	s_sub_co_i32 s15, s14, s48
	s_cmp_ge_u32 s14, s48
	s_wait_alu 0xfffe
	s_cselect_b32 s52, s15, s14
	s_wait_alu 0xfffe
	s_mov_b64 s[14:15], s[52:53]
.LBB135_218:                            ;   in Loop: Header=BB135_45 Depth=1
	s_wait_alu 0xfffe
	s_sub_nc_u64 s[12:13], s[12:13], s[14:15]
	s_mov_b32 s15, 0
	s_mov_b32 s14, 0
	s_mov_b32 s52, exec_lo
                                        ; implicit-def: $vgpr52
	s_wait_alu 0xfffe
	v_cmpx_gt_u64_e64 s[12:13], v[0:1]
	s_cbranch_execz .LBB135_230
; %bb.219:                              ;   in Loop: Header=BB135_45 Depth=1
	v_dual_mov_b32 v8, v42 :: v_dual_mov_b32 v7, v1
	v_mov_b32_e32 v6, v0
                                        ; implicit-def: $sgpr73
	s_branch .LBB135_223
.LBB135_220:                            ;   in Loop: Header=BB135_223 Depth=2
	s_wait_alu 0xfffe
	s_or_b32 exec_lo, exec_lo, s74
	s_wait_loadcnt_dscnt 0x0
	s_barrier_signal -1
	s_barrier_wait -1
	global_inv scope:SCOPE_SE
	ds_load_b32 v9, v3 offset:3072
	s_wait_loadcnt_dscnt 0x0
	s_barrier_signal -1
	s_barrier_wait -1
	global_inv scope:SCOPE_SE
	v_cmp_neq_f16_e32 vcc_lo, 0, v9
	s_cbranch_vccnz .LBB135_226
; %bb.221:                              ;   in Loop: Header=BB135_223 Depth=2
	v_add_co_u32 v6, vcc_lo, v6, s48
	s_wait_alu 0xfffd
	v_add_co_ci_u32_e64 v7, null, 0, v7, vcc_lo
	v_add_nc_u32_e32 v8, s92, v8
	s_mov_b32 s74, 0
	s_delay_alu instid0(VALU_DEP_2)
	v_cmp_le_u64_e32 vcc_lo, s[12:13], v[6:7]
	s_or_not1_b32 s75, vcc_lo, exec_lo
.LBB135_222:                            ;   in Loop: Header=BB135_223 Depth=2
	s_wait_alu 0xfffe
	s_and_b32 s75, exec_lo, s75
	s_wait_alu 0xfffe
	s_or_b32 s14, s75, s14
	s_and_not1_b32 s73, s73, exec_lo
	s_and_b32 s74, s74, exec_lo
	s_wait_alu 0xfffe
	s_or_b32 s73, s73, s74
	s_and_not1_b32 exec_lo, exec_lo, s14
	s_cbranch_execz .LBB135_229
.LBB135_223:                            ;   Parent Loop BB135_45 Depth=1
                                        ; =>  This Inner Loop Header: Depth=2
	s_mov_b32 s74, exec_lo
	s_delay_alu instid0(VALU_DEP_1)
	v_cmpx_gt_u64_e64 s[6:7], v[6:7]
	s_cbranch_execz .LBB135_220
; %bb.224:                              ;   in Loop: Header=BB135_223 Depth=2
	ds_load_u16 v9, v8
	s_wait_dscnt 0x0
	v_cmp_lt_i16_e32 vcc_lo, -1, v9
	s_wait_alu 0xfffd
	v_dual_cndmask_b32 v11, 0xffff, v50 :: v_dual_and_b32 v10, 0xffff, v9
	v_cmp_o_f16_e32 vcc_lo, v9, v9
	s_delay_alu instid0(VALU_DEP_2) | instskip(SKIP_1) | instid1(VALU_DEP_1)
	v_xor_b32_e32 v10, v11, v10
	s_wait_alu 0xfffd
	v_cndmask_b32_e32 v10, 0xffff, v10, vcc_lo
	s_delay_alu instid0(VALU_DEP_1) | instskip(NEXT) | instid1(VALU_DEP_1)
	v_and_b32_e32 v10, v10, v51
	v_cmp_eq_u32_e32 vcc_lo, v10, v46
	s_and_b32 exec_lo, exec_lo, vcc_lo
	s_cbranch_execz .LBB135_220
; %bb.225:                              ;   in Loop: Header=BB135_223 Depth=2
	v_perm_b32 v9, v9, s94, 0x5040100
	ds_store_b32 v3, v9 offset:3072
	s_branch .LBB135_220
.LBB135_226:                            ;   in Loop: Header=BB135_223 Depth=2
	s_mov_b32 s75, -1
	s_mov_b32 s74, -1
                                        ; implicit-def: $vgpr6_vgpr7
                                        ; implicit-def: $vgpr8
	s_branch .LBB135_222
.LBB135_227:                            ;   in Loop: Header=BB135_45 Depth=1
                                        ; implicit-def: $sgpr14_sgpr15
	s_branch .LBB135_166
.LBB135_228:                            ;   in Loop: Header=BB135_45 Depth=1
                                        ; implicit-def: $sgpr6_sgpr7
	s_branch .LBB135_186
.LBB135_229:                            ;   in Loop: Header=BB135_45 Depth=1
	s_or_b32 exec_lo, exec_lo, s14
	v_lshrrev_b32_e32 v52, 16, v9
	s_wait_alu 0xfffe
	s_and_b32 s14, s73, exec_lo
.LBB135_230:                            ;   in Loop: Header=BB135_45 Depth=1
	s_or_b32 exec_lo, exec_lo, s52
.LBB135_231:                            ;   in Loop: Header=BB135_45 Depth=1
	s_wait_alu 0xfffe
	s_and_b32 vcc_lo, exec_lo, s15
	s_wait_alu 0xfffe
	s_cbranch_vccz .LBB135_246
; %bb.232:                              ;   in Loop: Header=BB135_45 Depth=1
	s_mov_b32 s6, s53
	s_mov_b32 s7, s61
	s_wait_alu 0xfffe
	s_cmp_lg_u64 s[6:7], 0
	s_cbranch_scc0 .LBB135_275
; %bb.233:                              ;   in Loop: Header=BB135_45 Depth=1
	s_cvt_f32_u32 s6, s48
	s_sub_nc_u64 s[12:13], 0, s[48:49]
	s_wait_alu 0xfffe
	s_delay_alu instid0(SALU_CYCLE_1) | instskip(SKIP_1) | instid1(SALU_CYCLE_2)
	s_fmamk_f32 s6, s93, 0x0, s6
	s_wait_alu 0xfffe
	v_s_rcp_f32 s6, s6
	s_delay_alu instid0(TRANS32_DEP_1) | instskip(SKIP_1) | instid1(SALU_CYCLE_2)
	s_mul_f32 s6, s6, 0x5f7ffffc
	s_wait_alu 0xfffe
	s_mul_f32 s7, s6, 0x2f800000
	s_wait_alu 0xfffe
	s_delay_alu instid0(SALU_CYCLE_2) | instskip(SKIP_1) | instid1(SALU_CYCLE_2)
	s_trunc_f32 s7, s7
	s_wait_alu 0xfffe
	s_fmamk_f32 s6, s7, 0xcf800000, s6
	s_cvt_u32_f32 s7, s7
	s_wait_alu 0xfffe
	s_delay_alu instid0(SALU_CYCLE_1) | instskip(SKIP_1) | instid1(SALU_CYCLE_2)
	s_cvt_u32_f32 s6, s6
	s_wait_alu 0xfffe
	s_mul_u64 s[74:75], s[12:13], s[6:7]
	s_wait_alu 0xfffe
	s_mul_hi_u32 s77, s6, s75
	s_mul_i32 s76, s6, s75
	s_mul_hi_u32 s52, s6, s74
	s_mul_i32 s25, s7, s74
	s_wait_alu 0xfffe
	s_add_nc_u64 s[76:77], s[52:53], s[76:77]
	s_mul_hi_u32 s15, s7, s74
	s_mul_hi_u32 s70, s7, s75
	s_wait_alu 0xfffe
	s_add_co_u32 s25, s76, s25
	s_add_co_ci_u32 s52, s77, s15
	s_mul_i32 s74, s7, s75
	s_add_co_ci_u32 s75, s70, 0
	s_wait_alu 0xfffe
	s_add_nc_u64 s[74:75], s[52:53], s[74:75]
	s_wait_alu 0xfffe
	s_add_co_u32 s6, s6, s74
	s_cselect_b32 s15, -1, 0
	s_wait_alu 0xfffe
	s_cmp_lg_u32 s15, 0
	s_add_co_ci_u32 s7, s7, s75
	s_wait_alu 0xfffe
	s_mul_u64 s[12:13], s[12:13], s[6:7]
	s_wait_alu 0xfffe
	s_mul_hi_u32 s75, s6, s13
	s_mul_i32 s74, s6, s13
	s_mul_hi_u32 s52, s6, s12
	s_mul_i32 s25, s7, s12
	s_wait_alu 0xfffe
	s_add_nc_u64 s[74:75], s[52:53], s[74:75]
	s_mul_hi_u32 s15, s7, s12
	s_mul_hi_u32 s70, s7, s13
	s_mul_i32 s12, s7, s13
	s_wait_alu 0xfffe
	s_add_co_u32 s13, s74, s25
	s_add_co_ci_u32 s52, s75, s15
	s_add_co_ci_u32 s13, s70, 0
	s_wait_alu 0xfffe
	s_add_nc_u64 s[12:13], s[52:53], s[12:13]
	s_wait_alu 0xfffe
	s_add_co_u32 s6, s6, s12
	s_cselect_b32 s12, -1, 0
	s_wait_alu 0xfffe
	s_mul_hi_u32 s52, s60, s6
	s_cmp_lg_u32 s12, 0
	s_mul_hi_u32 s15, s61, s6
	s_add_co_ci_u32 s12, s7, s13
	s_mul_i32 s13, s61, s6
	s_wait_alu 0xfffe
	s_mul_hi_u32 s7, s60, s12
	s_mul_i32 s6, s60, s12
	s_mul_hi_u32 s25, s61, s12
	s_wait_alu 0xfffe
	s_add_nc_u64 s[6:7], s[52:53], s[6:7]
	s_mul_i32 s12, s61, s12
	s_wait_alu 0xfffe
	s_add_co_u32 s6, s6, s13
	s_add_co_ci_u32 s52, s7, s15
	s_add_co_ci_u32 s13, s25, 0
	s_wait_alu 0xfffe
	s_add_nc_u64 s[6:7], s[52:53], s[12:13]
	s_wait_alu 0xfffe
	s_mul_u64 s[6:7], s[48:49], s[6:7]
	s_wait_alu 0xfffe
	s_sub_co_u32 s6, s60, s6
	s_cselect_b32 s12, -1, 0
	s_wait_alu 0xfffe
	s_cmp_lg_u32 s12, 0
	s_sub_co_ci_u32 s7, s61, s7
	s_sub_co_u32 s12, s6, s48
	s_cselect_b32 s13, -1, 0
	s_wait_alu 0xfffe
	s_cmp_lg_u32 s13, 0
	s_sub_co_ci_u32 s13, s7, 0
	;; [unrolled: 5-line block ×3, first 2 shown]
	s_cmp_ge_u32 s12, s48
	s_cselect_b32 s52, -1, 0
	s_cmp_eq_u32 s13, 0
	s_wait_alu 0xfffe
	s_cselect_b32 s52, s52, -1
	s_wait_alu 0xfffe
	s_cmp_lg_u32 s52, 0
	s_cselect_b32 s13, s25, s13
	s_cselect_b32 s12, s15, s12
	s_cmp_ge_u32 s6, s48
	s_cselect_b32 s15, -1, 0
	s_cmp_eq_u32 s7, 0
	s_wait_alu 0xfffe
	s_cselect_b32 s15, s15, -1
	s_wait_alu 0xfffe
	s_cmp_lg_u32 s15, 0
	s_cselect_b32 s7, s13, s7
	s_cselect_b32 s6, s12, s6
	s_cbranch_execnz .LBB135_235
.LBB135_234:                            ;   in Loop: Header=BB135_45 Depth=1
	v_cvt_f32_u32_e32 v6, s48
	s_sub_co_i32 s7, 0, s48
	s_delay_alu instid0(VALU_DEP_1) | instskip(NEXT) | instid1(TRANS32_DEP_1)
	v_rcp_iflag_f32_e32 v6, v6
	v_mul_f32_e32 v6, 0x4f7ffffe, v6
	s_delay_alu instid0(VALU_DEP_1) | instskip(NEXT) | instid1(VALU_DEP_1)
	v_cvt_u32_f32_e32 v6, v6
	v_readfirstlane_b32 s6, v6
	s_wait_alu 0xfffe
	s_mul_i32 s7, s7, s6
	s_wait_alu 0xfffe
	s_mul_hi_u32 s7, s6, s7
	s_wait_alu 0xfffe
	s_add_co_i32 s6, s6, s7
	s_wait_alu 0xfffe
	s_mul_hi_u32 s6, s60, s6
	s_wait_alu 0xfffe
	s_mul_i32 s6, s6, s48
	s_wait_alu 0xfffe
	s_sub_co_i32 s6, s60, s6
	s_wait_alu 0xfffe
	s_sub_co_i32 s7, s6, s48
	s_cmp_ge_u32 s6, s48
	s_wait_alu 0xfffe
	s_cselect_b32 s6, s7, s6
	s_wait_alu 0xfffe
	s_sub_co_i32 s7, s6, s48
	s_cmp_ge_u32 s6, s48
	s_wait_alu 0xfffe
	s_cselect_b32 s52, s7, s6
	s_wait_alu 0xfffe
	s_mov_b64 s[6:7], s[52:53]
.LBB135_235:                            ;   in Loop: Header=BB135_45 Depth=1
	s_wait_alu 0xfffe
	s_sub_nc_u64 s[12:13], s[60:61], s[6:7]
	s_mov_b32 s7, exec_lo
                                        ; implicit-def: $vgpr52
	s_wait_alu 0xfffe
	v_cmpx_gt_u64_e64 s[12:13], v[0:1]
	s_cbranch_execz .LBB135_245
; %bb.236:                              ;   in Loop: Header=BB135_45 Depth=1
	v_dual_mov_b32 v6, v12 :: v_dual_mov_b32 v7, v13
	v_dual_mov_b32 v9, v1 :: v_dual_mov_b32 v8, v0
	s_mov_b32 s15, 0
                                        ; implicit-def: $sgpr25
	s_branch .LBB135_240
.LBB135_237:                            ;   in Loop: Header=BB135_240 Depth=2
	s_wait_alu 0xfffe
	s_or_b32 exec_lo, exec_lo, s6
	s_wait_loadcnt_dscnt 0x0
	s_barrier_signal -1
	s_barrier_wait -1
	global_inv scope:SCOPE_SE
	ds_load_b32 v10, v3 offset:3072
	s_wait_loadcnt_dscnt 0x0
	s_barrier_signal -1
	s_barrier_wait -1
	global_inv scope:SCOPE_SE
	v_cmp_eq_f16_e32 vcc_lo, 0, v10
	s_cbranch_vccz .LBB135_243
; %bb.238:                              ;   in Loop: Header=BB135_240 Depth=2
	v_add_co_u32 v8, vcc_lo, v8, s48
	s_wait_alu 0xfffd
	v_add_co_ci_u32_e64 v9, null, 0, v9, vcc_lo
	v_add_co_u32 v6, s6, v6, s54
	s_wait_alu 0xf1ff
	v_add_co_ci_u32_e64 v7, null, s55, v7, s6
	s_delay_alu instid0(VALU_DEP_3)
	v_cmp_le_u64_e32 vcc_lo, s[12:13], v[8:9]
	s_mov_b32 s6, 0
	s_or_not1_b32 s52, vcc_lo, exec_lo
.LBB135_239:                            ;   in Loop: Header=BB135_240 Depth=2
	s_wait_alu 0xfffe
	s_and_b32 s52, exec_lo, s52
	s_wait_alu 0xfffe
	s_or_b32 s15, s52, s15
	s_and_not1_b32 s25, s25, exec_lo
	s_and_b32 s6, s6, exec_lo
	s_wait_alu 0xfffe
	s_or_b32 s25, s25, s6
	s_and_not1_b32 exec_lo, exec_lo, s15
	s_cbranch_execz .LBB135_244
.LBB135_240:                            ;   Parent Loop BB135_45 Depth=1
                                        ; =>  This Inner Loop Header: Depth=2
	s_mov_b32 s6, exec_lo
	s_delay_alu instid0(VALU_DEP_1)
	v_cmpx_gt_u64_e64 s[28:29], v[8:9]
	s_cbranch_execz .LBB135_237
; %bb.241:                              ;   in Loop: Header=BB135_240 Depth=2
	global_load_u16 v10, v[6:7], off
	s_wait_loadcnt 0x0
	v_cmp_lt_i16_e32 vcc_lo, -1, v10
	v_and_b32_e32 v11, 0xffff, v10
	s_wait_alu 0xfffd
	v_cndmask_b32_e32 v29, 0xffff, v50, vcc_lo
	v_cmp_o_f16_e32 vcc_lo, v10, v10
	s_delay_alu instid0(VALU_DEP_2) | instskip(SKIP_1) | instid1(VALU_DEP_1)
	v_xor_b32_e32 v11, v29, v11
	s_wait_alu 0xfffd
	v_cndmask_b32_e32 v11, 0xffff, v11, vcc_lo
	s_delay_alu instid0(VALU_DEP_1) | instskip(NEXT) | instid1(VALU_DEP_1)
	v_and_b32_e32 v11, v11, v51
	v_cmp_eq_u32_e32 vcc_lo, v11, v46
	s_and_b32 exec_lo, exec_lo, vcc_lo
	s_cbranch_execz .LBB135_237
; %bb.242:                              ;   in Loop: Header=BB135_240 Depth=2
	v_perm_b32 v10, v10, s94, 0x5040100
	ds_store_b32 v3, v10 offset:3072
	s_branch .LBB135_237
.LBB135_243:                            ;   in Loop: Header=BB135_240 Depth=2
	s_mov_b32 s52, -1
	s_mov_b32 s6, -1
                                        ; implicit-def: $vgpr8_vgpr9
                                        ; implicit-def: $vgpr6_vgpr7
	s_branch .LBB135_239
.LBB135_244:                            ;   in Loop: Header=BB135_45 Depth=1
	s_or_b32 exec_lo, exec_lo, s15
	v_lshrrev_b32_e32 v52, 16, v10
	s_and_not1_b32 s6, s14, exec_lo
	s_wait_alu 0xfffe
	s_and_b32 s12, s25, exec_lo
	s_wait_alu 0xfffe
	s_or_b32 s14, s6, s12
.LBB135_245:                            ;   in Loop: Header=BB135_45 Depth=1
	s_or_b32 exec_lo, exec_lo, s7
	s_mov_b32 s25, 0
	s_mov_b32 s70, -1
.LBB135_246:                            ;   in Loop: Header=BB135_45 Depth=1
	s_wait_alu 0xfffe
	s_or_not1_b32 s6, s14, exec_lo
.LBB135_247:                            ;   in Loop: Header=BB135_45 Depth=1
	s_wait_alu 0xfffe
	s_or_b32 exec_lo, exec_lo, s72
	s_mov_b32 s7, 0
	s_and_saveexec_b32 s14, s6
	s_cbranch_execz .LBB135_307
; %bb.248:                              ;   in Loop: Header=BB135_45 Depth=1
	v_mov_b32_e32 v6, 1
	v_dual_mov_b32 v7, 0 :: v_dual_mov_b32 v2, 1
	s_xor_b32 s12, s71, -1
	s_wait_alu 0xfffe
	s_and_saveexec_b32 s6, s12
	s_cbranch_execz .LBB135_257
; %bb.249:                              ;   in Loop: Header=BB135_45 Depth=1
	s_mov_b32 s7, exec_lo
	v_cmpx_ge_u64_e64 s[10:11], v[4:5]
	s_wait_alu 0xfffe
	s_xor_b32 s7, exec_lo, s7
	s_cbranch_execz .LBB135_254
; %bb.250:                              ;   in Loop: Header=BB135_45 Depth=1
	ds_load_b64 v[6:7], v3 offset:5120
	s_lshl_b32 s12, 2, s95
	v_or_b32_e32 v51, s16, v51
	s_wait_alu 0xfffe
	v_and_or_b32 v46, v46, s20, s12
	s_wait_dscnt 0x0
	v_cmp_ne_u64_e32 vcc_lo, 0, v[6:7]
	s_cbranch_vccnz .LBB135_254
; %bb.251:                              ;   in Loop: Header=BB135_45 Depth=1
	s_and_saveexec_b32 s12, s3
; %bb.252:                              ;   in Loop: Header=BB135_45 Depth=1
	v_dual_mov_b32 v6, s10 :: v_dual_mov_b32 v7, s11
	ds_store_b64 v3, v[6:7] offset:5128
; %bb.253:                              ;   in Loop: Header=BB135_45 Depth=1
	s_wait_alu 0xfffe
	s_or_b32 exec_lo, exec_lo, s12
	s_wait_loadcnt_dscnt 0x0
	s_barrier_signal -1
	s_barrier_wait -1
	global_inv scope:SCOPE_SE
.LBB135_254:                            ;   in Loop: Header=BB135_45 Depth=1
	s_wait_alu 0xfffe
	s_or_saveexec_b32 s7, s7
	v_mov_b32_e32 v2, 8
	s_mov_b32 s12, 0
	s_wait_alu 0xfffe
	s_xor_b32 exec_lo, exec_lo, s7
; %bb.255:                              ;   in Loop: Header=BB135_45 Depth=1
	v_sub_co_u32 v4, vcc_lo, v4, s10
	s_wait_alu 0xfffd
	v_subrev_co_ci_u32_e64 v5, null, s11, v5, vcc_lo
	v_mov_b32_e32 v2, 0
	s_mov_b32 s12, exec_lo
; %bb.256:                              ;   in Loop: Header=BB135_45 Depth=1
	s_or_b32 exec_lo, exec_lo, s7
	s_delay_alu instid0(VALU_DEP_2)
	v_dual_mov_b32 v7, v5 :: v_dual_mov_b32 v6, v4
	s_wait_alu 0xfffe
	s_and_b32 s7, s12, exec_lo
.LBB135_257:                            ;   in Loop: Header=BB135_45 Depth=1
	s_wait_alu 0xfffe
	s_or_b32 exec_lo, exec_lo, s6
	s_mov_b32 s6, -1
                                        ; implicit-def: $sgpr73
                                        ; implicit-def: $sgpr72
	s_and_saveexec_b32 s15, s7
	s_cbranch_execz .LBB135_306
; %bb.258:                              ;   in Loop: Header=BB135_45 Depth=1
	v_cmp_eq_u64_e32 vcc_lo, 1, v[6:7]
	s_cmp_eq_u64 s[8:9], 1
	s_mov_b32 s7, -1
	s_cselect_b32 s6, -1, 0
                                        ; implicit-def: $sgpr73
                                        ; implicit-def: $sgpr72
	s_wait_alu 0xfffe
	s_and_b32 s20, s6, vcc_lo
	s_wait_alu 0xfffe
	s_and_saveexec_b32 s71, s20
	s_cbranch_execz .LBB135_294
; %bb.259:                              ;   in Loop: Header=BB135_45 Depth=1
	ds_load_b64 v[4:5], v3 offset:5120
	s_wait_loadcnt_dscnt 0x0
	s_barrier_signal -1
	s_barrier_wait -1
	global_inv scope:SCOPE_SE
	v_readfirstlane_b32 s6, v4
	v_readfirstlane_b32 s7, v5
	s_and_saveexec_b32 s10, s0
; %bb.260:                              ;   in Loop: Header=BB135_45 Depth=1
	ds_store_b16 v43, v3
; %bb.261:                              ;   in Loop: Header=BB135_45 Depth=1
	s_wait_alu 0xfffe
	s_or_b32 exec_lo, exec_lo, s10
	v_or_b32_e32 v46, s16, v46
	v_or_b32_e32 v51, s16, v51
	s_mov_b32 s72, -1
	s_mov_b32 s73, 0
	s_cmp_eq_u64 s[6:7], 0
	s_mov_b32 s12, 0
	s_mov_b32 s13, -1
	s_wait_loadcnt_dscnt 0x0
	s_barrier_signal -1
	s_barrier_wait -1
	global_inv scope:SCOPE_SE
                                        ; implicit-def: $vgpr52
	s_cbranch_scc1 .LBB135_278
; %bb.262:                              ;   in Loop: Header=BB135_45 Depth=1
	s_add_nc_u64 s[10:11], s[6:7], s[58:59]
	s_mov_b32 s12, s53
	s_wait_alu 0xfffe
	s_mov_b32 s13, s11
	s_wait_alu 0xfffe
	s_cmp_lg_u64 s[12:13], 0
	s_cbranch_scc0 .LBB135_313
; %bb.263:                              ;   in Loop: Header=BB135_45 Depth=1
	s_cvt_f32_u32 s12, s48
	s_sub_nc_u64 s[74:75], 0, s[48:49]
	s_wait_alu 0xfffe
	s_delay_alu instid0(SALU_CYCLE_1) | instskip(SKIP_1) | instid1(SALU_CYCLE_2)
	s_fmamk_f32 s12, s93, 0x0, s12
	s_wait_alu 0xfffe
	v_s_rcp_f32 s12, s12
	s_delay_alu instid0(TRANS32_DEP_1) | instskip(SKIP_1) | instid1(SALU_CYCLE_2)
	s_mul_f32 s12, s12, 0x5f7ffffc
	s_wait_alu 0xfffe
	s_mul_f32 s13, s12, 0x2f800000
	s_wait_alu 0xfffe
	s_delay_alu instid0(SALU_CYCLE_2) | instskip(SKIP_1) | instid1(SALU_CYCLE_2)
	s_trunc_f32 s13, s13
	s_wait_alu 0xfffe
	s_fmamk_f32 s12, s13, 0xcf800000, s12
	s_cvt_u32_f32 s13, s13
	s_wait_alu 0xfffe
	s_delay_alu instid0(SALU_CYCLE_1) | instskip(SKIP_1) | instid1(SALU_CYCLE_2)
	s_cvt_u32_f32 s12, s12
	s_wait_alu 0xfffe
	s_mul_u64 s[76:77], s[74:75], s[12:13]
	s_wait_alu 0xfffe
	s_mul_hi_u32 s79, s12, s77
	s_mul_i32 s78, s12, s77
	s_mul_hi_u32 s52, s12, s76
	s_mul_i32 s81, s13, s76
	s_wait_alu 0xfffe
	s_add_nc_u64 s[78:79], s[52:53], s[78:79]
	s_mul_hi_u32 s80, s13, s76
	s_mul_hi_u32 s82, s13, s77
	s_wait_alu 0xfffe
	s_add_co_u32 s52, s78, s81
	s_add_co_ci_u32 s52, s79, s80
	s_mul_i32 s76, s13, s77
	s_add_co_ci_u32 s77, s82, 0
	s_wait_alu 0xfffe
	s_add_nc_u64 s[76:77], s[52:53], s[76:77]
	s_wait_alu 0xfffe
	s_add_co_u32 s12, s12, s76
	s_cselect_b32 s52, -1, 0
	s_wait_alu 0xfffe
	s_cmp_lg_u32 s52, 0
	s_add_co_ci_u32 s13, s13, s77
	s_wait_alu 0xfffe
	s_mul_u64 s[74:75], s[74:75], s[12:13]
	s_wait_alu 0xfffe
	s_mul_hi_u32 s77, s12, s75
	s_mul_i32 s76, s12, s75
	s_mul_hi_u32 s52, s12, s74
	s_mul_i32 s79, s13, s74
	s_wait_alu 0xfffe
	s_add_nc_u64 s[76:77], s[52:53], s[76:77]
	s_mul_hi_u32 s78, s13, s74
	s_mul_hi_u32 s80, s13, s75
	s_wait_alu 0xfffe
	s_add_co_u32 s52, s76, s79
	s_add_co_ci_u32 s52, s77, s78
	s_mul_i32 s74, s13, s75
	s_add_co_ci_u32 s75, s80, 0
	s_wait_alu 0xfffe
	s_add_nc_u64 s[74:75], s[52:53], s[74:75]
	s_wait_alu 0xfffe
	s_add_co_u32 s12, s12, s74
	s_cselect_b32 s74, -1, 0
	s_wait_alu 0xfffe
	s_mul_hi_u32 s52, s10, s12
	s_cmp_lg_u32 s74, 0
	s_mul_hi_u32 s76, s11, s12
	s_add_co_ci_u32 s74, s13, s75
	s_mul_i32 s75, s11, s12
	s_wait_alu 0xfffe
	s_mul_hi_u32 s13, s10, s74
	s_mul_i32 s12, s10, s74
	s_mul_hi_u32 s77, s11, s74
	s_wait_alu 0xfffe
	s_add_nc_u64 s[12:13], s[52:53], s[12:13]
	s_mul_i32 s74, s11, s74
	s_wait_alu 0xfffe
	s_add_co_u32 s12, s12, s75
	s_add_co_ci_u32 s52, s13, s76
	s_add_co_ci_u32 s75, s77, 0
	s_wait_alu 0xfffe
	s_add_nc_u64 s[12:13], s[52:53], s[74:75]
	s_wait_alu 0xfffe
	s_mul_u64 s[12:13], s[48:49], s[12:13]
	s_wait_alu 0xfffe
	s_sub_co_u32 s12, s10, s12
	s_cselect_b32 s52, -1, 0
	s_wait_alu 0xfffe
	s_cmp_lg_u32 s52, 0
	s_sub_co_ci_u32 s13, s11, s13
	s_sub_co_u32 s52, s12, s48
	s_cselect_b32 s74, -1, 0
	s_wait_alu 0xfffe
	s_cmp_lg_u32 s74, 0
	s_sub_co_ci_u32 s74, s13, 0
	;; [unrolled: 5-line block ×3, first 2 shown]
	s_cmp_ge_u32 s52, s48
	s_cselect_b32 s77, -1, 0
	s_cmp_eq_u32 s74, 0
	s_wait_alu 0xfffe
	s_cselect_b32 s77, s77, -1
	s_wait_alu 0xfffe
	s_cmp_lg_u32 s77, 0
	s_cselect_b32 s74, s76, s74
	s_cselect_b32 s52, s75, s52
	s_cmp_ge_u32 s12, s48
	s_cselect_b32 s75, -1, 0
	s_cmp_eq_u32 s13, 0
	s_wait_alu 0xfffe
	s_cselect_b32 s75, s75, -1
	s_wait_alu 0xfffe
	s_cmp_lg_u32 s75, 0
	s_cselect_b32 s13, s74, s13
	s_cselect_b32 s12, s52, s12
	s_cbranch_execnz .LBB135_265
.LBB135_264:                            ;   in Loop: Header=BB135_45 Depth=1
	v_cvt_f32_u32_e32 v4, s48
	s_sub_co_i32 s13, 0, s48
	s_delay_alu instid0(VALU_DEP_1) | instskip(NEXT) | instid1(TRANS32_DEP_1)
	v_rcp_iflag_f32_e32 v4, v4
	v_mul_f32_e32 v4, 0x4f7ffffe, v4
	s_delay_alu instid0(VALU_DEP_1) | instskip(NEXT) | instid1(VALU_DEP_1)
	v_cvt_u32_f32_e32 v4, v4
	v_readfirstlane_b32 s12, v4
	s_wait_alu 0xfffe
	s_mul_i32 s13, s13, s12
	s_wait_alu 0xfffe
	s_mul_hi_u32 s13, s12, s13
	s_wait_alu 0xfffe
	s_add_co_i32 s12, s12, s13
	s_wait_alu 0xfffe
	s_mul_hi_u32 s12, s10, s12
	s_wait_alu 0xfffe
	s_mul_i32 s12, s12, s48
	s_wait_alu 0xfffe
	s_sub_co_i32 s12, s10, s12
	s_wait_alu 0xfffe
	s_sub_co_i32 s13, s12, s48
	s_cmp_ge_u32 s12, s48
	s_wait_alu 0xfffe
	s_cselect_b32 s12, s13, s12
	s_wait_alu 0xfffe
	s_sub_co_i32 s13, s12, s48
	s_cmp_ge_u32 s12, s48
	s_wait_alu 0xfffe
	s_cselect_b32 s52, s13, s12
	s_wait_alu 0xfffe
	s_mov_b64 s[12:13], s[52:53]
.LBB135_265:                            ;   in Loop: Header=BB135_45 Depth=1
	s_wait_alu 0xfffe
	s_sub_nc_u64 s[10:11], s[10:11], s[12:13]
	s_mov_b32 s13, 0
	s_mov_b32 s12, 0
	s_mov_b32 s52, exec_lo
                                        ; implicit-def: $vgpr52
	s_wait_alu 0xfffe
	v_cmpx_gt_u64_e64 s[10:11], v[0:1]
	s_cbranch_execz .LBB135_277
; %bb.266:                              ;   in Loop: Header=BB135_45 Depth=1
	v_dual_mov_b32 v8, v42 :: v_dual_mov_b32 v5, v1
	v_mov_b32_e32 v4, v0
                                        ; implicit-def: $sgpr74
	s_branch .LBB135_270
.LBB135_267:                            ;   in Loop: Header=BB135_270 Depth=2
	s_wait_alu 0xfffe
	s_or_b32 exec_lo, exec_lo, s75
	s_wait_loadcnt_dscnt 0x0
	s_barrier_signal -1
	s_barrier_wait -1
	global_inv scope:SCOPE_SE
	ds_load_b32 v9, v3 offset:3072
	s_wait_loadcnt_dscnt 0x0
	s_barrier_signal -1
	s_barrier_wait -1
	global_inv scope:SCOPE_SE
	v_cmp_neq_f16_e32 vcc_lo, 0, v9
	s_cbranch_vccnz .LBB135_273
; %bb.268:                              ;   in Loop: Header=BB135_270 Depth=2
	v_add_co_u32 v4, vcc_lo, v4, s48
	s_wait_alu 0xfffd
	v_add_co_ci_u32_e64 v5, null, 0, v5, vcc_lo
	v_add_nc_u32_e32 v8, s92, v8
	s_mov_b32 s75, 0
	s_delay_alu instid0(VALU_DEP_2)
	v_cmp_le_u64_e32 vcc_lo, s[10:11], v[4:5]
	s_or_not1_b32 s76, vcc_lo, exec_lo
.LBB135_269:                            ;   in Loop: Header=BB135_270 Depth=2
	s_wait_alu 0xfffe
	s_and_b32 s76, exec_lo, s76
	s_wait_alu 0xfffe
	s_or_b32 s12, s76, s12
	s_and_not1_b32 s74, s74, exec_lo
	s_and_b32 s75, s75, exec_lo
	s_wait_alu 0xfffe
	s_or_b32 s74, s74, s75
	s_and_not1_b32 exec_lo, exec_lo, s12
	s_cbranch_execz .LBB135_276
.LBB135_270:                            ;   Parent Loop BB135_45 Depth=1
                                        ; =>  This Inner Loop Header: Depth=2
	s_mov_b32 s75, exec_lo
	s_delay_alu instid0(VALU_DEP_1)
	v_cmpx_gt_u64_e64 s[6:7], v[4:5]
	s_cbranch_execz .LBB135_267
; %bb.271:                              ;   in Loop: Header=BB135_270 Depth=2
	ds_load_u16 v9, v8
	s_wait_dscnt 0x0
	v_cmp_lt_i16_e32 vcc_lo, -1, v9
	s_wait_alu 0xfffd
	v_dual_cndmask_b32 v11, 0xffff, v50 :: v_dual_and_b32 v10, 0xffff, v9
	v_cmp_o_f16_e32 vcc_lo, v9, v9
	s_delay_alu instid0(VALU_DEP_2) | instskip(SKIP_1) | instid1(VALU_DEP_1)
	v_xor_b32_e32 v10, v11, v10
	s_wait_alu 0xfffd
	v_cndmask_b32_e32 v10, 0xffff, v10, vcc_lo
	s_delay_alu instid0(VALU_DEP_1) | instskip(NEXT) | instid1(VALU_DEP_1)
	v_and_b32_e32 v10, v10, v51
	v_cmp_eq_u32_e32 vcc_lo, v10, v46
	s_and_b32 exec_lo, exec_lo, vcc_lo
	s_cbranch_execz .LBB135_267
; %bb.272:                              ;   in Loop: Header=BB135_270 Depth=2
	v_perm_b32 v9, v9, s94, 0x5040100
	ds_store_b32 v3, v9 offset:3072
	s_branch .LBB135_267
.LBB135_273:                            ;   in Loop: Header=BB135_270 Depth=2
	s_mov_b32 s76, -1
	s_mov_b32 s75, -1
                                        ; implicit-def: $vgpr4_vgpr5
                                        ; implicit-def: $vgpr8
	s_branch .LBB135_269
.LBB135_274:                            ;   in Loop: Header=BB135_45 Depth=1
                                        ; implicit-def: $sgpr14_sgpr15
	s_branch .LBB135_217
.LBB135_275:                            ;   in Loop: Header=BB135_45 Depth=1
                                        ; implicit-def: $sgpr6_sgpr7
	s_branch .LBB135_234
.LBB135_276:                            ;   in Loop: Header=BB135_45 Depth=1
	s_or_b32 exec_lo, exec_lo, s12
	v_lshrrev_b32_e32 v52, 16, v9
	s_wait_alu 0xfffe
	s_and_b32 s12, s74, exec_lo
.LBB135_277:                            ;   in Loop: Header=BB135_45 Depth=1
	s_or_b32 exec_lo, exec_lo, s52
.LBB135_278:                            ;   in Loop: Header=BB135_45 Depth=1
	s_wait_alu 0xfffe
	s_and_b32 vcc_lo, exec_lo, s13
	s_wait_alu 0xfffe
	s_cbranch_vccz .LBB135_293
; %bb.279:                              ;   in Loop: Header=BB135_45 Depth=1
	s_mov_b32 s6, s53
	s_mov_b32 s7, s61
	s_wait_alu 0xfffe
	s_cmp_lg_u64 s[6:7], 0
	s_cbranch_scc0 .LBB135_314
; %bb.280:                              ;   in Loop: Header=BB135_45 Depth=1
	s_cvt_f32_u32 s6, s48
	s_sub_nc_u64 s[10:11], 0, s[48:49]
	s_wait_alu 0xfffe
	s_delay_alu instid0(SALU_CYCLE_1) | instskip(SKIP_1) | instid1(SALU_CYCLE_2)
	s_fmamk_f32 s6, s93, 0x0, s6
	s_wait_alu 0xfffe
	v_s_rcp_f32 s6, s6
	s_delay_alu instid0(TRANS32_DEP_1) | instskip(SKIP_1) | instid1(SALU_CYCLE_2)
	s_mul_f32 s6, s6, 0x5f7ffffc
	s_wait_alu 0xfffe
	s_mul_f32 s7, s6, 0x2f800000
	s_wait_alu 0xfffe
	s_delay_alu instid0(SALU_CYCLE_2) | instskip(SKIP_1) | instid1(SALU_CYCLE_2)
	s_trunc_f32 s7, s7
	s_wait_alu 0xfffe
	s_fmamk_f32 s6, s7, 0xcf800000, s6
	s_cvt_u32_f32 s7, s7
	s_wait_alu 0xfffe
	s_delay_alu instid0(SALU_CYCLE_1) | instskip(SKIP_1) | instid1(SALU_CYCLE_2)
	s_cvt_u32_f32 s6, s6
	s_wait_alu 0xfffe
	s_mul_u64 s[72:73], s[10:11], s[6:7]
	s_wait_alu 0xfffe
	s_mul_hi_u32 s75, s6, s73
	s_mul_i32 s74, s6, s73
	s_mul_hi_u32 s52, s6, s72
	s_mul_i32 s76, s7, s72
	s_wait_alu 0xfffe
	s_add_nc_u64 s[74:75], s[52:53], s[74:75]
	s_mul_hi_u32 s13, s7, s72
	s_mul_hi_u32 s77, s7, s73
	s_wait_alu 0xfffe
	s_add_co_u32 s52, s74, s76
	s_add_co_ci_u32 s52, s75, s13
	s_mul_i32 s72, s7, s73
	s_add_co_ci_u32 s73, s77, 0
	s_wait_alu 0xfffe
	s_add_nc_u64 s[72:73], s[52:53], s[72:73]
	s_wait_alu 0xfffe
	s_add_co_u32 s6, s6, s72
	s_cselect_b32 s13, -1, 0
	s_wait_alu 0xfffe
	s_cmp_lg_u32 s13, 0
	s_add_co_ci_u32 s7, s7, s73
	s_wait_alu 0xfffe
	s_mul_u64 s[10:11], s[10:11], s[6:7]
	s_wait_alu 0xfffe
	s_mul_hi_u32 s73, s6, s11
	s_mul_i32 s72, s6, s11
	s_mul_hi_u32 s52, s6, s10
	s_mul_i32 s74, s7, s10
	s_wait_alu 0xfffe
	s_add_nc_u64 s[72:73], s[52:53], s[72:73]
	s_mul_hi_u32 s13, s7, s10
	s_mul_hi_u32 s75, s7, s11
	s_mul_i32 s10, s7, s11
	s_wait_alu 0xfffe
	s_add_co_u32 s11, s72, s74
	s_add_co_ci_u32 s52, s73, s13
	s_add_co_ci_u32 s11, s75, 0
	s_wait_alu 0xfffe
	s_add_nc_u64 s[10:11], s[52:53], s[10:11]
	s_wait_alu 0xfffe
	s_add_co_u32 s6, s6, s10
	s_cselect_b32 s10, -1, 0
	s_wait_alu 0xfffe
	s_mul_hi_u32 s52, s60, s6
	s_cmp_lg_u32 s10, 0
	s_mul_hi_u32 s13, s61, s6
	s_add_co_ci_u32 s10, s7, s11
	s_mul_i32 s11, s61, s6
	s_wait_alu 0xfffe
	s_mul_hi_u32 s7, s60, s10
	s_mul_i32 s6, s60, s10
	s_mul_hi_u32 s72, s61, s10
	s_wait_alu 0xfffe
	s_add_nc_u64 s[6:7], s[52:53], s[6:7]
	s_mul_i32 s10, s61, s10
	s_wait_alu 0xfffe
	s_add_co_u32 s6, s6, s11
	s_add_co_ci_u32 s52, s7, s13
	s_add_co_ci_u32 s11, s72, 0
	s_wait_alu 0xfffe
	s_add_nc_u64 s[6:7], s[52:53], s[10:11]
	s_wait_alu 0xfffe
	s_mul_u64 s[6:7], s[48:49], s[6:7]
	s_wait_alu 0xfffe
	s_sub_co_u32 s6, s60, s6
	s_cselect_b32 s10, -1, 0
	s_wait_alu 0xfffe
	s_cmp_lg_u32 s10, 0
	s_sub_co_ci_u32 s7, s61, s7
	s_sub_co_u32 s10, s6, s48
	s_cselect_b32 s11, -1, 0
	s_wait_alu 0xfffe
	s_cmp_lg_u32 s11, 0
	s_sub_co_ci_u32 s11, s7, 0
	;; [unrolled: 5-line block ×3, first 2 shown]
	s_cmp_ge_u32 s10, s48
	s_cselect_b32 s72, -1, 0
	s_cmp_eq_u32 s11, 0
	s_wait_alu 0xfffe
	s_cselect_b32 s72, s72, -1
	s_wait_alu 0xfffe
	s_cmp_lg_u32 s72, 0
	s_cselect_b32 s11, s52, s11
	s_cselect_b32 s10, s13, s10
	s_cmp_ge_u32 s6, s48
	s_cselect_b32 s13, -1, 0
	s_cmp_eq_u32 s7, 0
	s_wait_alu 0xfffe
	s_cselect_b32 s13, s13, -1
	s_wait_alu 0xfffe
	s_cmp_lg_u32 s13, 0
	s_cselect_b32 s7, s11, s7
	s_cselect_b32 s6, s10, s6
	s_cbranch_execnz .LBB135_282
.LBB135_281:                            ;   in Loop: Header=BB135_45 Depth=1
	v_cvt_f32_u32_e32 v4, s48
	s_sub_co_i32 s7, 0, s48
	s_delay_alu instid0(VALU_DEP_1) | instskip(NEXT) | instid1(TRANS32_DEP_1)
	v_rcp_iflag_f32_e32 v4, v4
	v_mul_f32_e32 v4, 0x4f7ffffe, v4
	s_delay_alu instid0(VALU_DEP_1) | instskip(NEXT) | instid1(VALU_DEP_1)
	v_cvt_u32_f32_e32 v4, v4
	v_readfirstlane_b32 s6, v4
	s_wait_alu 0xfffe
	s_mul_i32 s7, s7, s6
	s_wait_alu 0xfffe
	s_mul_hi_u32 s7, s6, s7
	s_wait_alu 0xfffe
	s_add_co_i32 s6, s6, s7
	s_wait_alu 0xfffe
	s_mul_hi_u32 s6, s60, s6
	s_wait_alu 0xfffe
	s_mul_i32 s6, s6, s48
	s_wait_alu 0xfffe
	s_sub_co_i32 s6, s60, s6
	s_wait_alu 0xfffe
	s_sub_co_i32 s7, s6, s48
	s_cmp_ge_u32 s6, s48
	s_wait_alu 0xfffe
	s_cselect_b32 s6, s7, s6
	s_wait_alu 0xfffe
	s_sub_co_i32 s7, s6, s48
	s_cmp_ge_u32 s6, s48
	s_wait_alu 0xfffe
	s_cselect_b32 s52, s7, s6
	s_wait_alu 0xfffe
	s_mov_b64 s[6:7], s[52:53]
.LBB135_282:                            ;   in Loop: Header=BB135_45 Depth=1
	s_wait_alu 0xfffe
	s_sub_nc_u64 s[10:11], s[60:61], s[6:7]
	s_mov_b32 s7, exec_lo
                                        ; implicit-def: $vgpr52
	s_wait_alu 0xfffe
	v_cmpx_gt_u64_e64 s[10:11], v[0:1]
	s_cbranch_execz .LBB135_292
; %bb.283:                              ;   in Loop: Header=BB135_45 Depth=1
	v_dual_mov_b32 v4, v12 :: v_dual_mov_b32 v5, v13
	v_dual_mov_b32 v9, v1 :: v_dual_mov_b32 v8, v0
	s_mov_b32 s13, 0
                                        ; implicit-def: $sgpr52
	s_branch .LBB135_287
.LBB135_284:                            ;   in Loop: Header=BB135_287 Depth=2
	s_wait_alu 0xfffe
	s_or_b32 exec_lo, exec_lo, s6
	s_wait_loadcnt_dscnt 0x0
	s_barrier_signal -1
	s_barrier_wait -1
	global_inv scope:SCOPE_SE
	ds_load_b32 v10, v3 offset:3072
	s_wait_loadcnt_dscnt 0x0
	s_barrier_signal -1
	s_barrier_wait -1
	global_inv scope:SCOPE_SE
	v_cmp_eq_f16_e32 vcc_lo, 0, v10
	s_cbranch_vccz .LBB135_290
; %bb.285:                              ;   in Loop: Header=BB135_287 Depth=2
	v_add_co_u32 v8, vcc_lo, v8, s48
	s_wait_alu 0xfffd
	v_add_co_ci_u32_e64 v9, null, 0, v9, vcc_lo
	v_add_co_u32 v4, s6, v4, s54
	s_wait_alu 0xf1ff
	v_add_co_ci_u32_e64 v5, null, s55, v5, s6
	s_delay_alu instid0(VALU_DEP_3)
	v_cmp_le_u64_e32 vcc_lo, s[10:11], v[8:9]
	s_mov_b32 s6, 0
	s_or_not1_b32 s72, vcc_lo, exec_lo
.LBB135_286:                            ;   in Loop: Header=BB135_287 Depth=2
	s_wait_alu 0xfffe
	s_and_b32 s72, exec_lo, s72
	s_wait_alu 0xfffe
	s_or_b32 s13, s72, s13
	s_and_not1_b32 s52, s52, exec_lo
	s_and_b32 s6, s6, exec_lo
	s_wait_alu 0xfffe
	s_or_b32 s52, s52, s6
	s_and_not1_b32 exec_lo, exec_lo, s13
	s_cbranch_execz .LBB135_291
.LBB135_287:                            ;   Parent Loop BB135_45 Depth=1
                                        ; =>  This Inner Loop Header: Depth=2
	s_mov_b32 s6, exec_lo
	s_delay_alu instid0(VALU_DEP_1)
	v_cmpx_gt_u64_e64 s[28:29], v[8:9]
	s_cbranch_execz .LBB135_284
; %bb.288:                              ;   in Loop: Header=BB135_287 Depth=2
	global_load_u16 v10, v[4:5], off
	s_wait_loadcnt 0x0
	v_cmp_lt_i16_e32 vcc_lo, -1, v10
	v_and_b32_e32 v11, 0xffff, v10
	s_wait_alu 0xfffd
	v_cndmask_b32_e32 v29, 0xffff, v50, vcc_lo
	v_cmp_o_f16_e32 vcc_lo, v10, v10
	s_delay_alu instid0(VALU_DEP_2) | instskip(SKIP_1) | instid1(VALU_DEP_1)
	v_xor_b32_e32 v11, v29, v11
	s_wait_alu 0xfffd
	v_cndmask_b32_e32 v11, 0xffff, v11, vcc_lo
	s_delay_alu instid0(VALU_DEP_1) | instskip(NEXT) | instid1(VALU_DEP_1)
	v_and_b32_e32 v11, v11, v51
	v_cmp_eq_u32_e32 vcc_lo, v11, v46
	s_and_b32 exec_lo, exec_lo, vcc_lo
	s_cbranch_execz .LBB135_284
; %bb.289:                              ;   in Loop: Header=BB135_287 Depth=2
	v_perm_b32 v10, v10, s94, 0x5040100
	ds_store_b32 v3, v10 offset:3072
	s_branch .LBB135_284
.LBB135_290:                            ;   in Loop: Header=BB135_287 Depth=2
	s_mov_b32 s72, -1
	s_mov_b32 s6, -1
                                        ; implicit-def: $vgpr8_vgpr9
                                        ; implicit-def: $vgpr4_vgpr5
	s_branch .LBB135_286
.LBB135_291:                            ;   in Loop: Header=BB135_45 Depth=1
	s_or_b32 exec_lo, exec_lo, s13
	v_lshrrev_b32_e32 v52, 16, v10
	s_and_not1_b32 s6, s12, exec_lo
	s_wait_alu 0xfffe
	s_and_b32 s10, s52, exec_lo
	s_wait_alu 0xfffe
	s_or_b32 s12, s6, s10
.LBB135_292:                            ;   in Loop: Header=BB135_45 Depth=1
	s_or_b32 exec_lo, exec_lo, s7
	s_mov_b32 s72, 0
	s_mov_b32 s73, -1
.LBB135_293:                            ;   in Loop: Header=BB135_45 Depth=1
	s_wait_alu 0xfffe
	s_or_not1_b32 s7, s12, exec_lo
.LBB135_294:                            ;   in Loop: Header=BB135_45 Depth=1
	s_or_b32 exec_lo, exec_lo, s71
	s_mov_b32 s10, 0
	s_wait_alu 0xfffe
	s_and_saveexec_b32 s6, s7
	s_cbranch_execz .LBB135_305
; %bb.295:                              ;   in Loop: Header=BB135_45 Depth=1
	v_mov_b32_e32 v4, 1
	v_dual_mov_b32 v5, 0 :: v_dual_mov_b32 v2, 1
	s_xor_b32 s10, s20, -1
	s_wait_alu 0xfffe
	s_and_saveexec_b32 s7, s10
	s_cbranch_execz .LBB135_304
; %bb.296:                              ;   in Loop: Header=BB135_45 Depth=1
	s_mov_b32 s10, exec_lo
	v_cmpx_ge_u64_e64 s[8:9], v[6:7]
	s_wait_alu 0xfffe
	s_xor_b32 s10, exec_lo, s10
	s_cbranch_execz .LBB135_301
; %bb.297:                              ;   in Loop: Header=BB135_45 Depth=1
	ds_load_b64 v[4:5], v3 offset:5120
	v_or_b32_e32 v46, s16, v46
	v_or_b32_e32 v51, s16, v51
	s_wait_dscnt 0x0
	v_cmp_ne_u64_e32 vcc_lo, 0, v[4:5]
	s_cbranch_vccnz .LBB135_301
; %bb.298:                              ;   in Loop: Header=BB135_45 Depth=1
	s_and_saveexec_b32 s11, s3
; %bb.299:                              ;   in Loop: Header=BB135_45 Depth=1
	v_dual_mov_b32 v4, s8 :: v_dual_mov_b32 v5, s9
	ds_store_b64 v3, v[4:5] offset:5128
; %bb.300:                              ;   in Loop: Header=BB135_45 Depth=1
	s_wait_alu 0xfffe
	s_or_b32 exec_lo, exec_lo, s11
	s_wait_loadcnt_dscnt 0x0
	s_barrier_signal -1
	s_barrier_wait -1
	global_inv scope:SCOPE_SE
.LBB135_301:                            ;   in Loop: Header=BB135_45 Depth=1
	s_wait_alu 0xfffe
	s_and_not1_saveexec_b32 s10, s10
; %bb.302:                              ;   in Loop: Header=BB135_45 Depth=1
	v_sub_co_u32 v6, vcc_lo, v6, s8
	s_wait_alu 0xfffd
	v_subrev_co_ci_u32_e64 v7, null, s9, v7, vcc_lo
; %bb.303:                              ;   in Loop: Header=BB135_45 Depth=1
	s_wait_alu 0xfffe
	s_or_b32 exec_lo, exec_lo, s10
	v_mov_b32_e32 v4, v6
	s_delay_alu instid0(VALU_DEP_2)
	v_dual_mov_b32 v2, 8 :: v_dual_mov_b32 v5, v7
.LBB135_304:                            ;   in Loop: Header=BB135_45 Depth=1
	s_wait_alu 0xfffe
	s_or_b32 exec_lo, exec_lo, s7
	s_delay_alu instid0(VALU_DEP_1)
	v_dual_mov_b32 v7, v5 :: v_dual_mov_b32 v6, v4
	s_mov_b32 s10, exec_lo
.LBB135_305:                            ;   in Loop: Header=BB135_45 Depth=1
	s_wait_alu 0xfffe
	s_or_b32 exec_lo, exec_lo, s6
	s_delay_alu instid0(SALU_CYCLE_1)
	s_or_not1_b32 s6, s10, exec_lo
.LBB135_306:                            ;   in Loop: Header=BB135_45 Depth=1
	s_wait_alu 0xfffe
	s_or_b32 exec_lo, exec_lo, s15
	v_dual_mov_b32 v4, v6 :: v_dual_mov_b32 v5, v7
	s_and_not1_b32 s7, s70, exec_lo
	s_and_b32 s8, s73, exec_lo
	s_and_not1_b32 s9, s25, exec_lo
	s_and_b32 s10, s72, exec_lo
	s_wait_alu 0xfffe
	s_or_b32 s70, s7, s8
	s_or_b32 s25, s9, s10
	s_and_b32 s7, s6, exec_lo
.LBB135_307:                            ;   in Loop: Header=BB135_45 Depth=1
	s_wait_alu 0xfffe
	s_or_b32 exec_lo, exec_lo, s14
	s_delay_alu instid0(SALU_CYCLE_1)
	s_or_not1_b32 s6, s7, exec_lo
.LBB135_308:                            ;   in Loop: Header=BB135_45 Depth=1
	s_wait_alu 0xfffe
	s_or_b32 exec_lo, exec_lo, s24
	v_dual_mov_b32 v9, v5 :: v_dual_mov_b32 v8, v4
	s_and_not1_b32 s7, s22, exec_lo
	s_and_b32 s8, s70, exec_lo
	s_and_not1_b32 s9, s21, exec_lo
	s_and_b32 s10, s25, exec_lo
	s_wait_alu 0xfffe
	s_or_b32 s22, s7, s8
	s_or_b32 s21, s9, s10
	s_and_b32 s7, s6, exec_lo
.LBB135_309:                            ;   in Loop: Header=BB135_45 Depth=1
	s_wait_alu 0xfffe
	s_or_b32 exec_lo, exec_lo, s23
	s_delay_alu instid0(SALU_CYCLE_1)
	s_or_not1_b32 s6, s7, exec_lo
.LBB135_310:                            ;   in Loop: Header=BB135_45 Depth=1
	s_or_b32 exec_lo, exec_lo, s19
	s_mov_b32 s7, 0
	s_wait_alu 0xfffe
	s_and_saveexec_b32 s8, s6
	s_wait_alu 0xfffe
	s_xor_b32 s6, exec_lo, s8
	s_cbranch_execz .LBB135_43
; %bb.311:                              ;   in Loop: Header=BB135_45 Depth=1
	v_and_b32_e32 v2, 7, v2
	s_mov_b32 s8, -1
	s_mov_b32 s7, -1
	s_mov_b32 s9, exec_lo
	s_delay_alu instid0(VALU_DEP_1)
	v_cmpx_eq_u32_e32 0, v2
	s_cbranch_execz .LBB135_42
; %bb.312:                              ;   in Loop: Header=BB135_45 Depth=1
	s_xor_b32 s97, s97, 1
	s_add_co_i32 s10, s95, -2
	s_cmp_eq_u32 s95, 0
	s_wait_alu 0xfffe
	s_mov_b32 s95, s10
	s_cselect_b32 s8, -1, 0
	s_xor_b32 s7, exec_lo, -1
	s_wait_alu 0xfffe
	s_or_not1_b32 s8, s8, exec_lo
	s_branch .LBB135_42
.LBB135_313:                            ;   in Loop: Header=BB135_45 Depth=1
                                        ; implicit-def: $sgpr12_sgpr13
	s_branch .LBB135_264
.LBB135_314:                            ;   in Loop: Header=BB135_45 Depth=1
                                        ; implicit-def: $sgpr6_sgpr7
	s_branch .LBB135_281
.LBB135_315:
	s_or_b32 exec_lo, exec_lo, s96
	s_xor_b32 s3, s103, -1
	s_xor_b32 s1, s101, -1
	;; [unrolled: 1-line block ×3, first 2 shown]
	s_mov_b32 s0, 0
	s_and_saveexec_b32 s5, s1
	s_wait_alu 0xfffe
	s_xor_b32 s1, exec_lo, s5
	s_cbranch_execnz .LBB135_320
; %bb.316:
	s_and_not1_saveexec_b32 s1, s1
	s_cbranch_execnz .LBB135_333
.LBB135_317:
	s_wait_alu 0xfffe
	s_or_b32 exec_lo, exec_lo, s1
	s_and_saveexec_b32 s1, s0
.LBB135_318:
	; divergent unreachable
.LBB135_319:
	s_endpgm
.LBB135_320:
	s_and_saveexec_b32 s0, s3
	s_delay_alu instid0(SALU_CYCLE_1)
	s_xor_b32 s3, exec_lo, s0
	s_cbranch_execz .LBB135_331
; %bb.321:
	s_and_saveexec_b32 s0, s4
	s_delay_alu instid0(SALU_CYCLE_1)
	s_xor_b32 s0, exec_lo, s0
; %bb.322:
	v_and_b32_e32 v2, 0x8000, v46
	v_mov_b32_e32 v3, 0xffff
	s_delay_alu instid0(VALU_DEP_2) | instskip(SKIP_1) | instid1(VALU_DEP_2)
	v_cmp_eq_u32_e32 vcc_lo, 0, v2
	s_wait_alu 0xfffd
	v_cndmask_b32_e32 v2, 0x8000, v3, vcc_lo
	s_delay_alu instid0(VALU_DEP_1)
	v_xor_b32_e32 v52, v2, v46
; %bb.323:
	s_or_b32 exec_lo, exec_lo, s0
	s_mul_u64 s[4:5], s[40:41], s[36:37]
	v_mov_b32_e32 v2, 0
	s_wait_alu 0xfffe
	s_lshl_b64 s[4:5], s[4:5], 1
	s_lshl_b64 s[6:7], s[26:27], 1
	s_wait_alu 0xfffe
	s_add_nc_u64 s[4:5], s[46:47], s[4:5]
	s_wait_alu 0xfffe
	s_add_nc_u64 s[4:5], s[4:5], s[6:7]
	global_store_b16 v2, v52, s[4:5]
	s_and_saveexec_b32 s4, s2
	s_cbranch_execz .LBB135_330
; %bb.324:
	v_cmp_u_f16_e32 vcc_lo, v52, v52
	s_mov_b32 s2, 0
                                        ; implicit-def: $sgpr5
                                        ; implicit-def: $sgpr8
                                        ; implicit-def: $sgpr7
	s_xor_b32 s6, vcc_lo, -1
	s_branch .LBB135_326
.LBB135_325:                            ;   in Loop: Header=BB135_326 Depth=1
	s_wait_alu 0xfffe
	s_or_b32 exec_lo, exec_lo, s9
	s_delay_alu instid0(SALU_CYCLE_1)
	s_and_b32 s0, exec_lo, s8
	s_wait_alu 0xfffe
	s_or_b32 s2, s0, s2
	s_and_not1_b32 s0, s5, exec_lo
	s_and_b32 s5, s7, exec_lo
	s_wait_alu 0xfffe
	s_or_b32 s5, s0, s5
	s_and_not1_b32 exec_lo, exec_lo, s2
	s_cbranch_execz .LBB135_328
.LBB135_326:                            ; =>This Inner Loop Header: Depth=1
	global_load_u16 v2, v[12:13], off
	s_or_b32 s7, s7, exec_lo
	s_or_b32 s8, s8, exec_lo
	s_wait_loadcnt 0x0
	v_cmp_o_f16_e32 vcc_lo, v2, v2
	v_cmp_neq_f16_e64 s0, v2, v52
	v_dual_mov_b32 v3, v1 :: v_dual_mov_b32 v2, v0
                                        ; implicit-def: $vgpr0_vgpr1
	s_wait_alu 0xfffe
	s_or_b32 s9, s6, vcc_lo
	s_wait_alu 0xfffe
	s_and_b32 s0, s0, s9
	s_wait_alu 0xfffe
	s_and_saveexec_b32 s9, s0
	s_cbranch_execz .LBB135_325
; %bb.327:                              ;   in Loop: Header=BB135_326 Depth=1
	v_add_co_u32 v0, vcc_lo, v2, s48
	s_wait_alu 0xfffd
	v_add_co_ci_u32_e64 v1, null, 0, v3, vcc_lo
	v_add_co_u32 v12, s0, v12, s54
	s_wait_alu 0xf1ff
	v_add_co_ci_u32_e64 v13, null, s55, v13, s0
	s_delay_alu instid0(VALU_DEP_3)
	v_cmp_le_u64_e32 vcc_lo, s[28:29], v[0:1]
	s_and_not1_b32 s0, s8, exec_lo
	s_and_not1_b32 s7, s7, exec_lo
	s_and_b32 s8, vcc_lo, exec_lo
	s_wait_alu 0xfffe
	s_or_b32 s8, s0, s8
	s_branch .LBB135_325
.LBB135_328:
	s_or_b32 exec_lo, exec_lo, s2
	s_wait_alu 0xfffe
	s_and_saveexec_b32 s0, s5
	s_wait_alu 0xfffe
	s_xor_b32 s0, exec_lo, s0
	s_cbranch_execz .LBB135_330
; %bb.329:
	s_mul_u64 s[6:7], s[42:43], s[38:39]
	v_mov_b32_e32 v0, 0
	s_wait_alu 0xfffe
	s_lshl_b64 s[6:7], s[6:7], 3
	s_lshl_b64 s[8:9], s[34:35], 3
	s_wait_alu 0xfffe
	s_add_nc_u64 s[6:7], s[44:45], s[6:7]
	s_wait_alu 0xfffe
	s_add_nc_u64 s[6:7], s[6:7], s[8:9]
	global_store_b64 v0, v[2:3], s[6:7]
.LBB135_330:
	s_wait_alu 0xfffe
	s_or_b32 exec_lo, exec_lo, s4
.LBB135_331:
	s_wait_alu 0xfffe
	s_or_saveexec_b32 s0, s3
	s_mov_b32 s2, 0
	s_wait_alu 0xfffe
	s_xor_b32 exec_lo, exec_lo, s0
	s_cbranch_execnz .LBB135_334
.LBB135_332:
	s_or_b32 exec_lo, exec_lo, s0
	s_wait_alu 0xfffe
	s_and_b32 s0, s2, exec_lo
	s_and_not1_saveexec_b32 s1, s1
	s_cbranch_execz .LBB135_317
.LBB135_333:
	s_wait_alu 0xfffe
	s_or_b32 s0, s0, exec_lo
	s_trap 2
	s_or_b32 exec_lo, exec_lo, s1
	s_wait_alu 0xfffe
	s_and_saveexec_b32 s1, s0
	s_cbranch_execnz .LBB135_318
	s_branch .LBB135_319
.LBB135_334:
	s_mov_b32 s2, exec_lo
	s_trap 2
	s_branch .LBB135_332
	.section	.rodata,"a",@progbits
	.p2align	6, 0x0
	.amdhsa_kernel _ZN2at6native12_GLOBAL__N_112gatherMedianIN3c104HalfEmLin1EEEvNS_4cuda6detail10TensorInfoIT_T0_EENS7_IlS9_EENS7_IKS8_S9_EES9_S9_S9_b
		.amdhsa_group_segment_fixed_size 5152
		.amdhsa_private_segment_fixed_size 0
		.amdhsa_kernarg_size 1536
		.amdhsa_user_sgpr_count 2
		.amdhsa_user_sgpr_dispatch_ptr 0
		.amdhsa_user_sgpr_queue_ptr 0
		.amdhsa_user_sgpr_kernarg_segment_ptr 1
		.amdhsa_user_sgpr_dispatch_id 0
		.amdhsa_user_sgpr_private_segment_size 0
		.amdhsa_wavefront_size32 1
		.amdhsa_uses_dynamic_stack 0
		.amdhsa_enable_private_segment 0
		.amdhsa_system_sgpr_workgroup_id_x 1
		.amdhsa_system_sgpr_workgroup_id_y 1
		.amdhsa_system_sgpr_workgroup_id_z 1
		.amdhsa_system_sgpr_workgroup_info 0
		.amdhsa_system_vgpr_workitem_id 0
		.amdhsa_next_free_vgpr 63
		.amdhsa_next_free_sgpr 104
		.amdhsa_reserve_vcc 1
		.amdhsa_float_round_mode_32 0
		.amdhsa_float_round_mode_16_64 0
		.amdhsa_float_denorm_mode_32 3
		.amdhsa_float_denorm_mode_16_64 3
		.amdhsa_fp16_overflow 0
		.amdhsa_workgroup_processor_mode 1
		.amdhsa_memory_ordered 1
		.amdhsa_forward_progress 1
		.amdhsa_inst_pref_size 171
		.amdhsa_round_robin_scheduling 0
		.amdhsa_exception_fp_ieee_invalid_op 0
		.amdhsa_exception_fp_denorm_src 0
		.amdhsa_exception_fp_ieee_div_zero 0
		.amdhsa_exception_fp_ieee_overflow 0
		.amdhsa_exception_fp_ieee_underflow 0
		.amdhsa_exception_fp_ieee_inexact 0
		.amdhsa_exception_int_div_zero 0
	.end_amdhsa_kernel
	.section	.text._ZN2at6native12_GLOBAL__N_112gatherMedianIN3c104HalfEmLin1EEEvNS_4cuda6detail10TensorInfoIT_T0_EENS7_IlS9_EENS7_IKS8_S9_EES9_S9_S9_b,"axG",@progbits,_ZN2at6native12_GLOBAL__N_112gatherMedianIN3c104HalfEmLin1EEEvNS_4cuda6detail10TensorInfoIT_T0_EENS7_IlS9_EENS7_IKS8_S9_EES9_S9_S9_b,comdat
.Lfunc_end135:
	.size	_ZN2at6native12_GLOBAL__N_112gatherMedianIN3c104HalfEmLin1EEEvNS_4cuda6detail10TensorInfoIT_T0_EENS7_IlS9_EENS7_IKS8_S9_EES9_S9_S9_b, .Lfunc_end135-_ZN2at6native12_GLOBAL__N_112gatherMedianIN3c104HalfEmLin1EEEvNS_4cuda6detail10TensorInfoIT_T0_EENS7_IlS9_EENS7_IKS8_S9_EES9_S9_S9_b
                                        ; -- End function
	.set _ZN2at6native12_GLOBAL__N_112gatherMedianIN3c104HalfEmLin1EEEvNS_4cuda6detail10TensorInfoIT_T0_EENS7_IlS9_EENS7_IKS8_S9_EES9_S9_S9_b.num_vgpr, 63
	.set _ZN2at6native12_GLOBAL__N_112gatherMedianIN3c104HalfEmLin1EEEvNS_4cuda6detail10TensorInfoIT_T0_EENS7_IlS9_EENS7_IKS8_S9_EES9_S9_S9_b.num_agpr, 0
	.set _ZN2at6native12_GLOBAL__N_112gatherMedianIN3c104HalfEmLin1EEEvNS_4cuda6detail10TensorInfoIT_T0_EENS7_IlS9_EENS7_IKS8_S9_EES9_S9_S9_b.numbered_sgpr, 104
	.set _ZN2at6native12_GLOBAL__N_112gatherMedianIN3c104HalfEmLin1EEEvNS_4cuda6detail10TensorInfoIT_T0_EENS7_IlS9_EENS7_IKS8_S9_EES9_S9_S9_b.num_named_barrier, 0
	.set _ZN2at6native12_GLOBAL__N_112gatherMedianIN3c104HalfEmLin1EEEvNS_4cuda6detail10TensorInfoIT_T0_EENS7_IlS9_EENS7_IKS8_S9_EES9_S9_S9_b.private_seg_size, 0
	.set _ZN2at6native12_GLOBAL__N_112gatherMedianIN3c104HalfEmLin1EEEvNS_4cuda6detail10TensorInfoIT_T0_EENS7_IlS9_EENS7_IKS8_S9_EES9_S9_S9_b.uses_vcc, 1
	.set _ZN2at6native12_GLOBAL__N_112gatherMedianIN3c104HalfEmLin1EEEvNS_4cuda6detail10TensorInfoIT_T0_EENS7_IlS9_EENS7_IKS8_S9_EES9_S9_S9_b.uses_flat_scratch, 0
	.set _ZN2at6native12_GLOBAL__N_112gatherMedianIN3c104HalfEmLin1EEEvNS_4cuda6detail10TensorInfoIT_T0_EENS7_IlS9_EENS7_IKS8_S9_EES9_S9_S9_b.has_dyn_sized_stack, 0
	.set _ZN2at6native12_GLOBAL__N_112gatherMedianIN3c104HalfEmLin1EEEvNS_4cuda6detail10TensorInfoIT_T0_EENS7_IlS9_EENS7_IKS8_S9_EES9_S9_S9_b.has_recursion, 0
	.set _ZN2at6native12_GLOBAL__N_112gatherMedianIN3c104HalfEmLin1EEEvNS_4cuda6detail10TensorInfoIT_T0_EENS7_IlS9_EENS7_IKS8_S9_EES9_S9_S9_b.has_indirect_call, 0
	.section	.AMDGPU.csdata,"",@progbits
; Kernel info:
; codeLenInByte = 21864
; TotalNumSgprs: 106
; NumVgprs: 63
; ScratchSize: 0
; MemoryBound: 0
; FloatMode: 240
; IeeeMode: 1
; LDSByteSize: 5152 bytes/workgroup (compile time only)
; SGPRBlocks: 0
; VGPRBlocks: 7
; NumSGPRsForWavesPerEU: 106
; NumVGPRsForWavesPerEU: 63
; Occupancy: 16
; WaveLimiterHint : 1
; COMPUTE_PGM_RSRC2:SCRATCH_EN: 0
; COMPUTE_PGM_RSRC2:USER_SGPR: 2
; COMPUTE_PGM_RSRC2:TRAP_HANDLER: 0
; COMPUTE_PGM_RSRC2:TGID_X_EN: 1
; COMPUTE_PGM_RSRC2:TGID_Y_EN: 1
; COMPUTE_PGM_RSRC2:TGID_Z_EN: 1
; COMPUTE_PGM_RSRC2:TIDIG_COMP_CNT: 0
	.section	.text._ZN2at6native12_GLOBAL__N_112gatherMedianIN3c108BFloat16EjLi1EEEvNS_4cuda6detail10TensorInfoIT_T0_EENS7_IlS9_EENS7_IKS8_S9_EES9_S9_S9_b,"axG",@progbits,_ZN2at6native12_GLOBAL__N_112gatherMedianIN3c108BFloat16EjLi1EEEvNS_4cuda6detail10TensorInfoIT_T0_EENS7_IlS9_EENS7_IKS8_S9_EES9_S9_S9_b,comdat
	.globl	_ZN2at6native12_GLOBAL__N_112gatherMedianIN3c108BFloat16EjLi1EEEvNS_4cuda6detail10TensorInfoIT_T0_EENS7_IlS9_EENS7_IKS8_S9_EES9_S9_S9_b ; -- Begin function _ZN2at6native12_GLOBAL__N_112gatherMedianIN3c108BFloat16EjLi1EEEvNS_4cuda6detail10TensorInfoIT_T0_EENS7_IlS9_EENS7_IKS8_S9_EES9_S9_S9_b
	.p2align	8
	.type	_ZN2at6native12_GLOBAL__N_112gatherMedianIN3c108BFloat16EjLi1EEEvNS_4cuda6detail10TensorInfoIT_T0_EENS7_IlS9_EENS7_IKS8_S9_EES9_S9_S9_b,@function
_ZN2at6native12_GLOBAL__N_112gatherMedianIN3c108BFloat16EjLi1EEEvNS_4cuda6detail10TensorInfoIT_T0_EENS7_IlS9_EENS7_IKS8_S9_EES9_S9_S9_b: ; @_ZN2at6native12_GLOBAL__N_112gatherMedianIN3c108BFloat16EjLi1EEEvNS_4cuda6detail10TensorInfoIT_T0_EENS7_IlS9_EENS7_IKS8_S9_EES9_S9_S9_b
; %bb.0:
	s_clause 0x1
	s_load_b64 s[6:7], s[0:1], 0x298
	s_load_b128 s[28:31], s[0:1], 0x288
	s_lshr_b32 s2, ttmp7, 16
	s_and_b32 s3, ttmp7, 0xffff
	s_wait_kmcnt 0x0
	s_mul_i32 s2, s7, s2
	s_delay_alu instid0(SALU_CYCLE_1) | instskip(NEXT) | instid1(SALU_CYCLE_1)
	s_add_co_i32 s2, s2, s3
	s_mul_i32 s25, s2, s6
	s_delay_alu instid0(SALU_CYCLE_1) | instskip(NEXT) | instid1(SALU_CYCLE_1)
	s_add_co_i32 s25, s25, ttmp9
	s_cmp_ge_u32 s25, s29
	s_cbranch_scc1 .LBB136_259
; %bb.1:
	s_clause 0x1
	s_load_b32 s2, s[0:1], 0x21c
	s_load_b64 s[8:9], s[0:1], 0x1b0
	s_mov_b32 s5, 0
	v_mov_b32_e32 v3, 0
	s_add_nc_u64 s[12:13], s[0:1], 0x298
	s_wait_kmcnt 0x0
	s_mul_i32 s4, s2, s25
	v_cmp_gt_u32_e64 s2, s28, v0
	s_lshl_b64 s[10:11], s[4:5], 1
	s_delay_alu instid0(SALU_CYCLE_1)
	s_add_nc_u64 s[26:27], s[8:9], s[10:11]
	s_and_saveexec_b32 s4, s2
	s_cbranch_execz .LBB136_5
; %bb.2:
	s_load_b32 s3, s[12:13], 0xc
	v_mov_b32_e32 v2, 0
	v_mul_lo_u32 v1, v0, s30
	s_delay_alu instid0(VALU_DEP_2) | instskip(SKIP_2) | instid1(SALU_CYCLE_1)
	v_dual_mov_b32 v4, v0 :: v_dual_mov_b32 v3, v2
	s_wait_kmcnt 0x0
	s_and_b32 s7, s3, 0xffff
	s_mul_i32 s8, s30, s7
.LBB136_3:                              ; =>This Inner Loop Header: Depth=1
	s_delay_alu instid0(VALU_DEP_2) | instskip(SKIP_2) | instid1(VALU_DEP_3)
	v_lshlrev_b64_e32 v[5:6], 1, v[1:2]
	v_add_nc_u32_e32 v4, s7, v4
	v_add_nc_u32_e32 v1, s8, v1
	v_add_co_u32 v5, vcc_lo, s26, v5
	s_wait_alu 0xfffd
	s_delay_alu instid0(VALU_DEP_4)
	v_add_co_ci_u32_e64 v6, null, s27, v6, vcc_lo
	v_cmp_le_u32_e32 vcc_lo, s28, v4
	global_load_u16 v5, v[5:6], off
	s_or_b32 s5, vcc_lo, s5
	s_wait_loadcnt 0x0
	v_lshlrev_b32_e32 v5, 16, v5
	s_delay_alu instid0(VALU_DEP_1) | instskip(SKIP_1) | instid1(VALU_DEP_1)
	v_cmp_u_f32_e64 s3, v5, v5
	s_wait_alu 0xf1ff
	v_add_co_ci_u32_e64 v3, null, 0, v3, s3
	s_and_not1_b32 exec_lo, exec_lo, s5
	s_cbranch_execnz .LBB136_3
; %bb.4:
	s_or_b32 exec_lo, exec_lo, s5
.LBB136_5:
	s_delay_alu instid0(SALU_CYCLE_1)
	s_or_b32 exec_lo, exec_lo, s4
	s_clause 0x3
	s_load_b32 s33, s[0:1], 0x144
	s_load_b64 s[34:35], s[0:1], 0xd8
	s_load_b32 s46, s[0:1], 0x6c
	s_load_b64 s[36:37], s[0:1], 0x0
	v_cmp_eq_u32_e64 s0, 0, v0
	s_and_saveexec_b32 s1, s0
; %bb.6:
	v_mov_b32_e32 v1, 0
	s_delay_alu instid0(VALU_DEP_1)
	v_mov_b32_e32 v2, v1
	ds_store_b64 v1, v[1:2] offset:4096
; %bb.7:
	s_or_b32 exec_lo, exec_lo, s1
	s_delay_alu instid0(SALU_CYCLE_1)
	s_mov_b32 s1, exec_lo
	s_wait_dscnt 0x0
	s_barrier_signal -1
	s_barrier_wait -1
	global_inv scope:SCOPE_SE
	v_cmpx_ne_u32_e32 0, v3
	s_cbranch_execz .LBB136_12
; %bb.8:
	v_mov_b32_e32 v1, 0
	s_mov_b32 s3, exec_lo
	s_mov_b64 s[4:5], 0
.LBB136_9:                              ; =>This Inner Loop Header: Depth=1
	s_wait_alu 0xfffe
	s_ctz_i32_b32 s7, s3
	s_wait_alu 0xfffe
	v_readlane_b32 s9, v1, s7
	v_readlane_b32 s8, v3, s7
	s_lshl_b32 s7, 1, s7
	s_wait_alu 0xfffe
	s_and_not1_b32 s3, s3, s7
	s_wait_alu 0xfffe
	s_cmp_lg_u32 s3, 0
	s_add_nc_u64 s[4:5], s[4:5], s[8:9]
	s_cbranch_scc1 .LBB136_9
; %bb.10:
	v_mbcnt_lo_u32_b32 v1, exec_lo, 0
	s_mov_b32 s3, exec_lo
	s_delay_alu instid0(VALU_DEP_1)
	v_cmpx_eq_u32_e32 0, v1
	s_wait_alu 0xfffe
	s_xor_b32 s3, exec_lo, s3
; %bb.11:
	v_mov_b32_e32 v1, s4
	v_dual_mov_b32 v3, 0 :: v_dual_mov_b32 v2, s5
	ds_add_u64 v3, v[1:2] offset:4096
.LBB136_12:
	s_or_b32 exec_lo, exec_lo, s1
	v_mov_b32_e32 v1, 0
	s_wait_loadcnt_dscnt 0x0
	s_barrier_signal -1
	s_barrier_wait -1
	global_inv scope:SCOPE_SE
	ds_load_b64 v[1:2], v1 offset:4096
	s_bitcmp1_b32 s31, 0
	s_mov_b32 s11, s28
	s_cselect_b32 s3, -1, 0
	s_wait_dscnt 0x0
	v_readfirstlane_b32 s4, v1
	v_readfirstlane_b32 s5, v2
	s_wait_alu 0xf1ff
	s_delay_alu instid0(VALU_DEP_1) | instskip(SKIP_2) | instid1(SALU_CYCLE_1)
	v_cmp_lt_i64_e64 s1, s[4:5], 1
	s_wait_alu 0xfffe
	s_or_b32 s1, s3, s1
	s_and_not1_b32 vcc_lo, exec_lo, s1
	s_wait_alu 0xfffe
	s_cbranch_vccnz .LBB136_14
; %bb.13:
	s_not_b64 s[4:5], s[4:5]
	s_mov_b32 s29, 0
	s_wait_alu 0xfffe
	s_add_nc_u64 s[4:5], s[4:5], s[28:29]
	s_mov_b32 s9, s29
	s_wait_alu 0xfffe
	s_lshr_b32 s8, s5, 31
	s_wait_alu 0xfffe
	s_add_nc_u64 s[4:5], s[4:5], s[8:9]
	s_wait_alu 0xfffe
	s_lshr_b64 s[4:5], s[4:5], 1
	s_wait_alu 0xfffe
	s_add_co_i32 s11, s4, 1
.LBB136_14:
	s_and_saveexec_b32 s1, s0
	s_cbranch_execz .LBB136_16
; %bb.15:
	v_dual_mov_b32 v1, 0 :: v_dual_mov_b32 v2, s28
	ds_store_b32 v1, v1 offset:4112
	ds_store_b64 v1, v[1:2] offset:4104
.LBB136_16:
	s_or_b32 exec_lo, exec_lo, s1
	s_wait_loadcnt_dscnt 0x0
	s_barrier_signal -1
	s_barrier_wait -1
	global_inv scope:SCOPE_SE
	s_load_b32 s5, s[12:13], 0xc
	v_dual_mov_b32 v7, 0 :: v_dual_lshlrev_b32 v14, 2, v0
	v_mbcnt_lo_u32_b32 v15, -1, 0
	v_mul_lo_u32 v5, s30, v0
	v_cmp_gt_u32_e32 vcc_lo, 32, v0
	v_dual_mov_b32 v35, s11 :: v_dual_lshlrev_b32 v16, 1, v0
	s_delay_alu instid0(VALU_DEP_4) | instskip(SKIP_2) | instid1(VALU_DEP_4)
	v_cmp_gt_i32_e64 s4, 4, v15
	v_mov_b32_e32 v6, v7
	v_lshlrev_b64_e64 v[3:4], v15, -1
	v_dual_mov_b32 v34, 0 :: v_dual_add_nc_u32 v17, 0xc00, v16
	s_and_b32 s47, vcc_lo, s4
	s_delay_alu instid0(VALU_DEP_3) | instskip(SKIP_1) | instid1(VALU_DEP_3)
	v_lshlrev_b64_e32 v[1:2], 1, v[5:6]
	s_mov_b32 s31, s30
	v_not_b32_e32 v18, v3
	s_wait_alu 0xfffe
	v_mad_co_u64_u32 v[12:13], null, s30, v14, s[30:31]
	v_cmp_gt_u32_e64 s1, 2, v0
	s_wait_kmcnt 0x0
	s_and_b32 s29, s5, 0xffff
	s_bfe_u32 s4, s5, 0xb0005
	s_wait_alu 0xfffe
	s_lshl_b32 s49, s29, 2
	s_add_co_i32 s48, s29, -1
	s_cvt_f32_u32 s5, s49
	s_add_co_i32 s10, s48, s28
	v_add_co_u32 v8, vcc_lo, s26, v1
	s_wait_alu 0xfffe
	v_rcp_iflag_f32_e32 v3, s5
	s_cmp_gt_u32 s28, 0x600
	s_wait_alu 0xfffd
	v_add_co_ci_u32_e64 v9, null, s27, v2, vcc_lo
	v_lshrrev_b32_e32 v2, 1, v0
	s_cselect_b32 s50, -1, 0
	s_cmp_gt_u32 s29, 31
	s_movk_i32 s5, 0x1f0
	s_cselect_b32 s52, -1, 0
	s_cmp_lt_u32 ttmp9, s6
	s_wait_alu 0xfffe
	v_and_or_b32 v19, v2, s5, 0xc00
	s_cselect_b32 s38, 12, 18
	s_add_co_i32 s5, s4, -1
	v_readfirstlane_b32 s6, v3
	s_wait_alu 0xfffe
	s_and_b32 s5, s5, 0xffff
	s_bfe_u32 s53, s29, 0x30005
	s_wait_alu 0xfffe
	s_cmp_gt_u32 s5, 6
	s_cvt_f32_u32 s5, s29
	s_cselect_b32 s54, -1, 0
	s_and_b32 s55, s4, 0x7f8
	s_mul_f32 s4, s6, 0x4f7ffffe
	s_cmp_lg_u32 s53, 0
	s_wait_alu 0xfffe
	v_rcp_iflag_f32_e32 v4, s5
	s_cselect_b32 s56, -1, 0
	s_cvt_u32_f32 s4, s4
	s_sub_co_i32 s6, 0, s49
	v_add_nc_u32_e32 v1, 2, v0
	v_mov_b32_e32 v31, 0x8000
	s_wait_alu 0xfffe
	s_mul_i32 s6, s6, s4
	v_mov_b32_e32 v13, 0
	s_wait_alu 0xfffe
	s_mul_hi_u32 s5, s4, s6
	v_max_u32_e32 v1, s28, v1
	s_wait_alu 0xfffe
	s_add_co_i32 s40, s4, s5
	v_readfirstlane_b32 s6, v4
	s_mul_hi_u32 s5, s28, s40
	v_mov_b32_e32 v32, 0
	s_wait_alu 0xfffe
	s_mul_i32 s5, s5, s49
	v_xad_u32 v1, v0, -1, v1
	s_wait_alu 0xfffe
	s_sub_co_i32 s5, s28, s5
	s_mul_f32 s6, s6, 0x4f7ffffe
	s_wait_alu 0xfffe
	s_sub_co_i32 s7, s5, s49
	s_cmp_ge_u32 s5, s49
	v_add_nc_u32_e32 v2, -2, v1
	s_wait_alu 0xfffe
	s_cselect_b32 s7, s7, s5
	s_cvt_u32_f32 s6, s6
	s_wait_alu 0xfffe
	s_sub_co_i32 s8, s7, s49
	s_cmp_ge_u32 s7, s49
	v_and_b32_e32 v20, -2, v1
	s_wait_alu 0xfffe
	s_cselect_b32 s14, s8, s7
	s_sub_co_i32 s7, 0, s29
	s_sub_co_i32 s57, s28, s14
	s_wait_alu 0xfffe
	s_mul_i32 s7, s7, s6
	v_add_nc_u32_e32 v22, s57, v0
	s_wait_alu 0xfffe
	s_mul_hi_u32 s7, s6, s7
	v_lshrrev_b32_e32 v3, 1, v2
	s_wait_alu 0xfffe
	s_add_co_i32 s42, s6, s7
	v_cmp_lt_u32_e64 s4, 31, v1
	v_mul_lo_u32 v6, v22, s30
	s_mul_hi_u32 s7, s10, s42
	v_cmp_lt_u32_e64 s5, 13, v2
	s_wait_alu 0xfffe
	s_mul_i32 s8, s7, s29
	v_cmp_ne_u32_e64 s7, v1, v20
	s_wait_alu 0xfffe
	s_sub_co_i32 s9, s10, s8
	v_add_nc_u32_e32 v3, 1, v3
	s_wait_alu 0xfffe
	s_sub_co_i32 s15, s9, s29
	v_lshlrev_b64_e32 v[1:2], 1, v[6:7]
	s_cmp_ge_u32 s9, s29
	v_cmp_eq_u32_e64 s3, 0, v15
	s_cselect_b32 s15, s15, s9
	v_dual_mov_b32 v33, 0 :: v_dual_and_b32 v4, 7, v3
	v_add_co_u32 v10, vcc_lo, s26, v1
	v_add3_u32 v1, s29, s28, v0
	v_and_b32_e32 v23, -8, v3
	s_wait_alu 0xfffd
	v_add_co_ci_u32_e64 v11, null, s27, v2, vcc_lo
	v_or_b32_e32 v2, 2, v14
	v_or_b32_e32 v3, 3, v14
	v_subrev_nc_u32_e32 v1, s14, v1
	s_sub_co_i32 s16, s15, s29
	s_cmp_ge_u32 s15, s29
	v_mul_lo_u32 v25, s30, v2
	s_cselect_b32 s15, s16, s15
	v_mul_lo_u32 v26, s30, v3
	v_mul_lo_u32 v28, s30, v1
	s_wait_alu 0xfffe
	s_sub_co_i32 s58, s10, s15
	v_add_nc_u32_e32 v21, v0, v20
	v_cmp_ne_u32_e64 s6, 0, v4
	v_cmp_gt_u32_e64 s8, s57, v14
	v_cmp_gt_u32_e64 s9, s28, v22
	;; [unrolled: 1-line block ×3, first 2 shown]
	v_lshlrev_b32_e32 v24, 2, v4
	v_lshlrev_b32_e32 v27, 2, v5
	;; [unrolled: 1-line block ×3, first 2 shown]
	v_lshl_or_b32 v30, v15, 2, 0xc00
	s_mov_b32 s39, 0
	s_mul_i32 s51, s30, s29
	s_mov_b32 s41, s39
	s_mov_b32 s43, s39
	s_lshl_b32 s59, s51, 2
	s_lshl_b32 s60, s29, 3
	;; [unrolled: 1-line block ×3, first 2 shown]
	s_mov_b32 s70, 14
	s_add_nc_u64 s[44:45], s[12:13], s[38:39]
	s_movk_i32 s63, 0x3f80
	s_mov_b32 s62, 0
                                        ; implicit-def: $sgpr67
                                        ; implicit-def: $sgpr69
                                        ; implicit-def: $sgpr64
                                        ; implicit-def: $sgpr66
                                        ; implicit-def: $sgpr68
                                        ; implicit-def: $sgpr65
	s_branch .LBB136_20
.LBB136_17:                             ;   in Loop: Header=BB136_20 Depth=1
	s_wait_alu 0xfffe
	s_or_b32 exec_lo, exec_lo, s15
	s_delay_alu instid0(SALU_CYCLE_1)
	s_and_b32 s12, s12, exec_lo
	s_and_not1_b32 s17, s17, exec_lo
	s_and_not1_b32 s16, s16, exec_lo
	s_or_not1_b32 s14, s14, exec_lo
.LBB136_18:                             ;   in Loop: Header=BB136_20 Depth=1
	s_wait_alu 0xfffe
	s_or_b32 exec_lo, exec_lo, s11
	s_delay_alu instid0(SALU_CYCLE_1)
	s_and_not1_b32 s11, s65, exec_lo
	s_and_b32 s12, s12, exec_lo
	s_and_not1_b32 s15, s66, exec_lo
	s_wait_alu 0xfffe
	s_or_b32 s65, s11, s12
	s_and_not1_b32 s11, s68, exec_lo
	s_and_b32 s12, s17, exec_lo
	s_and_b32 s16, s16, exec_lo
	s_wait_alu 0xfffe
	s_or_b32 s68, s11, s12
	s_or_b32 s66, s15, s16
	s_or_not1_b32 s15, s14, exec_lo
.LBB136_19:                             ;   in Loop: Header=BB136_20 Depth=1
	s_wait_alu 0xfffe
	s_or_b32 exec_lo, exec_lo, s13
	s_delay_alu instid0(SALU_CYCLE_1)
	s_and_b32 s11, exec_lo, s15
	v_mov_b32_e32 v35, v2
	s_wait_alu 0xfffe
	s_or_b32 s62, s11, s62
	s_and_not1_b32 s11, s64, exec_lo
	s_and_b32 s12, s65, exec_lo
	s_and_not1_b32 s13, s69, exec_lo
	s_wait_alu 0xfffe
	s_or_b32 s64, s11, s12
	s_and_b32 s11, s68, exec_lo
	s_and_not1_b32 s12, s67, exec_lo
	s_and_b32 s14, s66, exec_lo
	s_wait_alu 0xfffe
	s_or_b32 s69, s13, s11
	s_or_b32 s67, s12, s14
	s_mov_b32 s70, s22
	s_and_not1_b32 exec_lo, exec_lo, s62
	s_cbranch_execz .LBB136_255
.LBB136_20:                             ; =>This Loop Header: Depth=1
                                        ;     Child Loop BB136_25 Depth 2
                                        ;     Child Loop BB136_46 Depth 2
                                        ;     Child Loop BB136_50 Depth 2
                                        ;     Child Loop BB136_56 Depth 2
                                        ;     Child Loop BB136_88 Depth 2
                                        ;     Child Loop BB136_92 Depth 2
                                        ;     Child Loop BB136_77 Depth 2
                                        ;     Child Loop BB136_82 Depth 2
                                        ;     Child Loop BB136_73 Depth 2
                                        ;     Child Loop BB136_97 Depth 2
                                        ;     Child Loop BB136_107 Depth 2
                                        ;     Child Loop BB136_118 Depth 2
                                        ;     Child Loop BB136_144 Depth 2
                                        ;     Child Loop BB136_155 Depth 2
                                        ;     Child Loop BB136_181 Depth 2
                                        ;     Child Loop BB136_192 Depth 2
                                        ;     Child Loop BB136_218 Depth 2
                                        ;     Child Loop BB136_229 Depth 2
	ds_load_b64 v[1:2], v7 offset:4104
	s_wait_dscnt 0x0
	v_readfirstlane_b32 s38, v1
	s_cmp_lg_u32 s38, 0
	s_cbranch_scc1 .LBB136_65
; %bb.21:                               ;   in Loop: Header=BB136_20 Depth=1
	s_and_b32 vcc_lo, exec_lo, s50
	s_wait_alu 0xfffe
	s_cbranch_vccz .LBB136_33
; %bb.22:                               ;   in Loop: Header=BB136_20 Depth=1
	v_cmp_gt_u32_e32 vcc_lo, 0x601, v2
	s_mov_b32 s13, 0
	s_mov_b32 s11, 0
	s_cbranch_vccz .LBB136_34
; %bb.23:                               ;   in Loop: Header=BB136_20 Depth=1
	global_load_u16 v1, v[8:9], off
	s_load_u16 s14, s[44:45], 0x0
	s_mov_b32 s15, 0
	s_wait_kmcnt 0x0
	v_add_nc_u32_e32 v2, s14, v0
	s_mul_i32 s16, s30, s14
	s_delay_alu instid0(VALU_DEP_1)
	v_mul_lo_u32 v6, s30, v2
	v_mov_b32_e32 v2, v0
	s_branch .LBB136_25
.LBB136_24:                             ;   in Loop: Header=BB136_25 Depth=2
	s_wait_alu 0xfffe
	s_or_b32 exec_lo, exec_lo, s12
	v_dual_mov_b32 v1, v3 :: v_dual_add_nc_u32 v6, s16, v6
	s_and_not1_b32 exec_lo, exec_lo, s15
	s_cbranch_execz .LBB136_40
.LBB136_25:                             ;   Parent Loop BB136_20 Depth=1
                                        ; =>  This Inner Loop Header: Depth=2
	s_delay_alu instid0(VALU_DEP_1) | instskip(SKIP_3) | instid1(VALU_DEP_2)
	v_dual_mov_b32 v3, 0 :: v_dual_add_nc_u32 v2, s14, v2
	s_wait_dscnt 0x0
	v_mov_b32_e32 v4, 0
	s_mov_b32 s12, exec_lo
	v_cmp_le_u32_e32 vcc_lo, s28, v2
	v_cmpx_gt_u32_e64 s28, v2
	s_cbranch_execz .LBB136_27
; %bb.26:                               ;   in Loop: Header=BB136_25 Depth=2
	v_lshlrev_b64_e32 v[36:37], 1, v[6:7]
	s_delay_alu instid0(VALU_DEP_1) | instskip(SKIP_1) | instid1(VALU_DEP_2)
	v_add_co_u32 v36, s11, s26, v36
	s_wait_alu 0xf1ff
	v_add_co_ci_u32_e64 v37, null, s27, v37, s11
	global_load_u16 v3, v[36:37], off
.LBB136_27:                             ;   in Loop: Header=BB136_25 Depth=2
	s_wait_alu 0xfffe
	s_or_b32 exec_lo, exec_lo, s12
	s_wait_loadcnt 0x0
	v_cmp_lt_i16_e64 s11, -1, v1
	v_and_b32_e32 v36, 0xffff, v1
	v_lshlrev_b32_e32 v38, 16, v1
	s_wait_alu 0xf1ff
	s_delay_alu instid0(VALU_DEP_3) | instskip(NEXT) | instid1(VALU_DEP_2)
	v_cndmask_b32_e64 v37, 0xffff, v31, s11
	v_cmp_o_f32_e64 s11, v38, v38
	s_delay_alu instid0(VALU_DEP_2) | instskip(SKIP_1) | instid1(VALU_DEP_1)
	v_xor_b32_e32 v36, v37, v36
	s_wait_alu 0xf1ff
	v_cndmask_b32_e64 v36, 0xffff, v36, s11
	s_delay_alu instid0(VALU_DEP_1) | instskip(NEXT) | instid1(VALU_DEP_1)
	v_and_b32_e32 v36, v36, v33
	v_cmp_eq_u32_e64 s11, v36, v13
	s_cmp_lg_u32 s11, 0
	s_cselect_b32 s12, -1, 0
	s_wait_alu 0xfffe
	s_and_b32 s12, s3, s12
	s_wait_alu 0xfffe
	s_and_saveexec_b32 s17, s12
	s_cbranch_execz .LBB136_31
; %bb.28:                               ;   in Loop: Header=BB136_25 Depth=2
	s_mov_b32 s20, exec_lo
	s_bcnt1_i32_b32 s18, s11
	s_wait_alu 0xfffe
	v_mbcnt_lo_u32_b32 v4, s20, 0
	s_mov_b32 s19, exec_lo
                                        ; implicit-def: $vgpr36
	s_delay_alu instid0(VALU_DEP_1)
	v_cmpx_eq_u32_e32 0, v4
; %bb.29:                               ;   in Loop: Header=BB136_25 Depth=2
	s_bcnt1_i32_b32 s12, s20
	s_wait_alu 0xfffe
	s_mul_i32 s12, s18, s12
	s_wait_alu 0xfffe
	v_mov_b32_e32 v36, s12
	ds_add_rtn_u32 v36, v7, v36 offset:4112
; %bb.30:                               ;   in Loop: Header=BB136_25 Depth=2
	s_or_b32 exec_lo, exec_lo, s19
	s_wait_dscnt 0x0
	v_readfirstlane_b32 s12, v36
	s_wait_alu 0xf1ff
	s_delay_alu instid0(VALU_DEP_1)
	v_mad_u32_u24 v4, s18, v4, s12
.LBB136_31:                             ;   in Loop: Header=BB136_25 Depth=2
	s_wait_alu 0xfffe
	s_or_b32 exec_lo, exec_lo, s17
	ds_bpermute_b32 v4, v7, v4
	s_and_b32 s12, exec_lo, vcc_lo
	s_wait_alu 0xfffe
	s_or_b32 s15, s12, s15
	s_and_saveexec_b32 s12, s11
	s_cbranch_execz .LBB136_24
; %bb.32:                               ;   in Loop: Header=BB136_25 Depth=2
	v_and_b32_e32 v36, s11, v18
	s_delay_alu instid0(VALU_DEP_1) | instskip(NEXT) | instid1(VALU_DEP_1)
	v_bcnt_u32_b32 v36, v36, 0
	v_lshlrev_b32_e32 v36, 1, v36
	s_wait_dscnt 0x0
	s_delay_alu instid0(VALU_DEP_1)
	v_lshl_add_u32 v4, v4, 1, v36
	ds_store_b16 v4, v1
	s_branch .LBB136_24
.LBB136_33:                             ;   in Loop: Header=BB136_20 Depth=1
	s_mov_b32 s13, -1
	s_mov_b32 s11, 0
.LBB136_34:                             ;   in Loop: Header=BB136_20 Depth=1
	s_wait_alu 0xfffe
	s_and_b32 vcc_lo, exec_lo, s13
	s_wait_alu 0xfffe
	s_cbranch_vccz .LBB136_63
.LBB136_35:                             ;   in Loop: Header=BB136_20 Depth=1
	s_and_saveexec_b32 s12, s2
	s_cbranch_execz .LBB136_60
; %bb.36:                               ;   in Loop: Header=BB136_20 Depth=1
	global_load_u16 v36, v[8:9], off
	s_load_u16 s14, s[44:45], 0x0
	v_mov_b32_e32 v3, v0
	s_mov_b32 s13, exec_lo
	s_wait_kmcnt 0x0
	v_add_nc_u32_e32 v1, s14, v0
	s_delay_alu instid0(VALU_DEP_1)
	v_cmpx_gt_u32_e64 s28, v1
	s_cbranch_execz .LBB136_59
; %bb.37:                               ;   in Loop: Header=BB136_20 Depth=1
	s_mov_b32 s11, 0
	s_mul_i32 s15, s30, s14
                                        ; implicit-def: $vgpr3
                                        ; implicit-def: $vgpr2
                                        ; implicit-def: $vgpr4
	s_and_saveexec_b32 s16, s4
	s_wait_alu 0xfffe
	s_xor_b32 s16, exec_lo, s16
	s_cbranch_execnz .LBB136_43
; %bb.38:                               ;   in Loop: Header=BB136_20 Depth=1
	s_wait_alu 0xfffe
	s_and_not1_saveexec_b32 s16, s16
	s_cbranch_execnz .LBB136_54
.LBB136_39:                             ;   in Loop: Header=BB136_20 Depth=1
	s_wait_alu 0xfffe
	s_or_b32 exec_lo, exec_lo, s16
	s_and_saveexec_b32 s15, s11
	s_cbranch_execnz .LBB136_55
	s_branch .LBB136_58
.LBB136_40:                             ;   in Loop: Header=BB136_20 Depth=1
	s_or_b32 exec_lo, exec_lo, s15
	s_wait_dscnt 0x0
	s_barrier_signal -1
	s_barrier_wait -1
	global_inv scope:SCOPE_SE
	s_and_saveexec_b32 s11, s0
	s_cbranch_execz .LBB136_42
; %bb.41:                               ;   in Loop: Header=BB136_20 Depth=1
	ds_load_b32 v1, v7 offset:4112
	s_wait_dscnt 0x0
	ds_store_b32 v7, v1 offset:4104
.LBB136_42:                             ;   in Loop: Header=BB136_20 Depth=1
	s_wait_alu 0xfffe
	s_or_b32 exec_lo, exec_lo, s11
	s_wait_loadcnt_dscnt 0x0
	s_barrier_signal -1
	s_mov_b32 s11, -1
	s_barrier_wait -1
	s_and_b32 vcc_lo, exec_lo, s13
	s_wait_alu 0xfffe
	s_cbranch_vccnz .LBB136_35
	s_branch .LBB136_63
.LBB136_43:                             ;   in Loop: Header=BB136_20 Depth=1
	v_add_nc_u32_e32 v2, s14, v1
	s_cvt_f32_u32 s11, s14
	s_wait_alu 0xfffe
	s_delay_alu instid0(SALU_CYCLE_2) | instskip(NEXT) | instid1(VALU_DEP_1)
	v_rcp_iflag_f32_e32 v3, s11
	v_max_u32_e32 v2, s28, v2
	s_lshl_b32 s11, s14, 1
	s_delay_alu instid0(VALU_DEP_1) | instskip(NEXT) | instid1(TRANS32_DEP_1)
	v_sub_nc_u32_e32 v2, v2, v0
	v_readfirstlane_b32 s17, v3
	s_wait_alu 0xfffe
	s_delay_alu instid0(VALU_DEP_2) | instskip(SKIP_3) | instid1(VALU_DEP_1)
	v_cmp_ne_u32_e32 vcc_lo, s11, v2
	s_mul_f32 s17, s17, 0x4f7ffffe
	s_wait_alu 0xfffd
	v_cndmask_b32_e64 v3, 0, 1, vcc_lo
	v_or_b32_e32 v3, s11, v3
	s_wait_alu 0xfffe
	s_cvt_u32_f32 s11, s17
	s_sub_co_i32 s17, 0, s14
	s_wait_alu 0xfffe
	s_delay_alu instid0(SALU_CYCLE_1)
	s_mul_i32 s17, s17, s11
	v_sub_nc_u32_e32 v2, v2, v3
	s_wait_alu 0xfffe
	s_mul_hi_u32 s17, s11, s17
	s_wait_alu 0xfffe
	s_add_co_i32 s11, s11, s17
	s_not_b32 s17, s15
	s_wait_alu 0xfffe
	v_mul_hi_u32 v3, v2, s11
	s_delay_alu instid0(VALU_DEP_1) | instskip(NEXT) | instid1(VALU_DEP_1)
	v_mul_lo_u32 v4, v3, s14
	v_sub_nc_u32_e32 v2, v2, v4
	v_add_nc_u32_e32 v4, 1, v3
	s_delay_alu instid0(VALU_DEP_2) | instskip(SKIP_2) | instid1(VALU_DEP_1)
	v_subrev_nc_u32_e32 v6, s14, v2
	v_cmp_le_u32_e64 s11, s14, v2
	s_wait_alu 0xf1ff
	v_cndmask_b32_e64 v3, v3, v4, s11
	s_delay_alu instid0(VALU_DEP_3) | instskip(NEXT) | instid1(VALU_DEP_2)
	v_cndmask_b32_e64 v2, v2, v6, s11
	v_add_nc_u32_e32 v4, 1, v3
	s_delay_alu instid0(VALU_DEP_2) | instskip(SKIP_1) | instid1(VALU_DEP_1)
	v_cmp_le_u32_e64 s11, s14, v2
	s_wait_alu 0xf1ff
	v_cndmask_b32_e64 v2, v3, v4, s11
	v_mul_lo_u32 v3, s30, v1
	s_abs_i32 s11, s15
	s_delay_alu instid0(VALU_DEP_2) | instskip(SKIP_1) | instid1(VALU_DEP_1)
	v_add_co_ci_u32_e64 v2, null, 0, v2, vcc_lo
	s_wait_alu 0xfffe
	v_mul_hi_u32 v4, s11, v2
	v_mul_lo_u32 v2, s11, v2
	s_ashr_i32 s11, s17, 31
	s_cmp_eq_u32 s14, 1
	s_wait_alu 0xfffe
	v_xor_b32_e32 v3, s11, v3
	s_cselect_b32 s17, -1, 0
	s_delay_alu instid0(VALU_DEP_3) | instskip(NEXT) | instid1(VALU_DEP_2)
	v_cmp_eq_u32_e32 vcc_lo, 0, v4
	v_cmp_le_u32_e64 s11, v2, v3
	v_mov_b32_e32 v2, v0
                                        ; implicit-def: $vgpr3
	s_wait_alu 0xfffe
	s_and_b32 s17, vcc_lo, s17
	s_wait_alu 0xfffe
	s_and_b32 s18, s17, s11
	s_mov_b32 s17, -1
	s_wait_alu 0xfffe
	s_and_saveexec_b32 s11, s18
	s_cbranch_execz .LBB136_53
; %bb.44:                               ;   in Loop: Header=BB136_20 Depth=1
	v_add_nc_u32_e32 v2, 1, v1
	s_wait_loadcnt 0x0
	v_dual_mov_b32 v6, 0 :: v_dual_lshlrev_b32 v39, 16, v36
                                        ; implicit-def: $vgpr36
	s_delay_alu instid0(VALU_DEP_2)
	v_dual_mov_b32 v4, v2 :: v_dual_mov_b32 v3, v1
	s_and_saveexec_b32 s17, s5
	s_cbranch_execz .LBB136_48
; %bb.45:                               ;   in Loop: Header=BB136_20 Depth=1
	v_dual_mov_b32 v37, v23 :: v_dual_mov_b32 v38, v16
	v_dual_mov_b32 v4, v2 :: v_dual_mov_b32 v3, v1
	s_mov_b32 s18, 0
	s_mov_b32 s19, 0
.LBB136_46:                             ;   Parent Loop BB136_20 Depth=1
                                        ; =>  This Inner Loop Header: Depth=2
	s_delay_alu instid0(VALU_DEP_1) | instskip(NEXT) | instid1(VALU_DEP_2)
	v_add_nc_u32_e32 v2, 2, v4
	v_mul_lo_u32 v6, v3, s30
	v_add_nc_u32_e32 v36, 4, v4
	v_mul_lo_u32 v41, v4, s31
	v_mov_b32_e32 v42, v7
	v_lshrrev_b32_e32 v40, 16, v39
	v_add_nc_u32_e32 v39, 6, v4
	v_mul_lo_u32 v43, v2, s31
	v_dual_mov_b32 v44, v7 :: v_dual_add_nc_u32 v49, 8, v4
	v_mul_lo_u32 v45, v36, s31
	v_dual_mov_b32 v46, v7 :: v_dual_add_nc_u32 v51, 10, v4
	v_mul_lo_u32 v47, v39, s31
	v_lshlrev_b64_e32 v[53:54], 1, v[6:7]
	v_mul_lo_u32 v49, v49, s31
	v_lshlrev_b64_e32 v[41:42], 1, v[41:42]
	v_dual_mov_b32 v48, v7 :: v_dual_add_nc_u32 v39, 6, v3
	v_mul_lo_u32 v51, v51, s31
	v_lshlrev_b64_e32 v[43:44], 1, v[43:44]
	v_dual_mov_b32 v50, v7 :: v_dual_add_nc_u32 v55, 8, v3
	v_lshlrev_b64_e32 v[45:46], 1, v[45:46]
	v_add_co_u32 v53, vcc_lo, s26, v53
	v_dual_mov_b32 v52, v7 :: v_dual_add_nc_u32 v57, 10, v3
	v_lshlrev_b64_e32 v[47:48], 1, v[47:48]
	s_wait_alu 0xfffd
	v_add_co_ci_u32_e64 v54, null, s27, v54, vcc_lo
	v_add_co_u32 v41, vcc_lo, s26, v41
	v_lshlrev_b64_e32 v[49:50], 1, v[49:50]
	s_wait_alu 0xfffd
	v_add_co_ci_u32_e64 v42, null, s27, v42, vcc_lo
	v_add_co_u32 v43, vcc_lo, s26, v43
	;; [unrolled: 4-line block ×3, first 2 shown]
	s_wait_alu 0xfffd
	v_add_co_ci_u32_e64 v46, null, s27, v46, vcc_lo
	v_add_co_u32 v47, vcc_lo, s26, v47
	s_wait_alu 0xfffd
	v_add_co_ci_u32_e64 v48, null, s27, v48, vcc_lo
	v_add_co_u32 v49, vcc_lo, s26, v49
	s_wait_alu 0xfffd
	v_add_co_ci_u32_e64 v50, null, s27, v50, vcc_lo
	v_add_co_u32 v51, vcc_lo, s26, v51
	s_wait_alu 0xfffd
	v_add_co_ci_u32_e64 v52, null, s27, v52, vcc_lo
	s_clause 0x6
	global_load_d16_hi_b16 v40, v[53:54], off
	global_load_u16 v41, v[41:42], off
	global_load_u16 v42, v[43:44], off
	;; [unrolled: 1-line block ×6, first 2 shown]
	v_add_nc_u32_e32 v2, 2, v3
	v_add_nc_u32_e32 v6, 12, v4
	v_dual_mov_b32 v50, v7 :: v_dual_add_nc_u32 v49, 14, v4
	v_add_nc_u32_e32 v36, 4, v3
	v_dual_mov_b32 v48, v7 :: v_dual_add_nc_u32 v59, 12, v3
	s_delay_alu instid0(VALU_DEP_4)
	v_mul_lo_u32 v47, v6, s31
	v_mul_lo_u32 v6, v2, s30
	;; [unrolled: 1-line block ×3, first 2 shown]
	s_wait_alu 0xfffe
	s_add_co_i32 s19, s19, 16
	v_add_nc_u32_e32 v61, 14, v3
	v_add_nc_u32_e32 v37, -8, v37
	v_add_nc_u32_e32 v4, 16, v4
	v_add_nc_u32_e32 v3, 16, v3
	v_lshlrev_b64_e32 v[47:48], 1, v[47:48]
	v_lshlrev_b64_e32 v[51:52], 1, v[6:7]
	v_mul_lo_u32 v6, v36, s30
	v_lshlrev_b64_e32 v[49:50], 1, v[49:50]
	s_delay_alu instid0(VALU_DEP_4) | instskip(SKIP_2) | instid1(VALU_DEP_4)
	v_add_co_u32 v47, vcc_lo, s26, v47
	s_wait_alu 0xfffd
	v_add_co_ci_u32_e64 v48, null, s27, v48, vcc_lo
	v_lshlrev_b64_e32 v[53:54], 1, v[6:7]
	v_mul_lo_u32 v6, v39, s30
	v_add_co_u32 v49, vcc_lo, s26, v49
	s_wait_alu 0xfffd
	v_add_co_ci_u32_e64 v50, null, s27, v50, vcc_lo
	v_add_co_u32 v51, vcc_lo, s26, v51
	s_wait_alu 0xfffd
	v_add_co_ci_u32_e64 v52, null, s27, v52, vcc_lo
	global_load_u16 v2, v[47:48], off
	v_add_co_u32 v47, vcc_lo, s26, v53
	s_wait_alu 0xfffd
	v_add_co_ci_u32_e64 v48, null, s27, v54, vcc_lo
	v_lshlrev_b64_e32 v[53:54], 1, v[6:7]
	v_mul_lo_u32 v6, v55, s30
	s_delay_alu instid0(VALU_DEP_2) | instskip(SKIP_1) | instid1(VALU_DEP_3)
	v_add_co_u32 v53, vcc_lo, s26, v53
	s_wait_alu 0xfffd
	v_add_co_ci_u32_e64 v54, null, s27, v54, vcc_lo
	s_delay_alu instid0(VALU_DEP_3) | instskip(SKIP_1) | instid1(VALU_DEP_2)
	v_lshlrev_b64_e32 v[55:56], 1, v[6:7]
	v_mul_lo_u32 v6, v57, s30
	v_add_co_u32 v55, vcc_lo, s26, v55
	s_wait_alu 0xfffd
	s_delay_alu instid0(VALU_DEP_3) | instskip(NEXT) | instid1(VALU_DEP_3)
	v_add_co_ci_u32_e64 v56, null, s27, v56, vcc_lo
	v_lshlrev_b64_e32 v[57:58], 1, v[6:7]
	v_mul_lo_u32 v6, v59, s30
	s_delay_alu instid0(VALU_DEP_2) | instskip(SKIP_1) | instid1(VALU_DEP_3)
	v_add_co_u32 v57, vcc_lo, s26, v57
	s_wait_alu 0xfffd
	v_add_co_ci_u32_e64 v58, null, s27, v58, vcc_lo
	s_delay_alu instid0(VALU_DEP_3) | instskip(SKIP_1) | instid1(VALU_DEP_2)
	v_lshlrev_b64_e32 v[59:60], 1, v[6:7]
	v_mul_lo_u32 v6, v61, s30
	v_add_co_u32 v59, vcc_lo, s26, v59
	s_wait_alu 0xfffd
	s_delay_alu instid0(VALU_DEP_3) | instskip(NEXT) | instid1(VALU_DEP_3)
	v_add_co_ci_u32_e64 v60, null, s27, v60, vcc_lo
	v_lshlrev_b64_e32 v[61:62], 1, v[6:7]
	s_wait_alu 0xfffe
	v_mov_b32_e32 v6, s19
	s_delay_alu instid0(VALU_DEP_2) | instskip(SKIP_1) | instid1(VALU_DEP_3)
	v_add_co_u32 v61, vcc_lo, s26, v61
	s_wait_alu 0xfffd
	v_add_co_ci_u32_e64 v62, null, s27, v62, vcc_lo
	v_cmp_eq_u32_e32 vcc_lo, 0, v37
	s_wait_loadcnt 0x6
	global_load_d16_hi_b16 v41, v[51:52], off
	s_wait_loadcnt 0x6
	global_load_d16_hi_b16 v42, v[47:48], off
	;; [unrolled: 2-line block ×3, first 2 shown]
	s_wait_loadcnt 0x6
	s_clause 0x1
	global_load_d16_hi_b16 v44, v[55:56], off
	global_load_u16 v39, v[61:62], off
	s_wait_loadcnt 0x7
	global_load_d16_hi_b16 v45, v[57:58], off
	s_wait_loadcnt 0x7
	s_clause 0x1
	global_load_d16_hi_b16 v46, v[59:60], off
	global_load_u16 v36, v[49:50], off
	s_or_b32 s18, vcc_lo, s18
	s_wait_loadcnt 0x3
	v_perm_b32 v47, v39, v2, 0x5040100
	ds_store_b128 v38, v[40:43]
	s_wait_loadcnt 0x1
	ds_store_b128 v38, v[44:47] offset:16
	s_wait_loadcnt 0x0
	v_perm_b32 v39, v36, v39, 0x5040100
	v_add_nc_u32_e32 v38, 32, v38
	s_wait_alu 0xfffe
	s_and_not1_b32 exec_lo, exec_lo, s18
	s_cbranch_execnz .LBB136_46
; %bb.47:                               ;   in Loop: Header=BB136_20 Depth=1
	s_or_b32 exec_lo, exec_lo, s18
.LBB136_48:                             ;   in Loop: Header=BB136_20 Depth=1
	s_wait_alu 0xfffe
	s_or_b32 exec_lo, exec_lo, s17
	s_and_saveexec_b32 s17, s6
	s_cbranch_execz .LBB136_52
; %bb.49:                               ;   in Loop: Header=BB136_20 Depth=1
	v_lshl_add_u32 v2, v6, 1, v16
	v_mov_b32_e32 v37, v24
	s_mov_b32 s18, 0
.LBB136_50:                             ;   Parent Loop BB136_20 Depth=1
                                        ; =>  This Inner Loop Header: Depth=2
	v_mul_lo_u32 v6, v3, s30
	v_mul_lo_u32 v40, v4, s31
	v_dual_mov_b32 v41, v7 :: v_dual_add_nc_u32 v4, 2, v4
	v_add_nc_u32_e32 v37, -4, v37
	v_add_nc_u32_e32 v3, 2, v3
	v_lshlrev_b64_e32 v[42:43], 1, v[6:7]
	s_delay_alu instid0(VALU_DEP_4) | instskip(NEXT) | instid1(VALU_DEP_2)
	v_lshlrev_b64_e32 v[40:41], 1, v[40:41]
	v_add_co_u32 v42, vcc_lo, s26, v42
	s_wait_alu 0xfffd
	s_delay_alu instid0(VALU_DEP_3) | instskip(NEXT) | instid1(VALU_DEP_3)
	v_add_co_ci_u32_e64 v43, null, s27, v43, vcc_lo
	v_add_co_u32 v40, vcc_lo, s26, v40
	s_wait_alu 0xfffd
	v_add_co_ci_u32_e64 v41, null, s27, v41, vcc_lo
	s_clause 0x1
	global_load_u16 v6, v[42:43], off
	global_load_u16 v36, v[40:41], off
	v_cmp_eq_u32_e32 vcc_lo, 0, v37
	s_wait_alu 0xfffe
	s_or_b32 s18, vcc_lo, s18
	s_wait_loadcnt 0x1
	v_alignbit_b32 v38, v6, v39, 16
	s_wait_loadcnt 0x0
	v_perm_b32 v39, v36, v6, 0x5040100
	ds_store_b32 v2, v38
	v_add_nc_u32_e32 v2, 4, v2
	s_wait_alu 0xfffe
	s_and_not1_b32 exec_lo, exec_lo, s18
	s_cbranch_execnz .LBB136_50
; %bb.51:                               ;   in Loop: Header=BB136_20 Depth=1
	s_or_b32 exec_lo, exec_lo, s18
.LBB136_52:                             ;   in Loop: Header=BB136_20 Depth=1
	s_wait_alu 0xfffe
	s_or_b32 exec_lo, exec_lo, s17
	v_add_nc_u32_e32 v1, v1, v20
	s_or_not1_b32 s17, s7, exec_lo
	s_delay_alu instid0(VALU_DEP_1)
	v_dual_mov_b32 v2, v21 :: v_dual_add_nc_u32 v3, -1, v1
.LBB136_53:                             ;   in Loop: Header=BB136_20 Depth=1
	s_wait_alu 0xfffe
	s_or_b32 exec_lo, exec_lo, s11
	v_mov_b32_e32 v4, s15
	s_and_b32 s11, s17, exec_lo
	s_and_not1_saveexec_b32 s16, s16
	s_cbranch_execz .LBB136_39
.LBB136_54:                             ;   in Loop: Header=BB136_20 Depth=1
	s_wait_alu 0xfffe
	v_mov_b32_e32 v4, s15
	v_mov_b32_e32 v2, v0
	s_or_b32 s11, s11, exec_lo
	s_or_b32 exec_lo, exec_lo, s16
	s_wait_alu 0xfffe
	s_and_saveexec_b32 s15, s11
	s_cbranch_execz .LBB136_58
.LBB136_55:                             ;   in Loop: Header=BB136_20 Depth=1
	v_mul_lo_u32 v6, s30, v1
	s_mov_b32 s16, 0
	s_sub_co_i32 s11, 0, s14
.LBB136_56:                             ;   Parent Loop BB136_20 Depth=1
                                        ; =>  This Inner Loop Header: Depth=2
	s_delay_alu instid0(VALU_DEP_1) | instskip(SKIP_2) | instid1(VALU_DEP_2)
	v_lshlrev_b64_e32 v[37:38], 1, v[6:7]
	s_wait_loadcnt 0x0
	v_dual_mov_b32 v3, v36 :: v_dual_add_nc_u32 v6, v6, v4
	v_add_co_u32 v37, vcc_lo, s26, v37
	s_wait_alu 0xfffd
	s_delay_alu instid0(VALU_DEP_3) | instskip(SKIP_2) | instid1(VALU_DEP_1)
	v_add_co_ci_u32_e64 v38, null, s27, v38, vcc_lo
	global_load_u16 v36, v[37:38], off
	v_dual_mov_b32 v37, v1 :: v_dual_lshlrev_b32 v38, 1, v2
	v_dual_mov_b32 v2, v37 :: v_dual_add_nc_u32 v1, s14, v37
	ds_store_b16 v38, v3
	v_cmp_le_u32_e32 vcc_lo, s28, v1
	s_wait_alu 0xfffe
	s_or_b32 s16, vcc_lo, s16
	s_wait_alu 0xfffe
	s_and_not1_b32 exec_lo, exec_lo, s16
	s_cbranch_execnz .LBB136_56
; %bb.57:                               ;   in Loop: Header=BB136_20 Depth=1
	s_or_b32 exec_lo, exec_lo, s16
	v_add_nc_u32_e32 v3, s11, v1
.LBB136_58:                             ;   in Loop: Header=BB136_20 Depth=1
	s_wait_alu 0xfffe
	s_or_b32 exec_lo, exec_lo, s15
.LBB136_59:                             ;   in Loop: Header=BB136_20 Depth=1
	s_wait_alu 0xfffe
	s_or_b32 exec_lo, exec_lo, s13
	v_lshlrev_b32_e32 v1, 1, v3
	s_wait_loadcnt 0x0
	ds_store_b16 v1, v36
.LBB136_60:                             ;   in Loop: Header=BB136_20 Depth=1
	s_wait_alu 0xfffe
	s_or_b32 exec_lo, exec_lo, s12
	s_wait_loadcnt_dscnt 0x0
	s_barrier_signal -1
	s_barrier_wait -1
	global_inv scope:SCOPE_SE
	s_and_saveexec_b32 s11, s0
; %bb.61:                               ;   in Loop: Header=BB136_20 Depth=1
	v_mov_b32_e32 v1, s28
	ds_store_b32 v7, v1 offset:4104
; %bb.62:                               ;   in Loop: Header=BB136_20 Depth=1
	s_wait_alu 0xfffe
	s_or_b32 exec_lo, exec_lo, s11
	s_mov_b32 s11, -1
	s_wait_loadcnt_dscnt 0x0
	s_barrier_signal -1
	s_barrier_wait -1
.LBB136_63:                             ;   in Loop: Header=BB136_20 Depth=1
	s_wait_alu 0xfffe
	s_and_b32 vcc_lo, exec_lo, s11
	s_mov_b32 s38, 0
	s_wait_alu 0xfffe
	s_cbranch_vccz .LBB136_65
; %bb.64:                               ;   in Loop: Header=BB136_20 Depth=1
	s_wait_loadcnt 0x0
	global_inv scope:SCOPE_SE
	ds_load_b32 v1, v7 offset:4104
	s_wait_dscnt 0x0
	v_readfirstlane_b32 s38, v1
.LBB136_65:                             ;   in Loop: Header=BB136_20 Depth=1
	s_delay_alu instid0(VALU_DEP_1)
	s_cmp_lt_i32 s38, 1
	s_mov_b32 s11, -1
                                        ; implicit-def: $vgpr1
	s_cbranch_scc1 .LBB136_75
; %bb.66:                               ;   in Loop: Header=BB136_20 Depth=1
	s_wait_alu 0xfffe
	s_and_b32 vcc_lo, exec_lo, s11
	s_wait_alu 0xfffe
	s_cbranch_vccnz .LBB136_86
.LBB136_67:                             ;   in Loop: Header=BB136_20 Depth=1
	v_lshlrev_b32_e32 v6, 7, v32
	s_and_saveexec_b32 s11, s3
.LBB136_68:                             ;   in Loop: Header=BB136_20 Depth=1
	s_delay_alu instid0(VALU_DEP_1)
	v_lshl_add_u32 v36, v6, 2, v19
	ds_store_b128 v36, v[1:4]
.LBB136_69:                             ;   in Loop: Header=BB136_20 Depth=1
	s_wait_alu 0xfffe
	s_or_b32 exec_lo, exec_lo, s11
	s_wait_loadcnt_dscnt 0x0
	s_barrier_signal -1
	s_barrier_wait -1
	global_inv scope:SCOPE_SE
	s_and_saveexec_b32 s11, s47
	s_cbranch_execz .LBB136_99
; %bb.70:                               ;   in Loop: Header=BB136_20 Depth=1
	v_mov_b32_e32 v1, 0
	s_and_not1_b32 vcc_lo, exec_lo, s52
	s_wait_alu 0xfffe
	s_cbranch_vccnz .LBB136_98
; %bb.71:                               ;   in Loop: Header=BB136_20 Depth=1
	s_and_not1_b32 vcc_lo, exec_lo, s54
	s_wait_alu 0xfffe
	s_cbranch_vccnz .LBB136_95
; %bb.72:                               ;   in Loop: Header=BB136_20 Depth=1
	v_lshl_add_u32 v2, v32, 9, v30
	v_mov_b32_e32 v1, 0
	s_mov_b32 s12, 0
.LBB136_73:                             ;   Parent Loop BB136_20 Depth=1
                                        ; =>  This Inner Loop Header: Depth=2
	ds_load_2addr_b32 v[3:4], v2 offset1:4
	ds_load_2addr_b32 v[36:37], v2 offset0:8 offset1:12
	ds_load_2addr_b32 v[38:39], v2 offset0:16 offset1:20
	;; [unrolled: 1-line block ×3, first 2 shown]
	v_add_nc_u32_e32 v2, 0x80, v2
	s_wait_alu 0xfffe
	s_add_co_i32 s12, s12, 8
	s_wait_alu 0xfffe
	s_cmp_eq_u32 s55, s12
	s_wait_dscnt 0x3
	v_add3_u32 v1, v3, v1, v4
	s_wait_dscnt 0x2
	s_delay_alu instid0(VALU_DEP_1) | instskip(SKIP_1) | instid1(VALU_DEP_1)
	v_add3_u32 v1, v36, v1, v37
	s_wait_dscnt 0x1
	v_add3_u32 v1, v38, v1, v39
	s_wait_dscnt 0x0
	s_delay_alu instid0(VALU_DEP_1)
	v_add3_u32 v1, v40, v1, v41
	s_cbranch_scc0 .LBB136_73
; %bb.74:                               ;   in Loop: Header=BB136_20 Depth=1
	s_mov_b32 s12, s55
	s_and_not1_b32 vcc_lo, exec_lo, s56
	s_wait_alu 0xfffe
	s_cbranch_vccz .LBB136_96
	s_branch .LBB136_98
.LBB136_75:                             ;   in Loop: Header=BB136_20 Depth=1
	v_dual_mov_b32 v1, 0 :: v_dual_mov_b32 v2, 0
	v_dual_mov_b32 v3, 0 :: v_dual_mov_b32 v4, 0
	s_and_saveexec_b32 s22, s8
	s_cbranch_execz .LBB136_79
; %bb.76:                               ;   in Loop: Header=BB136_20 Depth=1
	v_mov_b32_e32 v36, v14
	s_mov_b32 s23, 0
	s_mov_b32 s24, 0
	;; [unrolled: 1-line block ×6, first 2 shown]
.LBB136_77:                             ;   Parent Loop BB136_20 Depth=1
                                        ; =>  This Inner Loop Header: Depth=2
	s_wait_alu 0xfffe
	v_add_nc_u32_e32 v6, s24, v27
	v_add_nc_u32_e32 v36, s49, v36
	s_delay_alu instid0(VALU_DEP_2) | instskip(SKIP_1) | instid1(VALU_DEP_1)
	v_lshlrev_b64_e32 v[1:2], 1, v[6:7]
	v_add_nc_u32_e32 v6, s24, v12
	v_lshlrev_b64_e32 v[3:4], 1, v[6:7]
	s_delay_alu instid0(VALU_DEP_3) | instskip(SKIP_3) | instid1(VALU_DEP_4)
	v_add_co_u32 v1, vcc_lo, s26, v1
	v_add_nc_u32_e32 v6, s24, v25
	s_wait_alu 0xfffd
	v_add_co_ci_u32_e64 v2, null, s27, v2, vcc_lo
	v_add_co_u32 v3, vcc_lo, s26, v3
	s_delay_alu instid0(VALU_DEP_3)
	v_lshlrev_b64_e32 v[37:38], 1, v[6:7]
	v_add_nc_u32_e32 v6, s24, v26
	s_wait_alu 0xfffd
	v_add_co_ci_u32_e64 v4, null, s27, v4, vcc_lo
	global_load_u16 v39, v[1:2], off
	s_add_co_i32 s24, s24, s59
	v_lshlrev_b64_e32 v[1:2], 1, v[6:7]
	global_load_u16 v6, v[3:4], off
	v_add_co_u32 v3, vcc_lo, s26, v37
	s_wait_alu 0xfffd
	v_add_co_ci_u32_e64 v4, null, s27, v38, vcc_lo
	v_add_co_u32 v1, vcc_lo, s26, v1
	s_wait_alu 0xfffd
	v_add_co_ci_u32_e64 v2, null, s27, v2, vcc_lo
	global_load_u16 v3, v[3:4], off
	v_cmp_le_u32_e32 vcc_lo, s57, v36
	global_load_u16 v1, v[1:2], off
	s_wait_loadcnt 0x3
	v_cmp_lt_i16_e64 s11, -1, v39
	v_and_b32_e32 v2, 0xffff, v39
	v_lshlrev_b32_e32 v37, 16, v39
	s_wait_loadcnt 0x2
	v_and_b32_e32 v38, 0xffff, v6
	s_wait_alu 0xf1ff
	v_cndmask_b32_e64 v4, 0xffff, v31, s11
	v_cmp_lt_i16_e64 s11, -1, v6
	s_delay_alu instid0(VALU_DEP_2) | instskip(SKIP_1) | instid1(VALU_DEP_2)
	v_xor_b32_e32 v2, v4, v2
	s_wait_alu 0xf1ff
	v_cndmask_b32_e64 v39, 0xffff, v31, s11
	v_cmp_o_f32_e64 s11, v37, v37
	v_lshlrev_b32_e32 v4, 16, v6
	s_wait_loadcnt 0x1
	v_cmp_lt_i16_e64 s12, -1, v3
	v_and_b32_e32 v37, 0xffff, v3
	v_xor_b32_e32 v6, v39, v38
	s_wait_alu 0xf1ff
	v_cndmask_b32_e64 v2, 0xffff, v2, s11
	v_cmp_o_f32_e64 s11, v4, v4
	v_cndmask_b32_e64 v38, 0xffff, v31, s12
	v_lshlrev_b32_e32 v3, 16, v3
	s_delay_alu instid0(VALU_DEP_4)
	v_and_b32_e32 v39, v2, v33
	s_wait_alu 0xf1ff
	v_cndmask_b32_e64 v4, 0xffff, v6, s11
	s_wait_loadcnt 0x0
	v_cmp_lt_i16_e64 s11, -1, v1
	v_xor_b32_e32 v6, v38, v37
	v_bfe_u32 v2, v2, s70, 2
	v_and_b32_e32 v37, 0xffff, v1
	v_lshlrev_b32_e32 v1, 16, v1
	s_wait_alu 0xf1ff
	v_cndmask_b32_e64 v38, 0xffff, v31, s11
	v_cmp_o_f32_e64 s11, v3, v3
	v_cmp_eq_u32_e64 s12, 0, v2
	v_cmp_eq_u32_e64 s13, 1, v2
	v_cmp_o_f32_e64 s16, v1, v1
	v_cmp_eq_u32_e64 s14, 2, v2
	s_wait_alu 0xf1ff
	v_cndmask_b32_e64 v3, 0xffff, v6, s11
	v_cmp_eq_u32_e64 s11, v39, v13
	v_xor_b32_e32 v6, v38, v37
	v_and_b32_e32 v37, v4, v33
	v_bfe_u32 v4, v4, s70, 2
	v_cmp_eq_u32_e64 s15, 3, v2
	s_and_b32 s12, s11, s12
	v_cndmask_b32_e64 v1, 0xffff, v6, s16
	v_cmp_eq_u32_e64 s16, v37, v13
	v_cmp_eq_u32_e64 s17, 0, v4
	s_wait_alu 0xfffe
	v_cndmask_b32_e64 v6, 0, 1, s12
	v_cmp_eq_u32_e64 s12, 1, v4
	s_and_b32 s13, s11, s13
	v_and_b32_e32 v2, v3, v33
	v_bfe_u32 v3, v3, s70, 2
	s_wait_alu 0xfffe
	v_cndmask_b32_e64 v37, 0, 1, s13
	v_cmp_eq_u32_e64 s13, 2, v4
	s_and_b32 s14, s11, s14
	s_and_b32 s11, s11, s15
	s_wait_alu 0xfffe
	v_cndmask_b32_e64 v38, 0, 1, s14
	s_and_b32 s17, s16, s17
	s_and_b32 s12, s16, s12
	v_cmp_eq_u32_e64 s14, 3, v4
	v_cndmask_b32_e64 v4, 0, 1, s11
	v_cmp_eq_u32_e64 s11, v2, v13
	v_cmp_eq_u32_e64 s15, 0, v3
	v_cmp_ne_u32_e64 s18, 0, v6
	s_wait_alu 0xfffe
	v_cndmask_b32_e64 v6, 0, 1, s17
	v_cmp_eq_u32_e64 s17, 1, v3
	v_cmp_ne_u32_e64 s19, 0, v37
	v_cndmask_b32_e64 v37, 0, 1, s12
	v_cmp_eq_u32_e64 s12, 2, v3
	s_and_b32 s13, s16, s13
	v_and_b32_e32 v2, v1, v33
	v_bfe_u32 v1, v1, s70, 2
	v_cmp_ne_u32_e64 s20, 0, v38
	s_wait_alu 0xfffe
	v_cndmask_b32_e64 v38, 0, 1, s13
	v_cmp_eq_u32_e64 s13, 3, v3
	s_and_b32 s14, s16, s14
	s_and_b32 s15, s11, s15
	;; [unrolled: 1-line block ×4, first 2 shown]
	v_cmp_ne_u32_e64 s21, 0, v4
	s_wait_alu 0xfffe
	v_cndmask_b32_e64 v3, 0, 1, s14
	v_cmp_eq_u32_e64 s14, v2, v13
	v_cmp_eq_u32_e64 s16, 0, v1
	s_bcnt1_i32_b32 s75, s18
	v_cmp_ne_u32_e64 s18, 0, v6
	v_cndmask_b32_e64 v2, 0, 1, s15
	v_cmp_eq_u32_e64 s15, 1, v1
	v_cndmask_b32_e64 v4, 0, 1, s17
	v_cmp_eq_u32_e64 s17, 2, v1
	;; [unrolled: 2-line block ×3, first 2 shown]
	s_and_b32 s11, s11, s13
	s_bcnt1_i32_b32 s78, s21
	s_wait_alu 0xfffe
	v_cndmask_b32_e64 v1, 0, 1, s11
	v_cmp_ne_u32_e64 s21, 0, v3
	s_and_b32 s13, s14, s16
	s_and_b32 s15, s14, s15
	;; [unrolled: 1-line block ×4, first 2 shown]
	v_cmp_ne_u32_e64 s11, 0, v2
	s_wait_alu 0xfffe
	v_cndmask_b32_e64 v2, 0, 1, s13
	v_cmp_ne_u32_e64 s13, 0, v4
	v_cndmask_b32_e64 v3, 0, 1, s15
	v_cndmask_b32_e64 v4, 0, 1, s16
	v_cmp_ne_u32_e64 s16, 0, v1
	v_cndmask_b32_e64 v1, 0, 1, s12
	s_bcnt1_i32_b32 s76, s19
	v_cmp_ne_u32_e64 s19, 0, v37
	s_bcnt1_i32_b32 s77, s20
	v_cmp_ne_u32_e64 s20, 0, v38
	s_add_co_i32 s71, s78, s71
	v_cmp_ne_u32_e64 s15, 0, v6
	s_bcnt1_i32_b32 s17, s21
	s_bcnt1_i32_b32 s21, s11
	s_wait_alu 0xfffe
	s_add_co_i32 s17, s71, s17
	v_cmp_ne_u32_e64 s11, 0, v2
	s_bcnt1_i32_b32 s71, s13
	v_cmp_ne_u32_e64 s12, 0, v3
	v_cmp_ne_u32_e64 s13, 0, v4
	;; [unrolled: 1-line block ×3, first 2 shown]
	s_add_co_i32 s74, s75, s74
	s_add_co_i32 s73, s76, s73
	;; [unrolled: 1-line block ×3, first 2 shown]
	s_bcnt1_i32_b32 s18, s18
	s_bcnt1_i32_b32 s19, s19
	;; [unrolled: 1-line block ×3, first 2 shown]
	s_wait_alu 0xfffe
	s_add_co_i32 s18, s74, s18
	s_add_co_i32 s19, s73, s19
	;; [unrolled: 1-line block ×3, first 2 shown]
	s_bcnt1_i32_b32 s15, s15
	s_bcnt1_i32_b32 s16, s16
	s_wait_alu 0xfffe
	s_add_co_i32 s18, s18, s21
	s_add_co_i32 s19, s19, s71
	;; [unrolled: 1-line block ×4, first 2 shown]
	s_bcnt1_i32_b32 s11, s11
	s_bcnt1_i32_b32 s12, s12
	;; [unrolled: 1-line block ×4, first 2 shown]
	s_wait_alu 0xfffe
	s_add_co_i32 s74, s18, s11
	s_add_co_i32 s73, s19, s12
	;; [unrolled: 1-line block ×4, first 2 shown]
	s_wait_alu 0xfffe
	v_dual_mov_b32 v1, s74 :: v_dual_mov_b32 v2, s73
	v_dual_mov_b32 v3, s72 :: v_dual_mov_b32 v4, s71
	s_or_b32 s23, vcc_lo, s23
	s_wait_alu 0xfffe
	s_and_not1_b32 exec_lo, exec_lo, s23
	s_cbranch_execnz .LBB136_77
; %bb.78:                               ;   in Loop: Header=BB136_20 Depth=1
	s_or_b32 exec_lo, exec_lo, s23
.LBB136_79:                             ;   in Loop: Header=BB136_20 Depth=1
	s_wait_alu 0xfffe
	s_or_b32 exec_lo, exec_lo, s22
	s_and_saveexec_b32 s15, s9
	s_cbranch_execz .LBB136_85
; %bb.80:                               ;   in Loop: Header=BB136_20 Depth=1
	global_load_u16 v38, v[10:11], off
	v_mov_b32_e32 v6, v28
	v_mov_b32_e32 v36, v22
	s_mov_b32 s16, 0
	s_branch .LBB136_82
.LBB136_81:                             ;   in Loop: Header=BB136_82 Depth=2
	s_wait_alu 0xfffe
	s_or_b32 exec_lo, exec_lo, s12
	s_wait_loadcnt 0x0
	v_cmp_lt_i16_e64 s11, -1, v38
	v_and_b32_e32 v39, 0xffff, v38
	v_lshlrev_b32_e32 v38, 16, v38
	s_and_b32 s12, exec_lo, vcc_lo
	v_add_nc_u32_e32 v6, s51, v6
	s_wait_alu 0xf1ff
	v_cndmask_b32_e64 v40, 0xffff, v31, s11
	s_wait_alu 0xfffe
	s_or_b32 s16, s12, s16
	v_cmp_o_f32_e64 s11, v38, v38
	s_delay_alu instid0(VALU_DEP_2) | instskip(SKIP_1) | instid1(VALU_DEP_1)
	v_xor_b32_e32 v39, v40, v39
	s_wait_alu 0xf1ff
	v_cndmask_b32_e64 v38, 0xffff, v39, s11
	s_delay_alu instid0(VALU_DEP_1) | instskip(SKIP_1) | instid1(VALU_DEP_2)
	v_and_b32_e32 v39, v38, v33
	v_bfe_u32 v38, v38, s70, 2
	v_cmp_eq_u32_e32 vcc_lo, v39, v13
	s_delay_alu instid0(VALU_DEP_2)
	v_cmp_eq_u32_e64 s11, 0, v38
	v_cmp_eq_u32_e64 s12, 1, v38
	;; [unrolled: 1-line block ×4, first 2 shown]
	s_and_b32 s11, vcc_lo, s11
	s_wait_alu 0xfffe
	v_cndmask_b32_e64 v38, 0, 1, s11
	s_and_b32 s11, vcc_lo, s12
	s_wait_alu 0xfffe
	v_cndmask_b32_e64 v39, 0, 1, s11
	;; [unrolled: 3-line block ×3, first 2 shown]
	s_and_b32 s11, vcc_lo, s14
	v_cmp_ne_u32_e32 vcc_lo, 0, v38
	s_wait_alu 0xfffe
	v_cndmask_b32_e64 v41, 0, 1, s11
	v_cmp_ne_u32_e64 s11, 0, v39
	v_cmp_ne_u32_e64 s12, 0, v40
	v_mov_b32_e32 v38, v37
	s_bcnt1_i32_b32 s14, vcc_lo
	v_cmp_ne_u32_e64 s13, 0, v41
	s_bcnt1_i32_b32 s11, s11
	s_bcnt1_i32_b32 s12, s12
	s_wait_alu 0xfffe
	v_add_nc_u32_e32 v1, s14, v1
	v_add_nc_u32_e32 v2, s11, v2
	s_bcnt1_i32_b32 s13, s13
	v_add_nc_u32_e32 v3, s12, v3
	s_wait_alu 0xfffe
	v_add_nc_u32_e32 v4, s13, v4
	s_and_not1_b32 exec_lo, exec_lo, s16
	s_cbranch_execz .LBB136_84
.LBB136_82:                             ;   Parent Loop BB136_20 Depth=1
                                        ; =>  This Inner Loop Header: Depth=2
	s_delay_alu instid0(VALU_DEP_1) | instskip(SKIP_1) | instid1(VALU_DEP_1)
	v_dual_mov_b32 v37, 0 :: v_dual_add_nc_u32 v36, s29, v36
	s_mov_b32 s12, exec_lo
	v_cmp_le_u32_e32 vcc_lo, s28, v36
	v_cmpx_gt_u32_e64 s28, v36
	s_cbranch_execz .LBB136_81
; %bb.83:                               ;   in Loop: Header=BB136_82 Depth=2
	v_lshlrev_b64_e32 v[39:40], 1, v[6:7]
	s_delay_alu instid0(VALU_DEP_1) | instskip(SKIP_1) | instid1(VALU_DEP_2)
	v_add_co_u32 v39, s11, s26, v39
	s_wait_alu 0xf1fe
	v_add_co_ci_u32_e64 v40, null, s27, v40, s11
	global_load_u16 v37, v[39:40], off
	s_branch .LBB136_81
.LBB136_84:                             ;   in Loop: Header=BB136_20 Depth=1
	s_or_b32 exec_lo, exec_lo, s16
.LBB136_85:                             ;   in Loop: Header=BB136_20 Depth=1
	s_wait_alu 0xfffe
	s_or_b32 exec_lo, exec_lo, s15
	s_branch .LBB136_67
.LBB136_86:                             ;   in Loop: Header=BB136_20 Depth=1
	s_mul_u64 s[12:13], s[38:39], s[40:41]
	v_dual_mov_b32 v1, 0 :: v_dual_mov_b32 v2, 0
	s_wait_alu 0xfffe
	s_mul_i32 s11, s13, s49
	v_dual_mov_b32 v3, 0 :: v_dual_mov_b32 v4, 0
	s_wait_alu 0xfffe
	s_sub_co_i32 s11, s38, s11
	s_mov_b32 s72, exec_lo
	s_wait_alu 0xfffe
	s_sub_co_i32 s12, s11, s49
	s_cmp_ge_u32 s11, s49
	s_wait_alu 0xfffe
	s_cselect_b32 s11, s12, s11
	s_wait_alu 0xfffe
	s_sub_co_i32 s12, s11, s49
	s_cmp_ge_u32 s11, s49
	s_wait_alu 0xfffe
	s_cselect_b32 s11, s12, s11
	s_wait_alu 0xfffe
	s_sub_co_i32 s71, s38, s11
	s_wait_alu 0xfffe
	v_cmpx_gt_u32_e64 s71, v14
	s_cbranch_execz .LBB136_90
; %bb.87:                               ;   in Loop: Header=BB136_20 Depth=1
	v_mov_b32_e32 v6, v29
	v_mov_b32_e32 v36, v14
	s_mov_b32 s73, 0
	s_mov_b32 s74, 0
	;; [unrolled: 1-line block ×5, first 2 shown]
.LBB136_88:                             ;   Parent Loop BB136_20 Depth=1
                                        ; =>  This Inner Loop Header: Depth=2
	ds_load_b64 v[1:2], v6
	s_wait_dscnt 0x0
	v_cmp_lt_i16_e64 s11, -1, v1
	v_lshrrev_b32_e32 v3, 16, v1
	v_lshrrev_b32_e32 v4, 16, v2
	v_and_b32_e32 v37, 0xffff, v1
	v_lshlrev_b32_e32 v39, 16, v1
	s_wait_alu 0xf1ff
	v_cndmask_b32_e64 v38, 0xffff, v31, s11
	v_cmp_lt_i16_e64 s11, -1, v2
	v_and_b32_e32 v40, 0xffff, v2
	v_cmp_lt_i16_e64 s12, -1, v4
	v_lshlrev_b32_e32 v42, 16, v2
	v_and_b32_e32 v1, 0xffff0000, v1
	s_wait_alu 0xf1ff
	v_cndmask_b32_e64 v41, 0xffff, v31, s11
	v_cmp_lt_i16_e64 s11, -1, v3
	v_xor_b32_e32 v37, v38, v37
	v_and_b32_e32 v2, 0xffff0000, v2
	s_delay_alu instid0(VALU_DEP_4)
	v_xor_b32_e32 v40, v41, v40
	s_wait_alu 0xf1ff
	v_cndmask_b32_e64 v38, 0xffff, v31, s11
	v_cndmask_b32_e64 v41, 0xffff, v31, s12
	v_cmp_o_f32_e64 s12, v39, v39
	v_cmp_o_f32_e64 s11, v42, v42
	s_delay_alu instid0(VALU_DEP_4) | instskip(NEXT) | instid1(VALU_DEP_4)
	v_xor_b32_e32 v3, v38, v3
	v_xor_b32_e32 v4, v41, v4
	s_wait_alu 0xf1ff
	v_cndmask_b32_e64 v37, 0xffff, v37, s12
	v_cmp_o_f32_e64 s12, v1, v1
	v_cndmask_b32_e64 v38, 0xffff, v40, s11
	v_cmp_o_f32_e64 s11, v2, v2
	s_delay_alu instid0(VALU_DEP_4)
	v_and_b32_e32 v2, v37, v33
	s_wait_alu 0xf1ff
	v_cndmask_b32_e64 v1, 0xffff, v3, s12
	v_bfe_u32 v37, v37, s70, 2
	v_cndmask_b32_e64 v3, 0xffff, v4, s11
	v_and_b32_e32 v4, v38, v33
	v_bfe_u32 v38, v38, s70, 2
	v_cmp_eq_u32_e64 s11, v2, v13
	v_and_b32_e32 v2, v1, v33
	v_bfe_u32 v1, v1, s70, 2
	v_cmp_eq_u32_e64 s13, 0, v37
	v_cmp_eq_u32_e64 s15, 1, v37
	;; [unrolled: 1-line block ×8, first 2 shown]
	v_and_b32_e32 v4, v3, v33
	v_bfe_u32 v3, v3, s70, 2
	v_cmp_eq_u32_e64 s20, 3, v38
	v_cmp_eq_u32_e64 s21, v2, v13
	;; [unrolled: 1-line block ×3, first 2 shown]
	s_and_b32 s13, s11, s13
	s_and_b32 s15, s11, s15
	;; [unrolled: 1-line block ×3, first 2 shown]
	s_wait_alu 0xfffe
	v_cndmask_b32_e64 v2, 0, 1, s13
	s_and_b32 s13, s12, s14
	v_cndmask_b32_e64 v37, 0, 1, s15
	s_and_b32 s15, s12, s16
	;; [unrolled: 2-line block ×3, first 2 shown]
	s_and_b32 s11, s11, s19
	v_cmp_eq_u32_e64 s22, v4, v13
	v_cmp_eq_u32_e64 s24, 0, v3
	s_wait_alu 0xfffe
	v_cndmask_b32_e64 v4, 0, 1, s13
	v_cmp_eq_u32_e64 s13, 1, v1
	v_cmp_eq_u32_e64 s14, 1, v3
	v_cndmask_b32_e64 v38, 0, 1, s15
	v_cmp_eq_u32_e64 s15, 2, v1
	v_cmp_eq_u32_e64 s16, 2, v3
	v_cndmask_b32_e64 v40, 0, 1, s17
	v_cmp_eq_u32_e64 s17, 3, v1
	v_cndmask_b32_e64 v1, 0, 1, s11
	s_and_b32 s11, s12, s20
	s_and_b32 s12, s21, s23
	v_cmp_eq_u32_e64 s18, 3, v3
	s_wait_alu 0xfffe
	v_cndmask_b32_e64 v3, 0, 1, s11
	v_cmp_ne_u32_e64 s11, 0, v2
	v_cndmask_b32_e64 v2, 0, 1, s12
	s_and_b32 s19, s22, s24
	s_and_b32 s13, s21, s13
	;; [unrolled: 1-line block ×6, first 2 shown]
	v_cmp_ne_u32_e64 s12, 0, v4
	s_wait_alu 0xfffe
	v_cndmask_b32_e64 v4, 0, 1, s19
	v_cmp_ne_u32_e64 s19, 0, v37
	v_cndmask_b32_e64 v37, 0, 1, s13
	v_cmp_ne_u32_e64 s13, 0, v38
	;; [unrolled: 2-line block ×5, first 2 shown]
	v_cndmask_b32_e64 v1, 0, 1, s17
	s_bcnt1_i32_b32 s20, s11
	v_cmp_ne_u32_e64 s11, 0, v2
	s_and_b32 s18, s22, s18
	v_cmp_ne_u32_e64 s17, 0, v3
	s_wait_alu 0xfffe
	v_cndmask_b32_e64 v3, 0, 1, s18
	s_bcnt1_i32_b32 s21, s12
	v_cmp_ne_u32_e64 s12, 0, v4
	v_cmp_ne_u32_e64 s18, 0, v37
	s_bcnt1_i32_b32 s23, s14
	v_cmp_ne_u32_e64 s14, 0, v39
	s_bcnt1_i32_b32 s78, s16
	v_cmp_ne_u32_e64 s16, 0, v1
	s_add_co_i32 s20, s20, s77
	s_bcnt1_i32_b32 s11, s11
	s_bcnt1_i32_b32 s19, s19
	s_wait_alu 0xfffe
	s_add_co_i32 s11, s20, s11
	s_bcnt1_i32_b32 s22, s13
	v_cmp_ne_u32_e64 s13, 0, v38
	s_bcnt1_i32_b32 s24, s15
	v_cmp_ne_u32_e64 s15, 0, v40
	;; [unrolled: 2-line block ×3, first 2 shown]
	s_bcnt1_i32_b32 s12, s12
	s_wait_alu 0xfffe
	s_add_co_i32 s11, s11, s21
	s_add_co_i32 s19, s19, s76
	;; [unrolled: 1-line block ×4, first 2 shown]
	s_bcnt1_i32_b32 s18, s18
	s_bcnt1_i32_b32 s14, s14
	;; [unrolled: 1-line block ×3, first 2 shown]
	s_wait_alu 0xfffe
	s_add_co_i32 s77, s11, s12
	s_wait_alu 0xfffe
	v_dual_mov_b32 v1, s77 :: v_dual_add_nc_u32 v36, s49, v36
	s_add_co_i32 s18, s19, s18
	s_add_co_i32 s14, s23, s14
	;; [unrolled: 1-line block ×3, first 2 shown]
	s_bcnt1_i32_b32 s13, s13
	s_bcnt1_i32_b32 s15, s15
	;; [unrolled: 1-line block ×3, first 2 shown]
	s_wait_alu 0xfffe
	s_add_co_i32 s18, s18, s22
	s_add_co_i32 s14, s14, s24
	s_add_co_i32 s16, s16, s79
	v_cmp_le_u32_e32 vcc_lo, s71, v36
	s_wait_alu 0xfffe
	s_add_co_i32 s76, s18, s13
	s_add_co_i32 s75, s14, s15
	;; [unrolled: 1-line block ×3, first 2 shown]
	s_wait_alu 0xfffe
	v_dual_mov_b32 v3, s75 :: v_dual_add_nc_u32 v6, s60, v6
	v_mov_b32_e32 v2, s76
	v_mov_b32_e32 v4, s74
	s_or_b32 s73, vcc_lo, s73
	s_wait_alu 0xfffe
	s_and_not1_b32 exec_lo, exec_lo, s73
	s_cbranch_execnz .LBB136_88
; %bb.89:                               ;   in Loop: Header=BB136_20 Depth=1
	s_or_b32 exec_lo, exec_lo, s73
.LBB136_90:                             ;   in Loop: Header=BB136_20 Depth=1
	s_delay_alu instid0(SALU_CYCLE_1) | instskip(SKIP_2) | instid1(VALU_DEP_1)
	s_or_b32 exec_lo, exec_lo, s72
	v_add_nc_u32_e32 v6, s71, v0
	s_mov_b32 s16, exec_lo
	v_cmpx_gt_u32_e64 s38, v6
	s_cbranch_execz .LBB136_94
; %bb.91:                               ;   in Loop: Header=BB136_20 Depth=1
	v_lshlrev_b32_e32 v36, 1, v6
	s_mov_b32 s17, 0
.LBB136_92:                             ;   Parent Loop BB136_20 Depth=1
                                        ; =>  This Inner Loop Header: Depth=2
	ds_load_u16 v37, v36
	v_add_nc_u32_e32 v6, s29, v6
	v_add_nc_u32_e32 v36, s61, v36
	s_delay_alu instid0(VALU_DEP_2)
	v_cmp_le_u32_e32 vcc_lo, s38, v6
	s_wait_dscnt 0x0
	v_cmp_lt_i16_e64 s11, -1, v37
	v_and_b32_e32 v38, 0xffff, v37
	v_lshlrev_b32_e32 v37, 16, v37
	s_wait_alu 0xf1ff
	s_delay_alu instid0(VALU_DEP_3) | instskip(NEXT) | instid1(VALU_DEP_2)
	v_cndmask_b32_e64 v39, 0xffff, v31, s11
	v_cmp_o_f32_e64 s11, v37, v37
	s_delay_alu instid0(VALU_DEP_2) | instskip(SKIP_1) | instid1(VALU_DEP_1)
	v_xor_b32_e32 v38, v39, v38
	s_wait_alu 0xf1ff
	v_cndmask_b32_e64 v37, 0xffff, v38, s11
	s_delay_alu instid0(VALU_DEP_1) | instskip(SKIP_1) | instid1(VALU_DEP_2)
	v_and_b32_e32 v38, v37, v33
	v_bfe_u32 v37, v37, s70, 2
	v_cmp_eq_u32_e64 s11, v38, v13
	s_delay_alu instid0(VALU_DEP_2)
	v_cmp_eq_u32_e64 s12, 0, v37
	v_cmp_eq_u32_e64 s13, 1, v37
	;; [unrolled: 1-line block ×4, first 2 shown]
	s_and_b32 s12, s11, s12
	s_wait_alu 0xfffe
	v_cndmask_b32_e64 v37, 0, 1, s12
	s_and_b32 s12, s11, s13
	s_wait_alu 0xfffe
	v_cndmask_b32_e64 v38, 0, 1, s12
	s_and_b32 s12, s11, s14
	s_and_b32 s11, s11, s15
	s_wait_alu 0xfffe
	v_cndmask_b32_e64 v39, 0, 1, s12
	v_cndmask_b32_e64 v40, 0, 1, s11
	v_cmp_ne_u32_e64 s11, 0, v37
	v_cmp_ne_u32_e64 s12, 0, v38
	s_delay_alu instid0(VALU_DEP_4) | instskip(NEXT) | instid1(VALU_DEP_4)
	v_cmp_ne_u32_e64 s13, 0, v39
	v_cmp_ne_u32_e64 s14, 0, v40
	s_bcnt1_i32_b32 s11, s11
	s_bcnt1_i32_b32 s12, s12
	s_wait_alu 0xfffe
	v_add_nc_u32_e32 v1, s11, v1
	s_bcnt1_i32_b32 s13, s13
	s_bcnt1_i32_b32 s14, s14
	v_add_nc_u32_e32 v2, s12, v2
	s_wait_alu 0xfffe
	v_add_nc_u32_e32 v3, s13, v3
	v_add_nc_u32_e32 v4, s14, v4
	s_or_b32 s17, vcc_lo, s17
	s_wait_alu 0xfffe
	s_and_not1_b32 exec_lo, exec_lo, s17
	s_cbranch_execnz .LBB136_92
; %bb.93:                               ;   in Loop: Header=BB136_20 Depth=1
	s_or_b32 exec_lo, exec_lo, s17
.LBB136_94:                             ;   in Loop: Header=BB136_20 Depth=1
	s_wait_alu 0xfffe
	s_or_b32 exec_lo, exec_lo, s16
	v_lshlrev_b32_e32 v6, 7, v32
	s_and_saveexec_b32 s11, s3
	s_cbranch_execnz .LBB136_68
	s_branch .LBB136_69
.LBB136_95:                             ;   in Loop: Header=BB136_20 Depth=1
	v_mov_b32_e32 v1, 0
	s_mov_b32 s12, 0
	s_and_not1_b32 vcc_lo, exec_lo, s56
	s_wait_alu 0xfffe
	s_cbranch_vccnz .LBB136_98
.LBB136_96:                             ;   in Loop: Header=BB136_20 Depth=1
	v_lshlrev_b32_e32 v2, 9, v32
	s_lshl_b32 s12, s12, 4
	s_wait_alu 0xfffe
	s_delay_alu instid0(VALU_DEP_1)
	v_add3_u32 v2, v2, s12, v30
	s_mov_b32 s12, s53
.LBB136_97:                             ;   Parent Loop BB136_20 Depth=1
                                        ; =>  This Inner Loop Header: Depth=2
	ds_load_b32 v3, v2
	v_add_nc_u32_e32 v2, 16, v2
	s_wait_alu 0xfffe
	s_add_co_i32 s12, s12, -1
	s_wait_alu 0xfffe
	s_cmp_lg_u32 s12, 0
	s_wait_dscnt 0x0
	v_add_nc_u32_e32 v1, v3, v1
	s_cbranch_scc1 .LBB136_97
.LBB136_98:                             ;   in Loop: Header=BB136_20 Depth=1
	v_add_lshl_u32 v2, v6, v15, 2
	ds_store_b32 v2, v1 offset:3072
.LBB136_99:                             ;   in Loop: Header=BB136_20 Depth=1
	s_wait_alu 0xfffe
	s_or_b32 exec_lo, exec_lo, s11
	v_lshlrev_b32_e32 v1, 2, v6
	s_wait_loadcnt_dscnt 0x0
	s_barrier_signal -1
	s_barrier_wait -1
	global_inv scope:SCOPE_SE
	ds_load_b128 v[1:4], v1 offset:3072
	s_lshl_b32 s12, 3, s70
	v_cmp_eq_u32_e32 vcc_lo, 1, v35
	s_wait_alu 0xfffe
	s_not_b32 s19, s12
	s_mov_b32 s15, -1
	s_mov_b32 s23, -1
                                        ; implicit-def: $sgpr20
                                        ; implicit-def: $sgpr17
	s_wait_dscnt 0x0
	v_readfirstlane_b32 s14, v1
	v_readfirstlane_b32 s21, v2
	;; [unrolled: 1-line block ×4, first 2 shown]
	s_cmp_eq_u32 s14, 1
	s_cselect_b32 s13, -1, 0
	s_wait_alu 0xfffe
	s_and_b32 s16, s13, vcc_lo
	s_wait_alu 0xfffe
	s_and_saveexec_b32 s13, s16
	s_cbranch_execz .LBB136_125
; %bb.100:                              ;   in Loop: Header=BB136_20 Depth=1
	ds_load_b32 v1, v7 offset:4104
	s_wait_loadcnt_dscnt 0x0
	s_barrier_signal -1
	s_barrier_wait -1
	global_inv scope:SCOPE_SE
	v_readfirstlane_b32 s23, v1
	s_and_saveexec_b32 s17, s1
; %bb.101:                              ;   in Loop: Header=BB136_20 Depth=1
	ds_store_b16 v17, v7
; %bb.102:                              ;   in Loop: Header=BB136_20 Depth=1
	s_wait_alu 0xfffe
	s_or_b32 exec_lo, exec_lo, s17
	v_and_b32_e32 v13, s19, v13
	v_or_b32_e32 v33, s12, v33
	s_mov_b32 s17, -1
	s_mov_b32 s20, 0
	s_cmp_eq_u32 s23, 0
	s_mov_b32 s22, 0
	s_mov_b32 s24, -1
	s_wait_loadcnt_dscnt 0x0
	s_barrier_signal -1
	s_barrier_wait -1
	global_inv scope:SCOPE_SE
                                        ; implicit-def: $vgpr34
	s_cbranch_scc1 .LBB136_113
; %bb.103:                              ;   in Loop: Header=BB136_20 Depth=1
	s_add_co_i32 s38, s23, s48
                                        ; implicit-def: $vgpr34
	s_wait_alu 0xfffe
	s_mul_u64 s[72:73], s[38:39], s[42:43]
	s_wait_alu 0xfffe
	s_mul_i32 s22, s73, s29
	s_wait_alu 0xfffe
	s_sub_co_i32 s22, s38, s22
	s_wait_alu 0xfffe
	s_sub_co_i32 s24, s22, s29
	s_cmp_ge_u32 s22, s29
	s_wait_alu 0xfffe
	s_cselect_b32 s22, s24, s22
	s_wait_alu 0xfffe
	s_sub_co_i32 s24, s22, s29
	s_cmp_ge_u32 s22, s29
	s_wait_alu 0xfffe
	s_cselect_b32 s22, s24, s22
	s_mov_b32 s24, 0
	s_wait_alu 0xfffe
	s_sub_co_i32 s71, s38, s22
	s_mov_b32 s22, 0
	s_mov_b32 s38, exec_lo
	s_wait_alu 0xfffe
	v_cmpx_gt_u32_e64 s71, v0
	s_cbranch_execz .LBB136_112
; %bb.104:                              ;   in Loop: Header=BB136_20 Depth=1
	v_dual_mov_b32 v1, v16 :: v_dual_mov_b32 v2, v0
                                        ; implicit-def: $sgpr72
	s_branch .LBB136_107
.LBB136_105:                            ;   in Loop: Header=BB136_107 Depth=2
	s_wait_alu 0xfffe
	s_or_b32 exec_lo, exec_lo, s73
	s_wait_loadcnt_dscnt 0x0
	s_barrier_signal -1
	s_barrier_wait -1
	global_inv scope:SCOPE_SE
	ds_load_b32 v3, v7 offset:3072
	s_mov_b32 s73, -1
	s_mov_b32 s74, -1
	s_wait_loadcnt_dscnt 0x0
	s_barrier_signal -1
	s_barrier_wait -1
	global_inv scope:SCOPE_SE
	v_and_b32_e32 v4, 0x7fff, v3
	s_delay_alu instid0(VALU_DEP_1)
	v_cmp_ne_u32_e32 vcc_lo, 0, v4
	s_cbranch_vccz .LBB136_110
.LBB136_106:                            ;   in Loop: Header=BB136_107 Depth=2
	s_wait_alu 0xfffe
	s_and_b32 s73, exec_lo, s73
	s_wait_alu 0xfffe
	s_or_b32 s22, s73, s22
	s_and_not1_b32 s72, s72, exec_lo
	s_and_b32 s73, s74, exec_lo
	s_wait_alu 0xfffe
	s_or_b32 s72, s72, s73
	s_and_not1_b32 exec_lo, exec_lo, s22
	s_cbranch_execz .LBB136_111
.LBB136_107:                            ;   Parent Loop BB136_20 Depth=1
                                        ; =>  This Inner Loop Header: Depth=2
	s_mov_b32 s73, exec_lo
	s_delay_alu instid0(VALU_DEP_1)
	v_cmpx_gt_u32_e64 s23, v2
	s_cbranch_execz .LBB136_105
; %bb.108:                              ;   in Loop: Header=BB136_107 Depth=2
	ds_load_u16 v3, v1
	s_wait_dscnt 0x0
	v_cmp_lt_i16_e32 vcc_lo, -1, v3
	v_and_b32_e32 v4, 0xffff, v3
	v_lshlrev_b32_e32 v34, 16, v3
	s_wait_alu 0xfffd
	v_cndmask_b32_e32 v6, 0xffff, v31, vcc_lo
	s_delay_alu instid0(VALU_DEP_2) | instskip(NEXT) | instid1(VALU_DEP_2)
	v_cmp_o_f32_e32 vcc_lo, v34, v34
	v_xor_b32_e32 v4, v6, v4
	s_wait_alu 0xfffd
	s_delay_alu instid0(VALU_DEP_1) | instskip(NEXT) | instid1(VALU_DEP_1)
	v_cndmask_b32_e32 v4, 0xffff, v4, vcc_lo
	v_and_b32_e32 v4, v4, v33
	s_delay_alu instid0(VALU_DEP_1)
	v_cmp_eq_u32_e32 vcc_lo, v4, v13
	s_and_b32 exec_lo, exec_lo, vcc_lo
	s_cbranch_execz .LBB136_105
; %bb.109:                              ;   in Loop: Header=BB136_107 Depth=2
	v_perm_b32 v3, v3, s63, 0x5040100
	ds_store_b32 v7, v3 offset:3072
	s_branch .LBB136_105
.LBB136_110:                            ;   in Loop: Header=BB136_107 Depth=2
	v_add_nc_u32_e32 v2, s29, v2
	v_add_nc_u32_e32 v1, s61, v1
	s_mov_b32 s74, 0
	s_delay_alu instid0(VALU_DEP_2)
	v_cmp_le_u32_e32 vcc_lo, s71, v2
	s_or_not1_b32 s73, vcc_lo, exec_lo
	s_branch .LBB136_106
.LBB136_111:                            ;   in Loop: Header=BB136_20 Depth=1
	s_or_b32 exec_lo, exec_lo, s22
	v_lshrrev_b32_e32 v34, 16, v3
	s_wait_alu 0xfffe
	s_and_b32 s22, s72, exec_lo
.LBB136_112:                            ;   in Loop: Header=BB136_20 Depth=1
	s_or_b32 exec_lo, exec_lo, s38
.LBB136_113:                            ;   in Loop: Header=BB136_20 Depth=1
	s_wait_alu 0xfffe
	s_and_b32 vcc_lo, exec_lo, s24
	s_wait_alu 0xfffe
	s_cbranch_vccz .LBB136_124
; %bb.114:                              ;   in Loop: Header=BB136_20 Depth=1
                                        ; implicit-def: $vgpr34
	s_and_saveexec_b32 s17, s10
	s_cbranch_execz .LBB136_123
; %bb.115:                              ;   in Loop: Header=BB136_20 Depth=1
	v_dual_mov_b32 v6, v5 :: v_dual_mov_b32 v1, v0
	s_mov_b32 s20, 0
                                        ; implicit-def: $sgpr23
	s_branch .LBB136_118
.LBB136_116:                            ;   in Loop: Header=BB136_118 Depth=2
	s_wait_alu 0xfffe
	s_or_b32 exec_lo, exec_lo, s24
	s_wait_loadcnt_dscnt 0x0
	s_barrier_signal -1
	s_barrier_wait -1
	global_inv scope:SCOPE_SE
	ds_load_b32 v2, v7 offset:3072
	s_mov_b32 s24, -1
	s_mov_b32 s38, -1
	s_wait_loadcnt_dscnt 0x0
	s_barrier_signal -1
	s_barrier_wait -1
	global_inv scope:SCOPE_SE
	v_and_b32_e32 v3, 0x7fff, v2
	s_delay_alu instid0(VALU_DEP_1)
	v_cmp_ne_u32_e32 vcc_lo, 0, v3
	s_cbranch_vccz .LBB136_121
.LBB136_117:                            ;   in Loop: Header=BB136_118 Depth=2
	s_wait_alu 0xfffe
	s_and_b32 s24, exec_lo, s24
	s_wait_alu 0xfffe
	s_or_b32 s20, s24, s20
	s_and_not1_b32 s23, s23, exec_lo
	s_and_b32 s24, s38, exec_lo
	s_wait_alu 0xfffe
	s_or_b32 s23, s23, s24
	s_and_not1_b32 exec_lo, exec_lo, s20
	s_cbranch_execz .LBB136_122
.LBB136_118:                            ;   Parent Loop BB136_20 Depth=1
                                        ; =>  This Inner Loop Header: Depth=2
	s_mov_b32 s24, exec_lo
	s_delay_alu instid0(VALU_DEP_1)
	v_cmpx_gt_u32_e64 s28, v1
	s_cbranch_execz .LBB136_116
; %bb.119:                              ;   in Loop: Header=BB136_118 Depth=2
	v_lshlrev_b64_e32 v[2:3], 1, v[6:7]
	s_delay_alu instid0(VALU_DEP_1) | instskip(SKIP_1) | instid1(VALU_DEP_2)
	v_add_co_u32 v2, vcc_lo, s26, v2
	s_wait_alu 0xfffd
	v_add_co_ci_u32_e64 v3, null, s27, v3, vcc_lo
	global_load_u16 v2, v[2:3], off
	s_wait_loadcnt 0x0
	v_cmp_lt_i16_e32 vcc_lo, -1, v2
	s_wait_alu 0xfffd
	v_dual_cndmask_b32 v4, 0xffff, v31 :: v_dual_and_b32 v3, 0xffff, v2
	s_delay_alu instid0(VALU_DEP_1) | instskip(SKIP_1) | instid1(VALU_DEP_1)
	v_xor_b32_e32 v3, v4, v3
	v_lshlrev_b32_e32 v34, 16, v2
	v_cmp_o_f32_e32 vcc_lo, v34, v34
	s_wait_alu 0xfffd
	s_delay_alu instid0(VALU_DEP_3) | instskip(NEXT) | instid1(VALU_DEP_1)
	v_cndmask_b32_e32 v3, 0xffff, v3, vcc_lo
	v_and_b32_e32 v3, v3, v33
	s_delay_alu instid0(VALU_DEP_1)
	v_cmp_eq_u32_e32 vcc_lo, v3, v13
	s_and_b32 exec_lo, exec_lo, vcc_lo
	s_cbranch_execz .LBB136_116
; %bb.120:                              ;   in Loop: Header=BB136_118 Depth=2
	v_perm_b32 v2, v2, s63, 0x5040100
	ds_store_b32 v7, v2 offset:3072
	s_branch .LBB136_116
.LBB136_121:                            ;   in Loop: Header=BB136_118 Depth=2
	v_add_nc_u32_e32 v1, s29, v1
	v_add_nc_u32_e32 v6, s51, v6
	s_mov_b32 s38, 0
	s_delay_alu instid0(VALU_DEP_2)
	v_cmp_le_u32_e32 vcc_lo, s58, v1
	s_or_not1_b32 s24, vcc_lo, exec_lo
	s_branch .LBB136_117
.LBB136_122:                            ;   in Loop: Header=BB136_20 Depth=1
	s_or_b32 exec_lo, exec_lo, s20
	v_lshrrev_b32_e32 v34, 16, v2
	s_and_not1_b32 s20, s22, exec_lo
	s_wait_alu 0xfffe
	s_and_b32 s22, s23, exec_lo
	s_wait_alu 0xfffe
	s_or_b32 s22, s20, s22
.LBB136_123:                            ;   in Loop: Header=BB136_20 Depth=1
	s_wait_alu 0xfffe
	s_or_b32 exec_lo, exec_lo, s17
	s_mov_b32 s17, 0
	s_mov_b32 s20, -1
.LBB136_124:                            ;   in Loop: Header=BB136_20 Depth=1
	s_or_not1_b32 s23, s22, exec_lo
.LBB136_125:                            ;   in Loop: Header=BB136_20 Depth=1
	s_wait_alu 0xfffe
	s_or_b32 exec_lo, exec_lo, s13
	v_readfirstlane_b32 s22, v0
	s_and_not1_b32 s13, s68, exec_lo
	s_and_b32 s20, s20, exec_lo
	s_and_not1_b32 s24, s66, exec_lo
	s_and_b32 s17, s17, exec_lo
	s_and_not1_b32 s65, s65, exec_lo
	s_wait_alu 0xfffe
	s_or_b32 s68, s13, s20
	s_or_b32 s66, s24, s17
                                        ; implicit-def: $vgpr2
	s_and_saveexec_b32 s13, s23
	s_cbranch_execz .LBB136_19
; %bb.126:                              ;   in Loop: Header=BB136_20 Depth=1
	v_dual_mov_b32 v2, 1 :: v_dual_mov_b32 v1, 1
	s_xor_b32 s16, s16, -1
	s_mov_b32 s22, 0
	s_wait_alu 0xfffe
	s_and_saveexec_b32 s15, s16
	s_cbranch_execz .LBB136_135
; %bb.127:                              ;   in Loop: Header=BB136_20 Depth=1
	s_mov_b32 s16, exec_lo
	v_cmpx_ge_u32_e64 s14, v35
	s_wait_alu 0xfffe
	s_xor_b32 s16, exec_lo, s16
	s_cbranch_execz .LBB136_132
; %bb.128:                              ;   in Loop: Header=BB136_20 Depth=1
	ds_load_b32 v1, v7 offset:4104
	v_and_b32_e32 v13, s19, v13
	v_or_b32_e32 v33, s12, v33
	s_wait_dscnt 0x0
	v_cmp_ne_u32_e32 vcc_lo, 0, v1
	s_cbranch_vccnz .LBB136_132
; %bb.129:                              ;   in Loop: Header=BB136_20 Depth=1
	s_and_saveexec_b32 s17, s0
; %bb.130:                              ;   in Loop: Header=BB136_20 Depth=1
	v_mov_b32_e32 v1, s14
	ds_store_b32 v7, v1 offset:4108
; %bb.131:                              ;   in Loop: Header=BB136_20 Depth=1
	s_wait_alu 0xfffe
	s_or_b32 exec_lo, exec_lo, s17
	s_wait_loadcnt_dscnt 0x0
	s_barrier_signal -1
	s_barrier_wait -1
	global_inv scope:SCOPE_SE
.LBB136_132:                            ;   in Loop: Header=BB136_20 Depth=1
	s_wait_alu 0xfffe
	s_or_saveexec_b32 s16, s16
	v_mov_b32_e32 v1, 8
	s_mov_b32 s17, 0
	s_wait_alu 0xfffe
	s_xor_b32 exec_lo, exec_lo, s16
; %bb.133:                              ;   in Loop: Header=BB136_20 Depth=1
	v_subrev_nc_u32_e32 v35, s14, v35
	v_mov_b32_e32 v1, 0
	s_mov_b32 s17, exec_lo
; %bb.134:                              ;   in Loop: Header=BB136_20 Depth=1
	s_or_b32 exec_lo, exec_lo, s16
	s_delay_alu instid0(VALU_DEP_2)
	v_mov_b32_e32 v2, v35
	s_wait_alu 0xfffe
	s_and_b32 s22, s17, exec_lo
.LBB136_135:                            ;   in Loop: Header=BB136_20 Depth=1
	s_wait_alu 0xfffe
	s_or_b32 exec_lo, exec_lo, s15
	s_mov_b32 s14, -1
	s_mov_b32 s20, -1
                                        ; implicit-def: $sgpr16
                                        ; implicit-def: $sgpr17
	s_and_saveexec_b32 s15, s22
	s_wait_alu 0xfffe
	s_xor_b32 s15, exec_lo, s15
	s_cbranch_execz .LBB136_252
; %bb.136:                              ;   in Loop: Header=BB136_20 Depth=1
	v_cmp_eq_u32_e32 vcc_lo, 1, v2
	s_cmp_eq_u32 s21, 1
	s_mov_b32 s23, -1
	s_cselect_b32 s16, -1, 0
                                        ; implicit-def: $sgpr17
	s_wait_alu 0xfffe
	s_and_b32 s22, s16, vcc_lo
                                        ; implicit-def: $sgpr16
	s_wait_alu 0xfffe
	s_and_saveexec_b32 s20, s22
	s_cbranch_execz .LBB136_162
; %bb.137:                              ;   in Loop: Header=BB136_20 Depth=1
	ds_load_b32 v3, v7 offset:4104
	s_wait_loadcnt_dscnt 0x0
	s_barrier_signal -1
	s_barrier_wait -1
	global_inv scope:SCOPE_SE
	v_readfirstlane_b32 s24, v3
	s_and_saveexec_b32 s16, s1
; %bb.138:                              ;   in Loop: Header=BB136_20 Depth=1
	ds_store_b16 v17, v7
; %bb.139:                              ;   in Loop: Header=BB136_20 Depth=1
	s_wait_alu 0xfffe
	s_or_b32 exec_lo, exec_lo, s16
	s_lshl_b32 s16, 1, s70
	v_or_b32_e32 v33, s12, v33
	s_wait_alu 0xfffe
	v_and_or_b32 v13, v13, s19, s16
	s_mov_b32 s16, -1
	s_mov_b32 s17, 0
	s_cmp_eq_u32 s24, 0
	s_mov_b32 s23, 0
	s_mov_b32 s38, -1
	s_wait_loadcnt_dscnt 0x0
	s_barrier_signal -1
	s_barrier_wait -1
	global_inv scope:SCOPE_SE
                                        ; implicit-def: $vgpr34
	s_cbranch_scc1 .LBB136_150
; %bb.140:                              ;   in Loop: Header=BB136_20 Depth=1
	s_add_co_i32 s38, s24, s48
                                        ; implicit-def: $vgpr34
	s_wait_alu 0xfffe
	s_mul_u64 s[72:73], s[38:39], s[42:43]
	s_wait_alu 0xfffe
	s_mul_i32 s23, s73, s29
	s_wait_alu 0xfffe
	s_sub_co_i32 s23, s38, s23
	s_wait_alu 0xfffe
	s_sub_co_i32 s71, s23, s29
	s_cmp_ge_u32 s23, s29
	s_wait_alu 0xfffe
	s_cselect_b32 s23, s71, s23
	s_wait_alu 0xfffe
	s_sub_co_i32 s71, s23, s29
	s_cmp_ge_u32 s23, s29
	s_wait_alu 0xfffe
	s_cselect_b32 s23, s71, s23
	s_mov_b32 s71, exec_lo
	s_wait_alu 0xfffe
	s_sub_co_i32 s72, s38, s23
	s_mov_b32 s38, 0
	s_mov_b32 s23, 0
	s_wait_alu 0xfffe
	v_cmpx_gt_u32_e64 s72, v0
	s_cbranch_execz .LBB136_149
; %bb.141:                              ;   in Loop: Header=BB136_20 Depth=1
	v_dual_mov_b32 v3, v16 :: v_dual_mov_b32 v4, v0
                                        ; implicit-def: $sgpr73
	s_branch .LBB136_144
.LBB136_142:                            ;   in Loop: Header=BB136_144 Depth=2
	s_wait_alu 0xfffe
	s_or_b32 exec_lo, exec_lo, s74
	s_wait_loadcnt_dscnt 0x0
	s_barrier_signal -1
	s_barrier_wait -1
	global_inv scope:SCOPE_SE
	ds_load_b32 v6, v7 offset:3072
	s_mov_b32 s74, -1
	s_mov_b32 s75, -1
	s_wait_loadcnt_dscnt 0x0
	s_barrier_signal -1
	s_barrier_wait -1
	global_inv scope:SCOPE_SE
	v_and_b32_e32 v34, 0x7fff, v6
	s_delay_alu instid0(VALU_DEP_1)
	v_cmp_ne_u32_e32 vcc_lo, 0, v34
	s_cbranch_vccz .LBB136_147
.LBB136_143:                            ;   in Loop: Header=BB136_144 Depth=2
	s_wait_alu 0xfffe
	s_and_b32 s74, exec_lo, s74
	s_wait_alu 0xfffe
	s_or_b32 s23, s74, s23
	s_and_not1_b32 s73, s73, exec_lo
	s_and_b32 s74, s75, exec_lo
	s_wait_alu 0xfffe
	s_or_b32 s73, s73, s74
	s_and_not1_b32 exec_lo, exec_lo, s23
	s_cbranch_execz .LBB136_148
.LBB136_144:                            ;   Parent Loop BB136_20 Depth=1
                                        ; =>  This Inner Loop Header: Depth=2
	s_mov_b32 s74, exec_lo
	s_delay_alu instid0(VALU_DEP_1)
	v_cmpx_gt_u32_e64 s24, v4
	s_cbranch_execz .LBB136_142
; %bb.145:                              ;   in Loop: Header=BB136_144 Depth=2
	ds_load_u16 v6, v3
	s_wait_dscnt 0x0
	v_cmp_lt_i16_e32 vcc_lo, -1, v6
	v_and_b32_e32 v34, 0xffff, v6
	s_wait_alu 0xfffd
	v_dual_cndmask_b32 v35, 0xffff, v31 :: v_dual_lshlrev_b32 v36, 16, v6
	s_delay_alu instid0(VALU_DEP_1) | instskip(NEXT) | instid1(VALU_DEP_2)
	v_cmp_o_f32_e32 vcc_lo, v36, v36
	v_xor_b32_e32 v34, v35, v34
	s_wait_alu 0xfffd
	s_delay_alu instid0(VALU_DEP_1) | instskip(NEXT) | instid1(VALU_DEP_1)
	v_cndmask_b32_e32 v34, 0xffff, v34, vcc_lo
	v_and_b32_e32 v34, v34, v33
	s_delay_alu instid0(VALU_DEP_1)
	v_cmp_eq_u32_e32 vcc_lo, v34, v13
	s_and_b32 exec_lo, exec_lo, vcc_lo
	s_cbranch_execz .LBB136_142
; %bb.146:                              ;   in Loop: Header=BB136_144 Depth=2
	v_perm_b32 v6, v6, s63, 0x5040100
	ds_store_b32 v7, v6 offset:3072
	s_branch .LBB136_142
.LBB136_147:                            ;   in Loop: Header=BB136_144 Depth=2
	v_add_nc_u32_e32 v4, s29, v4
	v_add_nc_u32_e32 v3, s61, v3
	s_mov_b32 s75, 0
	s_delay_alu instid0(VALU_DEP_2)
	v_cmp_le_u32_e32 vcc_lo, s72, v4
	s_or_not1_b32 s74, vcc_lo, exec_lo
	s_branch .LBB136_143
.LBB136_148:                            ;   in Loop: Header=BB136_20 Depth=1
	s_or_b32 exec_lo, exec_lo, s23
	v_lshrrev_b32_e32 v34, 16, v6
	s_wait_alu 0xfffe
	s_and_b32 s23, s73, exec_lo
.LBB136_149:                            ;   in Loop: Header=BB136_20 Depth=1
	s_or_b32 exec_lo, exec_lo, s71
.LBB136_150:                            ;   in Loop: Header=BB136_20 Depth=1
	s_wait_alu 0xfffe
	s_and_b32 vcc_lo, exec_lo, s38
	s_wait_alu 0xfffe
	s_cbranch_vccz .LBB136_161
; %bb.151:                              ;   in Loop: Header=BB136_20 Depth=1
                                        ; implicit-def: $vgpr34
	s_and_saveexec_b32 s16, s10
	s_cbranch_execz .LBB136_160
; %bb.152:                              ;   in Loop: Header=BB136_20 Depth=1
	v_dual_mov_b32 v6, v5 :: v_dual_mov_b32 v3, v0
	s_mov_b32 s17, 0
                                        ; implicit-def: $sgpr24
	s_branch .LBB136_155
.LBB136_153:                            ;   in Loop: Header=BB136_155 Depth=2
	s_wait_alu 0xfffe
	s_or_b32 exec_lo, exec_lo, s38
	s_wait_loadcnt_dscnt 0x0
	s_barrier_signal -1
	s_barrier_wait -1
	global_inv scope:SCOPE_SE
	ds_load_b32 v4, v7 offset:3072
	s_mov_b32 s38, -1
	s_mov_b32 s71, -1
	s_wait_loadcnt_dscnt 0x0
	s_barrier_signal -1
	s_barrier_wait -1
	global_inv scope:SCOPE_SE
	v_and_b32_e32 v34, 0x7fff, v4
	s_delay_alu instid0(VALU_DEP_1)
	v_cmp_eq_u32_e32 vcc_lo, 0, v34
	s_cbranch_vccnz .LBB136_158
.LBB136_154:                            ;   in Loop: Header=BB136_155 Depth=2
	s_wait_alu 0xfffe
	s_and_b32 s38, exec_lo, s38
	s_wait_alu 0xfffe
	s_or_b32 s17, s38, s17
	s_and_not1_b32 s24, s24, exec_lo
	s_and_b32 s38, s71, exec_lo
	s_wait_alu 0xfffe
	s_or_b32 s24, s24, s38
	s_and_not1_b32 exec_lo, exec_lo, s17
	s_cbranch_execz .LBB136_159
.LBB136_155:                            ;   Parent Loop BB136_20 Depth=1
                                        ; =>  This Inner Loop Header: Depth=2
	s_mov_b32 s38, exec_lo
	s_delay_alu instid0(VALU_DEP_1)
	v_cmpx_gt_u32_e64 s28, v3
	s_cbranch_execz .LBB136_153
; %bb.156:                              ;   in Loop: Header=BB136_155 Depth=2
	v_lshlrev_b64_e32 v[34:35], 1, v[6:7]
	s_delay_alu instid0(VALU_DEP_1) | instskip(SKIP_1) | instid1(VALU_DEP_2)
	v_add_co_u32 v34, vcc_lo, s26, v34
	s_wait_alu 0xfffd
	v_add_co_ci_u32_e64 v35, null, s27, v35, vcc_lo
	global_load_u16 v4, v[34:35], off
	s_wait_loadcnt 0x0
	v_cmp_lt_i16_e32 vcc_lo, -1, v4
	v_and_b32_e32 v34, 0xffff, v4
	s_wait_alu 0xfffd
	v_dual_cndmask_b32 v35, 0xffff, v31 :: v_dual_lshlrev_b32 v36, 16, v4
	s_delay_alu instid0(VALU_DEP_1) | instskip(NEXT) | instid1(VALU_DEP_2)
	v_cmp_o_f32_e32 vcc_lo, v36, v36
	v_xor_b32_e32 v34, v35, v34
	s_wait_alu 0xfffd
	s_delay_alu instid0(VALU_DEP_1) | instskip(NEXT) | instid1(VALU_DEP_1)
	v_cndmask_b32_e32 v34, 0xffff, v34, vcc_lo
	v_and_b32_e32 v34, v34, v33
	s_delay_alu instid0(VALU_DEP_1)
	v_cmp_eq_u32_e32 vcc_lo, v34, v13
	s_and_b32 exec_lo, exec_lo, vcc_lo
	s_cbranch_execz .LBB136_153
; %bb.157:                              ;   in Loop: Header=BB136_155 Depth=2
	v_perm_b32 v4, v4, s63, 0x5040100
	ds_store_b32 v7, v4 offset:3072
	s_branch .LBB136_153
.LBB136_158:                            ;   in Loop: Header=BB136_155 Depth=2
	v_add_nc_u32_e32 v3, s29, v3
	v_add_nc_u32_e32 v6, s51, v6
	s_mov_b32 s71, 0
	s_delay_alu instid0(VALU_DEP_2)
	v_cmp_le_u32_e32 vcc_lo, s58, v3
	s_or_not1_b32 s38, vcc_lo, exec_lo
	s_branch .LBB136_154
.LBB136_159:                            ;   in Loop: Header=BB136_20 Depth=1
	s_or_b32 exec_lo, exec_lo, s17
	v_lshrrev_b32_e32 v34, 16, v4
	s_and_not1_b32 s17, s23, exec_lo
	s_wait_alu 0xfffe
	s_and_b32 s23, s24, exec_lo
	s_wait_alu 0xfffe
	s_or_b32 s23, s17, s23
.LBB136_160:                            ;   in Loop: Header=BB136_20 Depth=1
	s_wait_alu 0xfffe
	s_or_b32 exec_lo, exec_lo, s16
	s_mov_b32 s16, 0
	s_mov_b32 s17, -1
.LBB136_161:                            ;   in Loop: Header=BB136_20 Depth=1
	s_or_not1_b32 s23, s23, exec_lo
.LBB136_162:                            ;   in Loop: Header=BB136_20 Depth=1
	s_wait_alu 0xfffe
	s_or_b32 exec_lo, exec_lo, s20
	s_mov_b32 s24, 0
	s_and_saveexec_b32 s20, s23
	s_cbranch_execz .LBB136_251
; %bb.163:                              ;   in Loop: Header=BB136_20 Depth=1
	v_mov_b32_e32 v3, 1
	v_mov_b32_e32 v1, 1
	s_xor_b32 s23, s22, -1
	s_mov_b32 s38, 0
	s_wait_alu 0xfffe
	s_and_saveexec_b32 s22, s23
	s_cbranch_execz .LBB136_172
; %bb.164:                              ;   in Loop: Header=BB136_20 Depth=1
	s_mov_b32 s23, exec_lo
	v_cmpx_ge_u32_e64 s21, v2
	s_wait_alu 0xfffe
	s_xor_b32 s23, exec_lo, s23
	s_cbranch_execz .LBB136_169
; %bb.165:                              ;   in Loop: Header=BB136_20 Depth=1
	ds_load_b32 v1, v7 offset:4104
	s_lshl_b32 s24, 1, s70
	v_or_b32_e32 v33, s12, v33
	s_wait_alu 0xfffe
	v_and_or_b32 v13, v13, s19, s24
	s_wait_dscnt 0x0
	v_cmp_ne_u32_e32 vcc_lo, 0, v1
	s_cbranch_vccnz .LBB136_169
; %bb.166:                              ;   in Loop: Header=BB136_20 Depth=1
	s_and_saveexec_b32 s24, s0
; %bb.167:                              ;   in Loop: Header=BB136_20 Depth=1
	v_mov_b32_e32 v1, s21
	ds_store_b32 v7, v1 offset:4108
; %bb.168:                              ;   in Loop: Header=BB136_20 Depth=1
	s_wait_alu 0xfffe
	s_or_b32 exec_lo, exec_lo, s24
	s_wait_loadcnt_dscnt 0x0
	s_barrier_signal -1
	s_barrier_wait -1
	global_inv scope:SCOPE_SE
.LBB136_169:                            ;   in Loop: Header=BB136_20 Depth=1
	s_wait_alu 0xfffe
	s_or_saveexec_b32 s23, s23
	v_mov_b32_e32 v1, 8
	s_mov_b32 s24, 0
	s_wait_alu 0xfffe
	s_xor_b32 exec_lo, exec_lo, s23
; %bb.170:                              ;   in Loop: Header=BB136_20 Depth=1
	v_subrev_nc_u32_e32 v2, s21, v2
	v_mov_b32_e32 v1, 0
	s_mov_b32 s24, exec_lo
; %bb.171:                              ;   in Loop: Header=BB136_20 Depth=1
	s_or_b32 exec_lo, exec_lo, s23
	s_delay_alu instid0(VALU_DEP_2)
	v_mov_b32_e32 v3, v2
	s_wait_alu 0xfffe
	s_and_b32 s38, s24, exec_lo
.LBB136_172:                            ;   in Loop: Header=BB136_20 Depth=1
	s_wait_alu 0xfffe
	s_or_b32 exec_lo, exec_lo, s22
	s_mov_b32 s24, -1
                                        ; implicit-def: $sgpr22
                                        ; implicit-def: $sgpr23
	s_and_saveexec_b32 s21, s38
	s_cbranch_execz .LBB136_250
; %bb.173:                              ;   in Loop: Header=BB136_20 Depth=1
	v_cmp_eq_u32_e32 vcc_lo, 1, v3
	s_cmp_eq_u32 s18, 1
	s_mov_b32 s38, -1
	s_cselect_b32 s22, -1, 0
                                        ; implicit-def: $sgpr23
	s_wait_alu 0xfffe
	s_and_b32 s71, s22, vcc_lo
                                        ; implicit-def: $sgpr22
	s_wait_alu 0xfffe
	s_and_saveexec_b32 s24, s71
	s_cbranch_execz .LBB136_199
; %bb.174:                              ;   in Loop: Header=BB136_20 Depth=1
	ds_load_b32 v2, v7 offset:4104
	s_wait_loadcnt_dscnt 0x0
	s_barrier_signal -1
	s_barrier_wait -1
	global_inv scope:SCOPE_SE
	v_readfirstlane_b32 s72, v2
	s_and_saveexec_b32 s22, s1
; %bb.175:                              ;   in Loop: Header=BB136_20 Depth=1
	ds_store_b16 v17, v7
; %bb.176:                              ;   in Loop: Header=BB136_20 Depth=1
	s_wait_alu 0xfffe
	s_or_b32 exec_lo, exec_lo, s22
	s_lshl_b32 s22, 2, s70
	v_or_b32_e32 v33, s12, v33
	s_wait_alu 0xfffe
	v_and_or_b32 v13, v13, s19, s22
	s_mov_b32 s22, -1
	s_mov_b32 s23, 0
	s_cmp_eq_u32 s72, 0
	s_mov_b32 s38, 0
	s_mov_b32 s73, -1
	s_wait_loadcnt_dscnt 0x0
	s_barrier_signal -1
	s_barrier_wait -1
	global_inv scope:SCOPE_SE
                                        ; implicit-def: $vgpr34
	s_cbranch_scc1 .LBB136_187
; %bb.177:                              ;   in Loop: Header=BB136_20 Depth=1
	s_add_co_i32 s38, s72, s48
                                        ; implicit-def: $vgpr34
	s_wait_alu 0xfffe
	s_mul_u64 s[74:75], s[38:39], s[42:43]
	s_wait_alu 0xfffe
	s_mul_i32 s73, s75, s29
	s_wait_alu 0xfffe
	s_sub_co_i32 s73, s38, s73
	s_wait_alu 0xfffe
	s_sub_co_i32 s74, s73, s29
	s_cmp_ge_u32 s73, s29
	s_wait_alu 0xfffe
	s_cselect_b32 s73, s74, s73
	s_wait_alu 0xfffe
	s_sub_co_i32 s74, s73, s29
	s_cmp_ge_u32 s73, s29
	s_wait_alu 0xfffe
	s_cselect_b32 s73, s74, s73
	s_mov_b32 s74, exec_lo
	s_wait_alu 0xfffe
	s_sub_co_i32 s75, s38, s73
	s_mov_b32 s73, 0
	s_mov_b32 s38, 0
	s_wait_alu 0xfffe
	v_cmpx_gt_u32_e64 s75, v0
	s_cbranch_execz .LBB136_186
; %bb.178:                              ;   in Loop: Header=BB136_20 Depth=1
	v_mov_b32_e32 v2, v16
	v_mov_b32_e32 v4, v0
                                        ; implicit-def: $sgpr76
	s_branch .LBB136_181
.LBB136_179:                            ;   in Loop: Header=BB136_181 Depth=2
	s_wait_alu 0xfffe
	s_or_b32 exec_lo, exec_lo, s77
	s_wait_loadcnt_dscnt 0x0
	s_barrier_signal -1
	s_barrier_wait -1
	global_inv scope:SCOPE_SE
	ds_load_b32 v6, v7 offset:3072
	s_mov_b32 s77, -1
	s_mov_b32 s78, -1
	s_wait_loadcnt_dscnt 0x0
	s_barrier_signal -1
	s_barrier_wait -1
	global_inv scope:SCOPE_SE
	v_and_b32_e32 v34, 0x7fff, v6
	s_delay_alu instid0(VALU_DEP_1)
	v_cmp_ne_u32_e32 vcc_lo, 0, v34
	s_cbranch_vccz .LBB136_184
.LBB136_180:                            ;   in Loop: Header=BB136_181 Depth=2
	s_wait_alu 0xfffe
	s_and_b32 s77, exec_lo, s77
	s_wait_alu 0xfffe
	s_or_b32 s38, s77, s38
	s_and_not1_b32 s76, s76, exec_lo
	s_and_b32 s77, s78, exec_lo
	s_wait_alu 0xfffe
	s_or_b32 s76, s76, s77
	s_and_not1_b32 exec_lo, exec_lo, s38
	s_cbranch_execz .LBB136_185
.LBB136_181:                            ;   Parent Loop BB136_20 Depth=1
                                        ; =>  This Inner Loop Header: Depth=2
	s_mov_b32 s77, exec_lo
	s_delay_alu instid0(VALU_DEP_1)
	v_cmpx_gt_u32_e64 s72, v4
	s_cbranch_execz .LBB136_179
; %bb.182:                              ;   in Loop: Header=BB136_181 Depth=2
	ds_load_u16 v6, v2
	s_wait_dscnt 0x0
	v_cmp_lt_i16_e32 vcc_lo, -1, v6
	v_and_b32_e32 v34, 0xffff, v6
	s_wait_alu 0xfffd
	v_dual_cndmask_b32 v35, 0xffff, v31 :: v_dual_lshlrev_b32 v36, 16, v6
	s_delay_alu instid0(VALU_DEP_1) | instskip(NEXT) | instid1(VALU_DEP_2)
	v_cmp_o_f32_e32 vcc_lo, v36, v36
	v_xor_b32_e32 v34, v35, v34
	s_wait_alu 0xfffd
	s_delay_alu instid0(VALU_DEP_1) | instskip(NEXT) | instid1(VALU_DEP_1)
	v_cndmask_b32_e32 v34, 0xffff, v34, vcc_lo
	v_and_b32_e32 v34, v34, v33
	s_delay_alu instid0(VALU_DEP_1)
	v_cmp_eq_u32_e32 vcc_lo, v34, v13
	s_and_b32 exec_lo, exec_lo, vcc_lo
	s_cbranch_execz .LBB136_179
; %bb.183:                              ;   in Loop: Header=BB136_181 Depth=2
	v_perm_b32 v6, v6, s63, 0x5040100
	ds_store_b32 v7, v6 offset:3072
	s_branch .LBB136_179
.LBB136_184:                            ;   in Loop: Header=BB136_181 Depth=2
	v_add_nc_u32_e32 v4, s29, v4
	v_add_nc_u32_e32 v2, s61, v2
	s_mov_b32 s78, 0
	s_delay_alu instid0(VALU_DEP_2)
	v_cmp_le_u32_e32 vcc_lo, s75, v4
	s_or_not1_b32 s77, vcc_lo, exec_lo
	s_branch .LBB136_180
.LBB136_185:                            ;   in Loop: Header=BB136_20 Depth=1
	s_or_b32 exec_lo, exec_lo, s38
	v_lshrrev_b32_e32 v34, 16, v6
	s_wait_alu 0xfffe
	s_and_b32 s38, s76, exec_lo
.LBB136_186:                            ;   in Loop: Header=BB136_20 Depth=1
	s_or_b32 exec_lo, exec_lo, s74
.LBB136_187:                            ;   in Loop: Header=BB136_20 Depth=1
	s_wait_alu 0xfffe
	s_and_b32 vcc_lo, exec_lo, s73
	s_wait_alu 0xfffe
	s_cbranch_vccz .LBB136_198
; %bb.188:                              ;   in Loop: Header=BB136_20 Depth=1
                                        ; implicit-def: $vgpr34
	s_and_saveexec_b32 s22, s10
	s_cbranch_execz .LBB136_197
; %bb.189:                              ;   in Loop: Header=BB136_20 Depth=1
	v_mov_b32_e32 v6, v5
	v_mov_b32_e32 v2, v0
	s_mov_b32 s23, 0
                                        ; implicit-def: $sgpr72
	s_branch .LBB136_192
.LBB136_190:                            ;   in Loop: Header=BB136_192 Depth=2
	s_wait_alu 0xfffe
	s_or_b32 exec_lo, exec_lo, s73
	s_wait_loadcnt_dscnt 0x0
	s_barrier_signal -1
	s_barrier_wait -1
	global_inv scope:SCOPE_SE
	ds_load_b32 v4, v7 offset:3072
	s_mov_b32 s73, -1
	s_mov_b32 s74, -1
	s_wait_loadcnt_dscnt 0x0
	s_barrier_signal -1
	s_barrier_wait -1
	global_inv scope:SCOPE_SE
	v_and_b32_e32 v34, 0x7fff, v4
	s_delay_alu instid0(VALU_DEP_1)
	v_cmp_eq_u32_e32 vcc_lo, 0, v34
	s_cbranch_vccnz .LBB136_195
.LBB136_191:                            ;   in Loop: Header=BB136_192 Depth=2
	s_wait_alu 0xfffe
	s_and_b32 s73, exec_lo, s73
	s_wait_alu 0xfffe
	s_or_b32 s23, s73, s23
	s_and_not1_b32 s72, s72, exec_lo
	s_and_b32 s73, s74, exec_lo
	s_wait_alu 0xfffe
	s_or_b32 s72, s72, s73
	s_and_not1_b32 exec_lo, exec_lo, s23
	s_cbranch_execz .LBB136_196
.LBB136_192:                            ;   Parent Loop BB136_20 Depth=1
                                        ; =>  This Inner Loop Header: Depth=2
	s_mov_b32 s73, exec_lo
	s_delay_alu instid0(VALU_DEP_1)
	v_cmpx_gt_u32_e64 s28, v2
	s_cbranch_execz .LBB136_190
; %bb.193:                              ;   in Loop: Header=BB136_192 Depth=2
	v_lshlrev_b64_e32 v[34:35], 1, v[6:7]
	s_delay_alu instid0(VALU_DEP_1) | instskip(SKIP_1) | instid1(VALU_DEP_2)
	v_add_co_u32 v34, vcc_lo, s26, v34
	s_wait_alu 0xfffd
	v_add_co_ci_u32_e64 v35, null, s27, v35, vcc_lo
	global_load_u16 v4, v[34:35], off
	s_wait_loadcnt 0x0
	v_cmp_lt_i16_e32 vcc_lo, -1, v4
	v_and_b32_e32 v34, 0xffff, v4
	s_wait_alu 0xfffd
	v_dual_cndmask_b32 v35, 0xffff, v31 :: v_dual_lshlrev_b32 v36, 16, v4
	s_delay_alu instid0(VALU_DEP_1) | instskip(NEXT) | instid1(VALU_DEP_2)
	v_cmp_o_f32_e32 vcc_lo, v36, v36
	v_xor_b32_e32 v34, v35, v34
	s_wait_alu 0xfffd
	s_delay_alu instid0(VALU_DEP_1) | instskip(NEXT) | instid1(VALU_DEP_1)
	v_cndmask_b32_e32 v34, 0xffff, v34, vcc_lo
	v_and_b32_e32 v34, v34, v33
	s_delay_alu instid0(VALU_DEP_1)
	v_cmp_eq_u32_e32 vcc_lo, v34, v13
	s_and_b32 exec_lo, exec_lo, vcc_lo
	s_cbranch_execz .LBB136_190
; %bb.194:                              ;   in Loop: Header=BB136_192 Depth=2
	v_perm_b32 v4, v4, s63, 0x5040100
	ds_store_b32 v7, v4 offset:3072
	s_branch .LBB136_190
.LBB136_195:                            ;   in Loop: Header=BB136_192 Depth=2
	v_add_nc_u32_e32 v2, s29, v2
	v_add_nc_u32_e32 v6, s51, v6
	s_mov_b32 s74, 0
	s_delay_alu instid0(VALU_DEP_2)
	v_cmp_le_u32_e32 vcc_lo, s58, v2
	s_or_not1_b32 s73, vcc_lo, exec_lo
	s_branch .LBB136_191
.LBB136_196:                            ;   in Loop: Header=BB136_20 Depth=1
	s_or_b32 exec_lo, exec_lo, s23
	v_lshrrev_b32_e32 v34, 16, v4
	s_and_not1_b32 s23, s38, exec_lo
	s_wait_alu 0xfffe
	s_and_b32 s38, s72, exec_lo
	s_wait_alu 0xfffe
	s_or_b32 s38, s23, s38
.LBB136_197:                            ;   in Loop: Header=BB136_20 Depth=1
	s_wait_alu 0xfffe
	s_or_b32 exec_lo, exec_lo, s22
	s_mov_b32 s22, 0
	s_mov_b32 s23, -1
.LBB136_198:                            ;   in Loop: Header=BB136_20 Depth=1
	s_or_not1_b32 s38, s38, exec_lo
.LBB136_199:                            ;   in Loop: Header=BB136_20 Depth=1
	s_wait_alu 0xfffe
	s_or_b32 exec_lo, exec_lo, s24
	s_mov_b32 s72, 0
	s_and_saveexec_b32 s24, s38
	s_cbranch_execz .LBB136_249
; %bb.200:                              ;   in Loop: Header=BB136_20 Depth=1
	v_dual_mov_b32 v2, 1 :: v_dual_mov_b32 v1, 1
	s_xor_b32 s71, s71, -1
	s_mov_b32 s73, 0
	s_wait_alu 0xfffe
	s_and_saveexec_b32 s38, s71
	s_cbranch_execz .LBB136_209
; %bb.201:                              ;   in Loop: Header=BB136_20 Depth=1
	s_mov_b32 s71, exec_lo
	v_cmpx_ge_u32_e64 s18, v3
	s_wait_alu 0xfffe
	s_xor_b32 s71, exec_lo, s71
	s_cbranch_execz .LBB136_206
; %bb.202:                              ;   in Loop: Header=BB136_20 Depth=1
	ds_load_b32 v1, v7 offset:4104
	s_lshl_b32 s72, 2, s70
	v_or_b32_e32 v33, s12, v33
	s_wait_alu 0xfffe
	v_and_or_b32 v13, v13, s19, s72
	s_wait_dscnt 0x0
	v_cmp_ne_u32_e32 vcc_lo, 0, v1
	s_cbranch_vccnz .LBB136_206
; %bb.203:                              ;   in Loop: Header=BB136_20 Depth=1
	s_and_saveexec_b32 s19, s0
; %bb.204:                              ;   in Loop: Header=BB136_20 Depth=1
	v_mov_b32_e32 v1, s18
	ds_store_b32 v7, v1 offset:4108
; %bb.205:                              ;   in Loop: Header=BB136_20 Depth=1
	s_wait_alu 0xfffe
	s_or_b32 exec_lo, exec_lo, s19
	s_wait_loadcnt_dscnt 0x0
	s_barrier_signal -1
	s_barrier_wait -1
	global_inv scope:SCOPE_SE
.LBB136_206:                            ;   in Loop: Header=BB136_20 Depth=1
	s_wait_alu 0xfffe
	s_or_saveexec_b32 s19, s71
	v_mov_b32_e32 v1, 8
	s_mov_b32 s71, 0
	s_wait_alu 0xfffe
	s_xor_b32 exec_lo, exec_lo, s19
; %bb.207:                              ;   in Loop: Header=BB136_20 Depth=1
	v_subrev_nc_u32_e32 v3, s18, v3
	v_mov_b32_e32 v1, 0
	s_mov_b32 s71, exec_lo
; %bb.208:                              ;   in Loop: Header=BB136_20 Depth=1
	s_or_b32 exec_lo, exec_lo, s19
	s_delay_alu instid0(VALU_DEP_2)
	v_mov_b32_e32 v2, v3
	s_wait_alu 0xfffe
	s_and_b32 s73, s71, exec_lo
.LBB136_209:                            ;   in Loop: Header=BB136_20 Depth=1
	s_wait_alu 0xfffe
	s_or_b32 exec_lo, exec_lo, s38
	s_mov_b32 s19, -1
                                        ; implicit-def: $sgpr72
                                        ; implicit-def: $sgpr71
	s_and_saveexec_b32 s18, s73
	s_cbranch_execz .LBB136_248
; %bb.210:                              ;   in Loop: Header=BB136_20 Depth=1
	v_cmp_eq_u32_e32 vcc_lo, 1, v2
	s_cmp_eq_u32 s11, 1
	s_mov_b32 s74, -1
	s_cselect_b32 s19, -1, 0
                                        ; implicit-def: $sgpr72
                                        ; implicit-def: $sgpr71
	s_wait_alu 0xfffe
	s_and_b32 s19, s19, vcc_lo
	s_wait_alu 0xfffe
	s_and_saveexec_b32 s73, s19
	s_cbranch_execz .LBB136_236
; %bb.211:                              ;   in Loop: Header=BB136_20 Depth=1
	ds_load_b32 v3, v7 offset:4104
	s_wait_loadcnt_dscnt 0x0
	s_barrier_signal -1
	s_barrier_wait -1
	global_inv scope:SCOPE_SE
	v_readfirstlane_b32 s74, v3
	s_and_saveexec_b32 s38, s1
; %bb.212:                              ;   in Loop: Header=BB136_20 Depth=1
	ds_store_b16 v17, v7
; %bb.213:                              ;   in Loop: Header=BB136_20 Depth=1
	s_wait_alu 0xfffe
	s_or_b32 exec_lo, exec_lo, s38
	v_or_b32_e32 v13, s12, v13
	v_or_b32_e32 v33, s12, v33
	s_mov_b32 s71, -1
	s_mov_b32 s72, 0
	s_cmp_eq_u32 s74, 0
	s_mov_b32 s38, 0
	s_mov_b32 s75, -1
	s_wait_loadcnt_dscnt 0x0
	s_barrier_signal -1
	s_barrier_wait -1
	global_inv scope:SCOPE_SE
                                        ; implicit-def: $vgpr34
	s_cbranch_scc1 .LBB136_224
; %bb.214:                              ;   in Loop: Header=BB136_20 Depth=1
	s_add_co_i32 s38, s74, s48
                                        ; implicit-def: $vgpr34
	s_wait_alu 0xfffe
	s_mul_u64 s[76:77], s[38:39], s[42:43]
	s_wait_alu 0xfffe
	s_mul_i32 s75, s77, s29
	s_wait_alu 0xfffe
	s_sub_co_i32 s75, s38, s75
	s_wait_alu 0xfffe
	s_sub_co_i32 s76, s75, s29
	s_cmp_ge_u32 s75, s29
	s_wait_alu 0xfffe
	s_cselect_b32 s75, s76, s75
	s_wait_alu 0xfffe
	s_sub_co_i32 s76, s75, s29
	s_cmp_ge_u32 s75, s29
	s_wait_alu 0xfffe
	s_cselect_b32 s75, s76, s75
	s_mov_b32 s76, exec_lo
	s_wait_alu 0xfffe
	s_sub_co_i32 s77, s38, s75
	s_mov_b32 s75, 0
	s_mov_b32 s38, 0
	s_wait_alu 0xfffe
	v_cmpx_gt_u32_e64 s77, v0
	s_cbranch_execz .LBB136_223
; %bb.215:                              ;   in Loop: Header=BB136_20 Depth=1
	v_dual_mov_b32 v3, v16 :: v_dual_mov_b32 v4, v0
                                        ; implicit-def: $sgpr78
	s_branch .LBB136_218
.LBB136_216:                            ;   in Loop: Header=BB136_218 Depth=2
	s_or_b32 exec_lo, exec_lo, s79
	s_wait_loadcnt_dscnt 0x0
	s_barrier_signal -1
	s_barrier_wait -1
	global_inv scope:SCOPE_SE
	ds_load_b32 v6, v7 offset:3072
	s_mov_b32 s79, -1
	s_mov_b32 s80, -1
	s_wait_loadcnt_dscnt 0x0
	s_barrier_signal -1
	s_barrier_wait -1
	global_inv scope:SCOPE_SE
	v_and_b32_e32 v34, 0x7fff, v6
	s_delay_alu instid0(VALU_DEP_1)
	v_cmp_ne_u32_e32 vcc_lo, 0, v34
	s_cbranch_vccz .LBB136_221
.LBB136_217:                            ;   in Loop: Header=BB136_218 Depth=2
	s_and_b32 s79, exec_lo, s79
	s_delay_alu instid0(SALU_CYCLE_1) | instskip(SKIP_2) | instid1(SALU_CYCLE_1)
	s_or_b32 s38, s79, s38
	s_and_not1_b32 s78, s78, exec_lo
	s_and_b32 s79, s80, exec_lo
	s_or_b32 s78, s78, s79
	s_wait_alu 0xfffe
	s_and_not1_b32 exec_lo, exec_lo, s38
	s_cbranch_execz .LBB136_222
.LBB136_218:                            ;   Parent Loop BB136_20 Depth=1
                                        ; =>  This Inner Loop Header: Depth=2
	s_mov_b32 s79, exec_lo
	s_delay_alu instid0(VALU_DEP_1)
	v_cmpx_gt_u32_e64 s74, v4
	s_cbranch_execz .LBB136_216
; %bb.219:                              ;   in Loop: Header=BB136_218 Depth=2
	ds_load_u16 v6, v3
	s_wait_dscnt 0x0
	v_cmp_lt_i16_e32 vcc_lo, -1, v6
	v_and_b32_e32 v34, 0xffff, v6
	s_wait_alu 0xfffd
	v_dual_cndmask_b32 v35, 0xffff, v31 :: v_dual_lshlrev_b32 v36, 16, v6
	s_delay_alu instid0(VALU_DEP_1) | instskip(NEXT) | instid1(VALU_DEP_2)
	v_cmp_o_f32_e32 vcc_lo, v36, v36
	v_xor_b32_e32 v34, v35, v34
	s_wait_alu 0xfffd
	s_delay_alu instid0(VALU_DEP_1) | instskip(NEXT) | instid1(VALU_DEP_1)
	v_cndmask_b32_e32 v34, 0xffff, v34, vcc_lo
	v_and_b32_e32 v34, v34, v33
	s_delay_alu instid0(VALU_DEP_1)
	v_cmp_eq_u32_e32 vcc_lo, v34, v13
	s_and_b32 exec_lo, exec_lo, vcc_lo
	s_cbranch_execz .LBB136_216
; %bb.220:                              ;   in Loop: Header=BB136_218 Depth=2
	v_perm_b32 v6, v6, s63, 0x5040100
	ds_store_b32 v7, v6 offset:3072
	s_branch .LBB136_216
.LBB136_221:                            ;   in Loop: Header=BB136_218 Depth=2
	v_add_nc_u32_e32 v4, s29, v4
	v_add_nc_u32_e32 v3, s61, v3
	s_mov_b32 s80, 0
	s_delay_alu instid0(VALU_DEP_2)
	v_cmp_le_u32_e32 vcc_lo, s77, v4
	s_or_not1_b32 s79, vcc_lo, exec_lo
	s_branch .LBB136_217
.LBB136_222:                            ;   in Loop: Header=BB136_20 Depth=1
	s_or_b32 exec_lo, exec_lo, s38
	v_lshrrev_b32_e32 v34, 16, v6
	s_and_b32 s38, s78, exec_lo
.LBB136_223:                            ;   in Loop: Header=BB136_20 Depth=1
	s_or_b32 exec_lo, exec_lo, s76
.LBB136_224:                            ;   in Loop: Header=BB136_20 Depth=1
	s_wait_alu 0xfffe
	s_and_b32 vcc_lo, exec_lo, s75
	s_wait_alu 0xfffe
	s_cbranch_vccz .LBB136_235
; %bb.225:                              ;   in Loop: Header=BB136_20 Depth=1
                                        ; implicit-def: $vgpr34
	s_and_saveexec_b32 s71, s10
	s_cbranch_execz .LBB136_234
; %bb.226:                              ;   in Loop: Header=BB136_20 Depth=1
	v_dual_mov_b32 v6, v5 :: v_dual_mov_b32 v3, v0
	s_mov_b32 s72, 0
                                        ; implicit-def: $sgpr74
	s_branch .LBB136_229
.LBB136_227:                            ;   in Loop: Header=BB136_229 Depth=2
	s_wait_alu 0xfffe
	s_or_b32 exec_lo, exec_lo, s75
	s_wait_loadcnt_dscnt 0x0
	s_barrier_signal -1
	s_barrier_wait -1
	global_inv scope:SCOPE_SE
	ds_load_b32 v4, v7 offset:3072
	s_mov_b32 s75, -1
	s_mov_b32 s76, -1
	s_wait_loadcnt_dscnt 0x0
	s_barrier_signal -1
	s_barrier_wait -1
	global_inv scope:SCOPE_SE
	v_and_b32_e32 v34, 0x7fff, v4
	s_delay_alu instid0(VALU_DEP_1)
	v_cmp_eq_u32_e32 vcc_lo, 0, v34
	s_cbranch_vccnz .LBB136_232
.LBB136_228:                            ;   in Loop: Header=BB136_229 Depth=2
	s_wait_alu 0xfffe
	s_and_b32 s75, exec_lo, s75
	s_wait_alu 0xfffe
	s_or_b32 s72, s75, s72
	s_and_not1_b32 s74, s74, exec_lo
	s_and_b32 s75, s76, exec_lo
	s_wait_alu 0xfffe
	s_or_b32 s74, s74, s75
	s_and_not1_b32 exec_lo, exec_lo, s72
	s_cbranch_execz .LBB136_233
.LBB136_229:                            ;   Parent Loop BB136_20 Depth=1
                                        ; =>  This Inner Loop Header: Depth=2
	s_mov_b32 s75, exec_lo
	s_delay_alu instid0(VALU_DEP_1)
	v_cmpx_gt_u32_e64 s28, v3
	s_cbranch_execz .LBB136_227
; %bb.230:                              ;   in Loop: Header=BB136_229 Depth=2
	v_lshlrev_b64_e32 v[34:35], 1, v[6:7]
	s_delay_alu instid0(VALU_DEP_1) | instskip(SKIP_1) | instid1(VALU_DEP_2)
	v_add_co_u32 v34, vcc_lo, s26, v34
	s_wait_alu 0xfffd
	v_add_co_ci_u32_e64 v35, null, s27, v35, vcc_lo
	global_load_u16 v4, v[34:35], off
	s_wait_loadcnt 0x0
	v_cmp_lt_i16_e32 vcc_lo, -1, v4
	v_and_b32_e32 v34, 0xffff, v4
	s_wait_alu 0xfffd
	v_dual_cndmask_b32 v35, 0xffff, v31 :: v_dual_lshlrev_b32 v36, 16, v4
	s_delay_alu instid0(VALU_DEP_1) | instskip(NEXT) | instid1(VALU_DEP_2)
	v_cmp_o_f32_e32 vcc_lo, v36, v36
	v_xor_b32_e32 v34, v35, v34
	s_wait_alu 0xfffd
	s_delay_alu instid0(VALU_DEP_1) | instskip(NEXT) | instid1(VALU_DEP_1)
	v_cndmask_b32_e32 v34, 0xffff, v34, vcc_lo
	v_and_b32_e32 v34, v34, v33
	s_delay_alu instid0(VALU_DEP_1)
	v_cmp_eq_u32_e32 vcc_lo, v34, v13
	s_and_b32 exec_lo, exec_lo, vcc_lo
	s_cbranch_execz .LBB136_227
; %bb.231:                              ;   in Loop: Header=BB136_229 Depth=2
	v_perm_b32 v4, v4, s63, 0x5040100
	ds_store_b32 v7, v4 offset:3072
	s_branch .LBB136_227
.LBB136_232:                            ;   in Loop: Header=BB136_229 Depth=2
	v_add_nc_u32_e32 v3, s29, v3
	v_add_nc_u32_e32 v6, s51, v6
	s_mov_b32 s76, 0
	s_delay_alu instid0(VALU_DEP_2)
	v_cmp_le_u32_e32 vcc_lo, s58, v3
	s_or_not1_b32 s75, vcc_lo, exec_lo
	s_branch .LBB136_228
.LBB136_233:                            ;   in Loop: Header=BB136_20 Depth=1
	s_or_b32 exec_lo, exec_lo, s72
	v_lshrrev_b32_e32 v34, 16, v4
	s_and_not1_b32 s38, s38, exec_lo
	s_wait_alu 0xfffe
	s_and_b32 s72, s74, exec_lo
	s_wait_alu 0xfffe
	s_or_b32 s38, s38, s72
.LBB136_234:                            ;   in Loop: Header=BB136_20 Depth=1
	s_wait_alu 0xfffe
	s_or_b32 exec_lo, exec_lo, s71
	s_mov_b32 s71, 0
	s_mov_b32 s72, -1
.LBB136_235:                            ;   in Loop: Header=BB136_20 Depth=1
	s_or_not1_b32 s74, s38, exec_lo
.LBB136_236:                            ;   in Loop: Header=BB136_20 Depth=1
	s_wait_alu 0xfffe
	s_or_b32 exec_lo, exec_lo, s73
	s_mov_b32 s73, 0
	s_and_saveexec_b32 s38, s74
	s_cbranch_execz .LBB136_247
; %bb.237:                              ;   in Loop: Header=BB136_20 Depth=1
	v_mov_b32_e32 v1, 1
	v_mov_b32_e32 v3, 1
	s_xor_b32 s73, s19, -1
	s_wait_alu 0xfffe
	s_and_saveexec_b32 s19, s73
	s_cbranch_execz .LBB136_246
; %bb.238:                              ;   in Loop: Header=BB136_20 Depth=1
	s_mov_b32 s73, exec_lo
	v_cmpx_ge_u32_e64 s11, v2
	s_wait_alu 0xfffe
	s_xor_b32 s73, exec_lo, s73
	s_cbranch_execz .LBB136_243
; %bb.239:                              ;   in Loop: Header=BB136_20 Depth=1
	ds_load_b32 v1, v7 offset:4104
	v_or_b32_e32 v13, s12, v13
	v_or_b32_e32 v33, s12, v33
	s_wait_dscnt 0x0
	v_cmp_ne_u32_e32 vcc_lo, 0, v1
	s_cbranch_vccnz .LBB136_243
; %bb.240:                              ;   in Loop: Header=BB136_20 Depth=1
	s_and_saveexec_b32 s12, s0
; %bb.241:                              ;   in Loop: Header=BB136_20 Depth=1
	v_mov_b32_e32 v1, s11
	ds_store_b32 v7, v1 offset:4108
; %bb.242:                              ;   in Loop: Header=BB136_20 Depth=1
	s_wait_alu 0xfffe
	s_or_b32 exec_lo, exec_lo, s12
	s_wait_loadcnt_dscnt 0x0
	s_barrier_signal -1
	s_barrier_wait -1
	global_inv scope:SCOPE_SE
.LBB136_243:                            ;   in Loop: Header=BB136_20 Depth=1
	s_wait_alu 0xfffe
	s_and_not1_saveexec_b32 s12, s73
; %bb.244:                              ;   in Loop: Header=BB136_20 Depth=1
	v_subrev_nc_u32_e32 v2, s11, v2
; %bb.245:                              ;   in Loop: Header=BB136_20 Depth=1
	s_wait_alu 0xfffe
	s_or_b32 exec_lo, exec_lo, s12
	v_mov_b32_e32 v1, 8
	s_delay_alu instid0(VALU_DEP_2)
	v_mov_b32_e32 v3, v2
.LBB136_246:                            ;   in Loop: Header=BB136_20 Depth=1
	s_wait_alu 0xfffe
	s_or_b32 exec_lo, exec_lo, s19
	s_delay_alu instid0(VALU_DEP_1)
	v_mov_b32_e32 v2, v3
	s_mov_b32 s73, exec_lo
.LBB136_247:                            ;   in Loop: Header=BB136_20 Depth=1
	s_wait_alu 0xfffe
	s_or_b32 exec_lo, exec_lo, s38
	s_delay_alu instid0(SALU_CYCLE_1)
	s_or_not1_b32 s19, s73, exec_lo
.LBB136_248:                            ;   in Loop: Header=BB136_20 Depth=1
	s_wait_alu 0xfffe
	s_or_b32 exec_lo, exec_lo, s18
	v_mov_b32_e32 v3, v2
	s_and_not1_b32 s11, s23, exec_lo
	s_and_b32 s12, s72, exec_lo
	s_and_not1_b32 s18, s22, exec_lo
	s_and_b32 s22, s71, exec_lo
	s_wait_alu 0xfffe
	s_or_b32 s23, s11, s12
	s_or_b32 s22, s18, s22
	s_and_b32 s72, s19, exec_lo
.LBB136_249:                            ;   in Loop: Header=BB136_20 Depth=1
	s_wait_alu 0xfffe
	s_or_b32 exec_lo, exec_lo, s24
	s_delay_alu instid0(SALU_CYCLE_1)
	s_or_not1_b32 s24, s72, exec_lo
.LBB136_250:                            ;   in Loop: Header=BB136_20 Depth=1
	s_wait_alu 0xfffe
	s_or_b32 exec_lo, exec_lo, s21
	v_mov_b32_e32 v2, v3
	s_and_not1_b32 s11, s17, exec_lo
	s_and_b32 s12, s23, exec_lo
	s_and_not1_b32 s16, s16, exec_lo
	s_and_b32 s18, s22, exec_lo
	s_wait_alu 0xfffe
	s_or_b32 s17, s11, s12
	s_or_b32 s16, s16, s18
	s_and_b32 s24, s24, exec_lo
.LBB136_251:                            ;   in Loop: Header=BB136_20 Depth=1
	s_wait_alu 0xfffe
	s_or_b32 exec_lo, exec_lo, s20
	s_delay_alu instid0(SALU_CYCLE_1)
	s_or_not1_b32 s20, s24, exec_lo
.LBB136_252:                            ;   in Loop: Header=BB136_20 Depth=1
	s_wait_alu 0xfffe
	s_or_b32 exec_lo, exec_lo, s15
	s_mov_b32 s12, 0
                                        ; implicit-def: $sgpr22
	s_and_saveexec_b32 s11, s20
	s_wait_alu 0xfffe
	s_xor_b32 s11, exec_lo, s11
	s_cbranch_execz .LBB136_18
; %bb.253:                              ;   in Loop: Header=BB136_20 Depth=1
	v_and_b32_e32 v1, 7, v1
	s_mov_b32 s14, -1
	s_mov_b32 s12, -1
	s_mov_b32 s15, exec_lo
                                        ; implicit-def: $sgpr22
	s_delay_alu instid0(VALU_DEP_1)
	v_cmpx_eq_u32_e32 0, v1
	s_cbranch_execz .LBB136_17
; %bb.254:                              ;   in Loop: Header=BB136_20 Depth=1
	s_add_co_i32 s22, s70, -2
	s_cmp_eq_u32 s70, 0
	v_xor_b32_e32 v32, 1, v32
	s_cselect_b32 s14, -1, 0
	s_xor_b32 s12, exec_lo, -1
	s_wait_alu 0xfffe
	s_or_not1_b32 s14, s14, exec_lo
	s_branch .LBB136_17
.LBB136_255:
	s_or_b32 exec_lo, exec_lo, s62
	s_xor_b32 s4, s69, -1
	s_xor_b32 s3, s67, -1
	;; [unrolled: 1-line block ×3, first 2 shown]
	s_mov_b32 s0, 0
	s_wait_alu 0xfffe
	s_and_saveexec_b32 s5, s3
	s_wait_alu 0xfffe
	s_xor_b32 s3, exec_lo, s5
	s_cbranch_execnz .LBB136_260
; %bb.256:
	s_wait_alu 0xfffe
	s_and_not1_saveexec_b32 s1, s3
	s_cbranch_execnz .LBB136_273
.LBB136_257:
	s_or_b32 exec_lo, exec_lo, s1
	s_and_saveexec_b32 s1, s0
.LBB136_258:
	; divergent unreachable
.LBB136_259:
	s_endpgm
.LBB136_260:
	s_and_saveexec_b32 s0, s4
	s_delay_alu instid0(SALU_CYCLE_1)
	s_xor_b32 s4, exec_lo, s0
	s_cbranch_execz .LBB136_271
; %bb.261:
	s_and_saveexec_b32 s0, s1
	s_delay_alu instid0(SALU_CYCLE_1)
	s_xor_b32 s0, exec_lo, s0
; %bb.262:
	v_and_b32_e32 v1, 0x8000, v13
	v_mov_b32_e32 v2, 0xffff
	s_delay_alu instid0(VALU_DEP_2) | instskip(SKIP_1) | instid1(VALU_DEP_2)
	v_cmp_eq_u32_e32 vcc_lo, 0, v1
	s_wait_alu 0xfffd
	v_cndmask_b32_e32 v1, 0x8000, v2, vcc_lo
	s_delay_alu instid0(VALU_DEP_1)
	v_xor_b32_e32 v34, v1, v13
; %bb.263:
	s_or_b32 exec_lo, exec_lo, s0
	s_mul_i32 s0, s46, s25
	s_mov_b32 s1, 0
	v_mov_b32_e32 v6, 0
	s_lshl_b64 s[6:7], s[0:1], 1
	s_wait_alu 0xfffe
	s_add_nc_u64 s[6:7], s[36:37], s[6:7]
	global_store_b16 v6, v34, s[6:7]
	s_and_saveexec_b32 s5, s2
	s_cbranch_execz .LBB136_270
; %bb.264:
	v_lshlrev_b32_e32 v2, 16, v34
                                        ; implicit-def: $sgpr2
                                        ; implicit-def: $sgpr8
                                        ; implicit-def: $sgpr7
	s_delay_alu instid0(VALU_DEP_1)
	v_cmp_u_f32_e32 vcc_lo, v2, v2
	s_xor_b32 s6, vcc_lo, -1
	s_branch .LBB136_266
.LBB136_265:                            ;   in Loop: Header=BB136_266 Depth=1
	s_or_b32 exec_lo, exec_lo, s0
	s_wait_alu 0xfffe
	s_and_b32 s0, exec_lo, s8
	s_delay_alu instid0(SALU_CYCLE_1)
	s_or_b32 s1, s0, s1
	s_and_not1_b32 s0, s2, exec_lo
	s_and_b32 s2, s7, exec_lo
	s_wait_alu 0xfffe
	s_or_b32 s2, s0, s2
	s_and_not1_b32 exec_lo, exec_lo, s1
	s_cbranch_execz .LBB136_268
.LBB136_266:                            ; =>This Inner Loop Header: Depth=1
	v_lshlrev_b64_e32 v[3:4], 1, v[5:6]
	s_wait_alu 0xfffe
	s_or_b32 s7, s7, exec_lo
	s_or_b32 s8, s8, exec_lo
	s_delay_alu instid0(VALU_DEP_1)
	v_add_co_u32 v3, vcc_lo, s26, v3
	s_wait_alu 0xfffd
	v_add_co_ci_u32_e64 v4, null, s27, v4, vcc_lo
	global_load_u16 v1, v[3:4], off
	s_wait_loadcnt 0x0
	v_lshlrev_b32_e32 v1, 16, v1
	s_delay_alu instid0(VALU_DEP_1)
	v_cmp_o_f32_e32 vcc_lo, v1, v1
	v_cmp_neq_f32_e64 s0, v1, v2
	v_mov_b32_e32 v1, v0
                                        ; implicit-def: $vgpr0
	s_or_b32 s9, s6, vcc_lo
	s_wait_alu 0xfffe
	s_and_b32 s9, s0, s9
	s_wait_alu 0xfffe
	s_and_saveexec_b32 s0, s9
	s_cbranch_execz .LBB136_265
; %bb.267:                              ;   in Loop: Header=BB136_266 Depth=1
	v_add_nc_u32_e32 v0, s29, v1
	v_add_nc_u32_e32 v5, s51, v5
	s_and_not1_b32 s8, s8, exec_lo
	s_and_not1_b32 s7, s7, exec_lo
	s_delay_alu instid0(VALU_DEP_2)
	v_cmp_le_u32_e32 vcc_lo, s28, v0
	s_and_b32 s9, vcc_lo, exec_lo
	s_wait_alu 0xfffe
	s_or_b32 s8, s8, s9
	s_branch .LBB136_265
.LBB136_268:
	s_or_b32 exec_lo, exec_lo, s1
	s_wait_alu 0xfffe
	s_and_saveexec_b32 s0, s2
	s_delay_alu instid0(SALU_CYCLE_1)
	s_xor_b32 s0, exec_lo, s0
	s_cbranch_execz .LBB136_270
; %bb.269:
	s_mul_i32 s0, s33, s25
	s_mov_b32 s1, 0
	v_mov_b32_e32 v2, 0
	s_lshl_b64 s[0:1], s[0:1], 3
	s_delay_alu instid0(SALU_CYCLE_1)
	s_add_nc_u64 s[0:1], s[34:35], s[0:1]
	global_store_b64 v2, v[1:2], s[0:1]
.LBB136_270:
	s_wait_alu 0xfffe
	s_or_b32 exec_lo, exec_lo, s5
.LBB136_271:
	s_wait_alu 0xfffe
	s_or_saveexec_b32 s0, s4
	s_mov_b32 s1, 0
	s_xor_b32 exec_lo, exec_lo, s0
	s_cbranch_execnz .LBB136_274
.LBB136_272:
	s_or_b32 exec_lo, exec_lo, s0
	s_delay_alu instid0(SALU_CYCLE_1)
	s_and_b32 s0, s1, exec_lo
	s_and_not1_saveexec_b32 s1, s3
	s_cbranch_execz .LBB136_257
.LBB136_273:
	s_or_b32 s0, s0, exec_lo
	s_trap 2
	s_or_b32 exec_lo, exec_lo, s1
	s_and_saveexec_b32 s1, s0
	s_cbranch_execnz .LBB136_258
	s_branch .LBB136_259
.LBB136_274:
	s_mov_b32 s1, exec_lo
	s_trap 2
	s_branch .LBB136_272
	.section	.rodata,"a",@progbits
	.p2align	6, 0x0
	.amdhsa_kernel _ZN2at6native12_GLOBAL__N_112gatherMedianIN3c108BFloat16EjLi1EEEvNS_4cuda6detail10TensorInfoIT_T0_EENS7_IlS9_EENS7_IKS8_S9_EES9_S9_S9_b
		.amdhsa_group_segment_fixed_size 4120
		.amdhsa_private_segment_fixed_size 0
		.amdhsa_kernarg_size 920
		.amdhsa_user_sgpr_count 2
		.amdhsa_user_sgpr_dispatch_ptr 0
		.amdhsa_user_sgpr_queue_ptr 0
		.amdhsa_user_sgpr_kernarg_segment_ptr 1
		.amdhsa_user_sgpr_dispatch_id 0
		.amdhsa_user_sgpr_private_segment_size 0
		.amdhsa_wavefront_size32 1
		.amdhsa_uses_dynamic_stack 0
		.amdhsa_enable_private_segment 0
		.amdhsa_system_sgpr_workgroup_id_x 1
		.amdhsa_system_sgpr_workgroup_id_y 1
		.amdhsa_system_sgpr_workgroup_id_z 1
		.amdhsa_system_sgpr_workgroup_info 0
		.amdhsa_system_vgpr_workitem_id 0
		.amdhsa_next_free_vgpr 63
		.amdhsa_next_free_sgpr 81
		.amdhsa_reserve_vcc 1
		.amdhsa_float_round_mode_32 0
		.amdhsa_float_round_mode_16_64 0
		.amdhsa_float_denorm_mode_32 3
		.amdhsa_float_denorm_mode_16_64 3
		.amdhsa_fp16_overflow 0
		.amdhsa_workgroup_processor_mode 1
		.amdhsa_memory_ordered 1
		.amdhsa_forward_progress 1
		.amdhsa_inst_pref_size 108
		.amdhsa_round_robin_scheduling 0
		.amdhsa_exception_fp_ieee_invalid_op 0
		.amdhsa_exception_fp_denorm_src 0
		.amdhsa_exception_fp_ieee_div_zero 0
		.amdhsa_exception_fp_ieee_overflow 0
		.amdhsa_exception_fp_ieee_underflow 0
		.amdhsa_exception_fp_ieee_inexact 0
		.amdhsa_exception_int_div_zero 0
	.end_amdhsa_kernel
	.section	.text._ZN2at6native12_GLOBAL__N_112gatherMedianIN3c108BFloat16EjLi1EEEvNS_4cuda6detail10TensorInfoIT_T0_EENS7_IlS9_EENS7_IKS8_S9_EES9_S9_S9_b,"axG",@progbits,_ZN2at6native12_GLOBAL__N_112gatherMedianIN3c108BFloat16EjLi1EEEvNS_4cuda6detail10TensorInfoIT_T0_EENS7_IlS9_EENS7_IKS8_S9_EES9_S9_S9_b,comdat
.Lfunc_end136:
	.size	_ZN2at6native12_GLOBAL__N_112gatherMedianIN3c108BFloat16EjLi1EEEvNS_4cuda6detail10TensorInfoIT_T0_EENS7_IlS9_EENS7_IKS8_S9_EES9_S9_S9_b, .Lfunc_end136-_ZN2at6native12_GLOBAL__N_112gatherMedianIN3c108BFloat16EjLi1EEEvNS_4cuda6detail10TensorInfoIT_T0_EENS7_IlS9_EENS7_IKS8_S9_EES9_S9_S9_b
                                        ; -- End function
	.set _ZN2at6native12_GLOBAL__N_112gatherMedianIN3c108BFloat16EjLi1EEEvNS_4cuda6detail10TensorInfoIT_T0_EENS7_IlS9_EENS7_IKS8_S9_EES9_S9_S9_b.num_vgpr, 63
	.set _ZN2at6native12_GLOBAL__N_112gatherMedianIN3c108BFloat16EjLi1EEEvNS_4cuda6detail10TensorInfoIT_T0_EENS7_IlS9_EENS7_IKS8_S9_EES9_S9_S9_b.num_agpr, 0
	.set _ZN2at6native12_GLOBAL__N_112gatherMedianIN3c108BFloat16EjLi1EEEvNS_4cuda6detail10TensorInfoIT_T0_EENS7_IlS9_EENS7_IKS8_S9_EES9_S9_S9_b.numbered_sgpr, 81
	.set _ZN2at6native12_GLOBAL__N_112gatherMedianIN3c108BFloat16EjLi1EEEvNS_4cuda6detail10TensorInfoIT_T0_EENS7_IlS9_EENS7_IKS8_S9_EES9_S9_S9_b.num_named_barrier, 0
	.set _ZN2at6native12_GLOBAL__N_112gatherMedianIN3c108BFloat16EjLi1EEEvNS_4cuda6detail10TensorInfoIT_T0_EENS7_IlS9_EENS7_IKS8_S9_EES9_S9_S9_b.private_seg_size, 0
	.set _ZN2at6native12_GLOBAL__N_112gatherMedianIN3c108BFloat16EjLi1EEEvNS_4cuda6detail10TensorInfoIT_T0_EENS7_IlS9_EENS7_IKS8_S9_EES9_S9_S9_b.uses_vcc, 1
	.set _ZN2at6native12_GLOBAL__N_112gatherMedianIN3c108BFloat16EjLi1EEEvNS_4cuda6detail10TensorInfoIT_T0_EENS7_IlS9_EENS7_IKS8_S9_EES9_S9_S9_b.uses_flat_scratch, 0
	.set _ZN2at6native12_GLOBAL__N_112gatherMedianIN3c108BFloat16EjLi1EEEvNS_4cuda6detail10TensorInfoIT_T0_EENS7_IlS9_EENS7_IKS8_S9_EES9_S9_S9_b.has_dyn_sized_stack, 0
	.set _ZN2at6native12_GLOBAL__N_112gatherMedianIN3c108BFloat16EjLi1EEEvNS_4cuda6detail10TensorInfoIT_T0_EENS7_IlS9_EENS7_IKS8_S9_EES9_S9_S9_b.has_recursion, 0
	.set _ZN2at6native12_GLOBAL__N_112gatherMedianIN3c108BFloat16EjLi1EEEvNS_4cuda6detail10TensorInfoIT_T0_EENS7_IlS9_EENS7_IKS8_S9_EES9_S9_S9_b.has_indirect_call, 0
	.section	.AMDGPU.csdata,"",@progbits
; Kernel info:
; codeLenInByte = 13756
; TotalNumSgprs: 83
; NumVgprs: 63
; ScratchSize: 0
; MemoryBound: 0
; FloatMode: 240
; IeeeMode: 1
; LDSByteSize: 4120 bytes/workgroup (compile time only)
; SGPRBlocks: 0
; VGPRBlocks: 7
; NumSGPRsForWavesPerEU: 83
; NumVGPRsForWavesPerEU: 63
; Occupancy: 16
; WaveLimiterHint : 1
; COMPUTE_PGM_RSRC2:SCRATCH_EN: 0
; COMPUTE_PGM_RSRC2:USER_SGPR: 2
; COMPUTE_PGM_RSRC2:TRAP_HANDLER: 0
; COMPUTE_PGM_RSRC2:TGID_X_EN: 1
; COMPUTE_PGM_RSRC2:TGID_Y_EN: 1
; COMPUTE_PGM_RSRC2:TGID_Z_EN: 1
; COMPUTE_PGM_RSRC2:TIDIG_COMP_CNT: 0
	.section	.text._ZN2at6native12_GLOBAL__N_112gatherMedianIN3c108BFloat16EjLi2EEEvNS_4cuda6detail10TensorInfoIT_T0_EENS7_IlS9_EENS7_IKS8_S9_EES9_S9_S9_b,"axG",@progbits,_ZN2at6native12_GLOBAL__N_112gatherMedianIN3c108BFloat16EjLi2EEEvNS_4cuda6detail10TensorInfoIT_T0_EENS7_IlS9_EENS7_IKS8_S9_EES9_S9_S9_b,comdat
	.globl	_ZN2at6native12_GLOBAL__N_112gatherMedianIN3c108BFloat16EjLi2EEEvNS_4cuda6detail10TensorInfoIT_T0_EENS7_IlS9_EENS7_IKS8_S9_EES9_S9_S9_b ; -- Begin function _ZN2at6native12_GLOBAL__N_112gatherMedianIN3c108BFloat16EjLi2EEEvNS_4cuda6detail10TensorInfoIT_T0_EENS7_IlS9_EENS7_IKS8_S9_EES9_S9_S9_b
	.p2align	8
	.type	_ZN2at6native12_GLOBAL__N_112gatherMedianIN3c108BFloat16EjLi2EEEvNS_4cuda6detail10TensorInfoIT_T0_EENS7_IlS9_EENS7_IKS8_S9_EES9_S9_S9_b,@function
_ZN2at6native12_GLOBAL__N_112gatherMedianIN3c108BFloat16EjLi2EEEvNS_4cuda6detail10TensorInfoIT_T0_EENS7_IlS9_EENS7_IKS8_S9_EES9_S9_S9_b: ; @_ZN2at6native12_GLOBAL__N_112gatherMedianIN3c108BFloat16EjLi2EEEvNS_4cuda6detail10TensorInfoIT_T0_EENS7_IlS9_EENS7_IKS8_S9_EES9_S9_S9_b
; %bb.0:
	s_clause 0x1
	s_load_b64 s[6:7], s[0:1], 0x298
	s_load_b128 s[28:31], s[0:1], 0x288
	s_lshr_b32 s2, ttmp7, 16
	s_and_b32 s3, ttmp7, 0xffff
	s_wait_kmcnt 0x0
	s_mul_i32 s2, s7, s2
	s_delay_alu instid0(SALU_CYCLE_1) | instskip(NEXT) | instid1(SALU_CYCLE_1)
	s_add_co_i32 s2, s2, s3
	s_mul_i32 s2, s2, s6
	s_delay_alu instid0(SALU_CYCLE_1) | instskip(NEXT) | instid1(SALU_CYCLE_1)
	s_add_co_i32 s26, s2, ttmp9
	s_cmp_ge_u32 s26, s29
	s_cbranch_scc1 .LBB137_259
; %bb.1:
	s_clause 0x4
	s_load_b32 s54, s[0:1], 0xc
	s_load_b32 s5, s[0:1], 0x1bc
	;; [unrolled: 1-line block ×3, first 2 shown]
	s_load_b64 s[38:39], s[0:1], 0x6c
	s_load_b64 s[10:11], s[0:1], 0x1b0
	s_mov_b32 s27, 0
	s_load_b64 s[34:35], s[0:1], 0x144
	s_mov_b32 s15, s27
	s_wait_kmcnt 0x0
	s_cvt_f32_u32 s2, s54
	s_cvt_f32_u32 s3, s5
	;; [unrolled: 1-line block ×3, first 2 shown]
	s_sub_co_i32 s13, 0, s5
	v_rcp_iflag_f32_e32 v1, s2
	v_rcp_iflag_f32_e32 v2, s3
	;; [unrolled: 1-line block ×3, first 2 shown]
	s_sub_co_i32 s9, 0, s54
	s_load_b64 s[2:3], s[0:1], 0x21c
	s_sub_co_i32 s12, 0, s33
	s_delay_alu instid0(TRANS32_DEP_3) | instskip(NEXT) | instid1(TRANS32_DEP_2)
	v_readfirstlane_b32 s4, v1
	v_readfirstlane_b32 s7, v2
	s_delay_alu instid0(TRANS32_DEP_1)
	v_readfirstlane_b32 s8, v3
	v_mov_b32_e32 v3, 0
	s_mul_f32 s4, s4, 0x4f7ffffe
	s_mul_f32 s7, s7, 0x4f7ffffe
	;; [unrolled: 1-line block ×3, first 2 shown]
	s_wait_alu 0xfffe
	s_cvt_u32_f32 s4, s4
	s_cvt_u32_f32 s7, s7
	;; [unrolled: 1-line block ×3, first 2 shown]
	s_wait_alu 0xfffe
	s_mul_i32 s9, s9, s4
	s_mul_i32 s13, s13, s7
	s_mul_hi_u32 s9, s4, s9
	s_mul_hi_u32 s13, s7, s13
	s_mul_i32 s12, s12, s8
	s_add_co_i32 s7, s7, s13
	s_add_co_i32 s4, s4, s9
	s_mul_hi_u32 s7, s26, s7
	s_mul_hi_u32 s12, s8, s12
	s_mul_i32 s9, s7, s5
	s_add_co_i32 s8, s8, s12
	s_sub_co_i32 s9, s26, s9
	s_add_co_i32 s12, s7, 1
	s_sub_co_i32 s13, s9, s5
	s_cmp_ge_u32 s9, s5
	s_cselect_b32 s7, s12, s7
	s_cselect_b32 s9, s13, s9
	s_add_co_i32 s14, s7, 1
	s_cmp_ge_u32 s9, s5
	s_add_nc_u64 s[12:13], s[0:1], 0x298
	s_cselect_b32 s7, s14, s7
	s_delay_alu instid0(SALU_CYCLE_1)
	s_mul_i32 s9, s7, s5
	s_wait_kmcnt 0x0
	s_mul_i32 s2, s7, s2
	s_sub_co_i32 s9, s26, s9
	s_mov_b32 s5, s27
	s_mul_i32 s9, s9, s3
	s_wait_alu 0xfffe
	s_add_co_i32 s14, s2, s9
	v_cmp_gt_u32_e64 s2, s28, v0
	s_lshl_b64 s[14:15], s[14:15], 1
	s_mov_b32 s9, s27
	s_add_nc_u64 s[36:37], s[10:11], s[14:15]
	s_and_saveexec_b32 s7, s2
	s_cbranch_execz .LBB137_5
; %bb.2:
	s_load_b32 s3, s[12:13], 0xc
	v_mov_b32_e32 v2, 0
	v_mul_lo_u32 v1, v0, s30
	v_mov_b32_e32 v4, v0
	s_mov_b32 s11, s27
	s_delay_alu instid0(VALU_DEP_3) | instskip(SKIP_2) | instid1(SALU_CYCLE_1)
	v_mov_b32_e32 v3, v2
	s_wait_kmcnt 0x0
	s_and_b32 s10, s3, 0xffff
	s_mul_i32 s14, s30, s10
.LBB137_3:                              ; =>This Inner Loop Header: Depth=1
	s_delay_alu instid0(VALU_DEP_3) | instskip(SKIP_2) | instid1(VALU_DEP_3)
	v_lshlrev_b64_e32 v[5:6], 1, v[1:2]
	v_add_nc_u32_e32 v4, s10, v4
	v_add_nc_u32_e32 v1, s14, v1
	v_add_co_u32 v5, vcc_lo, s36, v5
	s_wait_alu 0xfffd
	s_delay_alu instid0(VALU_DEP_4)
	v_add_co_ci_u32_e64 v6, null, s37, v6, vcc_lo
	v_cmp_le_u32_e32 vcc_lo, s28, v4
	global_load_u16 v5, v[5:6], off
	s_or_b32 s11, vcc_lo, s11
	s_wait_loadcnt 0x0
	v_lshlrev_b32_e32 v5, 16, v5
	s_delay_alu instid0(VALU_DEP_1) | instskip(SKIP_1) | instid1(VALU_DEP_1)
	v_cmp_u_f32_e64 s3, v5, v5
	s_wait_alu 0xf1ff
	v_add_co_ci_u32_e64 v3, null, 0, v3, s3
	s_wait_alu 0xfffe
	s_and_not1_b32 exec_lo, exec_lo, s11
	s_cbranch_execnz .LBB137_3
; %bb.4:
	s_or_b32 exec_lo, exec_lo, s11
.LBB137_5:
	s_delay_alu instid0(SALU_CYCLE_1)
	s_or_b32 exec_lo, exec_lo, s7
	s_clause 0x1
	s_load_b64 s[40:41], s[0:1], 0xd8
	s_load_b64 s[42:43], s[0:1], 0x0
	v_cmp_eq_u32_e64 s0, 0, v0
	s_mul_u64 s[44:45], s[26:27], s[4:5]
	s_mul_u64 s[24:25], s[26:27], s[8:9]
	s_and_saveexec_b32 s1, s0
; %bb.6:
	v_mov_b32_e32 v1, 0
	s_delay_alu instid0(VALU_DEP_1)
	v_mov_b32_e32 v2, v1
	ds_store_b64 v1, v[1:2] offset:4096
; %bb.7:
	s_or_b32 exec_lo, exec_lo, s1
	s_delay_alu instid0(SALU_CYCLE_1)
	s_mov_b32 s1, exec_lo
	s_wait_dscnt 0x0
	s_barrier_signal -1
	s_barrier_wait -1
	global_inv scope:SCOPE_SE
	v_cmpx_ne_u32_e32 0, v3
	s_cbranch_execz .LBB137_12
; %bb.8:
	v_mov_b32_e32 v1, 0
	s_mov_b32 s3, exec_lo
	s_mov_b64 s[4:5], 0
.LBB137_9:                              ; =>This Inner Loop Header: Depth=1
	s_wait_alu 0xfffe
	s_ctz_i32_b32 s7, s3
	s_wait_alu 0xfffe
	v_readlane_b32 s9, v1, s7
	v_readlane_b32 s8, v3, s7
	s_lshl_b32 s7, 1, s7
	s_wait_alu 0xfffe
	s_and_not1_b32 s3, s3, s7
	s_wait_alu 0xfffe
	s_cmp_lg_u32 s3, 0
	s_add_nc_u64 s[4:5], s[4:5], s[8:9]
	s_cbranch_scc1 .LBB137_9
; %bb.10:
	v_mbcnt_lo_u32_b32 v1, exec_lo, 0
	s_mov_b32 s3, exec_lo
	s_delay_alu instid0(VALU_DEP_1)
	v_cmpx_eq_u32_e32 0, v1
	s_wait_alu 0xfffe
	s_xor_b32 s3, exec_lo, s3
; %bb.11:
	v_mov_b32_e32 v1, s4
	v_dual_mov_b32 v3, 0 :: v_dual_mov_b32 v2, s5
	ds_add_u64 v3, v[1:2] offset:4096
.LBB137_12:
	s_or_b32 exec_lo, exec_lo, s1
	v_mov_b32_e32 v1, 0
	s_wait_loadcnt_dscnt 0x0
	s_barrier_signal -1
	s_barrier_wait -1
	global_inv scope:SCOPE_SE
	ds_load_b64 v[1:2], v1 offset:4096
	s_bitcmp1_b32 s31, 0
	s_mov_b32 s11, s28
	s_cselect_b32 s3, -1, 0
	s_wait_dscnt 0x0
	v_readfirstlane_b32 s4, v1
	v_readfirstlane_b32 s5, v2
	s_wait_alu 0xf1ff
	s_delay_alu instid0(VALU_DEP_1) | instskip(SKIP_2) | instid1(SALU_CYCLE_1)
	v_cmp_lt_i64_e64 s1, s[4:5], 1
	s_wait_alu 0xfffe
	s_or_b32 s1, s3, s1
	s_and_not1_b32 vcc_lo, exec_lo, s1
	s_wait_alu 0xfffe
	s_cbranch_vccnz .LBB137_14
; %bb.13:
	s_not_b64 s[4:5], s[4:5]
	s_mov_b32 s29, 0
	s_wait_alu 0xfffe
	s_add_nc_u64 s[4:5], s[4:5], s[28:29]
	s_mov_b32 s9, s29
	s_wait_alu 0xfffe
	s_lshr_b32 s8, s5, 31
	s_delay_alu instid0(SALU_CYCLE_1)
	s_add_nc_u64 s[4:5], s[4:5], s[8:9]
	s_wait_alu 0xfffe
	s_lshr_b64 s[4:5], s[4:5], 1
	s_wait_alu 0xfffe
	s_add_co_i32 s11, s4, 1
.LBB137_14:
	s_and_saveexec_b32 s1, s0
	s_cbranch_execz .LBB137_16
; %bb.15:
	v_dual_mov_b32 v1, 0 :: v_dual_mov_b32 v2, s28
	ds_store_b32 v1, v1 offset:4112
	ds_store_b64 v1, v[1:2] offset:4104
.LBB137_16:
	s_or_b32 exec_lo, exec_lo, s1
	s_wait_loadcnt_dscnt 0x0
	s_barrier_signal -1
	s_barrier_wait -1
	global_inv scope:SCOPE_SE
	s_load_b32 s5, s[12:13], 0xc
	v_dual_mov_b32 v7, 0 :: v_dual_lshlrev_b32 v14, 2, v0
	v_mbcnt_lo_u32_b32 v15, -1, 0
	v_mul_lo_u32 v5, s30, v0
	v_cmp_gt_u32_e32 vcc_lo, 32, v0
	v_dual_mov_b32 v35, s11 :: v_dual_lshlrev_b32 v16, 1, v0
	s_delay_alu instid0(VALU_DEP_4) | instskip(SKIP_2) | instid1(VALU_DEP_4)
	v_cmp_gt_i32_e64 s4, 4, v15
	v_mov_b32_e32 v6, v7
	v_lshlrev_b64_e64 v[3:4], v15, -1
	v_dual_mov_b32 v34, 0 :: v_dual_add_nc_u32 v17, 0xc00, v16
	s_and_b32 s29, vcc_lo, s4
	s_delay_alu instid0(VALU_DEP_3) | instskip(SKIP_1) | instid1(VALU_DEP_3)
	v_lshlrev_b64_e32 v[1:2], 1, v[5:6]
	s_mov_b32 s31, s30
	v_not_b32_e32 v18, v3
	s_wait_alu 0xfffe
	v_mad_co_u64_u32 v[12:13], null, s30, v14, s[30:31]
	v_cmp_gt_u32_e64 s1, 2, v0
	s_wait_kmcnt 0x0
	s_and_b32 s27, s5, 0xffff
	s_bfe_u32 s4, s5, 0xb0005
	s_lshl_b32 s55, s27, 2
	s_add_co_i32 s44, s27, -1
	s_cvt_f32_u32 s5, s55
	s_add_co_i32 s10, s44, s28
	v_add_co_u32 v8, vcc_lo, s36, v1
	s_wait_alu 0xfffe
	v_rcp_iflag_f32_e32 v3, s5
	s_cmp_gt_u32 s28, 0x600
	s_wait_alu 0xfffd
	v_add_co_ci_u32_e64 v9, null, s37, v2, vcc_lo
	v_lshrrev_b32_e32 v2, 1, v0
	s_cselect_b32 s56, -1, 0
	s_cmp_gt_u32 s27, 31
	s_movk_i32 s5, 0x1f0
	s_cselect_b32 s58, -1, 0
	s_cmp_lt_u32 ttmp9, s6
	s_wait_alu 0xfffe
	v_and_or_b32 v19, v2, s5, 0xc00
	s_cselect_b32 s46, 12, 18
	s_add_co_i32 s5, s4, -1
	v_readfirstlane_b32 s6, v3
	s_wait_alu 0xfffe
	s_and_b32 s5, s5, 0xffff
	s_bfe_u32 s59, s27, 0x30005
	s_wait_alu 0xfffe
	s_cmp_gt_u32 s5, 6
	s_cvt_f32_u32 s5, s27
	s_cselect_b32 s60, -1, 0
	s_and_b32 s61, s4, 0x7f8
	s_mul_f32 s4, s6, 0x4f7ffffe
	s_cmp_lg_u32 s59, 0
	s_wait_alu 0xfffe
	v_rcp_iflag_f32_e32 v4, s5
	s_cselect_b32 s62, -1, 0
	s_cvt_u32_f32 s4, s4
	s_sub_co_i32 s6, 0, s55
	v_add_nc_u32_e32 v1, 2, v0
	v_mov_b32_e32 v31, 0x8000
	s_wait_alu 0xfffe
	s_mul_i32 s6, s6, s4
	v_mov_b32_e32 v13, 0
	s_wait_alu 0xfffe
	s_mul_hi_u32 s5, s4, s6
	v_max_u32_e32 v1, s28, v1
	s_wait_alu 0xfffe
	s_add_co_i32 s48, s4, s5
	v_readfirstlane_b32 s6, v4
	s_mul_hi_u32 s5, s28, s48
	v_mov_b32_e32 v32, 0
	s_wait_alu 0xfffe
	s_mul_i32 s5, s5, s55
	v_xad_u32 v1, v0, -1, v1
	s_wait_alu 0xfffe
	s_sub_co_i32 s5, s28, s5
	s_mul_f32 s6, s6, 0x4f7ffffe
	s_wait_alu 0xfffe
	s_sub_co_i32 s7, s5, s55
	s_cmp_ge_u32 s5, s55
	v_add_nc_u32_e32 v2, -2, v1
	s_wait_alu 0xfffe
	s_cselect_b32 s7, s7, s5
	s_cvt_u32_f32 s6, s6
	s_wait_alu 0xfffe
	s_sub_co_i32 s8, s7, s55
	s_cmp_ge_u32 s7, s55
	v_and_b32_e32 v20, -2, v1
	s_cselect_b32 s14, s8, s7
	s_sub_co_i32 s7, 0, s27
	s_wait_alu 0xfffe
	s_sub_co_i32 s63, s28, s14
	s_mul_i32 s7, s7, s6
	v_add_nc_u32_e32 v22, s63, v0
	s_wait_alu 0xfffe
	s_mul_hi_u32 s7, s6, s7
	v_lshrrev_b32_e32 v3, 1, v2
	s_wait_alu 0xfffe
	s_add_co_i32 s50, s6, s7
	v_cmp_lt_u32_e64 s4, 31, v1
	v_mul_lo_u32 v6, v22, s30
	s_mul_hi_u32 s7, s10, s50
	v_cmp_lt_u32_e64 s5, 13, v2
	s_wait_alu 0xfffe
	s_mul_i32 s8, s7, s27
	v_cmp_ne_u32_e64 s7, v1, v20
	s_sub_co_i32 s9, s10, s8
	v_add_nc_u32_e32 v3, 1, v3
	s_sub_co_i32 s15, s9, s27
	v_lshlrev_b64_e32 v[1:2], 1, v[6:7]
	s_cmp_ge_u32 s9, s27
	v_cmp_eq_u32_e64 s3, 0, v15
	s_wait_alu 0xfffe
	s_cselect_b32 s15, s15, s9
	v_dual_mov_b32 v33, 0 :: v_dual_and_b32 v4, 7, v3
	v_add_co_u32 v10, vcc_lo, s36, v1
	v_add3_u32 v1, s27, s28, v0
	v_and_b32_e32 v23, -8, v3
	s_wait_alu 0xfffd
	v_add_co_ci_u32_e64 v11, null, s37, v2, vcc_lo
	v_or_b32_e32 v2, 2, v14
	v_or_b32_e32 v3, 3, v14
	v_subrev_nc_u32_e32 v1, s14, v1
	s_wait_alu 0xfffe
	s_sub_co_i32 s16, s15, s27
	s_cmp_ge_u32 s15, s27
	v_mul_lo_u32 v25, s30, v2
	s_cselect_b32 s15, s16, s15
	v_mul_lo_u32 v26, s30, v3
	v_mul_lo_u32 v28, s30, v1
	s_wait_alu 0xfffe
	s_sub_co_i32 s64, s10, s15
	v_add_nc_u32_e32 v21, v0, v20
	v_cmp_ne_u32_e64 s6, 0, v4
	v_cmp_gt_u32_e64 s8, s63, v14
	v_cmp_gt_u32_e64 s9, s28, v22
	;; [unrolled: 1-line block ×3, first 2 shown]
	v_lshlrev_b32_e32 v24, 2, v4
	v_lshlrev_b32_e32 v27, 2, v5
	;; [unrolled: 1-line block ×3, first 2 shown]
	v_lshl_or_b32 v30, v15, 2, 0xc00
	s_mov_b32 s47, 0
	s_mul_i32 s57, s30, s27
	s_mov_b32 s49, s47
	s_mov_b32 s51, s47
	s_lshl_b32 s65, s57, 2
	s_lshl_b32 s66, s27, 3
	;; [unrolled: 1-line block ×3, first 2 shown]
	s_mov_b32 s76, 14
	s_add_nc_u64 s[52:53], s[12:13], s[46:47]
	s_movk_i32 s69, 0x3f80
	s_mov_b32 s68, 0
                                        ; implicit-def: $sgpr73
                                        ; implicit-def: $sgpr75
                                        ; implicit-def: $sgpr70
                                        ; implicit-def: $sgpr72
                                        ; implicit-def: $sgpr74
                                        ; implicit-def: $sgpr71
	s_branch .LBB137_20
.LBB137_17:                             ;   in Loop: Header=BB137_20 Depth=1
	s_wait_alu 0xfffe
	s_or_b32 exec_lo, exec_lo, s15
	s_delay_alu instid0(SALU_CYCLE_1)
	s_and_b32 s12, s12, exec_lo
	s_and_not1_b32 s17, s17, exec_lo
	s_and_not1_b32 s16, s16, exec_lo
	s_or_not1_b32 s14, s14, exec_lo
.LBB137_18:                             ;   in Loop: Header=BB137_20 Depth=1
	s_wait_alu 0xfffe
	s_or_b32 exec_lo, exec_lo, s11
	s_delay_alu instid0(SALU_CYCLE_1)
	s_and_not1_b32 s11, s71, exec_lo
	s_and_b32 s12, s12, exec_lo
	s_and_not1_b32 s15, s72, exec_lo
	s_wait_alu 0xfffe
	s_or_b32 s71, s11, s12
	s_and_not1_b32 s11, s74, exec_lo
	s_and_b32 s12, s17, exec_lo
	s_and_b32 s16, s16, exec_lo
	s_wait_alu 0xfffe
	s_or_b32 s74, s11, s12
	s_or_b32 s72, s15, s16
	s_or_not1_b32 s15, s14, exec_lo
.LBB137_19:                             ;   in Loop: Header=BB137_20 Depth=1
	s_wait_alu 0xfffe
	s_or_b32 exec_lo, exec_lo, s13
	s_delay_alu instid0(SALU_CYCLE_1)
	s_and_b32 s11, exec_lo, s15
	v_mov_b32_e32 v35, v2
	s_wait_alu 0xfffe
	s_or_b32 s68, s11, s68
	s_and_not1_b32 s11, s70, exec_lo
	s_and_b32 s12, s71, exec_lo
	s_and_not1_b32 s13, s75, exec_lo
	s_wait_alu 0xfffe
	s_or_b32 s70, s11, s12
	s_and_b32 s11, s74, exec_lo
	s_and_not1_b32 s12, s73, exec_lo
	s_and_b32 s14, s72, exec_lo
	s_wait_alu 0xfffe
	s_or_b32 s75, s13, s11
	s_or_b32 s73, s12, s14
	s_mov_b32 s76, s22
	s_and_not1_b32 exec_lo, exec_lo, s68
	s_cbranch_execz .LBB137_255
.LBB137_20:                             ; =>This Loop Header: Depth=1
                                        ;     Child Loop BB137_25 Depth 2
                                        ;     Child Loop BB137_46 Depth 2
	;; [unrolled: 1-line block ×18, first 2 shown]
	ds_load_b64 v[1:2], v7 offset:4104
	s_wait_dscnt 0x0
	v_readfirstlane_b32 s46, v1
	s_cmp_lg_u32 s46, 0
	s_cbranch_scc1 .LBB137_65
; %bb.21:                               ;   in Loop: Header=BB137_20 Depth=1
	s_and_b32 vcc_lo, exec_lo, s56
	s_wait_alu 0xfffe
	s_cbranch_vccz .LBB137_33
; %bb.22:                               ;   in Loop: Header=BB137_20 Depth=1
	v_cmp_gt_u32_e32 vcc_lo, 0x601, v2
	s_mov_b32 s13, 0
	s_mov_b32 s11, 0
	s_cbranch_vccz .LBB137_34
; %bb.23:                               ;   in Loop: Header=BB137_20 Depth=1
	global_load_u16 v1, v[8:9], off
	s_load_u16 s14, s[52:53], 0x0
	s_mov_b32 s15, 0
	s_wait_kmcnt 0x0
	v_add_nc_u32_e32 v2, s14, v0
	s_mul_i32 s16, s30, s14
	s_delay_alu instid0(VALU_DEP_1)
	v_mul_lo_u32 v6, s30, v2
	v_mov_b32_e32 v2, v0
	s_branch .LBB137_25
.LBB137_24:                             ;   in Loop: Header=BB137_25 Depth=2
	s_wait_alu 0xfffe
	s_or_b32 exec_lo, exec_lo, s12
	v_dual_mov_b32 v1, v3 :: v_dual_add_nc_u32 v6, s16, v6
	s_and_not1_b32 exec_lo, exec_lo, s15
	s_cbranch_execz .LBB137_40
.LBB137_25:                             ;   Parent Loop BB137_20 Depth=1
                                        ; =>  This Inner Loop Header: Depth=2
	s_delay_alu instid0(VALU_DEP_1) | instskip(SKIP_3) | instid1(VALU_DEP_2)
	v_dual_mov_b32 v3, 0 :: v_dual_add_nc_u32 v2, s14, v2
	s_wait_dscnt 0x0
	v_mov_b32_e32 v4, 0
	s_mov_b32 s12, exec_lo
	v_cmp_le_u32_e32 vcc_lo, s28, v2
	v_cmpx_gt_u32_e64 s28, v2
	s_cbranch_execz .LBB137_27
; %bb.26:                               ;   in Loop: Header=BB137_25 Depth=2
	v_lshlrev_b64_e32 v[36:37], 1, v[6:7]
	s_delay_alu instid0(VALU_DEP_1) | instskip(SKIP_1) | instid1(VALU_DEP_2)
	v_add_co_u32 v36, s11, s36, v36
	s_wait_alu 0xf1ff
	v_add_co_ci_u32_e64 v37, null, s37, v37, s11
	global_load_u16 v3, v[36:37], off
.LBB137_27:                             ;   in Loop: Header=BB137_25 Depth=2
	s_wait_alu 0xfffe
	s_or_b32 exec_lo, exec_lo, s12
	s_wait_loadcnt 0x0
	v_cmp_lt_i16_e64 s11, -1, v1
	v_and_b32_e32 v36, 0xffff, v1
	v_lshlrev_b32_e32 v38, 16, v1
	s_wait_alu 0xf1ff
	s_delay_alu instid0(VALU_DEP_3) | instskip(NEXT) | instid1(VALU_DEP_2)
	v_cndmask_b32_e64 v37, 0xffff, v31, s11
	v_cmp_o_f32_e64 s11, v38, v38
	s_delay_alu instid0(VALU_DEP_2) | instskip(SKIP_1) | instid1(VALU_DEP_1)
	v_xor_b32_e32 v36, v37, v36
	s_wait_alu 0xf1ff
	v_cndmask_b32_e64 v36, 0xffff, v36, s11
	s_delay_alu instid0(VALU_DEP_1) | instskip(NEXT) | instid1(VALU_DEP_1)
	v_and_b32_e32 v36, v36, v33
	v_cmp_eq_u32_e64 s11, v36, v13
	s_cmp_lg_u32 s11, 0
	s_cselect_b32 s12, -1, 0
	s_wait_alu 0xfffe
	s_and_b32 s12, s3, s12
	s_wait_alu 0xfffe
	s_and_saveexec_b32 s17, s12
	s_cbranch_execz .LBB137_31
; %bb.28:                               ;   in Loop: Header=BB137_25 Depth=2
	s_mov_b32 s20, exec_lo
	s_bcnt1_i32_b32 s18, s11
	s_wait_alu 0xfffe
	v_mbcnt_lo_u32_b32 v4, s20, 0
	s_mov_b32 s19, exec_lo
                                        ; implicit-def: $vgpr36
	s_delay_alu instid0(VALU_DEP_1)
	v_cmpx_eq_u32_e32 0, v4
; %bb.29:                               ;   in Loop: Header=BB137_25 Depth=2
	s_bcnt1_i32_b32 s12, s20
	s_wait_alu 0xfffe
	s_mul_i32 s12, s18, s12
	s_wait_alu 0xfffe
	v_mov_b32_e32 v36, s12
	ds_add_rtn_u32 v36, v7, v36 offset:4112
; %bb.30:                               ;   in Loop: Header=BB137_25 Depth=2
	s_or_b32 exec_lo, exec_lo, s19
	s_wait_dscnt 0x0
	v_readfirstlane_b32 s12, v36
	s_wait_alu 0xf1ff
	s_delay_alu instid0(VALU_DEP_1)
	v_mad_u32_u24 v4, s18, v4, s12
.LBB137_31:                             ;   in Loop: Header=BB137_25 Depth=2
	s_wait_alu 0xfffe
	s_or_b32 exec_lo, exec_lo, s17
	ds_bpermute_b32 v4, v7, v4
	s_and_b32 s12, exec_lo, vcc_lo
	s_wait_alu 0xfffe
	s_or_b32 s15, s12, s15
	s_and_saveexec_b32 s12, s11
	s_cbranch_execz .LBB137_24
; %bb.32:                               ;   in Loop: Header=BB137_25 Depth=2
	v_and_b32_e32 v36, s11, v18
	s_delay_alu instid0(VALU_DEP_1) | instskip(NEXT) | instid1(VALU_DEP_1)
	v_bcnt_u32_b32 v36, v36, 0
	v_lshlrev_b32_e32 v36, 1, v36
	s_wait_dscnt 0x0
	s_delay_alu instid0(VALU_DEP_1)
	v_lshl_add_u32 v4, v4, 1, v36
	ds_store_b16 v4, v1
	s_branch .LBB137_24
.LBB137_33:                             ;   in Loop: Header=BB137_20 Depth=1
	s_mov_b32 s13, -1
	s_mov_b32 s11, 0
.LBB137_34:                             ;   in Loop: Header=BB137_20 Depth=1
	s_wait_alu 0xfffe
	s_and_b32 vcc_lo, exec_lo, s13
	s_wait_alu 0xfffe
	s_cbranch_vccz .LBB137_63
.LBB137_35:                             ;   in Loop: Header=BB137_20 Depth=1
	s_and_saveexec_b32 s12, s2
	s_cbranch_execz .LBB137_60
; %bb.36:                               ;   in Loop: Header=BB137_20 Depth=1
	global_load_u16 v36, v[8:9], off
	s_load_u16 s14, s[52:53], 0x0
	v_mov_b32_e32 v3, v0
	s_mov_b32 s13, exec_lo
	s_wait_kmcnt 0x0
	v_add_nc_u32_e32 v1, s14, v0
	s_delay_alu instid0(VALU_DEP_1)
	v_cmpx_gt_u32_e64 s28, v1
	s_cbranch_execz .LBB137_59
; %bb.37:                               ;   in Loop: Header=BB137_20 Depth=1
	s_mov_b32 s11, 0
	s_mul_i32 s15, s30, s14
                                        ; implicit-def: $vgpr3
                                        ; implicit-def: $vgpr2
                                        ; implicit-def: $vgpr4
	s_and_saveexec_b32 s16, s4
	s_wait_alu 0xfffe
	s_xor_b32 s16, exec_lo, s16
	s_cbranch_execnz .LBB137_43
; %bb.38:                               ;   in Loop: Header=BB137_20 Depth=1
	s_wait_alu 0xfffe
	s_and_not1_saveexec_b32 s16, s16
	s_cbranch_execnz .LBB137_54
.LBB137_39:                             ;   in Loop: Header=BB137_20 Depth=1
	s_wait_alu 0xfffe
	s_or_b32 exec_lo, exec_lo, s16
	s_and_saveexec_b32 s15, s11
	s_cbranch_execnz .LBB137_55
	s_branch .LBB137_58
.LBB137_40:                             ;   in Loop: Header=BB137_20 Depth=1
	s_or_b32 exec_lo, exec_lo, s15
	s_wait_dscnt 0x0
	s_barrier_signal -1
	s_barrier_wait -1
	global_inv scope:SCOPE_SE
	s_and_saveexec_b32 s11, s0
	s_cbranch_execz .LBB137_42
; %bb.41:                               ;   in Loop: Header=BB137_20 Depth=1
	ds_load_b32 v1, v7 offset:4112
	s_wait_dscnt 0x0
	ds_store_b32 v7, v1 offset:4104
.LBB137_42:                             ;   in Loop: Header=BB137_20 Depth=1
	s_wait_alu 0xfffe
	s_or_b32 exec_lo, exec_lo, s11
	s_wait_loadcnt_dscnt 0x0
	s_barrier_signal -1
	s_mov_b32 s11, -1
	s_barrier_wait -1
	s_and_b32 vcc_lo, exec_lo, s13
	s_wait_alu 0xfffe
	s_cbranch_vccnz .LBB137_35
	s_branch .LBB137_63
.LBB137_43:                             ;   in Loop: Header=BB137_20 Depth=1
	v_add_nc_u32_e32 v2, s14, v1
	s_cvt_f32_u32 s11, s14
	s_wait_alu 0xfffe
	s_delay_alu instid0(SALU_CYCLE_2) | instskip(NEXT) | instid1(VALU_DEP_1)
	v_rcp_iflag_f32_e32 v3, s11
	v_max_u32_e32 v2, s28, v2
	s_lshl_b32 s11, s14, 1
	s_delay_alu instid0(VALU_DEP_1) | instskip(NEXT) | instid1(TRANS32_DEP_1)
	v_sub_nc_u32_e32 v2, v2, v0
	v_readfirstlane_b32 s17, v3
	s_wait_alu 0xfffe
	s_delay_alu instid0(VALU_DEP_2) | instskip(SKIP_3) | instid1(VALU_DEP_1)
	v_cmp_ne_u32_e32 vcc_lo, s11, v2
	s_mul_f32 s17, s17, 0x4f7ffffe
	s_wait_alu 0xfffd
	v_cndmask_b32_e64 v3, 0, 1, vcc_lo
	v_or_b32_e32 v3, s11, v3
	s_wait_alu 0xfffe
	s_cvt_u32_f32 s11, s17
	s_sub_co_i32 s17, 0, s14
	s_wait_alu 0xfffe
	s_delay_alu instid0(SALU_CYCLE_1)
	s_mul_i32 s17, s17, s11
	v_sub_nc_u32_e32 v2, v2, v3
	s_wait_alu 0xfffe
	s_mul_hi_u32 s17, s11, s17
	s_wait_alu 0xfffe
	s_add_co_i32 s11, s11, s17
	s_not_b32 s17, s15
	s_wait_alu 0xfffe
	v_mul_hi_u32 v3, v2, s11
	s_delay_alu instid0(VALU_DEP_1) | instskip(NEXT) | instid1(VALU_DEP_1)
	v_mul_lo_u32 v4, v3, s14
	v_sub_nc_u32_e32 v2, v2, v4
	v_add_nc_u32_e32 v4, 1, v3
	s_delay_alu instid0(VALU_DEP_2) | instskip(SKIP_2) | instid1(VALU_DEP_1)
	v_subrev_nc_u32_e32 v6, s14, v2
	v_cmp_le_u32_e64 s11, s14, v2
	s_wait_alu 0xf1ff
	v_cndmask_b32_e64 v3, v3, v4, s11
	s_delay_alu instid0(VALU_DEP_3) | instskip(NEXT) | instid1(VALU_DEP_2)
	v_cndmask_b32_e64 v2, v2, v6, s11
	v_add_nc_u32_e32 v4, 1, v3
	s_delay_alu instid0(VALU_DEP_2) | instskip(SKIP_1) | instid1(VALU_DEP_1)
	v_cmp_le_u32_e64 s11, s14, v2
	s_wait_alu 0xf1ff
	v_cndmask_b32_e64 v2, v3, v4, s11
	v_mul_lo_u32 v3, s30, v1
	s_abs_i32 s11, s15
	s_delay_alu instid0(VALU_DEP_2) | instskip(SKIP_1) | instid1(VALU_DEP_1)
	v_add_co_ci_u32_e64 v2, null, 0, v2, vcc_lo
	s_wait_alu 0xfffe
	v_mul_hi_u32 v4, s11, v2
	v_mul_lo_u32 v2, s11, v2
	s_ashr_i32 s11, s17, 31
	s_cmp_eq_u32 s14, 1
	s_wait_alu 0xfffe
	v_xor_b32_e32 v3, s11, v3
	s_cselect_b32 s17, -1, 0
	s_delay_alu instid0(VALU_DEP_3) | instskip(NEXT) | instid1(VALU_DEP_2)
	v_cmp_eq_u32_e32 vcc_lo, 0, v4
	v_cmp_le_u32_e64 s11, v2, v3
	v_mov_b32_e32 v2, v0
                                        ; implicit-def: $vgpr3
	s_wait_alu 0xfffe
	s_and_b32 s17, vcc_lo, s17
	s_wait_alu 0xfffe
	s_and_b32 s18, s17, s11
	s_mov_b32 s17, -1
	s_wait_alu 0xfffe
	s_and_saveexec_b32 s11, s18
	s_cbranch_execz .LBB137_53
; %bb.44:                               ;   in Loop: Header=BB137_20 Depth=1
	v_add_nc_u32_e32 v2, 1, v1
	s_wait_loadcnt 0x0
	v_dual_mov_b32 v6, 0 :: v_dual_lshlrev_b32 v39, 16, v36
                                        ; implicit-def: $vgpr36
	s_delay_alu instid0(VALU_DEP_2)
	v_dual_mov_b32 v4, v2 :: v_dual_mov_b32 v3, v1
	s_and_saveexec_b32 s17, s5
	s_cbranch_execz .LBB137_48
; %bb.45:                               ;   in Loop: Header=BB137_20 Depth=1
	v_dual_mov_b32 v37, v23 :: v_dual_mov_b32 v38, v16
	v_dual_mov_b32 v4, v2 :: v_dual_mov_b32 v3, v1
	s_mov_b32 s18, 0
	s_mov_b32 s19, 0
.LBB137_46:                             ;   Parent Loop BB137_20 Depth=1
                                        ; =>  This Inner Loop Header: Depth=2
	s_delay_alu instid0(VALU_DEP_1) | instskip(NEXT) | instid1(VALU_DEP_2)
	v_add_nc_u32_e32 v2, 2, v4
	v_mul_lo_u32 v6, v3, s30
	v_add_nc_u32_e32 v36, 4, v4
	v_mul_lo_u32 v41, v4, s31
	v_mov_b32_e32 v42, v7
	v_lshrrev_b32_e32 v40, 16, v39
	v_add_nc_u32_e32 v39, 6, v4
	v_mul_lo_u32 v43, v2, s31
	v_dual_mov_b32 v44, v7 :: v_dual_add_nc_u32 v49, 8, v4
	v_mul_lo_u32 v45, v36, s31
	v_dual_mov_b32 v46, v7 :: v_dual_add_nc_u32 v51, 10, v4
	v_mul_lo_u32 v47, v39, s31
	v_lshlrev_b64_e32 v[53:54], 1, v[6:7]
	v_mul_lo_u32 v49, v49, s31
	v_lshlrev_b64_e32 v[41:42], 1, v[41:42]
	v_dual_mov_b32 v48, v7 :: v_dual_add_nc_u32 v39, 6, v3
	v_mul_lo_u32 v51, v51, s31
	v_lshlrev_b64_e32 v[43:44], 1, v[43:44]
	v_dual_mov_b32 v50, v7 :: v_dual_add_nc_u32 v55, 8, v3
	v_lshlrev_b64_e32 v[45:46], 1, v[45:46]
	v_add_co_u32 v53, vcc_lo, s36, v53
	v_dual_mov_b32 v52, v7 :: v_dual_add_nc_u32 v57, 10, v3
	v_lshlrev_b64_e32 v[47:48], 1, v[47:48]
	s_wait_alu 0xfffd
	v_add_co_ci_u32_e64 v54, null, s37, v54, vcc_lo
	v_add_co_u32 v41, vcc_lo, s36, v41
	v_lshlrev_b64_e32 v[49:50], 1, v[49:50]
	s_wait_alu 0xfffd
	v_add_co_ci_u32_e64 v42, null, s37, v42, vcc_lo
	v_add_co_u32 v43, vcc_lo, s36, v43
	;; [unrolled: 4-line block ×3, first 2 shown]
	s_wait_alu 0xfffd
	v_add_co_ci_u32_e64 v46, null, s37, v46, vcc_lo
	v_add_co_u32 v47, vcc_lo, s36, v47
	s_wait_alu 0xfffd
	v_add_co_ci_u32_e64 v48, null, s37, v48, vcc_lo
	v_add_co_u32 v49, vcc_lo, s36, v49
	;; [unrolled: 3-line block ×3, first 2 shown]
	s_wait_alu 0xfffd
	v_add_co_ci_u32_e64 v52, null, s37, v52, vcc_lo
	s_clause 0x6
	global_load_d16_hi_b16 v40, v[53:54], off
	global_load_u16 v41, v[41:42], off
	global_load_u16 v42, v[43:44], off
	;; [unrolled: 1-line block ×6, first 2 shown]
	v_add_nc_u32_e32 v2, 2, v3
	v_add_nc_u32_e32 v6, 12, v4
	v_dual_mov_b32 v50, v7 :: v_dual_add_nc_u32 v49, 14, v4
	v_add_nc_u32_e32 v36, 4, v3
	v_dual_mov_b32 v48, v7 :: v_dual_add_nc_u32 v59, 12, v3
	s_delay_alu instid0(VALU_DEP_4)
	v_mul_lo_u32 v47, v6, s31
	v_mul_lo_u32 v6, v2, s30
	;; [unrolled: 1-line block ×3, first 2 shown]
	s_wait_alu 0xfffe
	s_add_co_i32 s19, s19, 16
	v_add_nc_u32_e32 v61, 14, v3
	v_add_nc_u32_e32 v37, -8, v37
	v_add_nc_u32_e32 v4, 16, v4
	v_add_nc_u32_e32 v3, 16, v3
	v_lshlrev_b64_e32 v[47:48], 1, v[47:48]
	v_lshlrev_b64_e32 v[51:52], 1, v[6:7]
	v_mul_lo_u32 v6, v36, s30
	v_lshlrev_b64_e32 v[49:50], 1, v[49:50]
	s_delay_alu instid0(VALU_DEP_4) | instskip(SKIP_2) | instid1(VALU_DEP_4)
	v_add_co_u32 v47, vcc_lo, s36, v47
	s_wait_alu 0xfffd
	v_add_co_ci_u32_e64 v48, null, s37, v48, vcc_lo
	v_lshlrev_b64_e32 v[53:54], 1, v[6:7]
	v_mul_lo_u32 v6, v39, s30
	v_add_co_u32 v49, vcc_lo, s36, v49
	s_wait_alu 0xfffd
	v_add_co_ci_u32_e64 v50, null, s37, v50, vcc_lo
	v_add_co_u32 v51, vcc_lo, s36, v51
	s_wait_alu 0xfffd
	v_add_co_ci_u32_e64 v52, null, s37, v52, vcc_lo
	global_load_u16 v2, v[47:48], off
	v_add_co_u32 v47, vcc_lo, s36, v53
	s_wait_alu 0xfffd
	v_add_co_ci_u32_e64 v48, null, s37, v54, vcc_lo
	v_lshlrev_b64_e32 v[53:54], 1, v[6:7]
	v_mul_lo_u32 v6, v55, s30
	s_delay_alu instid0(VALU_DEP_2) | instskip(SKIP_1) | instid1(VALU_DEP_3)
	v_add_co_u32 v53, vcc_lo, s36, v53
	s_wait_alu 0xfffd
	v_add_co_ci_u32_e64 v54, null, s37, v54, vcc_lo
	s_delay_alu instid0(VALU_DEP_3) | instskip(SKIP_1) | instid1(VALU_DEP_2)
	v_lshlrev_b64_e32 v[55:56], 1, v[6:7]
	v_mul_lo_u32 v6, v57, s30
	v_add_co_u32 v55, vcc_lo, s36, v55
	s_wait_alu 0xfffd
	s_delay_alu instid0(VALU_DEP_3) | instskip(NEXT) | instid1(VALU_DEP_3)
	v_add_co_ci_u32_e64 v56, null, s37, v56, vcc_lo
	v_lshlrev_b64_e32 v[57:58], 1, v[6:7]
	v_mul_lo_u32 v6, v59, s30
	s_delay_alu instid0(VALU_DEP_2) | instskip(SKIP_1) | instid1(VALU_DEP_3)
	v_add_co_u32 v57, vcc_lo, s36, v57
	s_wait_alu 0xfffd
	v_add_co_ci_u32_e64 v58, null, s37, v58, vcc_lo
	s_delay_alu instid0(VALU_DEP_3) | instskip(SKIP_1) | instid1(VALU_DEP_2)
	v_lshlrev_b64_e32 v[59:60], 1, v[6:7]
	v_mul_lo_u32 v6, v61, s30
	v_add_co_u32 v59, vcc_lo, s36, v59
	s_wait_alu 0xfffd
	s_delay_alu instid0(VALU_DEP_3) | instskip(NEXT) | instid1(VALU_DEP_3)
	v_add_co_ci_u32_e64 v60, null, s37, v60, vcc_lo
	v_lshlrev_b64_e32 v[61:62], 1, v[6:7]
	s_wait_alu 0xfffe
	v_mov_b32_e32 v6, s19
	s_delay_alu instid0(VALU_DEP_2) | instskip(SKIP_1) | instid1(VALU_DEP_3)
	v_add_co_u32 v61, vcc_lo, s36, v61
	s_wait_alu 0xfffd
	v_add_co_ci_u32_e64 v62, null, s37, v62, vcc_lo
	v_cmp_eq_u32_e32 vcc_lo, 0, v37
	s_wait_loadcnt 0x6
	global_load_d16_hi_b16 v41, v[51:52], off
	s_wait_loadcnt 0x6
	global_load_d16_hi_b16 v42, v[47:48], off
	;; [unrolled: 2-line block ×3, first 2 shown]
	s_wait_loadcnt 0x6
	s_clause 0x1
	global_load_d16_hi_b16 v44, v[55:56], off
	global_load_u16 v39, v[61:62], off
	s_wait_loadcnt 0x7
	global_load_d16_hi_b16 v45, v[57:58], off
	s_wait_loadcnt 0x7
	s_clause 0x1
	global_load_d16_hi_b16 v46, v[59:60], off
	global_load_u16 v36, v[49:50], off
	s_or_b32 s18, vcc_lo, s18
	s_wait_loadcnt 0x3
	v_perm_b32 v47, v39, v2, 0x5040100
	ds_store_b128 v38, v[40:43]
	s_wait_loadcnt 0x1
	ds_store_b128 v38, v[44:47] offset:16
	s_wait_loadcnt 0x0
	v_perm_b32 v39, v36, v39, 0x5040100
	v_add_nc_u32_e32 v38, 32, v38
	s_wait_alu 0xfffe
	s_and_not1_b32 exec_lo, exec_lo, s18
	s_cbranch_execnz .LBB137_46
; %bb.47:                               ;   in Loop: Header=BB137_20 Depth=1
	s_or_b32 exec_lo, exec_lo, s18
.LBB137_48:                             ;   in Loop: Header=BB137_20 Depth=1
	s_wait_alu 0xfffe
	s_or_b32 exec_lo, exec_lo, s17
	s_and_saveexec_b32 s17, s6
	s_cbranch_execz .LBB137_52
; %bb.49:                               ;   in Loop: Header=BB137_20 Depth=1
	v_lshl_add_u32 v2, v6, 1, v16
	v_mov_b32_e32 v37, v24
	s_mov_b32 s18, 0
.LBB137_50:                             ;   Parent Loop BB137_20 Depth=1
                                        ; =>  This Inner Loop Header: Depth=2
	v_mul_lo_u32 v6, v3, s30
	v_mul_lo_u32 v40, v4, s31
	v_dual_mov_b32 v41, v7 :: v_dual_add_nc_u32 v4, 2, v4
	v_add_nc_u32_e32 v37, -4, v37
	v_add_nc_u32_e32 v3, 2, v3
	v_lshlrev_b64_e32 v[42:43], 1, v[6:7]
	s_delay_alu instid0(VALU_DEP_4) | instskip(NEXT) | instid1(VALU_DEP_2)
	v_lshlrev_b64_e32 v[40:41], 1, v[40:41]
	v_add_co_u32 v42, vcc_lo, s36, v42
	s_wait_alu 0xfffd
	s_delay_alu instid0(VALU_DEP_3) | instskip(NEXT) | instid1(VALU_DEP_3)
	v_add_co_ci_u32_e64 v43, null, s37, v43, vcc_lo
	v_add_co_u32 v40, vcc_lo, s36, v40
	s_wait_alu 0xfffd
	v_add_co_ci_u32_e64 v41, null, s37, v41, vcc_lo
	s_clause 0x1
	global_load_u16 v6, v[42:43], off
	global_load_u16 v36, v[40:41], off
	v_cmp_eq_u32_e32 vcc_lo, 0, v37
	s_wait_alu 0xfffe
	s_or_b32 s18, vcc_lo, s18
	s_wait_loadcnt 0x1
	v_alignbit_b32 v38, v6, v39, 16
	s_wait_loadcnt 0x0
	v_perm_b32 v39, v36, v6, 0x5040100
	ds_store_b32 v2, v38
	v_add_nc_u32_e32 v2, 4, v2
	s_wait_alu 0xfffe
	s_and_not1_b32 exec_lo, exec_lo, s18
	s_cbranch_execnz .LBB137_50
; %bb.51:                               ;   in Loop: Header=BB137_20 Depth=1
	s_or_b32 exec_lo, exec_lo, s18
.LBB137_52:                             ;   in Loop: Header=BB137_20 Depth=1
	s_wait_alu 0xfffe
	s_or_b32 exec_lo, exec_lo, s17
	v_add_nc_u32_e32 v1, v1, v20
	s_or_not1_b32 s17, s7, exec_lo
	s_delay_alu instid0(VALU_DEP_1)
	v_dual_mov_b32 v2, v21 :: v_dual_add_nc_u32 v3, -1, v1
.LBB137_53:                             ;   in Loop: Header=BB137_20 Depth=1
	s_wait_alu 0xfffe
	s_or_b32 exec_lo, exec_lo, s11
	v_mov_b32_e32 v4, s15
	s_and_b32 s11, s17, exec_lo
	s_and_not1_saveexec_b32 s16, s16
	s_cbranch_execz .LBB137_39
.LBB137_54:                             ;   in Loop: Header=BB137_20 Depth=1
	s_wait_alu 0xfffe
	v_mov_b32_e32 v4, s15
	v_mov_b32_e32 v2, v0
	s_or_b32 s11, s11, exec_lo
	s_or_b32 exec_lo, exec_lo, s16
	s_wait_alu 0xfffe
	s_and_saveexec_b32 s15, s11
	s_cbranch_execz .LBB137_58
.LBB137_55:                             ;   in Loop: Header=BB137_20 Depth=1
	v_mul_lo_u32 v6, s30, v1
	s_mov_b32 s16, 0
	s_sub_co_i32 s11, 0, s14
.LBB137_56:                             ;   Parent Loop BB137_20 Depth=1
                                        ; =>  This Inner Loop Header: Depth=2
	s_delay_alu instid0(VALU_DEP_1) | instskip(SKIP_2) | instid1(VALU_DEP_2)
	v_lshlrev_b64_e32 v[37:38], 1, v[6:7]
	s_wait_loadcnt 0x0
	v_dual_mov_b32 v3, v36 :: v_dual_add_nc_u32 v6, v6, v4
	v_add_co_u32 v37, vcc_lo, s36, v37
	s_wait_alu 0xfffd
	s_delay_alu instid0(VALU_DEP_3) | instskip(SKIP_2) | instid1(VALU_DEP_1)
	v_add_co_ci_u32_e64 v38, null, s37, v38, vcc_lo
	global_load_u16 v36, v[37:38], off
	v_dual_mov_b32 v37, v1 :: v_dual_lshlrev_b32 v38, 1, v2
	v_dual_mov_b32 v2, v37 :: v_dual_add_nc_u32 v1, s14, v37
	ds_store_b16 v38, v3
	v_cmp_le_u32_e32 vcc_lo, s28, v1
	s_wait_alu 0xfffe
	s_or_b32 s16, vcc_lo, s16
	s_wait_alu 0xfffe
	s_and_not1_b32 exec_lo, exec_lo, s16
	s_cbranch_execnz .LBB137_56
; %bb.57:                               ;   in Loop: Header=BB137_20 Depth=1
	s_or_b32 exec_lo, exec_lo, s16
	v_add_nc_u32_e32 v3, s11, v1
.LBB137_58:                             ;   in Loop: Header=BB137_20 Depth=1
	s_wait_alu 0xfffe
	s_or_b32 exec_lo, exec_lo, s15
.LBB137_59:                             ;   in Loop: Header=BB137_20 Depth=1
	s_wait_alu 0xfffe
	s_or_b32 exec_lo, exec_lo, s13
	v_lshlrev_b32_e32 v1, 1, v3
	s_wait_loadcnt 0x0
	ds_store_b16 v1, v36
.LBB137_60:                             ;   in Loop: Header=BB137_20 Depth=1
	s_wait_alu 0xfffe
	s_or_b32 exec_lo, exec_lo, s12
	s_wait_loadcnt_dscnt 0x0
	s_barrier_signal -1
	s_barrier_wait -1
	global_inv scope:SCOPE_SE
	s_and_saveexec_b32 s11, s0
; %bb.61:                               ;   in Loop: Header=BB137_20 Depth=1
	v_mov_b32_e32 v1, s28
	ds_store_b32 v7, v1 offset:4104
; %bb.62:                               ;   in Loop: Header=BB137_20 Depth=1
	s_wait_alu 0xfffe
	s_or_b32 exec_lo, exec_lo, s11
	s_mov_b32 s11, -1
	s_wait_loadcnt_dscnt 0x0
	s_barrier_signal -1
	s_barrier_wait -1
.LBB137_63:                             ;   in Loop: Header=BB137_20 Depth=1
	s_wait_alu 0xfffe
	s_and_b32 vcc_lo, exec_lo, s11
	s_mov_b32 s46, 0
	s_wait_alu 0xfffe
	s_cbranch_vccz .LBB137_65
; %bb.64:                               ;   in Loop: Header=BB137_20 Depth=1
	s_wait_loadcnt 0x0
	global_inv scope:SCOPE_SE
	ds_load_b32 v1, v7 offset:4104
	s_wait_dscnt 0x0
	v_readfirstlane_b32 s46, v1
.LBB137_65:                             ;   in Loop: Header=BB137_20 Depth=1
	s_delay_alu instid0(VALU_DEP_1)
	s_cmp_lt_i32 s46, 1
	s_mov_b32 s11, -1
                                        ; implicit-def: $vgpr1
	s_cbranch_scc1 .LBB137_75
; %bb.66:                               ;   in Loop: Header=BB137_20 Depth=1
	s_wait_alu 0xfffe
	s_and_b32 vcc_lo, exec_lo, s11
	s_wait_alu 0xfffe
	s_cbranch_vccnz .LBB137_86
.LBB137_67:                             ;   in Loop: Header=BB137_20 Depth=1
	v_lshlrev_b32_e32 v6, 7, v32
	s_and_saveexec_b32 s11, s3
.LBB137_68:                             ;   in Loop: Header=BB137_20 Depth=1
	s_delay_alu instid0(VALU_DEP_1)
	v_lshl_add_u32 v36, v6, 2, v19
	ds_store_b128 v36, v[1:4]
.LBB137_69:                             ;   in Loop: Header=BB137_20 Depth=1
	s_wait_alu 0xfffe
	s_or_b32 exec_lo, exec_lo, s11
	s_wait_loadcnt_dscnt 0x0
	s_barrier_signal -1
	s_barrier_wait -1
	global_inv scope:SCOPE_SE
	s_and_saveexec_b32 s11, s29
	s_cbranch_execz .LBB137_99
; %bb.70:                               ;   in Loop: Header=BB137_20 Depth=1
	v_mov_b32_e32 v1, 0
	s_and_not1_b32 vcc_lo, exec_lo, s58
	s_wait_alu 0xfffe
	s_cbranch_vccnz .LBB137_98
; %bb.71:                               ;   in Loop: Header=BB137_20 Depth=1
	s_and_not1_b32 vcc_lo, exec_lo, s60
	s_wait_alu 0xfffe
	s_cbranch_vccnz .LBB137_95
; %bb.72:                               ;   in Loop: Header=BB137_20 Depth=1
	v_lshl_add_u32 v2, v32, 9, v30
	v_mov_b32_e32 v1, 0
	s_mov_b32 s12, 0
.LBB137_73:                             ;   Parent Loop BB137_20 Depth=1
                                        ; =>  This Inner Loop Header: Depth=2
	ds_load_2addr_b32 v[3:4], v2 offset1:4
	ds_load_2addr_b32 v[36:37], v2 offset0:8 offset1:12
	ds_load_2addr_b32 v[38:39], v2 offset0:16 offset1:20
	;; [unrolled: 1-line block ×3, first 2 shown]
	v_add_nc_u32_e32 v2, 0x80, v2
	s_wait_alu 0xfffe
	s_add_co_i32 s12, s12, 8
	s_wait_alu 0xfffe
	s_cmp_eq_u32 s61, s12
	s_wait_dscnt 0x3
	v_add3_u32 v1, v3, v1, v4
	s_wait_dscnt 0x2
	s_delay_alu instid0(VALU_DEP_1) | instskip(SKIP_1) | instid1(VALU_DEP_1)
	v_add3_u32 v1, v36, v1, v37
	s_wait_dscnt 0x1
	v_add3_u32 v1, v38, v1, v39
	s_wait_dscnt 0x0
	s_delay_alu instid0(VALU_DEP_1)
	v_add3_u32 v1, v40, v1, v41
	s_cbranch_scc0 .LBB137_73
; %bb.74:                               ;   in Loop: Header=BB137_20 Depth=1
	s_mov_b32 s12, s61
	s_and_not1_b32 vcc_lo, exec_lo, s62
	s_wait_alu 0xfffe
	s_cbranch_vccz .LBB137_96
	s_branch .LBB137_98
.LBB137_75:                             ;   in Loop: Header=BB137_20 Depth=1
	v_dual_mov_b32 v1, 0 :: v_dual_mov_b32 v2, 0
	v_dual_mov_b32 v3, 0 :: v_dual_mov_b32 v4, 0
	s_and_saveexec_b32 s22, s8
	s_cbranch_execz .LBB137_79
; %bb.76:                               ;   in Loop: Header=BB137_20 Depth=1
	v_mov_b32_e32 v36, v14
	s_mov_b32 s23, 0
	s_mov_b32 s24, 0
	s_mov_b32 s77, 0
	s_mov_b32 s78, 0
	s_mov_b32 s79, 0
	s_mov_b32 s80, 0
.LBB137_77:                             ;   Parent Loop BB137_20 Depth=1
                                        ; =>  This Inner Loop Header: Depth=2
	s_wait_alu 0xfffe
	v_add_nc_u32_e32 v6, s24, v27
	v_add_nc_u32_e32 v36, s55, v36
	s_delay_alu instid0(VALU_DEP_2) | instskip(SKIP_1) | instid1(VALU_DEP_1)
	v_lshlrev_b64_e32 v[1:2], 1, v[6:7]
	v_add_nc_u32_e32 v6, s24, v12
	v_lshlrev_b64_e32 v[3:4], 1, v[6:7]
	s_delay_alu instid0(VALU_DEP_3) | instskip(SKIP_3) | instid1(VALU_DEP_4)
	v_add_co_u32 v1, vcc_lo, s36, v1
	v_add_nc_u32_e32 v6, s24, v25
	s_wait_alu 0xfffd
	v_add_co_ci_u32_e64 v2, null, s37, v2, vcc_lo
	v_add_co_u32 v3, vcc_lo, s36, v3
	s_delay_alu instid0(VALU_DEP_3)
	v_lshlrev_b64_e32 v[37:38], 1, v[6:7]
	v_add_nc_u32_e32 v6, s24, v26
	s_wait_alu 0xfffd
	v_add_co_ci_u32_e64 v4, null, s37, v4, vcc_lo
	global_load_u16 v39, v[1:2], off
	s_add_co_i32 s24, s24, s65
	v_lshlrev_b64_e32 v[1:2], 1, v[6:7]
	global_load_u16 v6, v[3:4], off
	v_add_co_u32 v3, vcc_lo, s36, v37
	s_wait_alu 0xfffd
	v_add_co_ci_u32_e64 v4, null, s37, v38, vcc_lo
	v_add_co_u32 v1, vcc_lo, s36, v1
	s_wait_alu 0xfffd
	v_add_co_ci_u32_e64 v2, null, s37, v2, vcc_lo
	global_load_u16 v3, v[3:4], off
	v_cmp_le_u32_e32 vcc_lo, s63, v36
	global_load_u16 v1, v[1:2], off
	s_wait_loadcnt 0x3
	v_cmp_lt_i16_e64 s11, -1, v39
	v_and_b32_e32 v2, 0xffff, v39
	v_lshlrev_b32_e32 v37, 16, v39
	s_wait_loadcnt 0x2
	v_and_b32_e32 v38, 0xffff, v6
	s_wait_alu 0xf1ff
	v_cndmask_b32_e64 v4, 0xffff, v31, s11
	v_cmp_lt_i16_e64 s11, -1, v6
	s_delay_alu instid0(VALU_DEP_2) | instskip(SKIP_1) | instid1(VALU_DEP_2)
	v_xor_b32_e32 v2, v4, v2
	s_wait_alu 0xf1ff
	v_cndmask_b32_e64 v39, 0xffff, v31, s11
	v_cmp_o_f32_e64 s11, v37, v37
	v_lshlrev_b32_e32 v4, 16, v6
	s_wait_loadcnt 0x1
	v_cmp_lt_i16_e64 s12, -1, v3
	v_and_b32_e32 v37, 0xffff, v3
	v_xor_b32_e32 v6, v39, v38
	s_wait_alu 0xf1ff
	v_cndmask_b32_e64 v2, 0xffff, v2, s11
	v_cmp_o_f32_e64 s11, v4, v4
	v_cndmask_b32_e64 v38, 0xffff, v31, s12
	v_lshlrev_b32_e32 v3, 16, v3
	s_delay_alu instid0(VALU_DEP_4)
	v_and_b32_e32 v39, v2, v33
	s_wait_alu 0xf1ff
	v_cndmask_b32_e64 v4, 0xffff, v6, s11
	s_wait_loadcnt 0x0
	v_cmp_lt_i16_e64 s11, -1, v1
	v_xor_b32_e32 v6, v38, v37
	v_bfe_u32 v2, v2, s76, 2
	v_and_b32_e32 v37, 0xffff, v1
	v_lshlrev_b32_e32 v1, 16, v1
	s_wait_alu 0xf1ff
	v_cndmask_b32_e64 v38, 0xffff, v31, s11
	v_cmp_o_f32_e64 s11, v3, v3
	v_cmp_eq_u32_e64 s12, 0, v2
	v_cmp_eq_u32_e64 s13, 1, v2
	v_cmp_o_f32_e64 s16, v1, v1
	v_cmp_eq_u32_e64 s14, 2, v2
	s_wait_alu 0xf1ff
	v_cndmask_b32_e64 v3, 0xffff, v6, s11
	v_cmp_eq_u32_e64 s11, v39, v13
	v_xor_b32_e32 v6, v38, v37
	v_and_b32_e32 v37, v4, v33
	v_bfe_u32 v4, v4, s76, 2
	v_cmp_eq_u32_e64 s15, 3, v2
	s_and_b32 s12, s11, s12
	v_cndmask_b32_e64 v1, 0xffff, v6, s16
	v_cmp_eq_u32_e64 s16, v37, v13
	v_cmp_eq_u32_e64 s17, 0, v4
	s_wait_alu 0xfffe
	v_cndmask_b32_e64 v6, 0, 1, s12
	v_cmp_eq_u32_e64 s12, 1, v4
	s_and_b32 s13, s11, s13
	v_and_b32_e32 v2, v3, v33
	v_bfe_u32 v3, v3, s76, 2
	s_wait_alu 0xfffe
	v_cndmask_b32_e64 v37, 0, 1, s13
	v_cmp_eq_u32_e64 s13, 2, v4
	s_and_b32 s14, s11, s14
	s_and_b32 s11, s11, s15
	s_wait_alu 0xfffe
	v_cndmask_b32_e64 v38, 0, 1, s14
	s_and_b32 s17, s16, s17
	s_and_b32 s12, s16, s12
	v_cmp_eq_u32_e64 s14, 3, v4
	v_cndmask_b32_e64 v4, 0, 1, s11
	v_cmp_eq_u32_e64 s11, v2, v13
	v_cmp_eq_u32_e64 s15, 0, v3
	v_cmp_ne_u32_e64 s18, 0, v6
	s_wait_alu 0xfffe
	v_cndmask_b32_e64 v6, 0, 1, s17
	v_cmp_eq_u32_e64 s17, 1, v3
	v_cmp_ne_u32_e64 s19, 0, v37
	v_cndmask_b32_e64 v37, 0, 1, s12
	v_cmp_eq_u32_e64 s12, 2, v3
	s_and_b32 s13, s16, s13
	v_and_b32_e32 v2, v1, v33
	v_bfe_u32 v1, v1, s76, 2
	v_cmp_ne_u32_e64 s20, 0, v38
	s_wait_alu 0xfffe
	v_cndmask_b32_e64 v38, 0, 1, s13
	v_cmp_eq_u32_e64 s13, 3, v3
	s_and_b32 s14, s16, s14
	s_and_b32 s15, s11, s15
	;; [unrolled: 1-line block ×4, first 2 shown]
	v_cmp_ne_u32_e64 s21, 0, v4
	s_wait_alu 0xfffe
	v_cndmask_b32_e64 v3, 0, 1, s14
	v_cmp_eq_u32_e64 s14, v2, v13
	v_cmp_eq_u32_e64 s16, 0, v1
	s_bcnt1_i32_b32 s81, s18
	v_cmp_ne_u32_e64 s18, 0, v6
	v_cndmask_b32_e64 v2, 0, 1, s15
	v_cmp_eq_u32_e64 s15, 1, v1
	v_cndmask_b32_e64 v4, 0, 1, s17
	v_cmp_eq_u32_e64 s17, 2, v1
	v_cndmask_b32_e64 v6, 0, 1, s12
	v_cmp_eq_u32_e64 s12, 3, v1
	s_and_b32 s11, s11, s13
	s_bcnt1_i32_b32 s84, s21
	s_wait_alu 0xfffe
	v_cndmask_b32_e64 v1, 0, 1, s11
	v_cmp_ne_u32_e64 s21, 0, v3
	s_and_b32 s13, s14, s16
	s_and_b32 s15, s14, s15
	;; [unrolled: 1-line block ×4, first 2 shown]
	v_cmp_ne_u32_e64 s11, 0, v2
	s_wait_alu 0xfffe
	v_cndmask_b32_e64 v2, 0, 1, s13
	v_cmp_ne_u32_e64 s13, 0, v4
	v_cndmask_b32_e64 v3, 0, 1, s15
	v_cndmask_b32_e64 v4, 0, 1, s16
	v_cmp_ne_u32_e64 s16, 0, v1
	v_cndmask_b32_e64 v1, 0, 1, s12
	s_bcnt1_i32_b32 s82, s19
	v_cmp_ne_u32_e64 s19, 0, v37
	s_bcnt1_i32_b32 s83, s20
	v_cmp_ne_u32_e64 s20, 0, v38
	s_add_co_i32 s77, s84, s77
	v_cmp_ne_u32_e64 s15, 0, v6
	s_bcnt1_i32_b32 s17, s21
	s_bcnt1_i32_b32 s21, s11
	s_wait_alu 0xfffe
	s_add_co_i32 s17, s77, s17
	v_cmp_ne_u32_e64 s11, 0, v2
	s_bcnt1_i32_b32 s77, s13
	v_cmp_ne_u32_e64 s12, 0, v3
	v_cmp_ne_u32_e64 s13, 0, v4
	;; [unrolled: 1-line block ×3, first 2 shown]
	s_add_co_i32 s80, s81, s80
	s_add_co_i32 s79, s82, s79
	;; [unrolled: 1-line block ×3, first 2 shown]
	s_bcnt1_i32_b32 s18, s18
	s_bcnt1_i32_b32 s19, s19
	;; [unrolled: 1-line block ×3, first 2 shown]
	s_wait_alu 0xfffe
	s_add_co_i32 s18, s80, s18
	s_add_co_i32 s19, s79, s19
	;; [unrolled: 1-line block ×3, first 2 shown]
	s_bcnt1_i32_b32 s15, s15
	s_bcnt1_i32_b32 s16, s16
	s_wait_alu 0xfffe
	s_add_co_i32 s18, s18, s21
	s_add_co_i32 s19, s19, s77
	;; [unrolled: 1-line block ×4, first 2 shown]
	s_bcnt1_i32_b32 s11, s11
	s_bcnt1_i32_b32 s12, s12
	s_bcnt1_i32_b32 s13, s13
	s_bcnt1_i32_b32 s14, s14
	s_wait_alu 0xfffe
	s_add_co_i32 s80, s18, s11
	s_add_co_i32 s79, s19, s12
	;; [unrolled: 1-line block ×4, first 2 shown]
	s_wait_alu 0xfffe
	v_dual_mov_b32 v1, s80 :: v_dual_mov_b32 v2, s79
	v_dual_mov_b32 v3, s78 :: v_dual_mov_b32 v4, s77
	s_or_b32 s23, vcc_lo, s23
	s_wait_alu 0xfffe
	s_and_not1_b32 exec_lo, exec_lo, s23
	s_cbranch_execnz .LBB137_77
; %bb.78:                               ;   in Loop: Header=BB137_20 Depth=1
	s_or_b32 exec_lo, exec_lo, s23
.LBB137_79:                             ;   in Loop: Header=BB137_20 Depth=1
	s_wait_alu 0xfffe
	s_or_b32 exec_lo, exec_lo, s22
	s_and_saveexec_b32 s15, s9
	s_cbranch_execz .LBB137_85
; %bb.80:                               ;   in Loop: Header=BB137_20 Depth=1
	global_load_u16 v38, v[10:11], off
	v_mov_b32_e32 v6, v28
	v_mov_b32_e32 v36, v22
	s_mov_b32 s16, 0
	s_branch .LBB137_82
.LBB137_81:                             ;   in Loop: Header=BB137_82 Depth=2
	s_wait_alu 0xfffe
	s_or_b32 exec_lo, exec_lo, s12
	s_wait_loadcnt 0x0
	v_cmp_lt_i16_e64 s11, -1, v38
	v_and_b32_e32 v39, 0xffff, v38
	v_lshlrev_b32_e32 v38, 16, v38
	s_and_b32 s12, exec_lo, vcc_lo
	v_add_nc_u32_e32 v6, s57, v6
	s_wait_alu 0xf1ff
	v_cndmask_b32_e64 v40, 0xffff, v31, s11
	s_wait_alu 0xfffe
	s_or_b32 s16, s12, s16
	v_cmp_o_f32_e64 s11, v38, v38
	s_delay_alu instid0(VALU_DEP_2) | instskip(SKIP_1) | instid1(VALU_DEP_1)
	v_xor_b32_e32 v39, v40, v39
	s_wait_alu 0xf1ff
	v_cndmask_b32_e64 v38, 0xffff, v39, s11
	s_delay_alu instid0(VALU_DEP_1) | instskip(SKIP_1) | instid1(VALU_DEP_2)
	v_and_b32_e32 v39, v38, v33
	v_bfe_u32 v38, v38, s76, 2
	v_cmp_eq_u32_e32 vcc_lo, v39, v13
	s_delay_alu instid0(VALU_DEP_2)
	v_cmp_eq_u32_e64 s11, 0, v38
	v_cmp_eq_u32_e64 s12, 1, v38
	v_cmp_eq_u32_e64 s13, 2, v38
	v_cmp_eq_u32_e64 s14, 3, v38
	s_and_b32 s11, vcc_lo, s11
	s_wait_alu 0xfffe
	v_cndmask_b32_e64 v38, 0, 1, s11
	s_and_b32 s11, vcc_lo, s12
	s_wait_alu 0xfffe
	v_cndmask_b32_e64 v39, 0, 1, s11
	;; [unrolled: 3-line block ×3, first 2 shown]
	s_and_b32 s11, vcc_lo, s14
	v_cmp_ne_u32_e32 vcc_lo, 0, v38
	s_wait_alu 0xfffe
	v_cndmask_b32_e64 v41, 0, 1, s11
	v_cmp_ne_u32_e64 s11, 0, v39
	v_cmp_ne_u32_e64 s12, 0, v40
	v_mov_b32_e32 v38, v37
	s_bcnt1_i32_b32 s14, vcc_lo
	v_cmp_ne_u32_e64 s13, 0, v41
	s_bcnt1_i32_b32 s11, s11
	s_bcnt1_i32_b32 s12, s12
	s_wait_alu 0xfffe
	v_add_nc_u32_e32 v1, s14, v1
	v_add_nc_u32_e32 v2, s11, v2
	s_bcnt1_i32_b32 s13, s13
	v_add_nc_u32_e32 v3, s12, v3
	s_wait_alu 0xfffe
	v_add_nc_u32_e32 v4, s13, v4
	s_and_not1_b32 exec_lo, exec_lo, s16
	s_cbranch_execz .LBB137_84
.LBB137_82:                             ;   Parent Loop BB137_20 Depth=1
                                        ; =>  This Inner Loop Header: Depth=2
	s_delay_alu instid0(VALU_DEP_1) | instskip(SKIP_1) | instid1(VALU_DEP_1)
	v_dual_mov_b32 v37, 0 :: v_dual_add_nc_u32 v36, s27, v36
	s_mov_b32 s12, exec_lo
	v_cmp_le_u32_e32 vcc_lo, s28, v36
	v_cmpx_gt_u32_e64 s28, v36
	s_cbranch_execz .LBB137_81
; %bb.83:                               ;   in Loop: Header=BB137_82 Depth=2
	v_lshlrev_b64_e32 v[39:40], 1, v[6:7]
	s_delay_alu instid0(VALU_DEP_1) | instskip(SKIP_1) | instid1(VALU_DEP_2)
	v_add_co_u32 v39, s11, s36, v39
	s_wait_alu 0xf1fe
	v_add_co_ci_u32_e64 v40, null, s37, v40, s11
	global_load_u16 v37, v[39:40], off
	s_branch .LBB137_81
.LBB137_84:                             ;   in Loop: Header=BB137_20 Depth=1
	s_or_b32 exec_lo, exec_lo, s16
.LBB137_85:                             ;   in Loop: Header=BB137_20 Depth=1
	s_wait_alu 0xfffe
	s_or_b32 exec_lo, exec_lo, s15
	s_branch .LBB137_67
.LBB137_86:                             ;   in Loop: Header=BB137_20 Depth=1
	s_mul_u64 s[12:13], s[46:47], s[48:49]
	v_dual_mov_b32 v1, 0 :: v_dual_mov_b32 v2, 0
	s_wait_alu 0xfffe
	s_mul_i32 s11, s13, s55
	v_dual_mov_b32 v3, 0 :: v_dual_mov_b32 v4, 0
	s_wait_alu 0xfffe
	s_sub_co_i32 s11, s46, s11
	s_mov_b32 s78, exec_lo
	s_wait_alu 0xfffe
	s_sub_co_i32 s12, s11, s55
	s_cmp_ge_u32 s11, s55
	s_wait_alu 0xfffe
	s_cselect_b32 s11, s12, s11
	s_wait_alu 0xfffe
	s_sub_co_i32 s12, s11, s55
	s_cmp_ge_u32 s11, s55
	s_wait_alu 0xfffe
	s_cselect_b32 s11, s12, s11
	s_wait_alu 0xfffe
	s_sub_co_i32 s77, s46, s11
	s_wait_alu 0xfffe
	v_cmpx_gt_u32_e64 s77, v14
	s_cbranch_execz .LBB137_90
; %bb.87:                               ;   in Loop: Header=BB137_20 Depth=1
	v_mov_b32_e32 v6, v29
	v_mov_b32_e32 v36, v14
	s_mov_b32 s79, 0
	s_mov_b32 s80, 0
	;; [unrolled: 1-line block ×5, first 2 shown]
.LBB137_88:                             ;   Parent Loop BB137_20 Depth=1
                                        ; =>  This Inner Loop Header: Depth=2
	ds_load_b64 v[1:2], v6
	s_wait_dscnt 0x0
	v_cmp_lt_i16_e64 s11, -1, v1
	v_lshrrev_b32_e32 v3, 16, v1
	v_lshrrev_b32_e32 v4, 16, v2
	v_and_b32_e32 v37, 0xffff, v1
	v_lshlrev_b32_e32 v39, 16, v1
	s_wait_alu 0xf1ff
	v_cndmask_b32_e64 v38, 0xffff, v31, s11
	v_cmp_lt_i16_e64 s11, -1, v2
	v_and_b32_e32 v40, 0xffff, v2
	v_cmp_lt_i16_e64 s12, -1, v4
	v_lshlrev_b32_e32 v42, 16, v2
	v_and_b32_e32 v1, 0xffff0000, v1
	s_wait_alu 0xf1ff
	v_cndmask_b32_e64 v41, 0xffff, v31, s11
	v_cmp_lt_i16_e64 s11, -1, v3
	v_xor_b32_e32 v37, v38, v37
	v_and_b32_e32 v2, 0xffff0000, v2
	s_delay_alu instid0(VALU_DEP_4)
	v_xor_b32_e32 v40, v41, v40
	s_wait_alu 0xf1ff
	v_cndmask_b32_e64 v38, 0xffff, v31, s11
	v_cndmask_b32_e64 v41, 0xffff, v31, s12
	v_cmp_o_f32_e64 s12, v39, v39
	v_cmp_o_f32_e64 s11, v42, v42
	s_delay_alu instid0(VALU_DEP_4) | instskip(NEXT) | instid1(VALU_DEP_4)
	v_xor_b32_e32 v3, v38, v3
	v_xor_b32_e32 v4, v41, v4
	s_wait_alu 0xf1ff
	v_cndmask_b32_e64 v37, 0xffff, v37, s12
	v_cmp_o_f32_e64 s12, v1, v1
	v_cndmask_b32_e64 v38, 0xffff, v40, s11
	v_cmp_o_f32_e64 s11, v2, v2
	s_delay_alu instid0(VALU_DEP_4)
	v_and_b32_e32 v2, v37, v33
	s_wait_alu 0xf1ff
	v_cndmask_b32_e64 v1, 0xffff, v3, s12
	v_bfe_u32 v37, v37, s76, 2
	v_cndmask_b32_e64 v3, 0xffff, v4, s11
	v_and_b32_e32 v4, v38, v33
	v_bfe_u32 v38, v38, s76, 2
	v_cmp_eq_u32_e64 s11, v2, v13
	v_and_b32_e32 v2, v1, v33
	v_bfe_u32 v1, v1, s76, 2
	v_cmp_eq_u32_e64 s13, 0, v37
	v_cmp_eq_u32_e64 s15, 1, v37
	v_cmp_eq_u32_e64 s17, 2, v37
	v_cmp_eq_u32_e64 s12, v4, v13
	v_cmp_eq_u32_e64 s14, 0, v38
	v_cmp_eq_u32_e64 s16, 1, v38
	v_cmp_eq_u32_e64 s18, 2, v38
	v_cmp_eq_u32_e64 s19, 3, v37
	v_and_b32_e32 v4, v3, v33
	v_bfe_u32 v3, v3, s76, 2
	v_cmp_eq_u32_e64 s20, 3, v38
	v_cmp_eq_u32_e64 s21, v2, v13
	;; [unrolled: 1-line block ×3, first 2 shown]
	s_and_b32 s13, s11, s13
	s_and_b32 s15, s11, s15
	;; [unrolled: 1-line block ×3, first 2 shown]
	s_wait_alu 0xfffe
	v_cndmask_b32_e64 v2, 0, 1, s13
	s_and_b32 s13, s12, s14
	v_cndmask_b32_e64 v37, 0, 1, s15
	s_and_b32 s15, s12, s16
	;; [unrolled: 2-line block ×3, first 2 shown]
	s_and_b32 s11, s11, s19
	v_cmp_eq_u32_e64 s22, v4, v13
	v_cmp_eq_u32_e64 s24, 0, v3
	s_wait_alu 0xfffe
	v_cndmask_b32_e64 v4, 0, 1, s13
	v_cmp_eq_u32_e64 s13, 1, v1
	v_cmp_eq_u32_e64 s14, 1, v3
	v_cndmask_b32_e64 v38, 0, 1, s15
	v_cmp_eq_u32_e64 s15, 2, v1
	v_cmp_eq_u32_e64 s16, 2, v3
	v_cndmask_b32_e64 v40, 0, 1, s17
	v_cmp_eq_u32_e64 s17, 3, v1
	v_cndmask_b32_e64 v1, 0, 1, s11
	s_and_b32 s11, s12, s20
	s_and_b32 s12, s21, s23
	v_cmp_eq_u32_e64 s18, 3, v3
	s_wait_alu 0xfffe
	v_cndmask_b32_e64 v3, 0, 1, s11
	v_cmp_ne_u32_e64 s11, 0, v2
	v_cndmask_b32_e64 v2, 0, 1, s12
	s_and_b32 s19, s22, s24
	s_and_b32 s13, s21, s13
	;; [unrolled: 1-line block ×6, first 2 shown]
	v_cmp_ne_u32_e64 s12, 0, v4
	s_wait_alu 0xfffe
	v_cndmask_b32_e64 v4, 0, 1, s19
	v_cmp_ne_u32_e64 s19, 0, v37
	v_cndmask_b32_e64 v37, 0, 1, s13
	v_cmp_ne_u32_e64 s13, 0, v38
	;; [unrolled: 2-line block ×5, first 2 shown]
	v_cndmask_b32_e64 v1, 0, 1, s17
	s_bcnt1_i32_b32 s20, s11
	v_cmp_ne_u32_e64 s11, 0, v2
	s_and_b32 s18, s22, s18
	v_cmp_ne_u32_e64 s17, 0, v3
	s_wait_alu 0xfffe
	v_cndmask_b32_e64 v3, 0, 1, s18
	s_bcnt1_i32_b32 s21, s12
	v_cmp_ne_u32_e64 s12, 0, v4
	v_cmp_ne_u32_e64 s18, 0, v37
	s_bcnt1_i32_b32 s23, s14
	v_cmp_ne_u32_e64 s14, 0, v39
	s_bcnt1_i32_b32 s84, s16
	v_cmp_ne_u32_e64 s16, 0, v1
	s_add_co_i32 s20, s20, s83
	s_bcnt1_i32_b32 s11, s11
	s_bcnt1_i32_b32 s19, s19
	s_wait_alu 0xfffe
	s_add_co_i32 s11, s20, s11
	s_bcnt1_i32_b32 s22, s13
	v_cmp_ne_u32_e64 s13, 0, v38
	s_bcnt1_i32_b32 s24, s15
	v_cmp_ne_u32_e64 s15, 0, v40
	;; [unrolled: 2-line block ×3, first 2 shown]
	s_bcnt1_i32_b32 s12, s12
	s_wait_alu 0xfffe
	s_add_co_i32 s11, s11, s21
	s_add_co_i32 s19, s19, s82
	;; [unrolled: 1-line block ×4, first 2 shown]
	s_bcnt1_i32_b32 s18, s18
	s_bcnt1_i32_b32 s14, s14
	s_bcnt1_i32_b32 s16, s16
	s_wait_alu 0xfffe
	s_add_co_i32 s83, s11, s12
	s_wait_alu 0xfffe
	v_dual_mov_b32 v1, s83 :: v_dual_add_nc_u32 v36, s55, v36
	s_add_co_i32 s18, s19, s18
	s_add_co_i32 s14, s23, s14
	;; [unrolled: 1-line block ×3, first 2 shown]
	s_bcnt1_i32_b32 s13, s13
	s_bcnt1_i32_b32 s15, s15
	;; [unrolled: 1-line block ×3, first 2 shown]
	s_wait_alu 0xfffe
	s_add_co_i32 s18, s18, s22
	s_add_co_i32 s14, s14, s24
	;; [unrolled: 1-line block ×3, first 2 shown]
	v_cmp_le_u32_e32 vcc_lo, s77, v36
	s_wait_alu 0xfffe
	s_add_co_i32 s82, s18, s13
	s_add_co_i32 s81, s14, s15
	;; [unrolled: 1-line block ×3, first 2 shown]
	s_wait_alu 0xfffe
	v_dual_mov_b32 v3, s81 :: v_dual_add_nc_u32 v6, s66, v6
	v_mov_b32_e32 v2, s82
	v_mov_b32_e32 v4, s80
	s_or_b32 s79, vcc_lo, s79
	s_wait_alu 0xfffe
	s_and_not1_b32 exec_lo, exec_lo, s79
	s_cbranch_execnz .LBB137_88
; %bb.89:                               ;   in Loop: Header=BB137_20 Depth=1
	s_or_b32 exec_lo, exec_lo, s79
.LBB137_90:                             ;   in Loop: Header=BB137_20 Depth=1
	s_delay_alu instid0(SALU_CYCLE_1) | instskip(SKIP_2) | instid1(VALU_DEP_1)
	s_or_b32 exec_lo, exec_lo, s78
	v_add_nc_u32_e32 v6, s77, v0
	s_mov_b32 s16, exec_lo
	v_cmpx_gt_u32_e64 s46, v6
	s_cbranch_execz .LBB137_94
; %bb.91:                               ;   in Loop: Header=BB137_20 Depth=1
	v_lshlrev_b32_e32 v36, 1, v6
	s_mov_b32 s17, 0
.LBB137_92:                             ;   Parent Loop BB137_20 Depth=1
                                        ; =>  This Inner Loop Header: Depth=2
	ds_load_u16 v37, v36
	v_add_nc_u32_e32 v6, s27, v6
	v_add_nc_u32_e32 v36, s67, v36
	s_delay_alu instid0(VALU_DEP_2)
	v_cmp_le_u32_e32 vcc_lo, s46, v6
	s_wait_dscnt 0x0
	v_cmp_lt_i16_e64 s11, -1, v37
	v_and_b32_e32 v38, 0xffff, v37
	v_lshlrev_b32_e32 v37, 16, v37
	s_wait_alu 0xf1ff
	s_delay_alu instid0(VALU_DEP_3) | instskip(NEXT) | instid1(VALU_DEP_2)
	v_cndmask_b32_e64 v39, 0xffff, v31, s11
	v_cmp_o_f32_e64 s11, v37, v37
	s_delay_alu instid0(VALU_DEP_2) | instskip(SKIP_1) | instid1(VALU_DEP_1)
	v_xor_b32_e32 v38, v39, v38
	s_wait_alu 0xf1ff
	v_cndmask_b32_e64 v37, 0xffff, v38, s11
	s_delay_alu instid0(VALU_DEP_1) | instskip(SKIP_1) | instid1(VALU_DEP_2)
	v_and_b32_e32 v38, v37, v33
	v_bfe_u32 v37, v37, s76, 2
	v_cmp_eq_u32_e64 s11, v38, v13
	s_delay_alu instid0(VALU_DEP_2)
	v_cmp_eq_u32_e64 s12, 0, v37
	v_cmp_eq_u32_e64 s13, 1, v37
	;; [unrolled: 1-line block ×4, first 2 shown]
	s_and_b32 s12, s11, s12
	s_wait_alu 0xfffe
	v_cndmask_b32_e64 v37, 0, 1, s12
	s_and_b32 s12, s11, s13
	s_wait_alu 0xfffe
	v_cndmask_b32_e64 v38, 0, 1, s12
	s_and_b32 s12, s11, s14
	s_and_b32 s11, s11, s15
	s_wait_alu 0xfffe
	v_cndmask_b32_e64 v39, 0, 1, s12
	v_cndmask_b32_e64 v40, 0, 1, s11
	v_cmp_ne_u32_e64 s11, 0, v37
	v_cmp_ne_u32_e64 s12, 0, v38
	s_delay_alu instid0(VALU_DEP_4) | instskip(NEXT) | instid1(VALU_DEP_4)
	v_cmp_ne_u32_e64 s13, 0, v39
	v_cmp_ne_u32_e64 s14, 0, v40
	s_bcnt1_i32_b32 s11, s11
	s_bcnt1_i32_b32 s12, s12
	s_wait_alu 0xfffe
	v_add_nc_u32_e32 v1, s11, v1
	s_bcnt1_i32_b32 s13, s13
	s_bcnt1_i32_b32 s14, s14
	v_add_nc_u32_e32 v2, s12, v2
	s_wait_alu 0xfffe
	v_add_nc_u32_e32 v3, s13, v3
	v_add_nc_u32_e32 v4, s14, v4
	s_or_b32 s17, vcc_lo, s17
	s_wait_alu 0xfffe
	s_and_not1_b32 exec_lo, exec_lo, s17
	s_cbranch_execnz .LBB137_92
; %bb.93:                               ;   in Loop: Header=BB137_20 Depth=1
	s_or_b32 exec_lo, exec_lo, s17
.LBB137_94:                             ;   in Loop: Header=BB137_20 Depth=1
	s_wait_alu 0xfffe
	s_or_b32 exec_lo, exec_lo, s16
	v_lshlrev_b32_e32 v6, 7, v32
	s_and_saveexec_b32 s11, s3
	s_cbranch_execnz .LBB137_68
	s_branch .LBB137_69
.LBB137_95:                             ;   in Loop: Header=BB137_20 Depth=1
	v_mov_b32_e32 v1, 0
	s_mov_b32 s12, 0
	s_and_not1_b32 vcc_lo, exec_lo, s62
	s_wait_alu 0xfffe
	s_cbranch_vccnz .LBB137_98
.LBB137_96:                             ;   in Loop: Header=BB137_20 Depth=1
	v_lshlrev_b32_e32 v2, 9, v32
	s_lshl_b32 s12, s12, 4
	s_wait_alu 0xfffe
	s_delay_alu instid0(VALU_DEP_1)
	v_add3_u32 v2, v2, s12, v30
	s_mov_b32 s12, s59
.LBB137_97:                             ;   Parent Loop BB137_20 Depth=1
                                        ; =>  This Inner Loop Header: Depth=2
	ds_load_b32 v3, v2
	v_add_nc_u32_e32 v2, 16, v2
	s_wait_alu 0xfffe
	s_add_co_i32 s12, s12, -1
	s_wait_alu 0xfffe
	s_cmp_lg_u32 s12, 0
	s_wait_dscnt 0x0
	v_add_nc_u32_e32 v1, v3, v1
	s_cbranch_scc1 .LBB137_97
.LBB137_98:                             ;   in Loop: Header=BB137_20 Depth=1
	v_add_lshl_u32 v2, v6, v15, 2
	ds_store_b32 v2, v1 offset:3072
.LBB137_99:                             ;   in Loop: Header=BB137_20 Depth=1
	s_wait_alu 0xfffe
	s_or_b32 exec_lo, exec_lo, s11
	v_lshlrev_b32_e32 v1, 2, v6
	s_wait_loadcnt_dscnt 0x0
	s_barrier_signal -1
	s_barrier_wait -1
	global_inv scope:SCOPE_SE
	ds_load_b128 v[1:4], v1 offset:3072
	s_lshl_b32 s12, 3, s76
	v_cmp_eq_u32_e32 vcc_lo, 1, v35
	s_wait_alu 0xfffe
	s_not_b32 s19, s12
	s_mov_b32 s15, -1
	s_mov_b32 s23, -1
                                        ; implicit-def: $sgpr20
                                        ; implicit-def: $sgpr17
	s_wait_dscnt 0x0
	v_readfirstlane_b32 s14, v1
	v_readfirstlane_b32 s21, v2
	;; [unrolled: 1-line block ×4, first 2 shown]
	s_cmp_eq_u32 s14, 1
	s_cselect_b32 s13, -1, 0
	s_wait_alu 0xfffe
	s_and_b32 s16, s13, vcc_lo
	s_wait_alu 0xfffe
	s_and_saveexec_b32 s13, s16
	s_cbranch_execz .LBB137_125
; %bb.100:                              ;   in Loop: Header=BB137_20 Depth=1
	ds_load_b32 v1, v7 offset:4104
	s_wait_loadcnt_dscnt 0x0
	s_barrier_signal -1
	s_barrier_wait -1
	global_inv scope:SCOPE_SE
	v_readfirstlane_b32 s23, v1
	s_and_saveexec_b32 s17, s1
; %bb.101:                              ;   in Loop: Header=BB137_20 Depth=1
	ds_store_b16 v17, v7
; %bb.102:                              ;   in Loop: Header=BB137_20 Depth=1
	s_wait_alu 0xfffe
	s_or_b32 exec_lo, exec_lo, s17
	v_and_b32_e32 v13, s19, v13
	v_or_b32_e32 v33, s12, v33
	s_mov_b32 s17, -1
	s_mov_b32 s20, 0
	s_cmp_eq_u32 s23, 0
	s_mov_b32 s22, 0
	s_mov_b32 s24, -1
	s_wait_loadcnt_dscnt 0x0
	s_barrier_signal -1
	s_barrier_wait -1
	global_inv scope:SCOPE_SE
                                        ; implicit-def: $vgpr34
	s_cbranch_scc1 .LBB137_113
; %bb.103:                              ;   in Loop: Header=BB137_20 Depth=1
	s_add_co_i32 s46, s23, s44
                                        ; implicit-def: $vgpr34
	s_wait_alu 0xfffe
	s_mul_u64 s[78:79], s[46:47], s[50:51]
	s_wait_alu 0xfffe
	s_mul_i32 s22, s79, s27
	s_wait_alu 0xfffe
	s_sub_co_i32 s22, s46, s22
	s_wait_alu 0xfffe
	s_sub_co_i32 s24, s22, s27
	s_cmp_ge_u32 s22, s27
	s_wait_alu 0xfffe
	s_cselect_b32 s22, s24, s22
	s_wait_alu 0xfffe
	s_sub_co_i32 s24, s22, s27
	s_cmp_ge_u32 s22, s27
	s_wait_alu 0xfffe
	s_cselect_b32 s22, s24, s22
	s_mov_b32 s24, 0
	s_wait_alu 0xfffe
	s_sub_co_i32 s77, s46, s22
	s_mov_b32 s22, 0
	s_mov_b32 s46, exec_lo
	s_wait_alu 0xfffe
	v_cmpx_gt_u32_e64 s77, v0
	s_cbranch_execz .LBB137_112
; %bb.104:                              ;   in Loop: Header=BB137_20 Depth=1
	v_dual_mov_b32 v1, v16 :: v_dual_mov_b32 v2, v0
                                        ; implicit-def: $sgpr78
	s_branch .LBB137_107
.LBB137_105:                            ;   in Loop: Header=BB137_107 Depth=2
	s_wait_alu 0xfffe
	s_or_b32 exec_lo, exec_lo, s79
	s_wait_loadcnt_dscnt 0x0
	s_barrier_signal -1
	s_barrier_wait -1
	global_inv scope:SCOPE_SE
	ds_load_b32 v3, v7 offset:3072
	s_mov_b32 s79, -1
	s_mov_b32 s80, -1
	s_wait_loadcnt_dscnt 0x0
	s_barrier_signal -1
	s_barrier_wait -1
	global_inv scope:SCOPE_SE
	v_and_b32_e32 v4, 0x7fff, v3
	s_delay_alu instid0(VALU_DEP_1)
	v_cmp_ne_u32_e32 vcc_lo, 0, v4
	s_cbranch_vccz .LBB137_110
.LBB137_106:                            ;   in Loop: Header=BB137_107 Depth=2
	s_wait_alu 0xfffe
	s_and_b32 s79, exec_lo, s79
	s_wait_alu 0xfffe
	s_or_b32 s22, s79, s22
	s_and_not1_b32 s78, s78, exec_lo
	s_and_b32 s79, s80, exec_lo
	s_wait_alu 0xfffe
	s_or_b32 s78, s78, s79
	s_and_not1_b32 exec_lo, exec_lo, s22
	s_cbranch_execz .LBB137_111
.LBB137_107:                            ;   Parent Loop BB137_20 Depth=1
                                        ; =>  This Inner Loop Header: Depth=2
	s_mov_b32 s79, exec_lo
	s_delay_alu instid0(VALU_DEP_1)
	v_cmpx_gt_u32_e64 s23, v2
	s_cbranch_execz .LBB137_105
; %bb.108:                              ;   in Loop: Header=BB137_107 Depth=2
	ds_load_u16 v3, v1
	s_wait_dscnt 0x0
	v_cmp_lt_i16_e32 vcc_lo, -1, v3
	v_and_b32_e32 v4, 0xffff, v3
	v_lshlrev_b32_e32 v34, 16, v3
	s_wait_alu 0xfffd
	v_cndmask_b32_e32 v6, 0xffff, v31, vcc_lo
	s_delay_alu instid0(VALU_DEP_2) | instskip(NEXT) | instid1(VALU_DEP_2)
	v_cmp_o_f32_e32 vcc_lo, v34, v34
	v_xor_b32_e32 v4, v6, v4
	s_wait_alu 0xfffd
	s_delay_alu instid0(VALU_DEP_1) | instskip(NEXT) | instid1(VALU_DEP_1)
	v_cndmask_b32_e32 v4, 0xffff, v4, vcc_lo
	v_and_b32_e32 v4, v4, v33
	s_delay_alu instid0(VALU_DEP_1)
	v_cmp_eq_u32_e32 vcc_lo, v4, v13
	s_and_b32 exec_lo, exec_lo, vcc_lo
	s_cbranch_execz .LBB137_105
; %bb.109:                              ;   in Loop: Header=BB137_107 Depth=2
	v_perm_b32 v3, v3, s69, 0x5040100
	ds_store_b32 v7, v3 offset:3072
	s_branch .LBB137_105
.LBB137_110:                            ;   in Loop: Header=BB137_107 Depth=2
	v_add_nc_u32_e32 v2, s27, v2
	v_add_nc_u32_e32 v1, s67, v1
	s_mov_b32 s80, 0
	s_delay_alu instid0(VALU_DEP_2)
	v_cmp_le_u32_e32 vcc_lo, s77, v2
	s_or_not1_b32 s79, vcc_lo, exec_lo
	s_branch .LBB137_106
.LBB137_111:                            ;   in Loop: Header=BB137_20 Depth=1
	s_or_b32 exec_lo, exec_lo, s22
	v_lshrrev_b32_e32 v34, 16, v3
	s_wait_alu 0xfffe
	s_and_b32 s22, s78, exec_lo
.LBB137_112:                            ;   in Loop: Header=BB137_20 Depth=1
	s_or_b32 exec_lo, exec_lo, s46
.LBB137_113:                            ;   in Loop: Header=BB137_20 Depth=1
	s_wait_alu 0xfffe
	s_and_b32 vcc_lo, exec_lo, s24
	s_wait_alu 0xfffe
	s_cbranch_vccz .LBB137_124
; %bb.114:                              ;   in Loop: Header=BB137_20 Depth=1
                                        ; implicit-def: $vgpr34
	s_and_saveexec_b32 s17, s10
	s_cbranch_execz .LBB137_123
; %bb.115:                              ;   in Loop: Header=BB137_20 Depth=1
	v_dual_mov_b32 v6, v5 :: v_dual_mov_b32 v1, v0
	s_mov_b32 s20, 0
                                        ; implicit-def: $sgpr23
	s_branch .LBB137_118
.LBB137_116:                            ;   in Loop: Header=BB137_118 Depth=2
	s_wait_alu 0xfffe
	s_or_b32 exec_lo, exec_lo, s24
	s_wait_loadcnt_dscnt 0x0
	s_barrier_signal -1
	s_barrier_wait -1
	global_inv scope:SCOPE_SE
	ds_load_b32 v2, v7 offset:3072
	s_mov_b32 s24, -1
	s_mov_b32 s46, -1
	s_wait_loadcnt_dscnt 0x0
	s_barrier_signal -1
	s_barrier_wait -1
	global_inv scope:SCOPE_SE
	v_and_b32_e32 v3, 0x7fff, v2
	s_delay_alu instid0(VALU_DEP_1)
	v_cmp_ne_u32_e32 vcc_lo, 0, v3
	s_cbranch_vccz .LBB137_121
.LBB137_117:                            ;   in Loop: Header=BB137_118 Depth=2
	s_wait_alu 0xfffe
	s_and_b32 s24, exec_lo, s24
	s_wait_alu 0xfffe
	s_or_b32 s20, s24, s20
	s_and_not1_b32 s23, s23, exec_lo
	s_and_b32 s24, s46, exec_lo
	s_wait_alu 0xfffe
	s_or_b32 s23, s23, s24
	s_and_not1_b32 exec_lo, exec_lo, s20
	s_cbranch_execz .LBB137_122
.LBB137_118:                            ;   Parent Loop BB137_20 Depth=1
                                        ; =>  This Inner Loop Header: Depth=2
	s_mov_b32 s24, exec_lo
	s_delay_alu instid0(VALU_DEP_1)
	v_cmpx_gt_u32_e64 s28, v1
	s_cbranch_execz .LBB137_116
; %bb.119:                              ;   in Loop: Header=BB137_118 Depth=2
	v_lshlrev_b64_e32 v[2:3], 1, v[6:7]
	s_delay_alu instid0(VALU_DEP_1) | instskip(SKIP_1) | instid1(VALU_DEP_2)
	v_add_co_u32 v2, vcc_lo, s36, v2
	s_wait_alu 0xfffd
	v_add_co_ci_u32_e64 v3, null, s37, v3, vcc_lo
	global_load_u16 v2, v[2:3], off
	s_wait_loadcnt 0x0
	v_cmp_lt_i16_e32 vcc_lo, -1, v2
	s_wait_alu 0xfffd
	v_dual_cndmask_b32 v4, 0xffff, v31 :: v_dual_and_b32 v3, 0xffff, v2
	s_delay_alu instid0(VALU_DEP_1) | instskip(SKIP_1) | instid1(VALU_DEP_1)
	v_xor_b32_e32 v3, v4, v3
	v_lshlrev_b32_e32 v34, 16, v2
	v_cmp_o_f32_e32 vcc_lo, v34, v34
	s_wait_alu 0xfffd
	s_delay_alu instid0(VALU_DEP_3) | instskip(NEXT) | instid1(VALU_DEP_1)
	v_cndmask_b32_e32 v3, 0xffff, v3, vcc_lo
	v_and_b32_e32 v3, v3, v33
	s_delay_alu instid0(VALU_DEP_1)
	v_cmp_eq_u32_e32 vcc_lo, v3, v13
	s_and_b32 exec_lo, exec_lo, vcc_lo
	s_cbranch_execz .LBB137_116
; %bb.120:                              ;   in Loop: Header=BB137_118 Depth=2
	v_perm_b32 v2, v2, s69, 0x5040100
	ds_store_b32 v7, v2 offset:3072
	s_branch .LBB137_116
.LBB137_121:                            ;   in Loop: Header=BB137_118 Depth=2
	v_add_nc_u32_e32 v1, s27, v1
	v_add_nc_u32_e32 v6, s57, v6
	s_mov_b32 s46, 0
	s_delay_alu instid0(VALU_DEP_2)
	v_cmp_le_u32_e32 vcc_lo, s64, v1
	s_or_not1_b32 s24, vcc_lo, exec_lo
	s_branch .LBB137_117
.LBB137_122:                            ;   in Loop: Header=BB137_20 Depth=1
	s_or_b32 exec_lo, exec_lo, s20
	v_lshrrev_b32_e32 v34, 16, v2
	s_and_not1_b32 s20, s22, exec_lo
	s_wait_alu 0xfffe
	s_and_b32 s22, s23, exec_lo
	s_wait_alu 0xfffe
	s_or_b32 s22, s20, s22
.LBB137_123:                            ;   in Loop: Header=BB137_20 Depth=1
	s_wait_alu 0xfffe
	s_or_b32 exec_lo, exec_lo, s17
	s_mov_b32 s17, 0
	s_mov_b32 s20, -1
.LBB137_124:                            ;   in Loop: Header=BB137_20 Depth=1
	s_or_not1_b32 s23, s22, exec_lo
.LBB137_125:                            ;   in Loop: Header=BB137_20 Depth=1
	s_wait_alu 0xfffe
	s_or_b32 exec_lo, exec_lo, s13
	v_readfirstlane_b32 s22, v0
	s_and_not1_b32 s13, s74, exec_lo
	s_and_b32 s20, s20, exec_lo
	s_and_not1_b32 s24, s72, exec_lo
	s_and_b32 s17, s17, exec_lo
	s_and_not1_b32 s71, s71, exec_lo
	s_wait_alu 0xfffe
	s_or_b32 s74, s13, s20
	s_or_b32 s72, s24, s17
                                        ; implicit-def: $vgpr2
	s_and_saveexec_b32 s13, s23
	s_cbranch_execz .LBB137_19
; %bb.126:                              ;   in Loop: Header=BB137_20 Depth=1
	v_dual_mov_b32 v2, 1 :: v_dual_mov_b32 v1, 1
	s_xor_b32 s16, s16, -1
	s_mov_b32 s22, 0
	s_wait_alu 0xfffe
	s_and_saveexec_b32 s15, s16
	s_cbranch_execz .LBB137_135
; %bb.127:                              ;   in Loop: Header=BB137_20 Depth=1
	s_mov_b32 s16, exec_lo
	v_cmpx_ge_u32_e64 s14, v35
	s_wait_alu 0xfffe
	s_xor_b32 s16, exec_lo, s16
	s_cbranch_execz .LBB137_132
; %bb.128:                              ;   in Loop: Header=BB137_20 Depth=1
	ds_load_b32 v1, v7 offset:4104
	v_and_b32_e32 v13, s19, v13
	v_or_b32_e32 v33, s12, v33
	s_wait_dscnt 0x0
	v_cmp_ne_u32_e32 vcc_lo, 0, v1
	s_cbranch_vccnz .LBB137_132
; %bb.129:                              ;   in Loop: Header=BB137_20 Depth=1
	s_and_saveexec_b32 s17, s0
; %bb.130:                              ;   in Loop: Header=BB137_20 Depth=1
	v_mov_b32_e32 v1, s14
	ds_store_b32 v7, v1 offset:4108
; %bb.131:                              ;   in Loop: Header=BB137_20 Depth=1
	s_wait_alu 0xfffe
	s_or_b32 exec_lo, exec_lo, s17
	s_wait_loadcnt_dscnt 0x0
	s_barrier_signal -1
	s_barrier_wait -1
	global_inv scope:SCOPE_SE
.LBB137_132:                            ;   in Loop: Header=BB137_20 Depth=1
	s_wait_alu 0xfffe
	s_or_saveexec_b32 s16, s16
	v_mov_b32_e32 v1, 8
	s_mov_b32 s17, 0
	s_wait_alu 0xfffe
	s_xor_b32 exec_lo, exec_lo, s16
; %bb.133:                              ;   in Loop: Header=BB137_20 Depth=1
	v_subrev_nc_u32_e32 v35, s14, v35
	v_mov_b32_e32 v1, 0
	s_mov_b32 s17, exec_lo
; %bb.134:                              ;   in Loop: Header=BB137_20 Depth=1
	s_or_b32 exec_lo, exec_lo, s16
	s_delay_alu instid0(VALU_DEP_2)
	v_mov_b32_e32 v2, v35
	s_wait_alu 0xfffe
	s_and_b32 s22, s17, exec_lo
.LBB137_135:                            ;   in Loop: Header=BB137_20 Depth=1
	s_wait_alu 0xfffe
	s_or_b32 exec_lo, exec_lo, s15
	s_mov_b32 s14, -1
	s_mov_b32 s20, -1
                                        ; implicit-def: $sgpr16
                                        ; implicit-def: $sgpr17
	s_and_saveexec_b32 s15, s22
	s_wait_alu 0xfffe
	s_xor_b32 s15, exec_lo, s15
	s_cbranch_execz .LBB137_252
; %bb.136:                              ;   in Loop: Header=BB137_20 Depth=1
	v_cmp_eq_u32_e32 vcc_lo, 1, v2
	s_cmp_eq_u32 s21, 1
	s_mov_b32 s23, -1
	s_cselect_b32 s16, -1, 0
                                        ; implicit-def: $sgpr17
	s_wait_alu 0xfffe
	s_and_b32 s22, s16, vcc_lo
                                        ; implicit-def: $sgpr16
	s_wait_alu 0xfffe
	s_and_saveexec_b32 s20, s22
	s_cbranch_execz .LBB137_162
; %bb.137:                              ;   in Loop: Header=BB137_20 Depth=1
	ds_load_b32 v3, v7 offset:4104
	s_wait_loadcnt_dscnt 0x0
	s_barrier_signal -1
	s_barrier_wait -1
	global_inv scope:SCOPE_SE
	v_readfirstlane_b32 s24, v3
	s_and_saveexec_b32 s16, s1
; %bb.138:                              ;   in Loop: Header=BB137_20 Depth=1
	ds_store_b16 v17, v7
; %bb.139:                              ;   in Loop: Header=BB137_20 Depth=1
	s_wait_alu 0xfffe
	s_or_b32 exec_lo, exec_lo, s16
	s_lshl_b32 s16, 1, s76
	v_or_b32_e32 v33, s12, v33
	s_wait_alu 0xfffe
	v_and_or_b32 v13, v13, s19, s16
	s_mov_b32 s16, -1
	s_mov_b32 s17, 0
	s_cmp_eq_u32 s24, 0
	s_mov_b32 s23, 0
	s_mov_b32 s46, -1
	s_wait_loadcnt_dscnt 0x0
	s_barrier_signal -1
	s_barrier_wait -1
	global_inv scope:SCOPE_SE
                                        ; implicit-def: $vgpr34
	s_cbranch_scc1 .LBB137_150
; %bb.140:                              ;   in Loop: Header=BB137_20 Depth=1
	s_add_co_i32 s46, s24, s44
                                        ; implicit-def: $vgpr34
	s_wait_alu 0xfffe
	s_mul_u64 s[78:79], s[46:47], s[50:51]
	s_wait_alu 0xfffe
	s_mul_i32 s23, s79, s27
	s_wait_alu 0xfffe
	s_sub_co_i32 s23, s46, s23
	s_wait_alu 0xfffe
	s_sub_co_i32 s77, s23, s27
	s_cmp_ge_u32 s23, s27
	s_wait_alu 0xfffe
	s_cselect_b32 s23, s77, s23
	s_wait_alu 0xfffe
	s_sub_co_i32 s77, s23, s27
	s_cmp_ge_u32 s23, s27
	s_wait_alu 0xfffe
	s_cselect_b32 s23, s77, s23
	s_mov_b32 s77, exec_lo
	s_wait_alu 0xfffe
	s_sub_co_i32 s78, s46, s23
	s_mov_b32 s46, 0
	s_mov_b32 s23, 0
	s_wait_alu 0xfffe
	v_cmpx_gt_u32_e64 s78, v0
	s_cbranch_execz .LBB137_149
; %bb.141:                              ;   in Loop: Header=BB137_20 Depth=1
	v_dual_mov_b32 v3, v16 :: v_dual_mov_b32 v4, v0
                                        ; implicit-def: $sgpr79
	s_branch .LBB137_144
.LBB137_142:                            ;   in Loop: Header=BB137_144 Depth=2
	s_wait_alu 0xfffe
	s_or_b32 exec_lo, exec_lo, s80
	s_wait_loadcnt_dscnt 0x0
	s_barrier_signal -1
	s_barrier_wait -1
	global_inv scope:SCOPE_SE
	ds_load_b32 v6, v7 offset:3072
	s_mov_b32 s80, -1
	s_mov_b32 s81, -1
	s_wait_loadcnt_dscnt 0x0
	s_barrier_signal -1
	s_barrier_wait -1
	global_inv scope:SCOPE_SE
	v_and_b32_e32 v34, 0x7fff, v6
	s_delay_alu instid0(VALU_DEP_1)
	v_cmp_ne_u32_e32 vcc_lo, 0, v34
	s_cbranch_vccz .LBB137_147
.LBB137_143:                            ;   in Loop: Header=BB137_144 Depth=2
	s_wait_alu 0xfffe
	s_and_b32 s80, exec_lo, s80
	s_wait_alu 0xfffe
	s_or_b32 s23, s80, s23
	s_and_not1_b32 s79, s79, exec_lo
	s_and_b32 s80, s81, exec_lo
	s_wait_alu 0xfffe
	s_or_b32 s79, s79, s80
	s_and_not1_b32 exec_lo, exec_lo, s23
	s_cbranch_execz .LBB137_148
.LBB137_144:                            ;   Parent Loop BB137_20 Depth=1
                                        ; =>  This Inner Loop Header: Depth=2
	s_mov_b32 s80, exec_lo
	s_delay_alu instid0(VALU_DEP_1)
	v_cmpx_gt_u32_e64 s24, v4
	s_cbranch_execz .LBB137_142
; %bb.145:                              ;   in Loop: Header=BB137_144 Depth=2
	ds_load_u16 v6, v3
	s_wait_dscnt 0x0
	v_cmp_lt_i16_e32 vcc_lo, -1, v6
	v_and_b32_e32 v34, 0xffff, v6
	s_wait_alu 0xfffd
	v_dual_cndmask_b32 v35, 0xffff, v31 :: v_dual_lshlrev_b32 v36, 16, v6
	s_delay_alu instid0(VALU_DEP_1) | instskip(NEXT) | instid1(VALU_DEP_2)
	v_cmp_o_f32_e32 vcc_lo, v36, v36
	v_xor_b32_e32 v34, v35, v34
	s_wait_alu 0xfffd
	s_delay_alu instid0(VALU_DEP_1) | instskip(NEXT) | instid1(VALU_DEP_1)
	v_cndmask_b32_e32 v34, 0xffff, v34, vcc_lo
	v_and_b32_e32 v34, v34, v33
	s_delay_alu instid0(VALU_DEP_1)
	v_cmp_eq_u32_e32 vcc_lo, v34, v13
	s_and_b32 exec_lo, exec_lo, vcc_lo
	s_cbranch_execz .LBB137_142
; %bb.146:                              ;   in Loop: Header=BB137_144 Depth=2
	v_perm_b32 v6, v6, s69, 0x5040100
	ds_store_b32 v7, v6 offset:3072
	s_branch .LBB137_142
.LBB137_147:                            ;   in Loop: Header=BB137_144 Depth=2
	v_add_nc_u32_e32 v4, s27, v4
	v_add_nc_u32_e32 v3, s67, v3
	s_mov_b32 s81, 0
	s_delay_alu instid0(VALU_DEP_2)
	v_cmp_le_u32_e32 vcc_lo, s78, v4
	s_or_not1_b32 s80, vcc_lo, exec_lo
	s_branch .LBB137_143
.LBB137_148:                            ;   in Loop: Header=BB137_20 Depth=1
	s_or_b32 exec_lo, exec_lo, s23
	v_lshrrev_b32_e32 v34, 16, v6
	s_wait_alu 0xfffe
	s_and_b32 s23, s79, exec_lo
.LBB137_149:                            ;   in Loop: Header=BB137_20 Depth=1
	s_or_b32 exec_lo, exec_lo, s77
.LBB137_150:                            ;   in Loop: Header=BB137_20 Depth=1
	s_wait_alu 0xfffe
	s_and_b32 vcc_lo, exec_lo, s46
	s_wait_alu 0xfffe
	s_cbranch_vccz .LBB137_161
; %bb.151:                              ;   in Loop: Header=BB137_20 Depth=1
                                        ; implicit-def: $vgpr34
	s_and_saveexec_b32 s16, s10
	s_cbranch_execz .LBB137_160
; %bb.152:                              ;   in Loop: Header=BB137_20 Depth=1
	v_dual_mov_b32 v6, v5 :: v_dual_mov_b32 v3, v0
	s_mov_b32 s17, 0
                                        ; implicit-def: $sgpr24
	s_branch .LBB137_155
.LBB137_153:                            ;   in Loop: Header=BB137_155 Depth=2
	s_wait_alu 0xfffe
	s_or_b32 exec_lo, exec_lo, s46
	s_wait_loadcnt_dscnt 0x0
	s_barrier_signal -1
	s_barrier_wait -1
	global_inv scope:SCOPE_SE
	ds_load_b32 v4, v7 offset:3072
	s_mov_b32 s46, -1
	s_mov_b32 s77, -1
	s_wait_loadcnt_dscnt 0x0
	s_barrier_signal -1
	s_barrier_wait -1
	global_inv scope:SCOPE_SE
	v_and_b32_e32 v34, 0x7fff, v4
	s_delay_alu instid0(VALU_DEP_1)
	v_cmp_eq_u32_e32 vcc_lo, 0, v34
	s_cbranch_vccnz .LBB137_158
.LBB137_154:                            ;   in Loop: Header=BB137_155 Depth=2
	s_wait_alu 0xfffe
	s_and_b32 s46, exec_lo, s46
	s_wait_alu 0xfffe
	s_or_b32 s17, s46, s17
	s_and_not1_b32 s24, s24, exec_lo
	s_and_b32 s46, s77, exec_lo
	s_wait_alu 0xfffe
	s_or_b32 s24, s24, s46
	s_and_not1_b32 exec_lo, exec_lo, s17
	s_cbranch_execz .LBB137_159
.LBB137_155:                            ;   Parent Loop BB137_20 Depth=1
                                        ; =>  This Inner Loop Header: Depth=2
	s_mov_b32 s46, exec_lo
	s_delay_alu instid0(VALU_DEP_1)
	v_cmpx_gt_u32_e64 s28, v3
	s_cbranch_execz .LBB137_153
; %bb.156:                              ;   in Loop: Header=BB137_155 Depth=2
	v_lshlrev_b64_e32 v[34:35], 1, v[6:7]
	s_delay_alu instid0(VALU_DEP_1) | instskip(SKIP_1) | instid1(VALU_DEP_2)
	v_add_co_u32 v34, vcc_lo, s36, v34
	s_wait_alu 0xfffd
	v_add_co_ci_u32_e64 v35, null, s37, v35, vcc_lo
	global_load_u16 v4, v[34:35], off
	s_wait_loadcnt 0x0
	v_cmp_lt_i16_e32 vcc_lo, -1, v4
	v_and_b32_e32 v34, 0xffff, v4
	s_wait_alu 0xfffd
	v_dual_cndmask_b32 v35, 0xffff, v31 :: v_dual_lshlrev_b32 v36, 16, v4
	s_delay_alu instid0(VALU_DEP_1) | instskip(NEXT) | instid1(VALU_DEP_2)
	v_cmp_o_f32_e32 vcc_lo, v36, v36
	v_xor_b32_e32 v34, v35, v34
	s_wait_alu 0xfffd
	s_delay_alu instid0(VALU_DEP_1) | instskip(NEXT) | instid1(VALU_DEP_1)
	v_cndmask_b32_e32 v34, 0xffff, v34, vcc_lo
	v_and_b32_e32 v34, v34, v33
	s_delay_alu instid0(VALU_DEP_1)
	v_cmp_eq_u32_e32 vcc_lo, v34, v13
	s_and_b32 exec_lo, exec_lo, vcc_lo
	s_cbranch_execz .LBB137_153
; %bb.157:                              ;   in Loop: Header=BB137_155 Depth=2
	v_perm_b32 v4, v4, s69, 0x5040100
	ds_store_b32 v7, v4 offset:3072
	s_branch .LBB137_153
.LBB137_158:                            ;   in Loop: Header=BB137_155 Depth=2
	v_add_nc_u32_e32 v3, s27, v3
	v_add_nc_u32_e32 v6, s57, v6
	s_mov_b32 s77, 0
	s_delay_alu instid0(VALU_DEP_2)
	v_cmp_le_u32_e32 vcc_lo, s64, v3
	s_or_not1_b32 s46, vcc_lo, exec_lo
	s_branch .LBB137_154
.LBB137_159:                            ;   in Loop: Header=BB137_20 Depth=1
	s_or_b32 exec_lo, exec_lo, s17
	v_lshrrev_b32_e32 v34, 16, v4
	s_and_not1_b32 s17, s23, exec_lo
	s_wait_alu 0xfffe
	s_and_b32 s23, s24, exec_lo
	s_wait_alu 0xfffe
	s_or_b32 s23, s17, s23
.LBB137_160:                            ;   in Loop: Header=BB137_20 Depth=1
	s_wait_alu 0xfffe
	s_or_b32 exec_lo, exec_lo, s16
	s_mov_b32 s16, 0
	s_mov_b32 s17, -1
.LBB137_161:                            ;   in Loop: Header=BB137_20 Depth=1
	s_or_not1_b32 s23, s23, exec_lo
.LBB137_162:                            ;   in Loop: Header=BB137_20 Depth=1
	s_wait_alu 0xfffe
	s_or_b32 exec_lo, exec_lo, s20
	s_mov_b32 s24, 0
	s_and_saveexec_b32 s20, s23
	s_cbranch_execz .LBB137_251
; %bb.163:                              ;   in Loop: Header=BB137_20 Depth=1
	v_mov_b32_e32 v3, 1
	v_mov_b32_e32 v1, 1
	s_xor_b32 s23, s22, -1
	s_mov_b32 s46, 0
	s_wait_alu 0xfffe
	s_and_saveexec_b32 s22, s23
	s_cbranch_execz .LBB137_172
; %bb.164:                              ;   in Loop: Header=BB137_20 Depth=1
	s_mov_b32 s23, exec_lo
	v_cmpx_ge_u32_e64 s21, v2
	s_wait_alu 0xfffe
	s_xor_b32 s23, exec_lo, s23
	s_cbranch_execz .LBB137_169
; %bb.165:                              ;   in Loop: Header=BB137_20 Depth=1
	ds_load_b32 v1, v7 offset:4104
	s_lshl_b32 s24, 1, s76
	v_or_b32_e32 v33, s12, v33
	s_wait_alu 0xfffe
	v_and_or_b32 v13, v13, s19, s24
	s_wait_dscnt 0x0
	v_cmp_ne_u32_e32 vcc_lo, 0, v1
	s_cbranch_vccnz .LBB137_169
; %bb.166:                              ;   in Loop: Header=BB137_20 Depth=1
	s_and_saveexec_b32 s24, s0
; %bb.167:                              ;   in Loop: Header=BB137_20 Depth=1
	v_mov_b32_e32 v1, s21
	ds_store_b32 v7, v1 offset:4108
; %bb.168:                              ;   in Loop: Header=BB137_20 Depth=1
	s_wait_alu 0xfffe
	s_or_b32 exec_lo, exec_lo, s24
	s_wait_loadcnt_dscnt 0x0
	s_barrier_signal -1
	s_barrier_wait -1
	global_inv scope:SCOPE_SE
.LBB137_169:                            ;   in Loop: Header=BB137_20 Depth=1
	s_wait_alu 0xfffe
	s_or_saveexec_b32 s23, s23
	v_mov_b32_e32 v1, 8
	s_mov_b32 s24, 0
	s_wait_alu 0xfffe
	s_xor_b32 exec_lo, exec_lo, s23
; %bb.170:                              ;   in Loop: Header=BB137_20 Depth=1
	v_subrev_nc_u32_e32 v2, s21, v2
	v_mov_b32_e32 v1, 0
	s_mov_b32 s24, exec_lo
; %bb.171:                              ;   in Loop: Header=BB137_20 Depth=1
	s_or_b32 exec_lo, exec_lo, s23
	s_delay_alu instid0(VALU_DEP_2)
	v_mov_b32_e32 v3, v2
	s_wait_alu 0xfffe
	s_and_b32 s46, s24, exec_lo
.LBB137_172:                            ;   in Loop: Header=BB137_20 Depth=1
	s_wait_alu 0xfffe
	s_or_b32 exec_lo, exec_lo, s22
	s_mov_b32 s24, -1
                                        ; implicit-def: $sgpr22
                                        ; implicit-def: $sgpr23
	s_and_saveexec_b32 s21, s46
	s_cbranch_execz .LBB137_250
; %bb.173:                              ;   in Loop: Header=BB137_20 Depth=1
	v_cmp_eq_u32_e32 vcc_lo, 1, v3
	s_cmp_eq_u32 s18, 1
	s_mov_b32 s46, -1
	s_cselect_b32 s22, -1, 0
                                        ; implicit-def: $sgpr23
	s_wait_alu 0xfffe
	s_and_b32 s77, s22, vcc_lo
                                        ; implicit-def: $sgpr22
	s_wait_alu 0xfffe
	s_and_saveexec_b32 s24, s77
	s_cbranch_execz .LBB137_199
; %bb.174:                              ;   in Loop: Header=BB137_20 Depth=1
	ds_load_b32 v2, v7 offset:4104
	s_wait_loadcnt_dscnt 0x0
	s_barrier_signal -1
	s_barrier_wait -1
	global_inv scope:SCOPE_SE
	v_readfirstlane_b32 s78, v2
	s_and_saveexec_b32 s22, s1
; %bb.175:                              ;   in Loop: Header=BB137_20 Depth=1
	ds_store_b16 v17, v7
; %bb.176:                              ;   in Loop: Header=BB137_20 Depth=1
	s_wait_alu 0xfffe
	s_or_b32 exec_lo, exec_lo, s22
	s_lshl_b32 s22, 2, s76
	v_or_b32_e32 v33, s12, v33
	s_wait_alu 0xfffe
	v_and_or_b32 v13, v13, s19, s22
	s_mov_b32 s22, -1
	s_mov_b32 s23, 0
	s_cmp_eq_u32 s78, 0
	s_mov_b32 s46, 0
	s_mov_b32 s79, -1
	s_wait_loadcnt_dscnt 0x0
	s_barrier_signal -1
	s_barrier_wait -1
	global_inv scope:SCOPE_SE
                                        ; implicit-def: $vgpr34
	s_cbranch_scc1 .LBB137_187
; %bb.177:                              ;   in Loop: Header=BB137_20 Depth=1
	s_add_co_i32 s46, s78, s44
                                        ; implicit-def: $vgpr34
	s_wait_alu 0xfffe
	s_mul_u64 s[80:81], s[46:47], s[50:51]
	s_wait_alu 0xfffe
	s_mul_i32 s79, s81, s27
	s_wait_alu 0xfffe
	s_sub_co_i32 s79, s46, s79
	s_wait_alu 0xfffe
	s_sub_co_i32 s80, s79, s27
	s_cmp_ge_u32 s79, s27
	s_wait_alu 0xfffe
	s_cselect_b32 s79, s80, s79
	s_wait_alu 0xfffe
	s_sub_co_i32 s80, s79, s27
	s_cmp_ge_u32 s79, s27
	s_wait_alu 0xfffe
	s_cselect_b32 s79, s80, s79
	s_mov_b32 s80, exec_lo
	s_wait_alu 0xfffe
	s_sub_co_i32 s81, s46, s79
	s_mov_b32 s79, 0
	s_mov_b32 s46, 0
	s_wait_alu 0xfffe
	v_cmpx_gt_u32_e64 s81, v0
	s_cbranch_execz .LBB137_186
; %bb.178:                              ;   in Loop: Header=BB137_20 Depth=1
	v_mov_b32_e32 v2, v16
	v_mov_b32_e32 v4, v0
                                        ; implicit-def: $sgpr82
	s_branch .LBB137_181
.LBB137_179:                            ;   in Loop: Header=BB137_181 Depth=2
	s_wait_alu 0xfffe
	s_or_b32 exec_lo, exec_lo, s83
	s_wait_loadcnt_dscnt 0x0
	s_barrier_signal -1
	s_barrier_wait -1
	global_inv scope:SCOPE_SE
	ds_load_b32 v6, v7 offset:3072
	s_mov_b32 s83, -1
	s_mov_b32 s84, -1
	s_wait_loadcnt_dscnt 0x0
	s_barrier_signal -1
	s_barrier_wait -1
	global_inv scope:SCOPE_SE
	v_and_b32_e32 v34, 0x7fff, v6
	s_delay_alu instid0(VALU_DEP_1)
	v_cmp_ne_u32_e32 vcc_lo, 0, v34
	s_cbranch_vccz .LBB137_184
.LBB137_180:                            ;   in Loop: Header=BB137_181 Depth=2
	s_wait_alu 0xfffe
	s_and_b32 s83, exec_lo, s83
	s_wait_alu 0xfffe
	s_or_b32 s46, s83, s46
	s_and_not1_b32 s82, s82, exec_lo
	s_and_b32 s83, s84, exec_lo
	s_wait_alu 0xfffe
	s_or_b32 s82, s82, s83
	s_and_not1_b32 exec_lo, exec_lo, s46
	s_cbranch_execz .LBB137_185
.LBB137_181:                            ;   Parent Loop BB137_20 Depth=1
                                        ; =>  This Inner Loop Header: Depth=2
	s_mov_b32 s83, exec_lo
	s_delay_alu instid0(VALU_DEP_1)
	v_cmpx_gt_u32_e64 s78, v4
	s_cbranch_execz .LBB137_179
; %bb.182:                              ;   in Loop: Header=BB137_181 Depth=2
	ds_load_u16 v6, v2
	s_wait_dscnt 0x0
	v_cmp_lt_i16_e32 vcc_lo, -1, v6
	v_and_b32_e32 v34, 0xffff, v6
	s_wait_alu 0xfffd
	v_dual_cndmask_b32 v35, 0xffff, v31 :: v_dual_lshlrev_b32 v36, 16, v6
	s_delay_alu instid0(VALU_DEP_1) | instskip(NEXT) | instid1(VALU_DEP_2)
	v_cmp_o_f32_e32 vcc_lo, v36, v36
	v_xor_b32_e32 v34, v35, v34
	s_wait_alu 0xfffd
	s_delay_alu instid0(VALU_DEP_1) | instskip(NEXT) | instid1(VALU_DEP_1)
	v_cndmask_b32_e32 v34, 0xffff, v34, vcc_lo
	v_and_b32_e32 v34, v34, v33
	s_delay_alu instid0(VALU_DEP_1)
	v_cmp_eq_u32_e32 vcc_lo, v34, v13
	s_and_b32 exec_lo, exec_lo, vcc_lo
	s_cbranch_execz .LBB137_179
; %bb.183:                              ;   in Loop: Header=BB137_181 Depth=2
	v_perm_b32 v6, v6, s69, 0x5040100
	ds_store_b32 v7, v6 offset:3072
	s_branch .LBB137_179
.LBB137_184:                            ;   in Loop: Header=BB137_181 Depth=2
	v_add_nc_u32_e32 v4, s27, v4
	v_add_nc_u32_e32 v2, s67, v2
	s_mov_b32 s84, 0
	s_delay_alu instid0(VALU_DEP_2)
	v_cmp_le_u32_e32 vcc_lo, s81, v4
	s_or_not1_b32 s83, vcc_lo, exec_lo
	s_branch .LBB137_180
.LBB137_185:                            ;   in Loop: Header=BB137_20 Depth=1
	s_or_b32 exec_lo, exec_lo, s46
	v_lshrrev_b32_e32 v34, 16, v6
	s_wait_alu 0xfffe
	s_and_b32 s46, s82, exec_lo
.LBB137_186:                            ;   in Loop: Header=BB137_20 Depth=1
	s_or_b32 exec_lo, exec_lo, s80
.LBB137_187:                            ;   in Loop: Header=BB137_20 Depth=1
	s_wait_alu 0xfffe
	s_and_b32 vcc_lo, exec_lo, s79
	s_wait_alu 0xfffe
	s_cbranch_vccz .LBB137_198
; %bb.188:                              ;   in Loop: Header=BB137_20 Depth=1
                                        ; implicit-def: $vgpr34
	s_and_saveexec_b32 s22, s10
	s_cbranch_execz .LBB137_197
; %bb.189:                              ;   in Loop: Header=BB137_20 Depth=1
	v_mov_b32_e32 v6, v5
	v_mov_b32_e32 v2, v0
	s_mov_b32 s23, 0
                                        ; implicit-def: $sgpr78
	s_branch .LBB137_192
.LBB137_190:                            ;   in Loop: Header=BB137_192 Depth=2
	s_wait_alu 0xfffe
	s_or_b32 exec_lo, exec_lo, s79
	s_wait_loadcnt_dscnt 0x0
	s_barrier_signal -1
	s_barrier_wait -1
	global_inv scope:SCOPE_SE
	ds_load_b32 v4, v7 offset:3072
	s_mov_b32 s79, -1
	s_mov_b32 s80, -1
	s_wait_loadcnt_dscnt 0x0
	s_barrier_signal -1
	s_barrier_wait -1
	global_inv scope:SCOPE_SE
	v_and_b32_e32 v34, 0x7fff, v4
	s_delay_alu instid0(VALU_DEP_1)
	v_cmp_eq_u32_e32 vcc_lo, 0, v34
	s_cbranch_vccnz .LBB137_195
.LBB137_191:                            ;   in Loop: Header=BB137_192 Depth=2
	s_wait_alu 0xfffe
	s_and_b32 s79, exec_lo, s79
	s_wait_alu 0xfffe
	s_or_b32 s23, s79, s23
	s_and_not1_b32 s78, s78, exec_lo
	s_and_b32 s79, s80, exec_lo
	s_wait_alu 0xfffe
	s_or_b32 s78, s78, s79
	s_and_not1_b32 exec_lo, exec_lo, s23
	s_cbranch_execz .LBB137_196
.LBB137_192:                            ;   Parent Loop BB137_20 Depth=1
                                        ; =>  This Inner Loop Header: Depth=2
	s_mov_b32 s79, exec_lo
	s_delay_alu instid0(VALU_DEP_1)
	v_cmpx_gt_u32_e64 s28, v2
	s_cbranch_execz .LBB137_190
; %bb.193:                              ;   in Loop: Header=BB137_192 Depth=2
	v_lshlrev_b64_e32 v[34:35], 1, v[6:7]
	s_delay_alu instid0(VALU_DEP_1) | instskip(SKIP_1) | instid1(VALU_DEP_2)
	v_add_co_u32 v34, vcc_lo, s36, v34
	s_wait_alu 0xfffd
	v_add_co_ci_u32_e64 v35, null, s37, v35, vcc_lo
	global_load_u16 v4, v[34:35], off
	s_wait_loadcnt 0x0
	v_cmp_lt_i16_e32 vcc_lo, -1, v4
	v_and_b32_e32 v34, 0xffff, v4
	s_wait_alu 0xfffd
	v_dual_cndmask_b32 v35, 0xffff, v31 :: v_dual_lshlrev_b32 v36, 16, v4
	s_delay_alu instid0(VALU_DEP_1) | instskip(NEXT) | instid1(VALU_DEP_2)
	v_cmp_o_f32_e32 vcc_lo, v36, v36
	v_xor_b32_e32 v34, v35, v34
	s_wait_alu 0xfffd
	s_delay_alu instid0(VALU_DEP_1) | instskip(NEXT) | instid1(VALU_DEP_1)
	v_cndmask_b32_e32 v34, 0xffff, v34, vcc_lo
	v_and_b32_e32 v34, v34, v33
	s_delay_alu instid0(VALU_DEP_1)
	v_cmp_eq_u32_e32 vcc_lo, v34, v13
	s_and_b32 exec_lo, exec_lo, vcc_lo
	s_cbranch_execz .LBB137_190
; %bb.194:                              ;   in Loop: Header=BB137_192 Depth=2
	v_perm_b32 v4, v4, s69, 0x5040100
	ds_store_b32 v7, v4 offset:3072
	s_branch .LBB137_190
.LBB137_195:                            ;   in Loop: Header=BB137_192 Depth=2
	v_add_nc_u32_e32 v2, s27, v2
	v_add_nc_u32_e32 v6, s57, v6
	s_mov_b32 s80, 0
	s_delay_alu instid0(VALU_DEP_2)
	v_cmp_le_u32_e32 vcc_lo, s64, v2
	s_or_not1_b32 s79, vcc_lo, exec_lo
	s_branch .LBB137_191
.LBB137_196:                            ;   in Loop: Header=BB137_20 Depth=1
	s_or_b32 exec_lo, exec_lo, s23
	v_lshrrev_b32_e32 v34, 16, v4
	s_and_not1_b32 s23, s46, exec_lo
	s_wait_alu 0xfffe
	s_and_b32 s46, s78, exec_lo
	s_wait_alu 0xfffe
	s_or_b32 s46, s23, s46
.LBB137_197:                            ;   in Loop: Header=BB137_20 Depth=1
	s_wait_alu 0xfffe
	s_or_b32 exec_lo, exec_lo, s22
	s_mov_b32 s22, 0
	s_mov_b32 s23, -1
.LBB137_198:                            ;   in Loop: Header=BB137_20 Depth=1
	s_or_not1_b32 s46, s46, exec_lo
.LBB137_199:                            ;   in Loop: Header=BB137_20 Depth=1
	s_wait_alu 0xfffe
	s_or_b32 exec_lo, exec_lo, s24
	s_mov_b32 s78, 0
	s_and_saveexec_b32 s24, s46
	s_cbranch_execz .LBB137_249
; %bb.200:                              ;   in Loop: Header=BB137_20 Depth=1
	v_dual_mov_b32 v2, 1 :: v_dual_mov_b32 v1, 1
	s_xor_b32 s77, s77, -1
	s_mov_b32 s79, 0
	s_wait_alu 0xfffe
	s_and_saveexec_b32 s46, s77
	s_cbranch_execz .LBB137_209
; %bb.201:                              ;   in Loop: Header=BB137_20 Depth=1
	s_mov_b32 s77, exec_lo
	v_cmpx_ge_u32_e64 s18, v3
	s_wait_alu 0xfffe
	s_xor_b32 s77, exec_lo, s77
	s_cbranch_execz .LBB137_206
; %bb.202:                              ;   in Loop: Header=BB137_20 Depth=1
	ds_load_b32 v1, v7 offset:4104
	s_lshl_b32 s78, 2, s76
	v_or_b32_e32 v33, s12, v33
	s_wait_alu 0xfffe
	v_and_or_b32 v13, v13, s19, s78
	s_wait_dscnt 0x0
	v_cmp_ne_u32_e32 vcc_lo, 0, v1
	s_cbranch_vccnz .LBB137_206
; %bb.203:                              ;   in Loop: Header=BB137_20 Depth=1
	s_and_saveexec_b32 s19, s0
; %bb.204:                              ;   in Loop: Header=BB137_20 Depth=1
	v_mov_b32_e32 v1, s18
	ds_store_b32 v7, v1 offset:4108
; %bb.205:                              ;   in Loop: Header=BB137_20 Depth=1
	s_wait_alu 0xfffe
	s_or_b32 exec_lo, exec_lo, s19
	s_wait_loadcnt_dscnt 0x0
	s_barrier_signal -1
	s_barrier_wait -1
	global_inv scope:SCOPE_SE
.LBB137_206:                            ;   in Loop: Header=BB137_20 Depth=1
	s_wait_alu 0xfffe
	s_or_saveexec_b32 s19, s77
	v_mov_b32_e32 v1, 8
	s_mov_b32 s77, 0
	s_wait_alu 0xfffe
	s_xor_b32 exec_lo, exec_lo, s19
; %bb.207:                              ;   in Loop: Header=BB137_20 Depth=1
	v_subrev_nc_u32_e32 v3, s18, v3
	v_mov_b32_e32 v1, 0
	s_mov_b32 s77, exec_lo
; %bb.208:                              ;   in Loop: Header=BB137_20 Depth=1
	s_or_b32 exec_lo, exec_lo, s19
	s_delay_alu instid0(VALU_DEP_2)
	v_mov_b32_e32 v2, v3
	s_wait_alu 0xfffe
	s_and_b32 s79, s77, exec_lo
.LBB137_209:                            ;   in Loop: Header=BB137_20 Depth=1
	s_wait_alu 0xfffe
	s_or_b32 exec_lo, exec_lo, s46
	s_mov_b32 s19, -1
                                        ; implicit-def: $sgpr78
                                        ; implicit-def: $sgpr77
	s_and_saveexec_b32 s18, s79
	s_cbranch_execz .LBB137_248
; %bb.210:                              ;   in Loop: Header=BB137_20 Depth=1
	v_cmp_eq_u32_e32 vcc_lo, 1, v2
	s_cmp_eq_u32 s11, 1
	s_mov_b32 s80, -1
	s_cselect_b32 s19, -1, 0
                                        ; implicit-def: $sgpr78
                                        ; implicit-def: $sgpr77
	s_wait_alu 0xfffe
	s_and_b32 s19, s19, vcc_lo
	s_wait_alu 0xfffe
	s_and_saveexec_b32 s79, s19
	s_cbranch_execz .LBB137_236
; %bb.211:                              ;   in Loop: Header=BB137_20 Depth=1
	ds_load_b32 v3, v7 offset:4104
	s_wait_loadcnt_dscnt 0x0
	s_barrier_signal -1
	s_barrier_wait -1
	global_inv scope:SCOPE_SE
	v_readfirstlane_b32 s80, v3
	s_and_saveexec_b32 s46, s1
; %bb.212:                              ;   in Loop: Header=BB137_20 Depth=1
	ds_store_b16 v17, v7
; %bb.213:                              ;   in Loop: Header=BB137_20 Depth=1
	s_wait_alu 0xfffe
	s_or_b32 exec_lo, exec_lo, s46
	v_or_b32_e32 v13, s12, v13
	v_or_b32_e32 v33, s12, v33
	s_mov_b32 s77, -1
	s_mov_b32 s78, 0
	s_cmp_eq_u32 s80, 0
	s_mov_b32 s46, 0
	s_mov_b32 s81, -1
	s_wait_loadcnt_dscnt 0x0
	s_barrier_signal -1
	s_barrier_wait -1
	global_inv scope:SCOPE_SE
                                        ; implicit-def: $vgpr34
	s_cbranch_scc1 .LBB137_224
; %bb.214:                              ;   in Loop: Header=BB137_20 Depth=1
	s_add_co_i32 s46, s80, s44
                                        ; implicit-def: $vgpr34
	s_wait_alu 0xfffe
	s_mul_u64 s[82:83], s[46:47], s[50:51]
	s_wait_alu 0xfffe
	s_mul_i32 s81, s83, s27
	s_wait_alu 0xfffe
	s_sub_co_i32 s81, s46, s81
	s_wait_alu 0xfffe
	s_sub_co_i32 s82, s81, s27
	s_cmp_ge_u32 s81, s27
	s_wait_alu 0xfffe
	s_cselect_b32 s81, s82, s81
	s_wait_alu 0xfffe
	s_sub_co_i32 s82, s81, s27
	s_cmp_ge_u32 s81, s27
	s_wait_alu 0xfffe
	s_cselect_b32 s81, s82, s81
	s_mov_b32 s82, exec_lo
	s_wait_alu 0xfffe
	s_sub_co_i32 s83, s46, s81
	s_mov_b32 s81, 0
	s_mov_b32 s46, 0
	s_wait_alu 0xfffe
	v_cmpx_gt_u32_e64 s83, v0
	s_cbranch_execz .LBB137_223
; %bb.215:                              ;   in Loop: Header=BB137_20 Depth=1
	v_dual_mov_b32 v3, v16 :: v_dual_mov_b32 v4, v0
                                        ; implicit-def: $sgpr84
	s_branch .LBB137_218
.LBB137_216:                            ;   in Loop: Header=BB137_218 Depth=2
	s_or_b32 exec_lo, exec_lo, s85
	s_wait_loadcnt_dscnt 0x0
	s_barrier_signal -1
	s_barrier_wait -1
	global_inv scope:SCOPE_SE
	ds_load_b32 v6, v7 offset:3072
	s_mov_b32 s85, -1
	s_mov_b32 s86, -1
	s_wait_loadcnt_dscnt 0x0
	s_barrier_signal -1
	s_barrier_wait -1
	global_inv scope:SCOPE_SE
	v_and_b32_e32 v34, 0x7fff, v6
	s_delay_alu instid0(VALU_DEP_1)
	v_cmp_ne_u32_e32 vcc_lo, 0, v34
	s_cbranch_vccz .LBB137_221
.LBB137_217:                            ;   in Loop: Header=BB137_218 Depth=2
	s_and_b32 s85, exec_lo, s85
	s_delay_alu instid0(SALU_CYCLE_1) | instskip(SKIP_2) | instid1(SALU_CYCLE_1)
	s_or_b32 s46, s85, s46
	s_and_not1_b32 s84, s84, exec_lo
	s_and_b32 s85, s86, exec_lo
	s_or_b32 s84, s84, s85
	s_wait_alu 0xfffe
	s_and_not1_b32 exec_lo, exec_lo, s46
	s_cbranch_execz .LBB137_222
.LBB137_218:                            ;   Parent Loop BB137_20 Depth=1
                                        ; =>  This Inner Loop Header: Depth=2
	s_mov_b32 s85, exec_lo
	s_delay_alu instid0(VALU_DEP_1)
	v_cmpx_gt_u32_e64 s80, v4
	s_cbranch_execz .LBB137_216
; %bb.219:                              ;   in Loop: Header=BB137_218 Depth=2
	ds_load_u16 v6, v3
	s_wait_dscnt 0x0
	v_cmp_lt_i16_e32 vcc_lo, -1, v6
	v_and_b32_e32 v34, 0xffff, v6
	s_wait_alu 0xfffd
	v_dual_cndmask_b32 v35, 0xffff, v31 :: v_dual_lshlrev_b32 v36, 16, v6
	s_delay_alu instid0(VALU_DEP_1) | instskip(NEXT) | instid1(VALU_DEP_2)
	v_cmp_o_f32_e32 vcc_lo, v36, v36
	v_xor_b32_e32 v34, v35, v34
	s_wait_alu 0xfffd
	s_delay_alu instid0(VALU_DEP_1) | instskip(NEXT) | instid1(VALU_DEP_1)
	v_cndmask_b32_e32 v34, 0xffff, v34, vcc_lo
	v_and_b32_e32 v34, v34, v33
	s_delay_alu instid0(VALU_DEP_1)
	v_cmp_eq_u32_e32 vcc_lo, v34, v13
	s_and_b32 exec_lo, exec_lo, vcc_lo
	s_cbranch_execz .LBB137_216
; %bb.220:                              ;   in Loop: Header=BB137_218 Depth=2
	v_perm_b32 v6, v6, s69, 0x5040100
	ds_store_b32 v7, v6 offset:3072
	s_branch .LBB137_216
.LBB137_221:                            ;   in Loop: Header=BB137_218 Depth=2
	v_add_nc_u32_e32 v4, s27, v4
	v_add_nc_u32_e32 v3, s67, v3
	s_mov_b32 s86, 0
	s_delay_alu instid0(VALU_DEP_2)
	v_cmp_le_u32_e32 vcc_lo, s83, v4
	s_or_not1_b32 s85, vcc_lo, exec_lo
	s_branch .LBB137_217
.LBB137_222:                            ;   in Loop: Header=BB137_20 Depth=1
	s_or_b32 exec_lo, exec_lo, s46
	v_lshrrev_b32_e32 v34, 16, v6
	s_and_b32 s46, s84, exec_lo
.LBB137_223:                            ;   in Loop: Header=BB137_20 Depth=1
	s_or_b32 exec_lo, exec_lo, s82
.LBB137_224:                            ;   in Loop: Header=BB137_20 Depth=1
	s_wait_alu 0xfffe
	s_and_b32 vcc_lo, exec_lo, s81
	s_wait_alu 0xfffe
	s_cbranch_vccz .LBB137_235
; %bb.225:                              ;   in Loop: Header=BB137_20 Depth=1
                                        ; implicit-def: $vgpr34
	s_and_saveexec_b32 s77, s10
	s_cbranch_execz .LBB137_234
; %bb.226:                              ;   in Loop: Header=BB137_20 Depth=1
	v_dual_mov_b32 v6, v5 :: v_dual_mov_b32 v3, v0
	s_mov_b32 s78, 0
                                        ; implicit-def: $sgpr80
	s_branch .LBB137_229
.LBB137_227:                            ;   in Loop: Header=BB137_229 Depth=2
	s_wait_alu 0xfffe
	s_or_b32 exec_lo, exec_lo, s81
	s_wait_loadcnt_dscnt 0x0
	s_barrier_signal -1
	s_barrier_wait -1
	global_inv scope:SCOPE_SE
	ds_load_b32 v4, v7 offset:3072
	s_mov_b32 s81, -1
	s_mov_b32 s82, -1
	s_wait_loadcnt_dscnt 0x0
	s_barrier_signal -1
	s_barrier_wait -1
	global_inv scope:SCOPE_SE
	v_and_b32_e32 v34, 0x7fff, v4
	s_delay_alu instid0(VALU_DEP_1)
	v_cmp_eq_u32_e32 vcc_lo, 0, v34
	s_cbranch_vccnz .LBB137_232
.LBB137_228:                            ;   in Loop: Header=BB137_229 Depth=2
	s_wait_alu 0xfffe
	s_and_b32 s81, exec_lo, s81
	s_wait_alu 0xfffe
	s_or_b32 s78, s81, s78
	s_and_not1_b32 s80, s80, exec_lo
	s_and_b32 s81, s82, exec_lo
	s_wait_alu 0xfffe
	s_or_b32 s80, s80, s81
	s_and_not1_b32 exec_lo, exec_lo, s78
	s_cbranch_execz .LBB137_233
.LBB137_229:                            ;   Parent Loop BB137_20 Depth=1
                                        ; =>  This Inner Loop Header: Depth=2
	s_mov_b32 s81, exec_lo
	s_delay_alu instid0(VALU_DEP_1)
	v_cmpx_gt_u32_e64 s28, v3
	s_cbranch_execz .LBB137_227
; %bb.230:                              ;   in Loop: Header=BB137_229 Depth=2
	v_lshlrev_b64_e32 v[34:35], 1, v[6:7]
	s_delay_alu instid0(VALU_DEP_1) | instskip(SKIP_1) | instid1(VALU_DEP_2)
	v_add_co_u32 v34, vcc_lo, s36, v34
	s_wait_alu 0xfffd
	v_add_co_ci_u32_e64 v35, null, s37, v35, vcc_lo
	global_load_u16 v4, v[34:35], off
	s_wait_loadcnt 0x0
	v_cmp_lt_i16_e32 vcc_lo, -1, v4
	v_and_b32_e32 v34, 0xffff, v4
	s_wait_alu 0xfffd
	v_dual_cndmask_b32 v35, 0xffff, v31 :: v_dual_lshlrev_b32 v36, 16, v4
	s_delay_alu instid0(VALU_DEP_1) | instskip(NEXT) | instid1(VALU_DEP_2)
	v_cmp_o_f32_e32 vcc_lo, v36, v36
	v_xor_b32_e32 v34, v35, v34
	s_wait_alu 0xfffd
	s_delay_alu instid0(VALU_DEP_1) | instskip(NEXT) | instid1(VALU_DEP_1)
	v_cndmask_b32_e32 v34, 0xffff, v34, vcc_lo
	v_and_b32_e32 v34, v34, v33
	s_delay_alu instid0(VALU_DEP_1)
	v_cmp_eq_u32_e32 vcc_lo, v34, v13
	s_and_b32 exec_lo, exec_lo, vcc_lo
	s_cbranch_execz .LBB137_227
; %bb.231:                              ;   in Loop: Header=BB137_229 Depth=2
	v_perm_b32 v4, v4, s69, 0x5040100
	ds_store_b32 v7, v4 offset:3072
	s_branch .LBB137_227
.LBB137_232:                            ;   in Loop: Header=BB137_229 Depth=2
	v_add_nc_u32_e32 v3, s27, v3
	v_add_nc_u32_e32 v6, s57, v6
	s_mov_b32 s82, 0
	s_delay_alu instid0(VALU_DEP_2)
	v_cmp_le_u32_e32 vcc_lo, s64, v3
	s_or_not1_b32 s81, vcc_lo, exec_lo
	s_branch .LBB137_228
.LBB137_233:                            ;   in Loop: Header=BB137_20 Depth=1
	s_or_b32 exec_lo, exec_lo, s78
	v_lshrrev_b32_e32 v34, 16, v4
	s_and_not1_b32 s46, s46, exec_lo
	s_wait_alu 0xfffe
	s_and_b32 s78, s80, exec_lo
	s_wait_alu 0xfffe
	s_or_b32 s46, s46, s78
.LBB137_234:                            ;   in Loop: Header=BB137_20 Depth=1
	s_wait_alu 0xfffe
	s_or_b32 exec_lo, exec_lo, s77
	s_mov_b32 s77, 0
	s_mov_b32 s78, -1
.LBB137_235:                            ;   in Loop: Header=BB137_20 Depth=1
	s_or_not1_b32 s80, s46, exec_lo
.LBB137_236:                            ;   in Loop: Header=BB137_20 Depth=1
	s_wait_alu 0xfffe
	s_or_b32 exec_lo, exec_lo, s79
	s_mov_b32 s79, 0
	s_and_saveexec_b32 s46, s80
	s_cbranch_execz .LBB137_247
; %bb.237:                              ;   in Loop: Header=BB137_20 Depth=1
	v_mov_b32_e32 v1, 1
	v_mov_b32_e32 v3, 1
	s_xor_b32 s79, s19, -1
	s_wait_alu 0xfffe
	s_and_saveexec_b32 s19, s79
	s_cbranch_execz .LBB137_246
; %bb.238:                              ;   in Loop: Header=BB137_20 Depth=1
	s_mov_b32 s79, exec_lo
	v_cmpx_ge_u32_e64 s11, v2
	s_wait_alu 0xfffe
	s_xor_b32 s79, exec_lo, s79
	s_cbranch_execz .LBB137_243
; %bb.239:                              ;   in Loop: Header=BB137_20 Depth=1
	ds_load_b32 v1, v7 offset:4104
	v_or_b32_e32 v13, s12, v13
	v_or_b32_e32 v33, s12, v33
	s_wait_dscnt 0x0
	v_cmp_ne_u32_e32 vcc_lo, 0, v1
	s_cbranch_vccnz .LBB137_243
; %bb.240:                              ;   in Loop: Header=BB137_20 Depth=1
	s_and_saveexec_b32 s12, s0
; %bb.241:                              ;   in Loop: Header=BB137_20 Depth=1
	v_mov_b32_e32 v1, s11
	ds_store_b32 v7, v1 offset:4108
; %bb.242:                              ;   in Loop: Header=BB137_20 Depth=1
	s_wait_alu 0xfffe
	s_or_b32 exec_lo, exec_lo, s12
	s_wait_loadcnt_dscnt 0x0
	s_barrier_signal -1
	s_barrier_wait -1
	global_inv scope:SCOPE_SE
.LBB137_243:                            ;   in Loop: Header=BB137_20 Depth=1
	s_wait_alu 0xfffe
	s_and_not1_saveexec_b32 s12, s79
; %bb.244:                              ;   in Loop: Header=BB137_20 Depth=1
	v_subrev_nc_u32_e32 v2, s11, v2
; %bb.245:                              ;   in Loop: Header=BB137_20 Depth=1
	s_wait_alu 0xfffe
	s_or_b32 exec_lo, exec_lo, s12
	v_mov_b32_e32 v1, 8
	s_delay_alu instid0(VALU_DEP_2)
	v_mov_b32_e32 v3, v2
.LBB137_246:                            ;   in Loop: Header=BB137_20 Depth=1
	s_wait_alu 0xfffe
	s_or_b32 exec_lo, exec_lo, s19
	s_delay_alu instid0(VALU_DEP_1)
	v_mov_b32_e32 v2, v3
	s_mov_b32 s79, exec_lo
.LBB137_247:                            ;   in Loop: Header=BB137_20 Depth=1
	s_wait_alu 0xfffe
	s_or_b32 exec_lo, exec_lo, s46
	s_delay_alu instid0(SALU_CYCLE_1)
	s_or_not1_b32 s19, s79, exec_lo
.LBB137_248:                            ;   in Loop: Header=BB137_20 Depth=1
	s_wait_alu 0xfffe
	s_or_b32 exec_lo, exec_lo, s18
	v_mov_b32_e32 v3, v2
	s_and_not1_b32 s11, s23, exec_lo
	s_and_b32 s12, s78, exec_lo
	s_and_not1_b32 s18, s22, exec_lo
	s_and_b32 s22, s77, exec_lo
	s_wait_alu 0xfffe
	s_or_b32 s23, s11, s12
	s_or_b32 s22, s18, s22
	s_and_b32 s78, s19, exec_lo
.LBB137_249:                            ;   in Loop: Header=BB137_20 Depth=1
	s_wait_alu 0xfffe
	s_or_b32 exec_lo, exec_lo, s24
	s_delay_alu instid0(SALU_CYCLE_1)
	s_or_not1_b32 s24, s78, exec_lo
.LBB137_250:                            ;   in Loop: Header=BB137_20 Depth=1
	s_wait_alu 0xfffe
	s_or_b32 exec_lo, exec_lo, s21
	v_mov_b32_e32 v2, v3
	s_and_not1_b32 s11, s17, exec_lo
	s_and_b32 s12, s23, exec_lo
	s_and_not1_b32 s16, s16, exec_lo
	s_and_b32 s18, s22, exec_lo
	s_wait_alu 0xfffe
	s_or_b32 s17, s11, s12
	s_or_b32 s16, s16, s18
	s_and_b32 s24, s24, exec_lo
.LBB137_251:                            ;   in Loop: Header=BB137_20 Depth=1
	s_wait_alu 0xfffe
	s_or_b32 exec_lo, exec_lo, s20
	s_delay_alu instid0(SALU_CYCLE_1)
	s_or_not1_b32 s20, s24, exec_lo
.LBB137_252:                            ;   in Loop: Header=BB137_20 Depth=1
	s_wait_alu 0xfffe
	s_or_b32 exec_lo, exec_lo, s15
	s_mov_b32 s12, 0
                                        ; implicit-def: $sgpr22
	s_and_saveexec_b32 s11, s20
	s_wait_alu 0xfffe
	s_xor_b32 s11, exec_lo, s11
	s_cbranch_execz .LBB137_18
; %bb.253:                              ;   in Loop: Header=BB137_20 Depth=1
	v_and_b32_e32 v1, 7, v1
	s_mov_b32 s14, -1
	s_mov_b32 s12, -1
	s_mov_b32 s15, exec_lo
                                        ; implicit-def: $sgpr22
	s_delay_alu instid0(VALU_DEP_1)
	v_cmpx_eq_u32_e32 0, v1
	s_cbranch_execz .LBB137_17
; %bb.254:                              ;   in Loop: Header=BB137_20 Depth=1
	s_add_co_i32 s22, s76, -2
	s_cmp_eq_u32 s76, 0
	v_xor_b32_e32 v32, 1, v32
	s_cselect_b32 s14, -1, 0
	s_xor_b32 s12, exec_lo, -1
	s_wait_alu 0xfffe
	s_or_not1_b32 s14, s14, exec_lo
	s_branch .LBB137_17
.LBB137_255:
	s_or_b32 exec_lo, exec_lo, s68
	s_xor_b32 s4, s75, -1
	s_xor_b32 s3, s73, -1
	;; [unrolled: 1-line block ×3, first 2 shown]
	s_mov_b32 s0, 0
	s_wait_alu 0xfffe
	s_and_saveexec_b32 s5, s3
	s_wait_alu 0xfffe
	s_xor_b32 s3, exec_lo, s5
	s_cbranch_execnz .LBB137_260
; %bb.256:
	s_wait_alu 0xfffe
	s_and_not1_saveexec_b32 s1, s3
	s_cbranch_execnz .LBB137_273
.LBB137_257:
	s_or_b32 exec_lo, exec_lo, s1
	s_and_saveexec_b32 s1, s0
.LBB137_258:
	; divergent unreachable
.LBB137_259:
	s_endpgm
.LBB137_260:
	s_and_saveexec_b32 s0, s4
	s_delay_alu instid0(SALU_CYCLE_1)
	s_xor_b32 s4, exec_lo, s0
	s_cbranch_execz .LBB137_271
; %bb.261:
	s_and_saveexec_b32 s0, s1
	s_delay_alu instid0(SALU_CYCLE_1)
	s_xor_b32 s0, exec_lo, s0
; %bb.262:
	v_and_b32_e32 v1, 0x8000, v13
	v_mov_b32_e32 v2, 0xffff
	s_delay_alu instid0(VALU_DEP_2) | instskip(SKIP_1) | instid1(VALU_DEP_2)
	v_cmp_eq_u32_e32 vcc_lo, 0, v1
	s_wait_alu 0xfffd
	v_cndmask_b32_e32 v1, 0x8000, v2, vcc_lo
	s_delay_alu instid0(VALU_DEP_1)
	v_xor_b32_e32 v34, v1, v13
; %bb.263:
	s_or_b32 exec_lo, exec_lo, s0
	s_mul_i32 s0, s45, s54
	s_add_co_i32 s1, s45, 1
	s_sub_co_i32 s0, s26, s0
	v_mov_b32_e32 v6, 0
	s_sub_co_i32 s5, s0, s54
	s_cmp_ge_u32 s0, s54
	s_cselect_b32 s1, s1, s45
	s_wait_alu 0xfffe
	s_cselect_b32 s0, s5, s0
	s_add_co_i32 s5, s1, 1
	s_cmp_ge_u32 s0, s54
	s_wait_alu 0xfffe
	s_cselect_b32 s0, s5, s1
	s_delay_alu instid0(SALU_CYCLE_1) | instskip(SKIP_2) | instid1(SALU_CYCLE_1)
	s_mul_i32 s1, s0, s54
	s_mul_i32 s0, s0, s38
	s_sub_co_i32 s1, s26, s1
	s_mul_i32 s1, s1, s39
	s_delay_alu instid0(SALU_CYCLE_1) | instskip(SKIP_1) | instid1(SALU_CYCLE_1)
	s_add_co_i32 s0, s0, s1
	s_mov_b32 s1, 0
	s_lshl_b64 s[6:7], s[0:1], 1
	s_wait_alu 0xfffe
	s_add_nc_u64 s[6:7], s[42:43], s[6:7]
	global_store_b16 v6, v34, s[6:7]
	s_and_saveexec_b32 s5, s2
	s_cbranch_execz .LBB137_270
; %bb.264:
	v_lshlrev_b32_e32 v2, 16, v34
                                        ; implicit-def: $sgpr2
                                        ; implicit-def: $sgpr8
                                        ; implicit-def: $sgpr7
	s_delay_alu instid0(VALU_DEP_1)
	v_cmp_u_f32_e32 vcc_lo, v2, v2
	s_xor_b32 s6, vcc_lo, -1
	s_branch .LBB137_266
.LBB137_265:                            ;   in Loop: Header=BB137_266 Depth=1
	s_or_b32 exec_lo, exec_lo, s0
	s_delay_alu instid0(SALU_CYCLE_1) | instskip(NEXT) | instid1(SALU_CYCLE_1)
	s_and_b32 s0, exec_lo, s8
	s_or_b32 s1, s0, s1
	s_and_not1_b32 s0, s2, exec_lo
	s_wait_alu 0xfffe
	s_and_b32 s2, s7, exec_lo
	s_wait_alu 0xfffe
	s_or_b32 s2, s0, s2
	s_and_not1_b32 exec_lo, exec_lo, s1
	s_cbranch_execz .LBB137_268
.LBB137_266:                            ; =>This Inner Loop Header: Depth=1
	v_lshlrev_b64_e32 v[3:4], 1, v[5:6]
	s_wait_alu 0xfffe
	s_or_b32 s7, s7, exec_lo
	s_or_b32 s8, s8, exec_lo
	s_delay_alu instid0(VALU_DEP_1)
	v_add_co_u32 v3, vcc_lo, s36, v3
	s_wait_alu 0xfffd
	v_add_co_ci_u32_e64 v4, null, s37, v4, vcc_lo
	global_load_u16 v1, v[3:4], off
	s_wait_loadcnt 0x0
	v_lshlrev_b32_e32 v1, 16, v1
	s_delay_alu instid0(VALU_DEP_1) | instskip(SKIP_3) | instid1(SALU_CYCLE_1)
	v_cmp_o_f32_e32 vcc_lo, v1, v1
	v_cmp_neq_f32_e64 s0, v1, v2
	v_mov_b32_e32 v1, v0
                                        ; implicit-def: $vgpr0
	s_or_b32 s9, s6, vcc_lo
	s_and_b32 s9, s0, s9
	s_delay_alu instid0(SALU_CYCLE_1)
	s_and_saveexec_b32 s0, s9
	s_cbranch_execz .LBB137_265
; %bb.267:                              ;   in Loop: Header=BB137_266 Depth=1
	v_add_nc_u32_e32 v0, s27, v1
	v_add_nc_u32_e32 v5, s57, v5
	s_and_not1_b32 s8, s8, exec_lo
	s_wait_alu 0xfffe
	s_and_not1_b32 s7, s7, exec_lo
	v_cmp_le_u32_e32 vcc_lo, s28, v0
	s_and_b32 s9, vcc_lo, exec_lo
	s_delay_alu instid0(SALU_CYCLE_1)
	s_or_b32 s8, s8, s9
	s_branch .LBB137_265
.LBB137_268:
	s_or_b32 exec_lo, exec_lo, s1
	s_wait_alu 0xfffe
	s_and_saveexec_b32 s0, s2
	s_delay_alu instid0(SALU_CYCLE_1)
	s_xor_b32 s0, exec_lo, s0
	s_cbranch_execz .LBB137_270
; %bb.269:
	s_mul_i32 s0, s25, s33
	s_add_co_i32 s1, s25, 1
	s_sub_co_i32 s0, s26, s0
	v_mov_b32_e32 v2, 0
	s_sub_co_i32 s2, s0, s33
	s_cmp_ge_u32 s0, s33
	s_cselect_b32 s1, s1, s25
	s_wait_alu 0xfffe
	s_cselect_b32 s0, s2, s0
	s_add_co_i32 s2, s1, 1
	s_cmp_ge_u32 s0, s33
	s_wait_alu 0xfffe
	s_cselect_b32 s0, s2, s1
	s_delay_alu instid0(SALU_CYCLE_1) | instskip(SKIP_2) | instid1(SALU_CYCLE_1)
	s_mul_i32 s1, s0, s33
	s_mul_i32 s0, s0, s34
	s_sub_co_i32 s1, s26, s1
	s_mul_i32 s1, s1, s35
	s_delay_alu instid0(SALU_CYCLE_1) | instskip(SKIP_1) | instid1(SALU_CYCLE_1)
	s_add_co_i32 s0, s0, s1
	s_mov_b32 s1, 0
	s_lshl_b64 s[0:1], s[0:1], 3
	s_delay_alu instid0(SALU_CYCLE_1)
	s_add_nc_u64 s[0:1], s[40:41], s[0:1]
	global_store_b64 v2, v[1:2], s[0:1]
.LBB137_270:
	s_wait_alu 0xfffe
	s_or_b32 exec_lo, exec_lo, s5
.LBB137_271:
	s_wait_alu 0xfffe
	s_or_saveexec_b32 s0, s4
	s_mov_b32 s1, 0
	s_xor_b32 exec_lo, exec_lo, s0
	s_cbranch_execnz .LBB137_274
.LBB137_272:
	s_or_b32 exec_lo, exec_lo, s0
	s_delay_alu instid0(SALU_CYCLE_1)
	s_and_b32 s0, s1, exec_lo
	s_and_not1_saveexec_b32 s1, s3
	s_cbranch_execz .LBB137_257
.LBB137_273:
	s_or_b32 s0, s0, exec_lo
	s_trap 2
	s_or_b32 exec_lo, exec_lo, s1
	s_and_saveexec_b32 s1, s0
	s_cbranch_execnz .LBB137_258
	s_branch .LBB137_259
.LBB137_274:
	s_mov_b32 s1, exec_lo
	s_trap 2
	s_branch .LBB137_272
	.section	.rodata,"a",@progbits
	.p2align	6, 0x0
	.amdhsa_kernel _ZN2at6native12_GLOBAL__N_112gatherMedianIN3c108BFloat16EjLi2EEEvNS_4cuda6detail10TensorInfoIT_T0_EENS7_IlS9_EENS7_IKS8_S9_EES9_S9_S9_b
		.amdhsa_group_segment_fixed_size 4120
		.amdhsa_private_segment_fixed_size 0
		.amdhsa_kernarg_size 920
		.amdhsa_user_sgpr_count 2
		.amdhsa_user_sgpr_dispatch_ptr 0
		.amdhsa_user_sgpr_queue_ptr 0
		.amdhsa_user_sgpr_kernarg_segment_ptr 1
		.amdhsa_user_sgpr_dispatch_id 0
		.amdhsa_user_sgpr_private_segment_size 0
		.amdhsa_wavefront_size32 1
		.amdhsa_uses_dynamic_stack 0
		.amdhsa_enable_private_segment 0
		.amdhsa_system_sgpr_workgroup_id_x 1
		.amdhsa_system_sgpr_workgroup_id_y 1
		.amdhsa_system_sgpr_workgroup_id_z 1
		.amdhsa_system_sgpr_workgroup_info 0
		.amdhsa_system_vgpr_workitem_id 0
		.amdhsa_next_free_vgpr 63
		.amdhsa_next_free_sgpr 87
		.amdhsa_reserve_vcc 1
		.amdhsa_float_round_mode_32 0
		.amdhsa_float_round_mode_16_64 0
		.amdhsa_float_denorm_mode_32 3
		.amdhsa_float_denorm_mode_16_64 3
		.amdhsa_fp16_overflow 0
		.amdhsa_workgroup_processor_mode 1
		.amdhsa_memory_ordered 1
		.amdhsa_forward_progress 1
		.amdhsa_inst_pref_size 111
		.amdhsa_round_robin_scheduling 0
		.amdhsa_exception_fp_ieee_invalid_op 0
		.amdhsa_exception_fp_denorm_src 0
		.amdhsa_exception_fp_ieee_div_zero 0
		.amdhsa_exception_fp_ieee_overflow 0
		.amdhsa_exception_fp_ieee_underflow 0
		.amdhsa_exception_fp_ieee_inexact 0
		.amdhsa_exception_int_div_zero 0
	.end_amdhsa_kernel
	.section	.text._ZN2at6native12_GLOBAL__N_112gatherMedianIN3c108BFloat16EjLi2EEEvNS_4cuda6detail10TensorInfoIT_T0_EENS7_IlS9_EENS7_IKS8_S9_EES9_S9_S9_b,"axG",@progbits,_ZN2at6native12_GLOBAL__N_112gatherMedianIN3c108BFloat16EjLi2EEEvNS_4cuda6detail10TensorInfoIT_T0_EENS7_IlS9_EENS7_IKS8_S9_EES9_S9_S9_b,comdat
.Lfunc_end137:
	.size	_ZN2at6native12_GLOBAL__N_112gatherMedianIN3c108BFloat16EjLi2EEEvNS_4cuda6detail10TensorInfoIT_T0_EENS7_IlS9_EENS7_IKS8_S9_EES9_S9_S9_b, .Lfunc_end137-_ZN2at6native12_GLOBAL__N_112gatherMedianIN3c108BFloat16EjLi2EEEvNS_4cuda6detail10TensorInfoIT_T0_EENS7_IlS9_EENS7_IKS8_S9_EES9_S9_S9_b
                                        ; -- End function
	.set _ZN2at6native12_GLOBAL__N_112gatherMedianIN3c108BFloat16EjLi2EEEvNS_4cuda6detail10TensorInfoIT_T0_EENS7_IlS9_EENS7_IKS8_S9_EES9_S9_S9_b.num_vgpr, 63
	.set _ZN2at6native12_GLOBAL__N_112gatherMedianIN3c108BFloat16EjLi2EEEvNS_4cuda6detail10TensorInfoIT_T0_EENS7_IlS9_EENS7_IKS8_S9_EES9_S9_S9_b.num_agpr, 0
	.set _ZN2at6native12_GLOBAL__N_112gatherMedianIN3c108BFloat16EjLi2EEEvNS_4cuda6detail10TensorInfoIT_T0_EENS7_IlS9_EENS7_IKS8_S9_EES9_S9_S9_b.numbered_sgpr, 87
	.set _ZN2at6native12_GLOBAL__N_112gatherMedianIN3c108BFloat16EjLi2EEEvNS_4cuda6detail10TensorInfoIT_T0_EENS7_IlS9_EENS7_IKS8_S9_EES9_S9_S9_b.num_named_barrier, 0
	.set _ZN2at6native12_GLOBAL__N_112gatherMedianIN3c108BFloat16EjLi2EEEvNS_4cuda6detail10TensorInfoIT_T0_EENS7_IlS9_EENS7_IKS8_S9_EES9_S9_S9_b.private_seg_size, 0
	.set _ZN2at6native12_GLOBAL__N_112gatherMedianIN3c108BFloat16EjLi2EEEvNS_4cuda6detail10TensorInfoIT_T0_EENS7_IlS9_EENS7_IKS8_S9_EES9_S9_S9_b.uses_vcc, 1
	.set _ZN2at6native12_GLOBAL__N_112gatherMedianIN3c108BFloat16EjLi2EEEvNS_4cuda6detail10TensorInfoIT_T0_EENS7_IlS9_EENS7_IKS8_S9_EES9_S9_S9_b.uses_flat_scratch, 0
	.set _ZN2at6native12_GLOBAL__N_112gatherMedianIN3c108BFloat16EjLi2EEEvNS_4cuda6detail10TensorInfoIT_T0_EENS7_IlS9_EENS7_IKS8_S9_EES9_S9_S9_b.has_dyn_sized_stack, 0
	.set _ZN2at6native12_GLOBAL__N_112gatherMedianIN3c108BFloat16EjLi2EEEvNS_4cuda6detail10TensorInfoIT_T0_EENS7_IlS9_EENS7_IKS8_S9_EES9_S9_S9_b.has_recursion, 0
	.set _ZN2at6native12_GLOBAL__N_112gatherMedianIN3c108BFloat16EjLi2EEEvNS_4cuda6detail10TensorInfoIT_T0_EENS7_IlS9_EENS7_IKS8_S9_EES9_S9_S9_b.has_indirect_call, 0
	.section	.AMDGPU.csdata,"",@progbits
; Kernel info:
; codeLenInByte = 14144
; TotalNumSgprs: 89
; NumVgprs: 63
; ScratchSize: 0
; MemoryBound: 0
; FloatMode: 240
; IeeeMode: 1
; LDSByteSize: 4120 bytes/workgroup (compile time only)
; SGPRBlocks: 0
; VGPRBlocks: 7
; NumSGPRsForWavesPerEU: 89
; NumVGPRsForWavesPerEU: 63
; Occupancy: 16
; WaveLimiterHint : 1
; COMPUTE_PGM_RSRC2:SCRATCH_EN: 0
; COMPUTE_PGM_RSRC2:USER_SGPR: 2
; COMPUTE_PGM_RSRC2:TRAP_HANDLER: 0
; COMPUTE_PGM_RSRC2:TGID_X_EN: 1
; COMPUTE_PGM_RSRC2:TGID_Y_EN: 1
; COMPUTE_PGM_RSRC2:TGID_Z_EN: 1
; COMPUTE_PGM_RSRC2:TIDIG_COMP_CNT: 0
	.section	.text._ZN2at6native12_GLOBAL__N_112gatherMedianIN3c108BFloat16EjLi3EEEvNS_4cuda6detail10TensorInfoIT_T0_EENS7_IlS9_EENS7_IKS8_S9_EES9_S9_S9_b,"axG",@progbits,_ZN2at6native12_GLOBAL__N_112gatherMedianIN3c108BFloat16EjLi3EEEvNS_4cuda6detail10TensorInfoIT_T0_EENS7_IlS9_EENS7_IKS8_S9_EES9_S9_S9_b,comdat
	.globl	_ZN2at6native12_GLOBAL__N_112gatherMedianIN3c108BFloat16EjLi3EEEvNS_4cuda6detail10TensorInfoIT_T0_EENS7_IlS9_EENS7_IKS8_S9_EES9_S9_S9_b ; -- Begin function _ZN2at6native12_GLOBAL__N_112gatherMedianIN3c108BFloat16EjLi3EEEvNS_4cuda6detail10TensorInfoIT_T0_EENS7_IlS9_EENS7_IKS8_S9_EES9_S9_S9_b
	.p2align	8
	.type	_ZN2at6native12_GLOBAL__N_112gatherMedianIN3c108BFloat16EjLi3EEEvNS_4cuda6detail10TensorInfoIT_T0_EENS7_IlS9_EENS7_IKS8_S9_EES9_S9_S9_b,@function
_ZN2at6native12_GLOBAL__N_112gatherMedianIN3c108BFloat16EjLi3EEEvNS_4cuda6detail10TensorInfoIT_T0_EENS7_IlS9_EENS7_IKS8_S9_EES9_S9_S9_b: ; @_ZN2at6native12_GLOBAL__N_112gatherMedianIN3c108BFloat16EjLi3EEEvNS_4cuda6detail10TensorInfoIT_T0_EENS7_IlS9_EENS7_IKS8_S9_EES9_S9_S9_b
; %bb.0:
	s_clause 0x1
	s_load_b64 s[6:7], s[0:1], 0x298
	s_load_b128 s[28:31], s[0:1], 0x288
	s_lshr_b32 s2, ttmp7, 16
	s_and_b32 s3, ttmp7, 0xffff
	s_wait_kmcnt 0x0
	s_mul_i32 s2, s7, s2
	s_delay_alu instid0(SALU_CYCLE_1) | instskip(NEXT) | instid1(SALU_CYCLE_1)
	s_add_co_i32 s2, s2, s3
	s_mul_i32 s33, s2, s6
	s_delay_alu instid0(SALU_CYCLE_1) | instskip(NEXT) | instid1(SALU_CYCLE_1)
	s_add_co_i32 s33, s33, ttmp9
	s_cmp_ge_u32 s33, s29
	s_cbranch_scc1 .LBB138_259
; %bb.1:
	s_clause 0x2
	s_load_b64 s[34:35], s[0:1], 0xc
	s_load_b64 s[26:27], s[0:1], 0xe4
	;; [unrolled: 1-line block ×3, first 2 shown]
	s_mov_b32 s49, 0
	s_load_b96 s[16:18], s[0:1], 0x21c
	s_mov_b32 s45, s49
	s_wait_kmcnt 0x0
	s_cvt_f32_u32 s4, s35
	s_cvt_f32_u32 s7, s34
	;; [unrolled: 1-line block ×4, first 2 shown]
	v_rcp_iflag_f32_e32 v1, s4
	s_cvt_f32_u32 s11, s3
	v_rcp_iflag_f32_e32 v2, s9
	s_sub_co_i32 s9, 0, s35
	v_rcp_iflag_f32_e32 v3, s10
	v_rcp_iflag_f32_e32 v4, s11
	s_load_b64 s[4:5], s[0:1], 0x1b0
	v_readfirstlane_b32 s8, v1
	v_rcp_iflag_f32_e32 v1, s7
	v_readfirstlane_b32 s10, v2
	s_delay_alu instid0(TRANS32_DEP_2)
	v_readfirstlane_b32 s11, v4
	s_mul_f32 s7, s8, 0x4f7ffffe
	s_cvt_f32_u32 s8, s2
	s_mul_f32 s10, s10, 0x4f7ffffe
	s_wait_alu 0xfffe
	s_cvt_u32_f32 s7, s7
	v_rcp_iflag_f32_e32 v5, s8
	s_delay_alu instid0(TRANS32_DEP_2)
	v_readfirstlane_b32 s8, v1
	s_cvt_u32_f32 s10, s10
	s_wait_alu 0xfffe
	s_mul_i32 s9, s9, s7
	s_mul_f32 s11, s11, 0x4f7ffffe
	s_wait_alu 0xfffe
	s_mul_hi_u32 s9, s7, s9
	s_mul_f32 s8, s8, 0x4f7ffffe
	s_wait_alu 0xfffe
	s_add_co_i32 s7, s7, s9
	v_readfirstlane_b32 s9, v3
	s_wait_alu 0xfffe
	s_mul_hi_u32 s7, s33, s7
	s_cvt_u32_f32 s8, s8
	s_wait_alu 0xfffe
	s_mul_i32 s12, s7, s35
	s_add_co_i32 s13, s7, 1
	s_sub_co_i32 s12, s33, s12
	s_mul_f32 s9, s9, 0x4f7ffffe
	s_sub_co_i32 s14, s12, s35
	s_cmp_ge_u32 s12, s35
	v_mov_b32_e32 v3, 0
	s_cselect_b32 s7, s13, s7
	s_cselect_b32 s12, s14, s12
	s_wait_alu 0xfffe
	s_add_co_i32 s13, s7, 1
	s_cmp_ge_u32 s12, s35
	s_cvt_u32_f32 s9, s9
	s_cselect_b32 s48, s13, s7
	s_sub_co_i32 s7, 0, s27
	s_sub_co_i32 s12, 0, s34
	s_wait_alu 0xfffe
	s_mul_i32 s7, s7, s10
	s_mul_i32 s12, s12, s8
	s_wait_alu 0xfffe
	s_mul_hi_u32 s7, s10, s7
	s_wait_alu 0xfffe
	s_add_co_i32 s10, s10, s7
	s_wait_alu 0xfffe
	s_mul_hi_u32 s7, s33, s10
	s_mul_hi_u32 s10, s8, s12
	s_wait_alu 0xfffe
	s_mul_i32 s12, s7, s27
	s_add_co_i32 s8, s8, s10
	s_sub_co_i32 s10, s33, s12
	s_add_co_i32 s12, s7, 1
	s_wait_alu 0xfffe
	s_sub_co_i32 s13, s10, s27
	s_cmp_ge_u32 s10, s27
	s_cselect_b32 s7, s12, s7
	s_cselect_b32 s10, s13, s10
	s_wait_alu 0xfffe
	s_add_co_i32 s12, s7, 1
	s_cmp_ge_u32 s10, s27
	s_cvt_u32_f32 s10, s11
	s_cselect_b32 s44, s12, s7
	s_sub_co_i32 s7, 0, s3
	s_sub_co_i32 s12, 0, s26
	s_wait_alu 0xfffe
	s_mul_i32 s7, s7, s10
	s_mul_i32 s12, s12, s9
	s_wait_alu 0xfffe
	s_mul_hi_u32 s7, s10, s7
	v_readfirstlane_b32 s11, v5
	s_wait_alu 0xfffe
	s_add_co_i32 s10, s10, s7
	s_wait_alu 0xfffe
	s_mul_hi_u32 s7, s33, s10
	s_mul_hi_u32 s10, s9, s12
	s_wait_alu 0xfffe
	s_mul_i32 s12, s7, s3
	s_add_co_i32 s10, s9, s10
	s_sub_co_i32 s9, s33, s12
	s_add_co_i32 s12, s7, 1
	s_wait_alu 0xfffe
	s_sub_co_i32 s13, s9, s3
	s_cmp_ge_u32 s9, s3
	s_mul_f32 s11, s11, 0x4f7ffffe
	s_cselect_b32 s7, s12, s7
	s_cselect_b32 s9, s13, s9
	s_wait_alu 0xfffe
	s_add_co_i32 s12, s7, 1
	s_cmp_ge_u32 s9, s3
	s_cvt_u32_f32 s9, s11
	s_cselect_b32 s7, s12, s7
	s_sub_co_i32 s11, 0, s2
	s_wait_alu 0xfffe
	s_mul_i32 s3, s7, s3
	s_mul_i32 s11, s11, s9
	s_sub_co_i32 s3, s33, s3
	s_wait_alu 0xfffe
	s_mul_hi_u32 s11, s9, s11
	s_mul_i32 s3, s3, s18
	s_wait_alu 0xfffe
	s_add_co_i32 s9, s9, s11
	s_add_nc_u64 s[12:13], s[0:1], 0x298
	s_wait_alu 0xfffe
	s_mul_hi_u32 s9, s7, s9
	s_wait_alu 0xfffe
	s_mul_i32 s11, s9, s2
	s_add_co_i32 s14, s9, 1
	s_wait_alu 0xfffe
	s_sub_co_i32 s11, s7, s11
	s_wait_alu 0xfffe
	s_sub_co_i32 s15, s11, s2
	s_cmp_ge_u32 s11, s2
	s_cselect_b32 s9, s14, s9
	s_cselect_b32 s11, s15, s11
	s_wait_alu 0xfffe
	s_add_co_i32 s14, s9, 1
	s_cmp_ge_u32 s11, s2
	s_mov_b32 s15, s49
	s_cselect_b32 s11, s14, s9
	s_mov_b32 s9, s49
	s_wait_alu 0xfffe
	s_mul_i32 s2, s11, s2
	s_mul_i32 s11, s11, s16
	s_sub_co_i32 s2, s7, s2
	s_delay_alu instid0(SALU_CYCLE_1) | instskip(NEXT) | instid1(SALU_CYCLE_1)
	s_mul_i32 s2, s2, s17
	s_add_co_i32 s2, s2, s3
	s_wait_alu 0xfffe
	s_add_co_i32 s14, s2, s11
	v_cmp_gt_u32_e64 s2, s28, v0
	s_lshl_b64 s[14:15], s[14:15], 1
	s_mov_b32 s11, s49
	s_wait_kmcnt 0x0
	s_add_nc_u64 s[46:47], s[4:5], s[14:15]
	s_and_saveexec_b32 s4, s2
	s_cbranch_execz .LBB138_5
; %bb.2:
	s_load_b32 s3, s[12:13], 0xc
	v_mov_b32_e32 v2, 0
	v_mul_lo_u32 v1, v0, s30
	v_mov_b32_e32 v4, v0
	s_mov_b32 s7, s49
	s_delay_alu instid0(VALU_DEP_3)
	v_mov_b32_e32 v3, v2
	s_wait_kmcnt 0x0
	s_and_b32 s5, s3, 0xffff
	s_wait_alu 0xfffe
	s_mul_i32 s14, s30, s5
.LBB138_3:                              ; =>This Inner Loop Header: Depth=1
	v_lshlrev_b64_e32 v[5:6], 1, v[1:2]
	v_add_nc_u32_e32 v4, s5, v4
	v_add_nc_u32_e32 v1, s14, v1
	s_delay_alu instid0(VALU_DEP_3) | instskip(SKIP_1) | instid1(VALU_DEP_4)
	v_add_co_u32 v5, vcc_lo, s46, v5
	s_wait_alu 0xfffd
	v_add_co_ci_u32_e64 v6, null, s47, v6, vcc_lo
	v_cmp_le_u32_e32 vcc_lo, s28, v4
	global_load_u16 v5, v[5:6], off
	s_or_b32 s7, vcc_lo, s7
	s_wait_loadcnt 0x0
	v_lshlrev_b32_e32 v5, 16, v5
	s_delay_alu instid0(VALU_DEP_1) | instskip(SKIP_1) | instid1(VALU_DEP_1)
	v_cmp_u_f32_e64 s3, v5, v5
	s_wait_alu 0xf1ff
	v_add_co_ci_u32_e64 v3, null, 0, v3, s3
	s_wait_alu 0xfffe
	s_and_not1_b32 exec_lo, exec_lo, s7
	s_cbranch_execnz .LBB138_3
; %bb.4:
	s_or_b32 exec_lo, exec_lo, s7
.LBB138_5:
	s_wait_alu 0xfffe
	s_or_b32 exec_lo, exec_lo, s4
	s_clause 0x3
	s_load_b96 s[36:38], s[0:1], 0x144
	s_load_b64 s[50:51], s[0:1], 0xd8
	s_load_b96 s[40:42], s[0:1], 0x6c
	s_load_b64 s[52:53], s[0:1], 0x0
	v_cmp_eq_u32_e64 s0, 0, v0
	s_mul_u64 s[54:55], s[48:49], s[8:9]
	s_mul_u64 s[24:25], s[44:45], s[10:11]
	s_and_saveexec_b32 s1, s0
; %bb.6:
	v_mov_b32_e32 v1, 0
	s_delay_alu instid0(VALU_DEP_1)
	v_mov_b32_e32 v2, v1
	ds_store_b64 v1, v[1:2] offset:4096
; %bb.7:
	s_or_b32 exec_lo, exec_lo, s1
	s_delay_alu instid0(SALU_CYCLE_1)
	s_mov_b32 s1, exec_lo
	s_wait_dscnt 0x0
	s_barrier_signal -1
	s_barrier_wait -1
	global_inv scope:SCOPE_SE
	v_cmpx_ne_u32_e32 0, v3
	s_cbranch_execz .LBB138_12
; %bb.8:
	v_mov_b32_e32 v1, 0
	s_mov_b32 s3, exec_lo
	s_mov_b64 s[4:5], 0
.LBB138_9:                              ; =>This Inner Loop Header: Depth=1
	s_wait_alu 0xfffe
	s_ctz_i32_b32 s7, s3
	s_wait_alu 0xfffe
	v_readlane_b32 s9, v1, s7
	v_readlane_b32 s8, v3, s7
	s_lshl_b32 s7, 1, s7
	s_wait_alu 0xfffe
	s_and_not1_b32 s3, s3, s7
	s_wait_alu 0xfffe
	s_cmp_lg_u32 s3, 0
	s_add_nc_u64 s[4:5], s[4:5], s[8:9]
	s_cbranch_scc1 .LBB138_9
; %bb.10:
	v_mbcnt_lo_u32_b32 v1, exec_lo, 0
	s_mov_b32 s3, exec_lo
	s_delay_alu instid0(VALU_DEP_1)
	v_cmpx_eq_u32_e32 0, v1
	s_wait_alu 0xfffe
	s_xor_b32 s3, exec_lo, s3
; %bb.11:
	v_mov_b32_e32 v1, s4
	v_dual_mov_b32 v3, 0 :: v_dual_mov_b32 v2, s5
	ds_add_u64 v3, v[1:2] offset:4096
.LBB138_12:
	s_or_b32 exec_lo, exec_lo, s1
	v_mov_b32_e32 v1, 0
	s_wait_loadcnt_dscnt 0x0
	s_barrier_signal -1
	s_barrier_wait -1
	global_inv scope:SCOPE_SE
	ds_load_b64 v[1:2], v1 offset:4096
	s_bitcmp1_b32 s31, 0
	s_mov_b32 s11, s28
	s_cselect_b32 s3, -1, 0
	s_wait_dscnt 0x0
	v_readfirstlane_b32 s4, v1
	v_readfirstlane_b32 s5, v2
	s_wait_alu 0xf1ff
	s_delay_alu instid0(VALU_DEP_1) | instskip(SKIP_2) | instid1(SALU_CYCLE_1)
	v_cmp_lt_i64_e64 s1, s[4:5], 1
	s_wait_alu 0xfffe
	s_or_b32 s1, s3, s1
	s_and_not1_b32 vcc_lo, exec_lo, s1
	s_wait_alu 0xfffe
	s_cbranch_vccnz .LBB138_14
; %bb.13:
	s_not_b64 s[4:5], s[4:5]
	s_mov_b32 s29, 0
	s_wait_alu 0xfffe
	s_add_nc_u64 s[4:5], s[4:5], s[28:29]
	s_mov_b32 s9, s29
	s_wait_alu 0xfffe
	s_lshr_b32 s8, s5, 31
	s_wait_alu 0xfffe
	s_add_nc_u64 s[4:5], s[4:5], s[8:9]
	s_wait_alu 0xfffe
	s_lshr_b64 s[4:5], s[4:5], 1
	s_wait_alu 0xfffe
	s_add_co_i32 s11, s4, 1
.LBB138_14:
	s_and_saveexec_b32 s1, s0
	s_cbranch_execz .LBB138_16
; %bb.15:
	v_dual_mov_b32 v1, 0 :: v_dual_mov_b32 v2, s28
	ds_store_b32 v1, v1 offset:4112
	ds_store_b64 v1, v[1:2] offset:4104
.LBB138_16:
	s_or_b32 exec_lo, exec_lo, s1
	s_wait_loadcnt_dscnt 0x0
	s_barrier_signal -1
	s_barrier_wait -1
	global_inv scope:SCOPE_SE
	s_load_b32 s5, s[12:13], 0xc
	v_dual_mov_b32 v7, 0 :: v_dual_lshlrev_b32 v14, 2, v0
	v_mbcnt_lo_u32_b32 v15, -1, 0
	v_mul_lo_u32 v5, s30, v0
	v_cmp_gt_u32_e32 vcc_lo, 32, v0
	v_dual_mov_b32 v35, s11 :: v_dual_lshlrev_b32 v16, 1, v0
	s_delay_alu instid0(VALU_DEP_4) | instskip(SKIP_2) | instid1(VALU_DEP_4)
	v_cmp_gt_i32_e64 s4, 4, v15
	v_mov_b32_e32 v6, v7
	v_lshlrev_b64_e64 v[3:4], v15, -1
	v_dual_mov_b32 v34, 0 :: v_dual_add_nc_u32 v17, 0xc00, v16
	s_and_b32 s39, vcc_lo, s4
	s_delay_alu instid0(VALU_DEP_3) | instskip(SKIP_1) | instid1(VALU_DEP_3)
	v_lshlrev_b64_e32 v[1:2], 1, v[5:6]
	s_mov_b32 s31, s30
	v_not_b32_e32 v18, v3
	s_wait_alu 0xfffe
	v_mad_co_u64_u32 v[12:13], null, s30, v14, s[30:31]
	v_cmp_gt_u32_e64 s1, 2, v0
	s_wait_kmcnt 0x0
	s_and_b32 s29, s5, 0xffff
	s_bfe_u32 s4, s5, 0xb0005
	s_wait_alu 0xfffe
	s_lshl_b32 s45, s29, 2
	s_add_co_i32 s43, s29, -1
	s_cvt_f32_u32 s5, s45
	s_add_co_i32 s10, s43, s28
	v_add_co_u32 v8, vcc_lo, s46, v1
	s_wait_alu 0xfffe
	v_rcp_iflag_f32_e32 v3, s5
	s_cmp_gt_u32 s28, 0x600
	s_wait_alu 0xfffd
	v_add_co_ci_u32_e64 v9, null, s47, v2, vcc_lo
	v_lshrrev_b32_e32 v2, 1, v0
	s_cselect_b32 s54, -1, 0
	s_cmp_gt_u32 s29, 31
	s_movk_i32 s5, 0x1f0
	s_cselect_b32 s64, -1, 0
	s_cmp_lt_u32 ttmp9, s6
	s_wait_alu 0xfffe
	v_and_or_b32 v19, v2, s5, 0xc00
	s_cselect_b32 s56, 12, 18
	s_add_co_i32 s5, s4, -1
	v_readfirstlane_b32 s6, v3
	s_wait_alu 0xfffe
	s_and_b32 s5, s5, 0xffff
	s_bfe_u32 s65, s29, 0x30005
	s_wait_alu 0xfffe
	s_cmp_gt_u32 s5, 6
	s_cvt_f32_u32 s5, s29
	s_cselect_b32 s66, -1, 0
	s_and_b32 s67, s4, 0x7f8
	s_mul_f32 s4, s6, 0x4f7ffffe
	s_cmp_lg_u32 s65, 0
	s_wait_alu 0xfffe
	v_rcp_iflag_f32_e32 v4, s5
	s_cselect_b32 s68, -1, 0
	s_cvt_u32_f32 s4, s4
	s_sub_co_i32 s6, 0, s45
	v_add_nc_u32_e32 v1, 2, v0
	v_mov_b32_e32 v31, 0x8000
	s_wait_alu 0xfffe
	s_mul_i32 s6, s6, s4
	v_mov_b32_e32 v13, 0
	s_wait_alu 0xfffe
	s_mul_hi_u32 s5, s4, s6
	v_max_u32_e32 v1, s28, v1
	s_wait_alu 0xfffe
	s_add_co_i32 s58, s4, s5
	v_readfirstlane_b32 s6, v4
	s_mul_hi_u32 s5, s28, s58
	v_mov_b32_e32 v32, 0
	s_wait_alu 0xfffe
	s_mul_i32 s5, s5, s45
	v_xad_u32 v1, v0, -1, v1
	s_wait_alu 0xfffe
	s_sub_co_i32 s5, s28, s5
	s_mul_f32 s6, s6, 0x4f7ffffe
	s_wait_alu 0xfffe
	s_sub_co_i32 s7, s5, s45
	s_cmp_ge_u32 s5, s45
	v_add_nc_u32_e32 v2, -2, v1
	s_wait_alu 0xfffe
	s_cselect_b32 s7, s7, s5
	s_cvt_u32_f32 s6, s6
	s_wait_alu 0xfffe
	s_sub_co_i32 s8, s7, s45
	s_cmp_ge_u32 s7, s45
	v_and_b32_e32 v20, -2, v1
	s_wait_alu 0xfffe
	s_cselect_b32 s14, s8, s7
	s_sub_co_i32 s7, 0, s29
	s_wait_alu 0xfffe
	s_sub_co_i32 s69, s28, s14
	s_mul_i32 s7, s7, s6
	v_add_nc_u32_e32 v22, s69, v0
	s_wait_alu 0xfffe
	s_mul_hi_u32 s7, s6, s7
	v_lshrrev_b32_e32 v3, 1, v2
	s_wait_alu 0xfffe
	s_add_co_i32 s60, s6, s7
	v_cmp_lt_u32_e64 s4, 31, v1
	v_mul_lo_u32 v6, v22, s30
	s_mul_hi_u32 s7, s10, s60
	v_cmp_lt_u32_e64 s5, 13, v2
	s_wait_alu 0xfffe
	s_mul_i32 s8, s7, s29
	v_cmp_ne_u32_e64 s7, v1, v20
	s_wait_alu 0xfffe
	s_sub_co_i32 s9, s10, s8
	v_add_nc_u32_e32 v3, 1, v3
	s_wait_alu 0xfffe
	s_sub_co_i32 s15, s9, s29
	v_lshlrev_b64_e32 v[1:2], 1, v[6:7]
	s_cmp_ge_u32 s9, s29
	v_cmp_eq_u32_e64 s3, 0, v15
	s_wait_alu 0xfffe
	s_cselect_b32 s15, s15, s9
	v_dual_mov_b32 v33, 0 :: v_dual_and_b32 v4, 7, v3
	v_add_co_u32 v10, vcc_lo, s46, v1
	v_add3_u32 v1, s29, s28, v0
	v_and_b32_e32 v23, -8, v3
	s_wait_alu 0xfffd
	v_add_co_ci_u32_e64 v11, null, s47, v2, vcc_lo
	v_or_b32_e32 v2, 2, v14
	v_or_b32_e32 v3, 3, v14
	v_subrev_nc_u32_e32 v1, s14, v1
	s_wait_alu 0xfffe
	s_sub_co_i32 s16, s15, s29
	s_cmp_ge_u32 s15, s29
	v_mul_lo_u32 v25, s30, v2
	s_cselect_b32 s15, s16, s15
	v_mul_lo_u32 v26, s30, v3
	v_mul_lo_u32 v28, s30, v1
	s_wait_alu 0xfffe
	s_sub_co_i32 s70, s10, s15
	v_add_nc_u32_e32 v21, v0, v20
	v_cmp_ne_u32_e64 s6, 0, v4
	v_cmp_gt_u32_e64 s8, s69, v14
	v_cmp_gt_u32_e64 s9, s28, v22
	;; [unrolled: 1-line block ×3, first 2 shown]
	v_lshlrev_b32_e32 v24, 2, v4
	v_lshlrev_b32_e32 v27, 2, v5
	;; [unrolled: 1-line block ×3, first 2 shown]
	v_lshl_or_b32 v30, v15, 2, 0xc00
	s_mov_b32 s57, 0
	s_mul_i32 s49, s30, s29
	s_mov_b32 s59, s57
	s_mov_b32 s61, s57
	s_lshl_b32 s71, s49, 2
	s_lshl_b32 s72, s29, 3
	;; [unrolled: 1-line block ×3, first 2 shown]
	s_mov_b32 s82, 14
	s_add_nc_u64 s[62:63], s[12:13], s[56:57]
	s_movk_i32 s75, 0x3f80
	s_mov_b32 s74, 0
                                        ; implicit-def: $sgpr79
                                        ; implicit-def: $sgpr81
                                        ; implicit-def: $sgpr76
                                        ; implicit-def: $sgpr78
                                        ; implicit-def: $sgpr80
                                        ; implicit-def: $sgpr77
	s_branch .LBB138_20
.LBB138_17:                             ;   in Loop: Header=BB138_20 Depth=1
	s_wait_alu 0xfffe
	s_or_b32 exec_lo, exec_lo, s15
	s_delay_alu instid0(SALU_CYCLE_1)
	s_and_b32 s12, s12, exec_lo
	s_and_not1_b32 s17, s17, exec_lo
	s_and_not1_b32 s16, s16, exec_lo
	s_or_not1_b32 s14, s14, exec_lo
.LBB138_18:                             ;   in Loop: Header=BB138_20 Depth=1
	s_wait_alu 0xfffe
	s_or_b32 exec_lo, exec_lo, s11
	s_delay_alu instid0(SALU_CYCLE_1)
	s_and_not1_b32 s11, s77, exec_lo
	s_and_b32 s12, s12, exec_lo
	s_and_not1_b32 s15, s78, exec_lo
	s_wait_alu 0xfffe
	s_or_b32 s77, s11, s12
	s_and_not1_b32 s11, s80, exec_lo
	s_and_b32 s12, s17, exec_lo
	s_and_b32 s16, s16, exec_lo
	s_wait_alu 0xfffe
	s_or_b32 s80, s11, s12
	s_or_b32 s78, s15, s16
	s_or_not1_b32 s15, s14, exec_lo
.LBB138_19:                             ;   in Loop: Header=BB138_20 Depth=1
	s_wait_alu 0xfffe
	s_or_b32 exec_lo, exec_lo, s13
	s_delay_alu instid0(SALU_CYCLE_1)
	s_and_b32 s11, exec_lo, s15
	v_mov_b32_e32 v35, v2
	s_wait_alu 0xfffe
	s_or_b32 s74, s11, s74
	s_and_not1_b32 s11, s76, exec_lo
	s_and_b32 s12, s77, exec_lo
	s_and_not1_b32 s13, s81, exec_lo
	s_wait_alu 0xfffe
	s_or_b32 s76, s11, s12
	s_and_b32 s11, s80, exec_lo
	s_and_not1_b32 s12, s79, exec_lo
	s_and_b32 s14, s78, exec_lo
	s_wait_alu 0xfffe
	s_or_b32 s81, s13, s11
	s_or_b32 s79, s12, s14
	s_mov_b32 s82, s22
	s_and_not1_b32 exec_lo, exec_lo, s74
	s_cbranch_execz .LBB138_255
.LBB138_20:                             ; =>This Loop Header: Depth=1
                                        ;     Child Loop BB138_25 Depth 2
                                        ;     Child Loop BB138_46 Depth 2
	;; [unrolled: 1-line block ×18, first 2 shown]
	ds_load_b64 v[1:2], v7 offset:4104
	s_wait_dscnt 0x0
	v_readfirstlane_b32 s56, v1
	s_cmp_lg_u32 s56, 0
	s_cbranch_scc1 .LBB138_65
; %bb.21:                               ;   in Loop: Header=BB138_20 Depth=1
	s_and_b32 vcc_lo, exec_lo, s54
	s_wait_alu 0xfffe
	s_cbranch_vccz .LBB138_33
; %bb.22:                               ;   in Loop: Header=BB138_20 Depth=1
	v_cmp_gt_u32_e32 vcc_lo, 0x601, v2
	s_mov_b32 s13, 0
	s_mov_b32 s11, 0
	s_cbranch_vccz .LBB138_34
; %bb.23:                               ;   in Loop: Header=BB138_20 Depth=1
	global_load_u16 v1, v[8:9], off
	s_load_u16 s14, s[62:63], 0x0
	s_mov_b32 s15, 0
	s_wait_kmcnt 0x0
	v_add_nc_u32_e32 v2, s14, v0
	s_mul_i32 s16, s30, s14
	s_delay_alu instid0(VALU_DEP_1)
	v_mul_lo_u32 v6, s30, v2
	v_mov_b32_e32 v2, v0
	s_branch .LBB138_25
.LBB138_24:                             ;   in Loop: Header=BB138_25 Depth=2
	s_wait_alu 0xfffe
	s_or_b32 exec_lo, exec_lo, s12
	v_dual_mov_b32 v1, v3 :: v_dual_add_nc_u32 v6, s16, v6
	s_and_not1_b32 exec_lo, exec_lo, s15
	s_cbranch_execz .LBB138_40
.LBB138_25:                             ;   Parent Loop BB138_20 Depth=1
                                        ; =>  This Inner Loop Header: Depth=2
	s_delay_alu instid0(VALU_DEP_1) | instskip(SKIP_3) | instid1(VALU_DEP_2)
	v_dual_mov_b32 v3, 0 :: v_dual_add_nc_u32 v2, s14, v2
	s_wait_dscnt 0x0
	v_mov_b32_e32 v4, 0
	s_mov_b32 s12, exec_lo
	v_cmp_le_u32_e32 vcc_lo, s28, v2
	v_cmpx_gt_u32_e64 s28, v2
	s_cbranch_execz .LBB138_27
; %bb.26:                               ;   in Loop: Header=BB138_25 Depth=2
	v_lshlrev_b64_e32 v[36:37], 1, v[6:7]
	s_delay_alu instid0(VALU_DEP_1) | instskip(SKIP_1) | instid1(VALU_DEP_2)
	v_add_co_u32 v36, s11, s46, v36
	s_wait_alu 0xf1ff
	v_add_co_ci_u32_e64 v37, null, s47, v37, s11
	global_load_u16 v3, v[36:37], off
.LBB138_27:                             ;   in Loop: Header=BB138_25 Depth=2
	s_wait_alu 0xfffe
	s_or_b32 exec_lo, exec_lo, s12
	s_wait_loadcnt 0x0
	v_cmp_lt_i16_e64 s11, -1, v1
	v_and_b32_e32 v36, 0xffff, v1
	v_lshlrev_b32_e32 v38, 16, v1
	s_wait_alu 0xf1ff
	s_delay_alu instid0(VALU_DEP_3) | instskip(NEXT) | instid1(VALU_DEP_2)
	v_cndmask_b32_e64 v37, 0xffff, v31, s11
	v_cmp_o_f32_e64 s11, v38, v38
	s_delay_alu instid0(VALU_DEP_2) | instskip(SKIP_1) | instid1(VALU_DEP_1)
	v_xor_b32_e32 v36, v37, v36
	s_wait_alu 0xf1ff
	v_cndmask_b32_e64 v36, 0xffff, v36, s11
	s_delay_alu instid0(VALU_DEP_1) | instskip(NEXT) | instid1(VALU_DEP_1)
	v_and_b32_e32 v36, v36, v33
	v_cmp_eq_u32_e64 s11, v36, v13
	s_cmp_lg_u32 s11, 0
	s_cselect_b32 s12, -1, 0
	s_wait_alu 0xfffe
	s_and_b32 s12, s3, s12
	s_wait_alu 0xfffe
	s_and_saveexec_b32 s17, s12
	s_cbranch_execz .LBB138_31
; %bb.28:                               ;   in Loop: Header=BB138_25 Depth=2
	s_mov_b32 s20, exec_lo
	s_bcnt1_i32_b32 s18, s11
	s_wait_alu 0xfffe
	v_mbcnt_lo_u32_b32 v4, s20, 0
	s_mov_b32 s19, exec_lo
                                        ; implicit-def: $vgpr36
	s_delay_alu instid0(VALU_DEP_1)
	v_cmpx_eq_u32_e32 0, v4
; %bb.29:                               ;   in Loop: Header=BB138_25 Depth=2
	s_bcnt1_i32_b32 s12, s20
	s_wait_alu 0xfffe
	s_mul_i32 s12, s18, s12
	s_wait_alu 0xfffe
	v_mov_b32_e32 v36, s12
	ds_add_rtn_u32 v36, v7, v36 offset:4112
; %bb.30:                               ;   in Loop: Header=BB138_25 Depth=2
	s_or_b32 exec_lo, exec_lo, s19
	s_wait_dscnt 0x0
	v_readfirstlane_b32 s12, v36
	s_wait_alu 0xf1ff
	s_delay_alu instid0(VALU_DEP_1)
	v_mad_u32_u24 v4, s18, v4, s12
.LBB138_31:                             ;   in Loop: Header=BB138_25 Depth=2
	s_wait_alu 0xfffe
	s_or_b32 exec_lo, exec_lo, s17
	ds_bpermute_b32 v4, v7, v4
	s_and_b32 s12, exec_lo, vcc_lo
	s_wait_alu 0xfffe
	s_or_b32 s15, s12, s15
	s_and_saveexec_b32 s12, s11
	s_cbranch_execz .LBB138_24
; %bb.32:                               ;   in Loop: Header=BB138_25 Depth=2
	v_and_b32_e32 v36, s11, v18
	s_delay_alu instid0(VALU_DEP_1) | instskip(NEXT) | instid1(VALU_DEP_1)
	v_bcnt_u32_b32 v36, v36, 0
	v_lshlrev_b32_e32 v36, 1, v36
	s_wait_dscnt 0x0
	s_delay_alu instid0(VALU_DEP_1)
	v_lshl_add_u32 v4, v4, 1, v36
	ds_store_b16 v4, v1
	s_branch .LBB138_24
.LBB138_33:                             ;   in Loop: Header=BB138_20 Depth=1
	s_mov_b32 s13, -1
	s_mov_b32 s11, 0
.LBB138_34:                             ;   in Loop: Header=BB138_20 Depth=1
	s_wait_alu 0xfffe
	s_and_b32 vcc_lo, exec_lo, s13
	s_wait_alu 0xfffe
	s_cbranch_vccz .LBB138_63
.LBB138_35:                             ;   in Loop: Header=BB138_20 Depth=1
	s_and_saveexec_b32 s12, s2
	s_cbranch_execz .LBB138_60
; %bb.36:                               ;   in Loop: Header=BB138_20 Depth=1
	global_load_u16 v36, v[8:9], off
	s_load_u16 s14, s[62:63], 0x0
	v_mov_b32_e32 v3, v0
	s_mov_b32 s13, exec_lo
	s_wait_kmcnt 0x0
	v_add_nc_u32_e32 v1, s14, v0
	s_delay_alu instid0(VALU_DEP_1)
	v_cmpx_gt_u32_e64 s28, v1
	s_cbranch_execz .LBB138_59
; %bb.37:                               ;   in Loop: Header=BB138_20 Depth=1
	s_mov_b32 s11, 0
	s_mul_i32 s15, s30, s14
                                        ; implicit-def: $vgpr3
                                        ; implicit-def: $vgpr2
                                        ; implicit-def: $vgpr4
	s_and_saveexec_b32 s16, s4
	s_wait_alu 0xfffe
	s_xor_b32 s16, exec_lo, s16
	s_cbranch_execnz .LBB138_43
; %bb.38:                               ;   in Loop: Header=BB138_20 Depth=1
	s_wait_alu 0xfffe
	s_and_not1_saveexec_b32 s16, s16
	s_cbranch_execnz .LBB138_54
.LBB138_39:                             ;   in Loop: Header=BB138_20 Depth=1
	s_wait_alu 0xfffe
	s_or_b32 exec_lo, exec_lo, s16
	s_and_saveexec_b32 s15, s11
	s_cbranch_execnz .LBB138_55
	s_branch .LBB138_58
.LBB138_40:                             ;   in Loop: Header=BB138_20 Depth=1
	s_or_b32 exec_lo, exec_lo, s15
	s_wait_dscnt 0x0
	s_barrier_signal -1
	s_barrier_wait -1
	global_inv scope:SCOPE_SE
	s_and_saveexec_b32 s11, s0
	s_cbranch_execz .LBB138_42
; %bb.41:                               ;   in Loop: Header=BB138_20 Depth=1
	ds_load_b32 v1, v7 offset:4112
	s_wait_dscnt 0x0
	ds_store_b32 v7, v1 offset:4104
.LBB138_42:                             ;   in Loop: Header=BB138_20 Depth=1
	s_wait_alu 0xfffe
	s_or_b32 exec_lo, exec_lo, s11
	s_wait_loadcnt_dscnt 0x0
	s_barrier_signal -1
	s_mov_b32 s11, -1
	s_barrier_wait -1
	s_and_b32 vcc_lo, exec_lo, s13
	s_wait_alu 0xfffe
	s_cbranch_vccnz .LBB138_35
	s_branch .LBB138_63
.LBB138_43:                             ;   in Loop: Header=BB138_20 Depth=1
	v_add_nc_u32_e32 v2, s14, v1
	s_cvt_f32_u32 s11, s14
	s_wait_alu 0xfffe
	s_delay_alu instid0(SALU_CYCLE_2) | instskip(NEXT) | instid1(VALU_DEP_1)
	v_rcp_iflag_f32_e32 v3, s11
	v_max_u32_e32 v2, s28, v2
	s_lshl_b32 s11, s14, 1
	s_delay_alu instid0(VALU_DEP_1) | instskip(NEXT) | instid1(TRANS32_DEP_1)
	v_sub_nc_u32_e32 v2, v2, v0
	v_readfirstlane_b32 s17, v3
	s_wait_alu 0xfffe
	s_delay_alu instid0(VALU_DEP_2) | instskip(SKIP_3) | instid1(VALU_DEP_1)
	v_cmp_ne_u32_e32 vcc_lo, s11, v2
	s_mul_f32 s17, s17, 0x4f7ffffe
	s_wait_alu 0xfffd
	v_cndmask_b32_e64 v3, 0, 1, vcc_lo
	v_or_b32_e32 v3, s11, v3
	s_wait_alu 0xfffe
	s_cvt_u32_f32 s11, s17
	s_sub_co_i32 s17, 0, s14
	s_wait_alu 0xfffe
	s_delay_alu instid0(SALU_CYCLE_1)
	s_mul_i32 s17, s17, s11
	v_sub_nc_u32_e32 v2, v2, v3
	s_wait_alu 0xfffe
	s_mul_hi_u32 s17, s11, s17
	s_wait_alu 0xfffe
	s_add_co_i32 s11, s11, s17
	s_not_b32 s17, s15
	s_wait_alu 0xfffe
	v_mul_hi_u32 v3, v2, s11
	s_delay_alu instid0(VALU_DEP_1) | instskip(NEXT) | instid1(VALU_DEP_1)
	v_mul_lo_u32 v4, v3, s14
	v_sub_nc_u32_e32 v2, v2, v4
	v_add_nc_u32_e32 v4, 1, v3
	s_delay_alu instid0(VALU_DEP_2) | instskip(SKIP_2) | instid1(VALU_DEP_1)
	v_subrev_nc_u32_e32 v6, s14, v2
	v_cmp_le_u32_e64 s11, s14, v2
	s_wait_alu 0xf1ff
	v_cndmask_b32_e64 v3, v3, v4, s11
	s_delay_alu instid0(VALU_DEP_3) | instskip(NEXT) | instid1(VALU_DEP_2)
	v_cndmask_b32_e64 v2, v2, v6, s11
	v_add_nc_u32_e32 v4, 1, v3
	s_delay_alu instid0(VALU_DEP_2) | instskip(SKIP_1) | instid1(VALU_DEP_1)
	v_cmp_le_u32_e64 s11, s14, v2
	s_wait_alu 0xf1ff
	v_cndmask_b32_e64 v2, v3, v4, s11
	v_mul_lo_u32 v3, s30, v1
	s_abs_i32 s11, s15
	s_delay_alu instid0(VALU_DEP_2) | instskip(SKIP_1) | instid1(VALU_DEP_1)
	v_add_co_ci_u32_e64 v2, null, 0, v2, vcc_lo
	s_wait_alu 0xfffe
	v_mul_hi_u32 v4, s11, v2
	v_mul_lo_u32 v2, s11, v2
	s_ashr_i32 s11, s17, 31
	s_cmp_eq_u32 s14, 1
	s_wait_alu 0xfffe
	v_xor_b32_e32 v3, s11, v3
	s_cselect_b32 s17, -1, 0
	s_delay_alu instid0(VALU_DEP_3) | instskip(NEXT) | instid1(VALU_DEP_2)
	v_cmp_eq_u32_e32 vcc_lo, 0, v4
	v_cmp_le_u32_e64 s11, v2, v3
	v_mov_b32_e32 v2, v0
                                        ; implicit-def: $vgpr3
	s_wait_alu 0xfffe
	s_and_b32 s17, vcc_lo, s17
	s_wait_alu 0xfffe
	s_and_b32 s18, s17, s11
	s_mov_b32 s17, -1
	s_wait_alu 0xfffe
	s_and_saveexec_b32 s11, s18
	s_cbranch_execz .LBB138_53
; %bb.44:                               ;   in Loop: Header=BB138_20 Depth=1
	v_add_nc_u32_e32 v2, 1, v1
	s_wait_loadcnt 0x0
	v_dual_mov_b32 v6, 0 :: v_dual_lshlrev_b32 v39, 16, v36
                                        ; implicit-def: $vgpr36
	s_delay_alu instid0(VALU_DEP_2)
	v_dual_mov_b32 v4, v2 :: v_dual_mov_b32 v3, v1
	s_and_saveexec_b32 s17, s5
	s_cbranch_execz .LBB138_48
; %bb.45:                               ;   in Loop: Header=BB138_20 Depth=1
	v_dual_mov_b32 v37, v23 :: v_dual_mov_b32 v38, v16
	v_dual_mov_b32 v4, v2 :: v_dual_mov_b32 v3, v1
	s_mov_b32 s18, 0
	s_mov_b32 s19, 0
.LBB138_46:                             ;   Parent Loop BB138_20 Depth=1
                                        ; =>  This Inner Loop Header: Depth=2
	s_delay_alu instid0(VALU_DEP_1) | instskip(NEXT) | instid1(VALU_DEP_2)
	v_add_nc_u32_e32 v2, 2, v4
	v_mul_lo_u32 v6, v3, s30
	v_add_nc_u32_e32 v36, 4, v4
	v_mul_lo_u32 v41, v4, s31
	v_mov_b32_e32 v42, v7
	v_lshrrev_b32_e32 v40, 16, v39
	v_add_nc_u32_e32 v39, 6, v4
	v_mul_lo_u32 v43, v2, s31
	v_dual_mov_b32 v44, v7 :: v_dual_add_nc_u32 v49, 8, v4
	v_mul_lo_u32 v45, v36, s31
	v_dual_mov_b32 v46, v7 :: v_dual_add_nc_u32 v51, 10, v4
	v_mul_lo_u32 v47, v39, s31
	v_lshlrev_b64_e32 v[53:54], 1, v[6:7]
	v_mul_lo_u32 v49, v49, s31
	v_lshlrev_b64_e32 v[41:42], 1, v[41:42]
	v_dual_mov_b32 v48, v7 :: v_dual_add_nc_u32 v39, 6, v3
	v_mul_lo_u32 v51, v51, s31
	v_lshlrev_b64_e32 v[43:44], 1, v[43:44]
	v_dual_mov_b32 v50, v7 :: v_dual_add_nc_u32 v55, 8, v3
	v_lshlrev_b64_e32 v[45:46], 1, v[45:46]
	v_add_co_u32 v53, vcc_lo, s46, v53
	v_dual_mov_b32 v52, v7 :: v_dual_add_nc_u32 v57, 10, v3
	v_lshlrev_b64_e32 v[47:48], 1, v[47:48]
	s_wait_alu 0xfffd
	v_add_co_ci_u32_e64 v54, null, s47, v54, vcc_lo
	v_add_co_u32 v41, vcc_lo, s46, v41
	v_lshlrev_b64_e32 v[49:50], 1, v[49:50]
	s_wait_alu 0xfffd
	v_add_co_ci_u32_e64 v42, null, s47, v42, vcc_lo
	v_add_co_u32 v43, vcc_lo, s46, v43
	;; [unrolled: 4-line block ×3, first 2 shown]
	s_wait_alu 0xfffd
	v_add_co_ci_u32_e64 v46, null, s47, v46, vcc_lo
	v_add_co_u32 v47, vcc_lo, s46, v47
	s_wait_alu 0xfffd
	v_add_co_ci_u32_e64 v48, null, s47, v48, vcc_lo
	v_add_co_u32 v49, vcc_lo, s46, v49
	s_wait_alu 0xfffd
	v_add_co_ci_u32_e64 v50, null, s47, v50, vcc_lo
	v_add_co_u32 v51, vcc_lo, s46, v51
	s_wait_alu 0xfffd
	v_add_co_ci_u32_e64 v52, null, s47, v52, vcc_lo
	s_clause 0x6
	global_load_d16_hi_b16 v40, v[53:54], off
	global_load_u16 v41, v[41:42], off
	global_load_u16 v42, v[43:44], off
	global_load_u16 v43, v[45:46], off
	global_load_u16 v44, v[47:48], off
	global_load_u16 v45, v[49:50], off
	global_load_u16 v46, v[51:52], off
	v_add_nc_u32_e32 v2, 2, v3
	v_add_nc_u32_e32 v6, 12, v4
	v_dual_mov_b32 v50, v7 :: v_dual_add_nc_u32 v49, 14, v4
	v_add_nc_u32_e32 v36, 4, v3
	v_dual_mov_b32 v48, v7 :: v_dual_add_nc_u32 v59, 12, v3
	s_delay_alu instid0(VALU_DEP_4)
	v_mul_lo_u32 v47, v6, s31
	v_mul_lo_u32 v6, v2, s30
	;; [unrolled: 1-line block ×3, first 2 shown]
	s_wait_alu 0xfffe
	s_add_co_i32 s19, s19, 16
	v_add_nc_u32_e32 v61, 14, v3
	v_add_nc_u32_e32 v37, -8, v37
	v_add_nc_u32_e32 v4, 16, v4
	v_add_nc_u32_e32 v3, 16, v3
	v_lshlrev_b64_e32 v[47:48], 1, v[47:48]
	v_lshlrev_b64_e32 v[51:52], 1, v[6:7]
	v_mul_lo_u32 v6, v36, s30
	v_lshlrev_b64_e32 v[49:50], 1, v[49:50]
	s_delay_alu instid0(VALU_DEP_4) | instskip(SKIP_2) | instid1(VALU_DEP_4)
	v_add_co_u32 v47, vcc_lo, s46, v47
	s_wait_alu 0xfffd
	v_add_co_ci_u32_e64 v48, null, s47, v48, vcc_lo
	v_lshlrev_b64_e32 v[53:54], 1, v[6:7]
	v_mul_lo_u32 v6, v39, s30
	v_add_co_u32 v49, vcc_lo, s46, v49
	s_wait_alu 0xfffd
	v_add_co_ci_u32_e64 v50, null, s47, v50, vcc_lo
	v_add_co_u32 v51, vcc_lo, s46, v51
	s_wait_alu 0xfffd
	v_add_co_ci_u32_e64 v52, null, s47, v52, vcc_lo
	global_load_u16 v2, v[47:48], off
	v_add_co_u32 v47, vcc_lo, s46, v53
	s_wait_alu 0xfffd
	v_add_co_ci_u32_e64 v48, null, s47, v54, vcc_lo
	v_lshlrev_b64_e32 v[53:54], 1, v[6:7]
	v_mul_lo_u32 v6, v55, s30
	s_delay_alu instid0(VALU_DEP_2) | instskip(SKIP_1) | instid1(VALU_DEP_3)
	v_add_co_u32 v53, vcc_lo, s46, v53
	s_wait_alu 0xfffd
	v_add_co_ci_u32_e64 v54, null, s47, v54, vcc_lo
	s_delay_alu instid0(VALU_DEP_3) | instskip(SKIP_1) | instid1(VALU_DEP_2)
	v_lshlrev_b64_e32 v[55:56], 1, v[6:7]
	v_mul_lo_u32 v6, v57, s30
	v_add_co_u32 v55, vcc_lo, s46, v55
	s_wait_alu 0xfffd
	s_delay_alu instid0(VALU_DEP_3) | instskip(NEXT) | instid1(VALU_DEP_3)
	v_add_co_ci_u32_e64 v56, null, s47, v56, vcc_lo
	v_lshlrev_b64_e32 v[57:58], 1, v[6:7]
	v_mul_lo_u32 v6, v59, s30
	s_delay_alu instid0(VALU_DEP_2) | instskip(SKIP_1) | instid1(VALU_DEP_3)
	v_add_co_u32 v57, vcc_lo, s46, v57
	s_wait_alu 0xfffd
	v_add_co_ci_u32_e64 v58, null, s47, v58, vcc_lo
	s_delay_alu instid0(VALU_DEP_3) | instskip(SKIP_1) | instid1(VALU_DEP_2)
	v_lshlrev_b64_e32 v[59:60], 1, v[6:7]
	v_mul_lo_u32 v6, v61, s30
	v_add_co_u32 v59, vcc_lo, s46, v59
	s_wait_alu 0xfffd
	s_delay_alu instid0(VALU_DEP_3) | instskip(NEXT) | instid1(VALU_DEP_3)
	v_add_co_ci_u32_e64 v60, null, s47, v60, vcc_lo
	v_lshlrev_b64_e32 v[61:62], 1, v[6:7]
	s_wait_alu 0xfffe
	v_mov_b32_e32 v6, s19
	s_delay_alu instid0(VALU_DEP_2) | instskip(SKIP_1) | instid1(VALU_DEP_3)
	v_add_co_u32 v61, vcc_lo, s46, v61
	s_wait_alu 0xfffd
	v_add_co_ci_u32_e64 v62, null, s47, v62, vcc_lo
	v_cmp_eq_u32_e32 vcc_lo, 0, v37
	s_wait_loadcnt 0x6
	global_load_d16_hi_b16 v41, v[51:52], off
	s_wait_loadcnt 0x6
	global_load_d16_hi_b16 v42, v[47:48], off
	;; [unrolled: 2-line block ×3, first 2 shown]
	s_wait_loadcnt 0x6
	s_clause 0x1
	global_load_d16_hi_b16 v44, v[55:56], off
	global_load_u16 v39, v[61:62], off
	s_wait_loadcnt 0x7
	global_load_d16_hi_b16 v45, v[57:58], off
	s_wait_loadcnt 0x7
	s_clause 0x1
	global_load_d16_hi_b16 v46, v[59:60], off
	global_load_u16 v36, v[49:50], off
	s_or_b32 s18, vcc_lo, s18
	s_wait_loadcnt 0x3
	v_perm_b32 v47, v39, v2, 0x5040100
	ds_store_b128 v38, v[40:43]
	s_wait_loadcnt 0x1
	ds_store_b128 v38, v[44:47] offset:16
	s_wait_loadcnt 0x0
	v_perm_b32 v39, v36, v39, 0x5040100
	v_add_nc_u32_e32 v38, 32, v38
	s_wait_alu 0xfffe
	s_and_not1_b32 exec_lo, exec_lo, s18
	s_cbranch_execnz .LBB138_46
; %bb.47:                               ;   in Loop: Header=BB138_20 Depth=1
	s_or_b32 exec_lo, exec_lo, s18
.LBB138_48:                             ;   in Loop: Header=BB138_20 Depth=1
	s_wait_alu 0xfffe
	s_or_b32 exec_lo, exec_lo, s17
	s_and_saveexec_b32 s17, s6
	s_cbranch_execz .LBB138_52
; %bb.49:                               ;   in Loop: Header=BB138_20 Depth=1
	v_lshl_add_u32 v2, v6, 1, v16
	v_mov_b32_e32 v37, v24
	s_mov_b32 s18, 0
.LBB138_50:                             ;   Parent Loop BB138_20 Depth=1
                                        ; =>  This Inner Loop Header: Depth=2
	v_mul_lo_u32 v6, v3, s30
	v_mul_lo_u32 v40, v4, s31
	v_dual_mov_b32 v41, v7 :: v_dual_add_nc_u32 v4, 2, v4
	v_add_nc_u32_e32 v37, -4, v37
	v_add_nc_u32_e32 v3, 2, v3
	v_lshlrev_b64_e32 v[42:43], 1, v[6:7]
	s_delay_alu instid0(VALU_DEP_4) | instskip(NEXT) | instid1(VALU_DEP_2)
	v_lshlrev_b64_e32 v[40:41], 1, v[40:41]
	v_add_co_u32 v42, vcc_lo, s46, v42
	s_wait_alu 0xfffd
	s_delay_alu instid0(VALU_DEP_3) | instskip(NEXT) | instid1(VALU_DEP_3)
	v_add_co_ci_u32_e64 v43, null, s47, v43, vcc_lo
	v_add_co_u32 v40, vcc_lo, s46, v40
	s_wait_alu 0xfffd
	v_add_co_ci_u32_e64 v41, null, s47, v41, vcc_lo
	s_clause 0x1
	global_load_u16 v6, v[42:43], off
	global_load_u16 v36, v[40:41], off
	v_cmp_eq_u32_e32 vcc_lo, 0, v37
	s_wait_alu 0xfffe
	s_or_b32 s18, vcc_lo, s18
	s_wait_loadcnt 0x1
	v_alignbit_b32 v38, v6, v39, 16
	s_wait_loadcnt 0x0
	v_perm_b32 v39, v36, v6, 0x5040100
	ds_store_b32 v2, v38
	v_add_nc_u32_e32 v2, 4, v2
	s_wait_alu 0xfffe
	s_and_not1_b32 exec_lo, exec_lo, s18
	s_cbranch_execnz .LBB138_50
; %bb.51:                               ;   in Loop: Header=BB138_20 Depth=1
	s_or_b32 exec_lo, exec_lo, s18
.LBB138_52:                             ;   in Loop: Header=BB138_20 Depth=1
	s_wait_alu 0xfffe
	s_or_b32 exec_lo, exec_lo, s17
	v_add_nc_u32_e32 v1, v1, v20
	s_or_not1_b32 s17, s7, exec_lo
	s_delay_alu instid0(VALU_DEP_1)
	v_dual_mov_b32 v2, v21 :: v_dual_add_nc_u32 v3, -1, v1
.LBB138_53:                             ;   in Loop: Header=BB138_20 Depth=1
	s_wait_alu 0xfffe
	s_or_b32 exec_lo, exec_lo, s11
	v_mov_b32_e32 v4, s15
	s_and_b32 s11, s17, exec_lo
	s_and_not1_saveexec_b32 s16, s16
	s_cbranch_execz .LBB138_39
.LBB138_54:                             ;   in Loop: Header=BB138_20 Depth=1
	s_wait_alu 0xfffe
	v_mov_b32_e32 v4, s15
	v_mov_b32_e32 v2, v0
	s_or_b32 s11, s11, exec_lo
	s_or_b32 exec_lo, exec_lo, s16
	s_wait_alu 0xfffe
	s_and_saveexec_b32 s15, s11
	s_cbranch_execz .LBB138_58
.LBB138_55:                             ;   in Loop: Header=BB138_20 Depth=1
	v_mul_lo_u32 v6, s30, v1
	s_mov_b32 s16, 0
	s_sub_co_i32 s11, 0, s14
.LBB138_56:                             ;   Parent Loop BB138_20 Depth=1
                                        ; =>  This Inner Loop Header: Depth=2
	s_delay_alu instid0(VALU_DEP_1) | instskip(SKIP_2) | instid1(VALU_DEP_2)
	v_lshlrev_b64_e32 v[37:38], 1, v[6:7]
	s_wait_loadcnt 0x0
	v_dual_mov_b32 v3, v36 :: v_dual_add_nc_u32 v6, v6, v4
	v_add_co_u32 v37, vcc_lo, s46, v37
	s_wait_alu 0xfffd
	s_delay_alu instid0(VALU_DEP_3) | instskip(SKIP_2) | instid1(VALU_DEP_1)
	v_add_co_ci_u32_e64 v38, null, s47, v38, vcc_lo
	global_load_u16 v36, v[37:38], off
	v_dual_mov_b32 v37, v1 :: v_dual_lshlrev_b32 v38, 1, v2
	v_dual_mov_b32 v2, v37 :: v_dual_add_nc_u32 v1, s14, v37
	ds_store_b16 v38, v3
	v_cmp_le_u32_e32 vcc_lo, s28, v1
	s_wait_alu 0xfffe
	s_or_b32 s16, vcc_lo, s16
	s_wait_alu 0xfffe
	s_and_not1_b32 exec_lo, exec_lo, s16
	s_cbranch_execnz .LBB138_56
; %bb.57:                               ;   in Loop: Header=BB138_20 Depth=1
	s_or_b32 exec_lo, exec_lo, s16
	v_add_nc_u32_e32 v3, s11, v1
.LBB138_58:                             ;   in Loop: Header=BB138_20 Depth=1
	s_wait_alu 0xfffe
	s_or_b32 exec_lo, exec_lo, s15
.LBB138_59:                             ;   in Loop: Header=BB138_20 Depth=1
	s_wait_alu 0xfffe
	s_or_b32 exec_lo, exec_lo, s13
	v_lshlrev_b32_e32 v1, 1, v3
	s_wait_loadcnt 0x0
	ds_store_b16 v1, v36
.LBB138_60:                             ;   in Loop: Header=BB138_20 Depth=1
	s_wait_alu 0xfffe
	s_or_b32 exec_lo, exec_lo, s12
	s_wait_loadcnt_dscnt 0x0
	s_barrier_signal -1
	s_barrier_wait -1
	global_inv scope:SCOPE_SE
	s_and_saveexec_b32 s11, s0
; %bb.61:                               ;   in Loop: Header=BB138_20 Depth=1
	v_mov_b32_e32 v1, s28
	ds_store_b32 v7, v1 offset:4104
; %bb.62:                               ;   in Loop: Header=BB138_20 Depth=1
	s_wait_alu 0xfffe
	s_or_b32 exec_lo, exec_lo, s11
	s_mov_b32 s11, -1
	s_wait_loadcnt_dscnt 0x0
	s_barrier_signal -1
	s_barrier_wait -1
.LBB138_63:                             ;   in Loop: Header=BB138_20 Depth=1
	s_wait_alu 0xfffe
	s_and_b32 vcc_lo, exec_lo, s11
	s_mov_b32 s56, 0
	s_wait_alu 0xfffe
	s_cbranch_vccz .LBB138_65
; %bb.64:                               ;   in Loop: Header=BB138_20 Depth=1
	s_wait_loadcnt 0x0
	global_inv scope:SCOPE_SE
	ds_load_b32 v1, v7 offset:4104
	s_wait_dscnt 0x0
	v_readfirstlane_b32 s56, v1
.LBB138_65:                             ;   in Loop: Header=BB138_20 Depth=1
	s_delay_alu instid0(VALU_DEP_1)
	s_cmp_lt_i32 s56, 1
	s_mov_b32 s11, -1
                                        ; implicit-def: $vgpr1
	s_cbranch_scc1 .LBB138_75
; %bb.66:                               ;   in Loop: Header=BB138_20 Depth=1
	s_wait_alu 0xfffe
	s_and_b32 vcc_lo, exec_lo, s11
	s_wait_alu 0xfffe
	s_cbranch_vccnz .LBB138_86
.LBB138_67:                             ;   in Loop: Header=BB138_20 Depth=1
	v_lshlrev_b32_e32 v6, 7, v32
	s_and_saveexec_b32 s11, s3
.LBB138_68:                             ;   in Loop: Header=BB138_20 Depth=1
	s_delay_alu instid0(VALU_DEP_1)
	v_lshl_add_u32 v36, v6, 2, v19
	ds_store_b128 v36, v[1:4]
.LBB138_69:                             ;   in Loop: Header=BB138_20 Depth=1
	s_wait_alu 0xfffe
	s_or_b32 exec_lo, exec_lo, s11
	s_wait_loadcnt_dscnt 0x0
	s_barrier_signal -1
	s_barrier_wait -1
	global_inv scope:SCOPE_SE
	s_and_saveexec_b32 s11, s39
	s_cbranch_execz .LBB138_99
; %bb.70:                               ;   in Loop: Header=BB138_20 Depth=1
	v_mov_b32_e32 v1, 0
	s_and_not1_b32 vcc_lo, exec_lo, s64
	s_wait_alu 0xfffe
	s_cbranch_vccnz .LBB138_98
; %bb.71:                               ;   in Loop: Header=BB138_20 Depth=1
	s_and_not1_b32 vcc_lo, exec_lo, s66
	s_wait_alu 0xfffe
	s_cbranch_vccnz .LBB138_95
; %bb.72:                               ;   in Loop: Header=BB138_20 Depth=1
	v_lshl_add_u32 v2, v32, 9, v30
	v_mov_b32_e32 v1, 0
	s_mov_b32 s12, 0
.LBB138_73:                             ;   Parent Loop BB138_20 Depth=1
                                        ; =>  This Inner Loop Header: Depth=2
	ds_load_2addr_b32 v[3:4], v2 offset1:4
	ds_load_2addr_b32 v[36:37], v2 offset0:8 offset1:12
	ds_load_2addr_b32 v[38:39], v2 offset0:16 offset1:20
	;; [unrolled: 1-line block ×3, first 2 shown]
	v_add_nc_u32_e32 v2, 0x80, v2
	s_wait_alu 0xfffe
	s_add_co_i32 s12, s12, 8
	s_wait_alu 0xfffe
	s_cmp_eq_u32 s67, s12
	s_wait_dscnt 0x3
	v_add3_u32 v1, v3, v1, v4
	s_wait_dscnt 0x2
	s_delay_alu instid0(VALU_DEP_1) | instskip(SKIP_1) | instid1(VALU_DEP_1)
	v_add3_u32 v1, v36, v1, v37
	s_wait_dscnt 0x1
	v_add3_u32 v1, v38, v1, v39
	s_wait_dscnt 0x0
	s_delay_alu instid0(VALU_DEP_1)
	v_add3_u32 v1, v40, v1, v41
	s_cbranch_scc0 .LBB138_73
; %bb.74:                               ;   in Loop: Header=BB138_20 Depth=1
	s_mov_b32 s12, s67
	s_and_not1_b32 vcc_lo, exec_lo, s68
	s_wait_alu 0xfffe
	s_cbranch_vccz .LBB138_96
	s_branch .LBB138_98
.LBB138_75:                             ;   in Loop: Header=BB138_20 Depth=1
	v_dual_mov_b32 v1, 0 :: v_dual_mov_b32 v2, 0
	v_dual_mov_b32 v3, 0 :: v_dual_mov_b32 v4, 0
	s_and_saveexec_b32 s22, s8
	s_cbranch_execz .LBB138_79
; %bb.76:                               ;   in Loop: Header=BB138_20 Depth=1
	v_mov_b32_e32 v36, v14
	s_mov_b32 s23, 0
	s_mov_b32 s24, 0
	s_mov_b32 s83, 0
	s_mov_b32 s84, 0
	s_mov_b32 s85, 0
	s_mov_b32 s86, 0
.LBB138_77:                             ;   Parent Loop BB138_20 Depth=1
                                        ; =>  This Inner Loop Header: Depth=2
	s_wait_alu 0xfffe
	v_add_nc_u32_e32 v6, s24, v27
	v_add_nc_u32_e32 v36, s45, v36
	s_delay_alu instid0(VALU_DEP_2) | instskip(SKIP_1) | instid1(VALU_DEP_1)
	v_lshlrev_b64_e32 v[1:2], 1, v[6:7]
	v_add_nc_u32_e32 v6, s24, v12
	v_lshlrev_b64_e32 v[3:4], 1, v[6:7]
	s_delay_alu instid0(VALU_DEP_3) | instskip(SKIP_3) | instid1(VALU_DEP_4)
	v_add_co_u32 v1, vcc_lo, s46, v1
	v_add_nc_u32_e32 v6, s24, v25
	s_wait_alu 0xfffd
	v_add_co_ci_u32_e64 v2, null, s47, v2, vcc_lo
	v_add_co_u32 v3, vcc_lo, s46, v3
	s_delay_alu instid0(VALU_DEP_3)
	v_lshlrev_b64_e32 v[37:38], 1, v[6:7]
	v_add_nc_u32_e32 v6, s24, v26
	s_wait_alu 0xfffd
	v_add_co_ci_u32_e64 v4, null, s47, v4, vcc_lo
	global_load_u16 v39, v[1:2], off
	s_add_co_i32 s24, s24, s71
	v_lshlrev_b64_e32 v[1:2], 1, v[6:7]
	global_load_u16 v6, v[3:4], off
	v_add_co_u32 v3, vcc_lo, s46, v37
	s_wait_alu 0xfffd
	v_add_co_ci_u32_e64 v4, null, s47, v38, vcc_lo
	v_add_co_u32 v1, vcc_lo, s46, v1
	s_wait_alu 0xfffd
	v_add_co_ci_u32_e64 v2, null, s47, v2, vcc_lo
	global_load_u16 v3, v[3:4], off
	v_cmp_le_u32_e32 vcc_lo, s69, v36
	global_load_u16 v1, v[1:2], off
	s_wait_loadcnt 0x3
	v_cmp_lt_i16_e64 s11, -1, v39
	v_and_b32_e32 v2, 0xffff, v39
	v_lshlrev_b32_e32 v37, 16, v39
	s_wait_loadcnt 0x2
	v_and_b32_e32 v38, 0xffff, v6
	s_wait_alu 0xf1ff
	v_cndmask_b32_e64 v4, 0xffff, v31, s11
	v_cmp_lt_i16_e64 s11, -1, v6
	s_delay_alu instid0(VALU_DEP_2) | instskip(SKIP_1) | instid1(VALU_DEP_2)
	v_xor_b32_e32 v2, v4, v2
	s_wait_alu 0xf1ff
	v_cndmask_b32_e64 v39, 0xffff, v31, s11
	v_cmp_o_f32_e64 s11, v37, v37
	v_lshlrev_b32_e32 v4, 16, v6
	s_wait_loadcnt 0x1
	v_cmp_lt_i16_e64 s12, -1, v3
	v_and_b32_e32 v37, 0xffff, v3
	v_xor_b32_e32 v6, v39, v38
	s_wait_alu 0xf1ff
	v_cndmask_b32_e64 v2, 0xffff, v2, s11
	v_cmp_o_f32_e64 s11, v4, v4
	v_cndmask_b32_e64 v38, 0xffff, v31, s12
	v_lshlrev_b32_e32 v3, 16, v3
	s_delay_alu instid0(VALU_DEP_4)
	v_and_b32_e32 v39, v2, v33
	s_wait_alu 0xf1ff
	v_cndmask_b32_e64 v4, 0xffff, v6, s11
	s_wait_loadcnt 0x0
	v_cmp_lt_i16_e64 s11, -1, v1
	v_xor_b32_e32 v6, v38, v37
	v_bfe_u32 v2, v2, s82, 2
	v_and_b32_e32 v37, 0xffff, v1
	v_lshlrev_b32_e32 v1, 16, v1
	s_wait_alu 0xf1ff
	v_cndmask_b32_e64 v38, 0xffff, v31, s11
	v_cmp_o_f32_e64 s11, v3, v3
	v_cmp_eq_u32_e64 s12, 0, v2
	v_cmp_eq_u32_e64 s13, 1, v2
	v_cmp_o_f32_e64 s16, v1, v1
	v_cmp_eq_u32_e64 s14, 2, v2
	s_wait_alu 0xf1ff
	v_cndmask_b32_e64 v3, 0xffff, v6, s11
	v_cmp_eq_u32_e64 s11, v39, v13
	v_xor_b32_e32 v6, v38, v37
	v_and_b32_e32 v37, v4, v33
	v_bfe_u32 v4, v4, s82, 2
	v_cmp_eq_u32_e64 s15, 3, v2
	s_and_b32 s12, s11, s12
	v_cndmask_b32_e64 v1, 0xffff, v6, s16
	v_cmp_eq_u32_e64 s16, v37, v13
	v_cmp_eq_u32_e64 s17, 0, v4
	s_wait_alu 0xfffe
	v_cndmask_b32_e64 v6, 0, 1, s12
	v_cmp_eq_u32_e64 s12, 1, v4
	s_and_b32 s13, s11, s13
	v_and_b32_e32 v2, v3, v33
	v_bfe_u32 v3, v3, s82, 2
	s_wait_alu 0xfffe
	v_cndmask_b32_e64 v37, 0, 1, s13
	v_cmp_eq_u32_e64 s13, 2, v4
	s_and_b32 s14, s11, s14
	s_and_b32 s11, s11, s15
	s_wait_alu 0xfffe
	v_cndmask_b32_e64 v38, 0, 1, s14
	s_and_b32 s17, s16, s17
	s_and_b32 s12, s16, s12
	v_cmp_eq_u32_e64 s14, 3, v4
	v_cndmask_b32_e64 v4, 0, 1, s11
	v_cmp_eq_u32_e64 s11, v2, v13
	v_cmp_eq_u32_e64 s15, 0, v3
	v_cmp_ne_u32_e64 s18, 0, v6
	s_wait_alu 0xfffe
	v_cndmask_b32_e64 v6, 0, 1, s17
	v_cmp_eq_u32_e64 s17, 1, v3
	v_cmp_ne_u32_e64 s19, 0, v37
	v_cndmask_b32_e64 v37, 0, 1, s12
	v_cmp_eq_u32_e64 s12, 2, v3
	s_and_b32 s13, s16, s13
	v_and_b32_e32 v2, v1, v33
	v_bfe_u32 v1, v1, s82, 2
	v_cmp_ne_u32_e64 s20, 0, v38
	s_wait_alu 0xfffe
	v_cndmask_b32_e64 v38, 0, 1, s13
	v_cmp_eq_u32_e64 s13, 3, v3
	s_and_b32 s14, s16, s14
	s_and_b32 s15, s11, s15
	;; [unrolled: 1-line block ×4, first 2 shown]
	v_cmp_ne_u32_e64 s21, 0, v4
	s_wait_alu 0xfffe
	v_cndmask_b32_e64 v3, 0, 1, s14
	v_cmp_eq_u32_e64 s14, v2, v13
	v_cmp_eq_u32_e64 s16, 0, v1
	s_bcnt1_i32_b32 s87, s18
	v_cmp_ne_u32_e64 s18, 0, v6
	v_cndmask_b32_e64 v2, 0, 1, s15
	v_cmp_eq_u32_e64 s15, 1, v1
	v_cndmask_b32_e64 v4, 0, 1, s17
	v_cmp_eq_u32_e64 s17, 2, v1
	;; [unrolled: 2-line block ×3, first 2 shown]
	s_and_b32 s11, s11, s13
	s_bcnt1_i32_b32 s90, s21
	s_wait_alu 0xfffe
	v_cndmask_b32_e64 v1, 0, 1, s11
	v_cmp_ne_u32_e64 s21, 0, v3
	s_and_b32 s13, s14, s16
	s_and_b32 s15, s14, s15
	s_and_b32 s16, s14, s17
	s_and_b32 s12, s14, s12
	v_cmp_ne_u32_e64 s11, 0, v2
	s_wait_alu 0xfffe
	v_cndmask_b32_e64 v2, 0, 1, s13
	v_cmp_ne_u32_e64 s13, 0, v4
	v_cndmask_b32_e64 v3, 0, 1, s15
	v_cndmask_b32_e64 v4, 0, 1, s16
	v_cmp_ne_u32_e64 s16, 0, v1
	v_cndmask_b32_e64 v1, 0, 1, s12
	s_bcnt1_i32_b32 s88, s19
	v_cmp_ne_u32_e64 s19, 0, v37
	s_bcnt1_i32_b32 s89, s20
	v_cmp_ne_u32_e64 s20, 0, v38
	s_add_co_i32 s83, s90, s83
	v_cmp_ne_u32_e64 s15, 0, v6
	s_bcnt1_i32_b32 s17, s21
	s_bcnt1_i32_b32 s21, s11
	s_wait_alu 0xfffe
	s_add_co_i32 s17, s83, s17
	v_cmp_ne_u32_e64 s11, 0, v2
	s_bcnt1_i32_b32 s83, s13
	v_cmp_ne_u32_e64 s12, 0, v3
	v_cmp_ne_u32_e64 s13, 0, v4
	;; [unrolled: 1-line block ×3, first 2 shown]
	s_add_co_i32 s86, s87, s86
	s_add_co_i32 s85, s88, s85
	;; [unrolled: 1-line block ×3, first 2 shown]
	s_bcnt1_i32_b32 s18, s18
	s_bcnt1_i32_b32 s19, s19
	;; [unrolled: 1-line block ×3, first 2 shown]
	s_wait_alu 0xfffe
	s_add_co_i32 s18, s86, s18
	s_add_co_i32 s19, s85, s19
	s_add_co_i32 s20, s84, s20
	s_bcnt1_i32_b32 s15, s15
	s_bcnt1_i32_b32 s16, s16
	s_wait_alu 0xfffe
	s_add_co_i32 s18, s18, s21
	s_add_co_i32 s19, s19, s83
	;; [unrolled: 1-line block ×4, first 2 shown]
	s_bcnt1_i32_b32 s11, s11
	s_bcnt1_i32_b32 s12, s12
	;; [unrolled: 1-line block ×4, first 2 shown]
	s_wait_alu 0xfffe
	s_add_co_i32 s86, s18, s11
	s_add_co_i32 s85, s19, s12
	;; [unrolled: 1-line block ×4, first 2 shown]
	s_wait_alu 0xfffe
	v_dual_mov_b32 v1, s86 :: v_dual_mov_b32 v2, s85
	v_dual_mov_b32 v3, s84 :: v_dual_mov_b32 v4, s83
	s_or_b32 s23, vcc_lo, s23
	s_wait_alu 0xfffe
	s_and_not1_b32 exec_lo, exec_lo, s23
	s_cbranch_execnz .LBB138_77
; %bb.78:                               ;   in Loop: Header=BB138_20 Depth=1
	s_or_b32 exec_lo, exec_lo, s23
.LBB138_79:                             ;   in Loop: Header=BB138_20 Depth=1
	s_wait_alu 0xfffe
	s_or_b32 exec_lo, exec_lo, s22
	s_and_saveexec_b32 s15, s9
	s_cbranch_execz .LBB138_85
; %bb.80:                               ;   in Loop: Header=BB138_20 Depth=1
	global_load_u16 v38, v[10:11], off
	v_mov_b32_e32 v6, v28
	v_mov_b32_e32 v36, v22
	s_mov_b32 s16, 0
	s_branch .LBB138_82
.LBB138_81:                             ;   in Loop: Header=BB138_82 Depth=2
	s_wait_alu 0xfffe
	s_or_b32 exec_lo, exec_lo, s12
	s_wait_loadcnt 0x0
	v_cmp_lt_i16_e64 s11, -1, v38
	v_and_b32_e32 v39, 0xffff, v38
	v_lshlrev_b32_e32 v38, 16, v38
	s_and_b32 s12, exec_lo, vcc_lo
	v_add_nc_u32_e32 v6, s49, v6
	s_wait_alu 0xf1ff
	v_cndmask_b32_e64 v40, 0xffff, v31, s11
	s_wait_alu 0xfffe
	s_or_b32 s16, s12, s16
	v_cmp_o_f32_e64 s11, v38, v38
	s_delay_alu instid0(VALU_DEP_2) | instskip(SKIP_1) | instid1(VALU_DEP_1)
	v_xor_b32_e32 v39, v40, v39
	s_wait_alu 0xf1ff
	v_cndmask_b32_e64 v38, 0xffff, v39, s11
	s_delay_alu instid0(VALU_DEP_1) | instskip(SKIP_1) | instid1(VALU_DEP_2)
	v_and_b32_e32 v39, v38, v33
	v_bfe_u32 v38, v38, s82, 2
	v_cmp_eq_u32_e32 vcc_lo, v39, v13
	s_delay_alu instid0(VALU_DEP_2)
	v_cmp_eq_u32_e64 s11, 0, v38
	v_cmp_eq_u32_e64 s12, 1, v38
	;; [unrolled: 1-line block ×4, first 2 shown]
	s_and_b32 s11, vcc_lo, s11
	s_wait_alu 0xfffe
	v_cndmask_b32_e64 v38, 0, 1, s11
	s_and_b32 s11, vcc_lo, s12
	s_wait_alu 0xfffe
	v_cndmask_b32_e64 v39, 0, 1, s11
	s_and_b32 s11, vcc_lo, s13
	s_wait_alu 0xfffe
	v_cndmask_b32_e64 v40, 0, 1, s11
	s_and_b32 s11, vcc_lo, s14
	v_cmp_ne_u32_e32 vcc_lo, 0, v38
	s_wait_alu 0xfffe
	v_cndmask_b32_e64 v41, 0, 1, s11
	v_cmp_ne_u32_e64 s11, 0, v39
	v_cmp_ne_u32_e64 s12, 0, v40
	v_mov_b32_e32 v38, v37
	s_bcnt1_i32_b32 s14, vcc_lo
	v_cmp_ne_u32_e64 s13, 0, v41
	s_bcnt1_i32_b32 s11, s11
	s_bcnt1_i32_b32 s12, s12
	s_wait_alu 0xfffe
	v_add_nc_u32_e32 v1, s14, v1
	v_add_nc_u32_e32 v2, s11, v2
	s_bcnt1_i32_b32 s13, s13
	v_add_nc_u32_e32 v3, s12, v3
	s_wait_alu 0xfffe
	v_add_nc_u32_e32 v4, s13, v4
	s_and_not1_b32 exec_lo, exec_lo, s16
	s_cbranch_execz .LBB138_84
.LBB138_82:                             ;   Parent Loop BB138_20 Depth=1
                                        ; =>  This Inner Loop Header: Depth=2
	s_delay_alu instid0(VALU_DEP_1) | instskip(SKIP_1) | instid1(VALU_DEP_1)
	v_dual_mov_b32 v37, 0 :: v_dual_add_nc_u32 v36, s29, v36
	s_mov_b32 s12, exec_lo
	v_cmp_le_u32_e32 vcc_lo, s28, v36
	v_cmpx_gt_u32_e64 s28, v36
	s_cbranch_execz .LBB138_81
; %bb.83:                               ;   in Loop: Header=BB138_82 Depth=2
	v_lshlrev_b64_e32 v[39:40], 1, v[6:7]
	s_delay_alu instid0(VALU_DEP_1) | instskip(SKIP_1) | instid1(VALU_DEP_2)
	v_add_co_u32 v39, s11, s46, v39
	s_wait_alu 0xf1fe
	v_add_co_ci_u32_e64 v40, null, s47, v40, s11
	global_load_u16 v37, v[39:40], off
	s_branch .LBB138_81
.LBB138_84:                             ;   in Loop: Header=BB138_20 Depth=1
	s_or_b32 exec_lo, exec_lo, s16
.LBB138_85:                             ;   in Loop: Header=BB138_20 Depth=1
	s_wait_alu 0xfffe
	s_or_b32 exec_lo, exec_lo, s15
	s_branch .LBB138_67
.LBB138_86:                             ;   in Loop: Header=BB138_20 Depth=1
	s_mul_u64 s[12:13], s[56:57], s[58:59]
	v_dual_mov_b32 v1, 0 :: v_dual_mov_b32 v2, 0
	s_wait_alu 0xfffe
	s_mul_i32 s11, s13, s45
	v_dual_mov_b32 v3, 0 :: v_dual_mov_b32 v4, 0
	s_wait_alu 0xfffe
	s_sub_co_i32 s11, s56, s11
	s_mov_b32 s84, exec_lo
	s_wait_alu 0xfffe
	s_sub_co_i32 s12, s11, s45
	s_cmp_ge_u32 s11, s45
	s_wait_alu 0xfffe
	s_cselect_b32 s11, s12, s11
	s_wait_alu 0xfffe
	s_sub_co_i32 s12, s11, s45
	s_cmp_ge_u32 s11, s45
	s_wait_alu 0xfffe
	s_cselect_b32 s11, s12, s11
	s_wait_alu 0xfffe
	s_sub_co_i32 s83, s56, s11
	s_wait_alu 0xfffe
	v_cmpx_gt_u32_e64 s83, v14
	s_cbranch_execz .LBB138_90
; %bb.87:                               ;   in Loop: Header=BB138_20 Depth=1
	v_mov_b32_e32 v6, v29
	v_mov_b32_e32 v36, v14
	s_mov_b32 s85, 0
	s_mov_b32 s86, 0
	;; [unrolled: 1-line block ×5, first 2 shown]
.LBB138_88:                             ;   Parent Loop BB138_20 Depth=1
                                        ; =>  This Inner Loop Header: Depth=2
	ds_load_b64 v[1:2], v6
	s_wait_dscnt 0x0
	v_cmp_lt_i16_e64 s11, -1, v1
	v_lshrrev_b32_e32 v3, 16, v1
	v_lshrrev_b32_e32 v4, 16, v2
	v_and_b32_e32 v37, 0xffff, v1
	v_lshlrev_b32_e32 v39, 16, v1
	s_wait_alu 0xf1ff
	v_cndmask_b32_e64 v38, 0xffff, v31, s11
	v_cmp_lt_i16_e64 s11, -1, v2
	v_and_b32_e32 v40, 0xffff, v2
	v_cmp_lt_i16_e64 s12, -1, v4
	v_lshlrev_b32_e32 v42, 16, v2
	v_and_b32_e32 v1, 0xffff0000, v1
	s_wait_alu 0xf1ff
	v_cndmask_b32_e64 v41, 0xffff, v31, s11
	v_cmp_lt_i16_e64 s11, -1, v3
	v_xor_b32_e32 v37, v38, v37
	v_and_b32_e32 v2, 0xffff0000, v2
	s_delay_alu instid0(VALU_DEP_4)
	v_xor_b32_e32 v40, v41, v40
	s_wait_alu 0xf1ff
	v_cndmask_b32_e64 v38, 0xffff, v31, s11
	v_cndmask_b32_e64 v41, 0xffff, v31, s12
	v_cmp_o_f32_e64 s12, v39, v39
	v_cmp_o_f32_e64 s11, v42, v42
	s_delay_alu instid0(VALU_DEP_4) | instskip(NEXT) | instid1(VALU_DEP_4)
	v_xor_b32_e32 v3, v38, v3
	v_xor_b32_e32 v4, v41, v4
	s_wait_alu 0xf1ff
	v_cndmask_b32_e64 v37, 0xffff, v37, s12
	v_cmp_o_f32_e64 s12, v1, v1
	v_cndmask_b32_e64 v38, 0xffff, v40, s11
	v_cmp_o_f32_e64 s11, v2, v2
	s_delay_alu instid0(VALU_DEP_4)
	v_and_b32_e32 v2, v37, v33
	s_wait_alu 0xf1ff
	v_cndmask_b32_e64 v1, 0xffff, v3, s12
	v_bfe_u32 v37, v37, s82, 2
	v_cndmask_b32_e64 v3, 0xffff, v4, s11
	v_and_b32_e32 v4, v38, v33
	v_bfe_u32 v38, v38, s82, 2
	v_cmp_eq_u32_e64 s11, v2, v13
	v_and_b32_e32 v2, v1, v33
	v_bfe_u32 v1, v1, s82, 2
	v_cmp_eq_u32_e64 s13, 0, v37
	v_cmp_eq_u32_e64 s15, 1, v37
	v_cmp_eq_u32_e64 s17, 2, v37
	v_cmp_eq_u32_e64 s12, v4, v13
	v_cmp_eq_u32_e64 s14, 0, v38
	v_cmp_eq_u32_e64 s16, 1, v38
	v_cmp_eq_u32_e64 s18, 2, v38
	v_cmp_eq_u32_e64 s19, 3, v37
	v_and_b32_e32 v4, v3, v33
	v_bfe_u32 v3, v3, s82, 2
	v_cmp_eq_u32_e64 s20, 3, v38
	v_cmp_eq_u32_e64 s21, v2, v13
	;; [unrolled: 1-line block ×3, first 2 shown]
	s_and_b32 s13, s11, s13
	s_and_b32 s15, s11, s15
	;; [unrolled: 1-line block ×3, first 2 shown]
	s_wait_alu 0xfffe
	v_cndmask_b32_e64 v2, 0, 1, s13
	s_and_b32 s13, s12, s14
	v_cndmask_b32_e64 v37, 0, 1, s15
	s_and_b32 s15, s12, s16
	;; [unrolled: 2-line block ×3, first 2 shown]
	s_and_b32 s11, s11, s19
	v_cmp_eq_u32_e64 s22, v4, v13
	v_cmp_eq_u32_e64 s24, 0, v3
	s_wait_alu 0xfffe
	v_cndmask_b32_e64 v4, 0, 1, s13
	v_cmp_eq_u32_e64 s13, 1, v1
	v_cmp_eq_u32_e64 s14, 1, v3
	v_cndmask_b32_e64 v38, 0, 1, s15
	v_cmp_eq_u32_e64 s15, 2, v1
	v_cmp_eq_u32_e64 s16, 2, v3
	v_cndmask_b32_e64 v40, 0, 1, s17
	v_cmp_eq_u32_e64 s17, 3, v1
	v_cndmask_b32_e64 v1, 0, 1, s11
	s_and_b32 s11, s12, s20
	s_and_b32 s12, s21, s23
	v_cmp_eq_u32_e64 s18, 3, v3
	s_wait_alu 0xfffe
	v_cndmask_b32_e64 v3, 0, 1, s11
	v_cmp_ne_u32_e64 s11, 0, v2
	v_cndmask_b32_e64 v2, 0, 1, s12
	s_and_b32 s19, s22, s24
	s_and_b32 s13, s21, s13
	;; [unrolled: 1-line block ×6, first 2 shown]
	v_cmp_ne_u32_e64 s12, 0, v4
	s_wait_alu 0xfffe
	v_cndmask_b32_e64 v4, 0, 1, s19
	v_cmp_ne_u32_e64 s19, 0, v37
	v_cndmask_b32_e64 v37, 0, 1, s13
	v_cmp_ne_u32_e64 s13, 0, v38
	;; [unrolled: 2-line block ×5, first 2 shown]
	v_cndmask_b32_e64 v1, 0, 1, s17
	s_bcnt1_i32_b32 s20, s11
	v_cmp_ne_u32_e64 s11, 0, v2
	s_and_b32 s18, s22, s18
	v_cmp_ne_u32_e64 s17, 0, v3
	s_wait_alu 0xfffe
	v_cndmask_b32_e64 v3, 0, 1, s18
	s_bcnt1_i32_b32 s21, s12
	v_cmp_ne_u32_e64 s12, 0, v4
	v_cmp_ne_u32_e64 s18, 0, v37
	s_bcnt1_i32_b32 s23, s14
	v_cmp_ne_u32_e64 s14, 0, v39
	s_bcnt1_i32_b32 s90, s16
	v_cmp_ne_u32_e64 s16, 0, v1
	s_add_co_i32 s20, s20, s89
	s_bcnt1_i32_b32 s11, s11
	s_bcnt1_i32_b32 s19, s19
	s_wait_alu 0xfffe
	s_add_co_i32 s11, s20, s11
	s_bcnt1_i32_b32 s22, s13
	v_cmp_ne_u32_e64 s13, 0, v38
	s_bcnt1_i32_b32 s24, s15
	v_cmp_ne_u32_e64 s15, 0, v40
	;; [unrolled: 2-line block ×3, first 2 shown]
	s_bcnt1_i32_b32 s12, s12
	s_wait_alu 0xfffe
	s_add_co_i32 s11, s11, s21
	s_add_co_i32 s19, s19, s88
	s_add_co_i32 s23, s23, s87
	s_add_co_i32 s86, s90, s86
	s_bcnt1_i32_b32 s18, s18
	s_bcnt1_i32_b32 s14, s14
	;; [unrolled: 1-line block ×3, first 2 shown]
	s_wait_alu 0xfffe
	s_add_co_i32 s89, s11, s12
	s_wait_alu 0xfffe
	v_dual_mov_b32 v1, s89 :: v_dual_add_nc_u32 v36, s45, v36
	s_add_co_i32 s18, s19, s18
	s_add_co_i32 s14, s23, s14
	;; [unrolled: 1-line block ×3, first 2 shown]
	s_bcnt1_i32_b32 s13, s13
	s_bcnt1_i32_b32 s15, s15
	;; [unrolled: 1-line block ×3, first 2 shown]
	s_wait_alu 0xfffe
	s_add_co_i32 s18, s18, s22
	s_add_co_i32 s14, s14, s24
	;; [unrolled: 1-line block ×3, first 2 shown]
	v_cmp_le_u32_e32 vcc_lo, s83, v36
	s_wait_alu 0xfffe
	s_add_co_i32 s88, s18, s13
	s_add_co_i32 s87, s14, s15
	s_add_co_i32 s86, s16, s17
	s_wait_alu 0xfffe
	v_dual_mov_b32 v3, s87 :: v_dual_add_nc_u32 v6, s72, v6
	v_mov_b32_e32 v2, s88
	v_mov_b32_e32 v4, s86
	s_or_b32 s85, vcc_lo, s85
	s_wait_alu 0xfffe
	s_and_not1_b32 exec_lo, exec_lo, s85
	s_cbranch_execnz .LBB138_88
; %bb.89:                               ;   in Loop: Header=BB138_20 Depth=1
	s_or_b32 exec_lo, exec_lo, s85
.LBB138_90:                             ;   in Loop: Header=BB138_20 Depth=1
	s_delay_alu instid0(SALU_CYCLE_1) | instskip(SKIP_2) | instid1(VALU_DEP_1)
	s_or_b32 exec_lo, exec_lo, s84
	v_add_nc_u32_e32 v6, s83, v0
	s_mov_b32 s16, exec_lo
	v_cmpx_gt_u32_e64 s56, v6
	s_cbranch_execz .LBB138_94
; %bb.91:                               ;   in Loop: Header=BB138_20 Depth=1
	v_lshlrev_b32_e32 v36, 1, v6
	s_mov_b32 s17, 0
.LBB138_92:                             ;   Parent Loop BB138_20 Depth=1
                                        ; =>  This Inner Loop Header: Depth=2
	ds_load_u16 v37, v36
	v_add_nc_u32_e32 v6, s29, v6
	v_add_nc_u32_e32 v36, s73, v36
	s_delay_alu instid0(VALU_DEP_2)
	v_cmp_le_u32_e32 vcc_lo, s56, v6
	s_wait_dscnt 0x0
	v_cmp_lt_i16_e64 s11, -1, v37
	v_and_b32_e32 v38, 0xffff, v37
	v_lshlrev_b32_e32 v37, 16, v37
	s_wait_alu 0xf1ff
	s_delay_alu instid0(VALU_DEP_3) | instskip(NEXT) | instid1(VALU_DEP_2)
	v_cndmask_b32_e64 v39, 0xffff, v31, s11
	v_cmp_o_f32_e64 s11, v37, v37
	s_delay_alu instid0(VALU_DEP_2) | instskip(SKIP_1) | instid1(VALU_DEP_1)
	v_xor_b32_e32 v38, v39, v38
	s_wait_alu 0xf1ff
	v_cndmask_b32_e64 v37, 0xffff, v38, s11
	s_delay_alu instid0(VALU_DEP_1) | instskip(SKIP_1) | instid1(VALU_DEP_2)
	v_and_b32_e32 v38, v37, v33
	v_bfe_u32 v37, v37, s82, 2
	v_cmp_eq_u32_e64 s11, v38, v13
	s_delay_alu instid0(VALU_DEP_2)
	v_cmp_eq_u32_e64 s12, 0, v37
	v_cmp_eq_u32_e64 s13, 1, v37
	;; [unrolled: 1-line block ×4, first 2 shown]
	s_and_b32 s12, s11, s12
	s_wait_alu 0xfffe
	v_cndmask_b32_e64 v37, 0, 1, s12
	s_and_b32 s12, s11, s13
	s_wait_alu 0xfffe
	v_cndmask_b32_e64 v38, 0, 1, s12
	s_and_b32 s12, s11, s14
	s_and_b32 s11, s11, s15
	s_wait_alu 0xfffe
	v_cndmask_b32_e64 v39, 0, 1, s12
	v_cndmask_b32_e64 v40, 0, 1, s11
	v_cmp_ne_u32_e64 s11, 0, v37
	v_cmp_ne_u32_e64 s12, 0, v38
	s_delay_alu instid0(VALU_DEP_4) | instskip(NEXT) | instid1(VALU_DEP_4)
	v_cmp_ne_u32_e64 s13, 0, v39
	v_cmp_ne_u32_e64 s14, 0, v40
	s_bcnt1_i32_b32 s11, s11
	s_bcnt1_i32_b32 s12, s12
	s_wait_alu 0xfffe
	v_add_nc_u32_e32 v1, s11, v1
	s_bcnt1_i32_b32 s13, s13
	s_bcnt1_i32_b32 s14, s14
	v_add_nc_u32_e32 v2, s12, v2
	s_wait_alu 0xfffe
	v_add_nc_u32_e32 v3, s13, v3
	v_add_nc_u32_e32 v4, s14, v4
	s_or_b32 s17, vcc_lo, s17
	s_wait_alu 0xfffe
	s_and_not1_b32 exec_lo, exec_lo, s17
	s_cbranch_execnz .LBB138_92
; %bb.93:                               ;   in Loop: Header=BB138_20 Depth=1
	s_or_b32 exec_lo, exec_lo, s17
.LBB138_94:                             ;   in Loop: Header=BB138_20 Depth=1
	s_wait_alu 0xfffe
	s_or_b32 exec_lo, exec_lo, s16
	v_lshlrev_b32_e32 v6, 7, v32
	s_and_saveexec_b32 s11, s3
	s_cbranch_execnz .LBB138_68
	s_branch .LBB138_69
.LBB138_95:                             ;   in Loop: Header=BB138_20 Depth=1
	v_mov_b32_e32 v1, 0
	s_mov_b32 s12, 0
	s_and_not1_b32 vcc_lo, exec_lo, s68
	s_wait_alu 0xfffe
	s_cbranch_vccnz .LBB138_98
.LBB138_96:                             ;   in Loop: Header=BB138_20 Depth=1
	v_lshlrev_b32_e32 v2, 9, v32
	s_lshl_b32 s12, s12, 4
	s_wait_alu 0xfffe
	s_delay_alu instid0(VALU_DEP_1)
	v_add3_u32 v2, v2, s12, v30
	s_mov_b32 s12, s65
.LBB138_97:                             ;   Parent Loop BB138_20 Depth=1
                                        ; =>  This Inner Loop Header: Depth=2
	ds_load_b32 v3, v2
	v_add_nc_u32_e32 v2, 16, v2
	s_wait_alu 0xfffe
	s_add_co_i32 s12, s12, -1
	s_wait_alu 0xfffe
	s_cmp_lg_u32 s12, 0
	s_wait_dscnt 0x0
	v_add_nc_u32_e32 v1, v3, v1
	s_cbranch_scc1 .LBB138_97
.LBB138_98:                             ;   in Loop: Header=BB138_20 Depth=1
	v_add_lshl_u32 v2, v6, v15, 2
	ds_store_b32 v2, v1 offset:3072
.LBB138_99:                             ;   in Loop: Header=BB138_20 Depth=1
	s_wait_alu 0xfffe
	s_or_b32 exec_lo, exec_lo, s11
	v_lshlrev_b32_e32 v1, 2, v6
	s_wait_loadcnt_dscnt 0x0
	s_barrier_signal -1
	s_barrier_wait -1
	global_inv scope:SCOPE_SE
	ds_load_b128 v[1:4], v1 offset:3072
	s_lshl_b32 s12, 3, s82
	v_cmp_eq_u32_e32 vcc_lo, 1, v35
	s_wait_alu 0xfffe
	s_not_b32 s19, s12
	s_mov_b32 s15, -1
	s_mov_b32 s23, -1
                                        ; implicit-def: $sgpr20
                                        ; implicit-def: $sgpr17
	s_wait_dscnt 0x0
	v_readfirstlane_b32 s14, v1
	v_readfirstlane_b32 s21, v2
	;; [unrolled: 1-line block ×4, first 2 shown]
	s_cmp_eq_u32 s14, 1
	s_cselect_b32 s13, -1, 0
	s_wait_alu 0xfffe
	s_and_b32 s16, s13, vcc_lo
	s_wait_alu 0xfffe
	s_and_saveexec_b32 s13, s16
	s_cbranch_execz .LBB138_125
; %bb.100:                              ;   in Loop: Header=BB138_20 Depth=1
	ds_load_b32 v1, v7 offset:4104
	s_wait_loadcnt_dscnt 0x0
	s_barrier_signal -1
	s_barrier_wait -1
	global_inv scope:SCOPE_SE
	v_readfirstlane_b32 s23, v1
	s_and_saveexec_b32 s17, s1
; %bb.101:                              ;   in Loop: Header=BB138_20 Depth=1
	ds_store_b16 v17, v7
; %bb.102:                              ;   in Loop: Header=BB138_20 Depth=1
	s_wait_alu 0xfffe
	s_or_b32 exec_lo, exec_lo, s17
	v_and_b32_e32 v13, s19, v13
	v_or_b32_e32 v33, s12, v33
	s_mov_b32 s17, -1
	s_mov_b32 s20, 0
	s_cmp_eq_u32 s23, 0
	s_mov_b32 s22, 0
	s_mov_b32 s24, -1
	s_wait_loadcnt_dscnt 0x0
	s_barrier_signal -1
	s_barrier_wait -1
	global_inv scope:SCOPE_SE
                                        ; implicit-def: $vgpr34
	s_cbranch_scc1 .LBB138_113
; %bb.103:                              ;   in Loop: Header=BB138_20 Depth=1
	s_add_co_i32 s56, s23, s43
                                        ; implicit-def: $vgpr34
	s_wait_alu 0xfffe
	s_mul_u64 s[84:85], s[56:57], s[60:61]
	s_wait_alu 0xfffe
	s_mul_i32 s22, s85, s29
	s_wait_alu 0xfffe
	s_sub_co_i32 s22, s56, s22
	s_wait_alu 0xfffe
	s_sub_co_i32 s24, s22, s29
	s_cmp_ge_u32 s22, s29
	s_wait_alu 0xfffe
	s_cselect_b32 s22, s24, s22
	s_wait_alu 0xfffe
	s_sub_co_i32 s24, s22, s29
	s_cmp_ge_u32 s22, s29
	s_wait_alu 0xfffe
	s_cselect_b32 s22, s24, s22
	s_mov_b32 s24, 0
	s_wait_alu 0xfffe
	s_sub_co_i32 s83, s56, s22
	s_mov_b32 s22, 0
	s_mov_b32 s56, exec_lo
	s_wait_alu 0xfffe
	v_cmpx_gt_u32_e64 s83, v0
	s_cbranch_execz .LBB138_112
; %bb.104:                              ;   in Loop: Header=BB138_20 Depth=1
	v_dual_mov_b32 v1, v16 :: v_dual_mov_b32 v2, v0
                                        ; implicit-def: $sgpr84
	s_branch .LBB138_107
.LBB138_105:                            ;   in Loop: Header=BB138_107 Depth=2
	s_wait_alu 0xfffe
	s_or_b32 exec_lo, exec_lo, s85
	s_wait_loadcnt_dscnt 0x0
	s_barrier_signal -1
	s_barrier_wait -1
	global_inv scope:SCOPE_SE
	ds_load_b32 v3, v7 offset:3072
	s_mov_b32 s85, -1
	s_mov_b32 s86, -1
	s_wait_loadcnt_dscnt 0x0
	s_barrier_signal -1
	s_barrier_wait -1
	global_inv scope:SCOPE_SE
	v_and_b32_e32 v4, 0x7fff, v3
	s_delay_alu instid0(VALU_DEP_1)
	v_cmp_ne_u32_e32 vcc_lo, 0, v4
	s_cbranch_vccz .LBB138_110
.LBB138_106:                            ;   in Loop: Header=BB138_107 Depth=2
	s_wait_alu 0xfffe
	s_and_b32 s85, exec_lo, s85
	s_wait_alu 0xfffe
	s_or_b32 s22, s85, s22
	s_and_not1_b32 s84, s84, exec_lo
	s_and_b32 s85, s86, exec_lo
	s_wait_alu 0xfffe
	s_or_b32 s84, s84, s85
	s_and_not1_b32 exec_lo, exec_lo, s22
	s_cbranch_execz .LBB138_111
.LBB138_107:                            ;   Parent Loop BB138_20 Depth=1
                                        ; =>  This Inner Loop Header: Depth=2
	s_mov_b32 s85, exec_lo
	s_delay_alu instid0(VALU_DEP_1)
	v_cmpx_gt_u32_e64 s23, v2
	s_cbranch_execz .LBB138_105
; %bb.108:                              ;   in Loop: Header=BB138_107 Depth=2
	ds_load_u16 v3, v1
	s_wait_dscnt 0x0
	v_cmp_lt_i16_e32 vcc_lo, -1, v3
	v_and_b32_e32 v4, 0xffff, v3
	v_lshlrev_b32_e32 v34, 16, v3
	s_wait_alu 0xfffd
	v_cndmask_b32_e32 v6, 0xffff, v31, vcc_lo
	s_delay_alu instid0(VALU_DEP_2) | instskip(NEXT) | instid1(VALU_DEP_2)
	v_cmp_o_f32_e32 vcc_lo, v34, v34
	v_xor_b32_e32 v4, v6, v4
	s_wait_alu 0xfffd
	s_delay_alu instid0(VALU_DEP_1) | instskip(NEXT) | instid1(VALU_DEP_1)
	v_cndmask_b32_e32 v4, 0xffff, v4, vcc_lo
	v_and_b32_e32 v4, v4, v33
	s_delay_alu instid0(VALU_DEP_1)
	v_cmp_eq_u32_e32 vcc_lo, v4, v13
	s_and_b32 exec_lo, exec_lo, vcc_lo
	s_cbranch_execz .LBB138_105
; %bb.109:                              ;   in Loop: Header=BB138_107 Depth=2
	v_perm_b32 v3, v3, s75, 0x5040100
	ds_store_b32 v7, v3 offset:3072
	s_branch .LBB138_105
.LBB138_110:                            ;   in Loop: Header=BB138_107 Depth=2
	v_add_nc_u32_e32 v2, s29, v2
	v_add_nc_u32_e32 v1, s73, v1
	s_mov_b32 s86, 0
	s_delay_alu instid0(VALU_DEP_2)
	v_cmp_le_u32_e32 vcc_lo, s83, v2
	s_or_not1_b32 s85, vcc_lo, exec_lo
	s_branch .LBB138_106
.LBB138_111:                            ;   in Loop: Header=BB138_20 Depth=1
	s_or_b32 exec_lo, exec_lo, s22
	v_lshrrev_b32_e32 v34, 16, v3
	s_wait_alu 0xfffe
	s_and_b32 s22, s84, exec_lo
.LBB138_112:                            ;   in Loop: Header=BB138_20 Depth=1
	s_or_b32 exec_lo, exec_lo, s56
.LBB138_113:                            ;   in Loop: Header=BB138_20 Depth=1
	s_wait_alu 0xfffe
	s_and_b32 vcc_lo, exec_lo, s24
	s_wait_alu 0xfffe
	s_cbranch_vccz .LBB138_124
; %bb.114:                              ;   in Loop: Header=BB138_20 Depth=1
                                        ; implicit-def: $vgpr34
	s_and_saveexec_b32 s17, s10
	s_cbranch_execz .LBB138_123
; %bb.115:                              ;   in Loop: Header=BB138_20 Depth=1
	v_dual_mov_b32 v6, v5 :: v_dual_mov_b32 v1, v0
	s_mov_b32 s20, 0
                                        ; implicit-def: $sgpr23
	s_branch .LBB138_118
.LBB138_116:                            ;   in Loop: Header=BB138_118 Depth=2
	s_wait_alu 0xfffe
	s_or_b32 exec_lo, exec_lo, s24
	s_wait_loadcnt_dscnt 0x0
	s_barrier_signal -1
	s_barrier_wait -1
	global_inv scope:SCOPE_SE
	ds_load_b32 v2, v7 offset:3072
	s_mov_b32 s24, -1
	s_mov_b32 s56, -1
	s_wait_loadcnt_dscnt 0x0
	s_barrier_signal -1
	s_barrier_wait -1
	global_inv scope:SCOPE_SE
	v_and_b32_e32 v3, 0x7fff, v2
	s_delay_alu instid0(VALU_DEP_1)
	v_cmp_ne_u32_e32 vcc_lo, 0, v3
	s_cbranch_vccz .LBB138_121
.LBB138_117:                            ;   in Loop: Header=BB138_118 Depth=2
	s_wait_alu 0xfffe
	s_and_b32 s24, exec_lo, s24
	s_wait_alu 0xfffe
	s_or_b32 s20, s24, s20
	s_and_not1_b32 s23, s23, exec_lo
	s_and_b32 s24, s56, exec_lo
	s_wait_alu 0xfffe
	s_or_b32 s23, s23, s24
	s_and_not1_b32 exec_lo, exec_lo, s20
	s_cbranch_execz .LBB138_122
.LBB138_118:                            ;   Parent Loop BB138_20 Depth=1
                                        ; =>  This Inner Loop Header: Depth=2
	s_mov_b32 s24, exec_lo
	s_delay_alu instid0(VALU_DEP_1)
	v_cmpx_gt_u32_e64 s28, v1
	s_cbranch_execz .LBB138_116
; %bb.119:                              ;   in Loop: Header=BB138_118 Depth=2
	v_lshlrev_b64_e32 v[2:3], 1, v[6:7]
	s_delay_alu instid0(VALU_DEP_1) | instskip(SKIP_1) | instid1(VALU_DEP_2)
	v_add_co_u32 v2, vcc_lo, s46, v2
	s_wait_alu 0xfffd
	v_add_co_ci_u32_e64 v3, null, s47, v3, vcc_lo
	global_load_u16 v2, v[2:3], off
	s_wait_loadcnt 0x0
	v_cmp_lt_i16_e32 vcc_lo, -1, v2
	s_wait_alu 0xfffd
	v_dual_cndmask_b32 v4, 0xffff, v31 :: v_dual_and_b32 v3, 0xffff, v2
	s_delay_alu instid0(VALU_DEP_1) | instskip(SKIP_1) | instid1(VALU_DEP_1)
	v_xor_b32_e32 v3, v4, v3
	v_lshlrev_b32_e32 v34, 16, v2
	v_cmp_o_f32_e32 vcc_lo, v34, v34
	s_wait_alu 0xfffd
	s_delay_alu instid0(VALU_DEP_3) | instskip(NEXT) | instid1(VALU_DEP_1)
	v_cndmask_b32_e32 v3, 0xffff, v3, vcc_lo
	v_and_b32_e32 v3, v3, v33
	s_delay_alu instid0(VALU_DEP_1)
	v_cmp_eq_u32_e32 vcc_lo, v3, v13
	s_and_b32 exec_lo, exec_lo, vcc_lo
	s_cbranch_execz .LBB138_116
; %bb.120:                              ;   in Loop: Header=BB138_118 Depth=2
	v_perm_b32 v2, v2, s75, 0x5040100
	ds_store_b32 v7, v2 offset:3072
	s_branch .LBB138_116
.LBB138_121:                            ;   in Loop: Header=BB138_118 Depth=2
	v_add_nc_u32_e32 v1, s29, v1
	v_add_nc_u32_e32 v6, s49, v6
	s_mov_b32 s56, 0
	s_delay_alu instid0(VALU_DEP_2)
	v_cmp_le_u32_e32 vcc_lo, s70, v1
	s_or_not1_b32 s24, vcc_lo, exec_lo
	s_branch .LBB138_117
.LBB138_122:                            ;   in Loop: Header=BB138_20 Depth=1
	s_or_b32 exec_lo, exec_lo, s20
	v_lshrrev_b32_e32 v34, 16, v2
	s_and_not1_b32 s20, s22, exec_lo
	s_wait_alu 0xfffe
	s_and_b32 s22, s23, exec_lo
	s_wait_alu 0xfffe
	s_or_b32 s22, s20, s22
.LBB138_123:                            ;   in Loop: Header=BB138_20 Depth=1
	s_wait_alu 0xfffe
	s_or_b32 exec_lo, exec_lo, s17
	s_mov_b32 s17, 0
	s_mov_b32 s20, -1
.LBB138_124:                            ;   in Loop: Header=BB138_20 Depth=1
	s_or_not1_b32 s23, s22, exec_lo
.LBB138_125:                            ;   in Loop: Header=BB138_20 Depth=1
	s_wait_alu 0xfffe
	s_or_b32 exec_lo, exec_lo, s13
	v_readfirstlane_b32 s22, v0
	s_and_not1_b32 s13, s80, exec_lo
	s_and_b32 s20, s20, exec_lo
	s_and_not1_b32 s24, s78, exec_lo
	s_and_b32 s17, s17, exec_lo
	s_and_not1_b32 s77, s77, exec_lo
	s_wait_alu 0xfffe
	s_or_b32 s80, s13, s20
	s_or_b32 s78, s24, s17
                                        ; implicit-def: $vgpr2
	s_and_saveexec_b32 s13, s23
	s_cbranch_execz .LBB138_19
; %bb.126:                              ;   in Loop: Header=BB138_20 Depth=1
	v_dual_mov_b32 v2, 1 :: v_dual_mov_b32 v1, 1
	s_xor_b32 s16, s16, -1
	s_mov_b32 s22, 0
	s_wait_alu 0xfffe
	s_and_saveexec_b32 s15, s16
	s_cbranch_execz .LBB138_135
; %bb.127:                              ;   in Loop: Header=BB138_20 Depth=1
	s_mov_b32 s16, exec_lo
	v_cmpx_ge_u32_e64 s14, v35
	s_wait_alu 0xfffe
	s_xor_b32 s16, exec_lo, s16
	s_cbranch_execz .LBB138_132
; %bb.128:                              ;   in Loop: Header=BB138_20 Depth=1
	ds_load_b32 v1, v7 offset:4104
	v_and_b32_e32 v13, s19, v13
	v_or_b32_e32 v33, s12, v33
	s_wait_dscnt 0x0
	v_cmp_ne_u32_e32 vcc_lo, 0, v1
	s_cbranch_vccnz .LBB138_132
; %bb.129:                              ;   in Loop: Header=BB138_20 Depth=1
	s_and_saveexec_b32 s17, s0
; %bb.130:                              ;   in Loop: Header=BB138_20 Depth=1
	v_mov_b32_e32 v1, s14
	ds_store_b32 v7, v1 offset:4108
; %bb.131:                              ;   in Loop: Header=BB138_20 Depth=1
	s_wait_alu 0xfffe
	s_or_b32 exec_lo, exec_lo, s17
	s_wait_loadcnt_dscnt 0x0
	s_barrier_signal -1
	s_barrier_wait -1
	global_inv scope:SCOPE_SE
.LBB138_132:                            ;   in Loop: Header=BB138_20 Depth=1
	s_wait_alu 0xfffe
	s_or_saveexec_b32 s16, s16
	v_mov_b32_e32 v1, 8
	s_mov_b32 s17, 0
	s_wait_alu 0xfffe
	s_xor_b32 exec_lo, exec_lo, s16
; %bb.133:                              ;   in Loop: Header=BB138_20 Depth=1
	v_subrev_nc_u32_e32 v35, s14, v35
	v_mov_b32_e32 v1, 0
	s_mov_b32 s17, exec_lo
; %bb.134:                              ;   in Loop: Header=BB138_20 Depth=1
	s_or_b32 exec_lo, exec_lo, s16
	s_delay_alu instid0(VALU_DEP_2)
	v_mov_b32_e32 v2, v35
	s_wait_alu 0xfffe
	s_and_b32 s22, s17, exec_lo
.LBB138_135:                            ;   in Loop: Header=BB138_20 Depth=1
	s_wait_alu 0xfffe
	s_or_b32 exec_lo, exec_lo, s15
	s_mov_b32 s14, -1
	s_mov_b32 s20, -1
                                        ; implicit-def: $sgpr16
                                        ; implicit-def: $sgpr17
	s_and_saveexec_b32 s15, s22
	s_wait_alu 0xfffe
	s_xor_b32 s15, exec_lo, s15
	s_cbranch_execz .LBB138_252
; %bb.136:                              ;   in Loop: Header=BB138_20 Depth=1
	v_cmp_eq_u32_e32 vcc_lo, 1, v2
	s_cmp_eq_u32 s21, 1
	s_mov_b32 s23, -1
	s_cselect_b32 s16, -1, 0
                                        ; implicit-def: $sgpr17
	s_wait_alu 0xfffe
	s_and_b32 s22, s16, vcc_lo
                                        ; implicit-def: $sgpr16
	s_wait_alu 0xfffe
	s_and_saveexec_b32 s20, s22
	s_cbranch_execz .LBB138_162
; %bb.137:                              ;   in Loop: Header=BB138_20 Depth=1
	ds_load_b32 v3, v7 offset:4104
	s_wait_loadcnt_dscnt 0x0
	s_barrier_signal -1
	s_barrier_wait -1
	global_inv scope:SCOPE_SE
	v_readfirstlane_b32 s24, v3
	s_and_saveexec_b32 s16, s1
; %bb.138:                              ;   in Loop: Header=BB138_20 Depth=1
	ds_store_b16 v17, v7
; %bb.139:                              ;   in Loop: Header=BB138_20 Depth=1
	s_wait_alu 0xfffe
	s_or_b32 exec_lo, exec_lo, s16
	s_lshl_b32 s16, 1, s82
	v_or_b32_e32 v33, s12, v33
	s_wait_alu 0xfffe
	v_and_or_b32 v13, v13, s19, s16
	s_mov_b32 s16, -1
	s_mov_b32 s17, 0
	s_cmp_eq_u32 s24, 0
	s_mov_b32 s23, 0
	s_mov_b32 s56, -1
	s_wait_loadcnt_dscnt 0x0
	s_barrier_signal -1
	s_barrier_wait -1
	global_inv scope:SCOPE_SE
                                        ; implicit-def: $vgpr34
	s_cbranch_scc1 .LBB138_150
; %bb.140:                              ;   in Loop: Header=BB138_20 Depth=1
	s_add_co_i32 s56, s24, s43
                                        ; implicit-def: $vgpr34
	s_wait_alu 0xfffe
	s_mul_u64 s[84:85], s[56:57], s[60:61]
	s_wait_alu 0xfffe
	s_mul_i32 s23, s85, s29
	s_wait_alu 0xfffe
	s_sub_co_i32 s23, s56, s23
	s_wait_alu 0xfffe
	s_sub_co_i32 s83, s23, s29
	s_cmp_ge_u32 s23, s29
	s_wait_alu 0xfffe
	s_cselect_b32 s23, s83, s23
	s_wait_alu 0xfffe
	s_sub_co_i32 s83, s23, s29
	s_cmp_ge_u32 s23, s29
	s_wait_alu 0xfffe
	s_cselect_b32 s23, s83, s23
	s_mov_b32 s83, exec_lo
	s_wait_alu 0xfffe
	s_sub_co_i32 s84, s56, s23
	s_mov_b32 s56, 0
	s_mov_b32 s23, 0
	s_wait_alu 0xfffe
	v_cmpx_gt_u32_e64 s84, v0
	s_cbranch_execz .LBB138_149
; %bb.141:                              ;   in Loop: Header=BB138_20 Depth=1
	v_dual_mov_b32 v3, v16 :: v_dual_mov_b32 v4, v0
                                        ; implicit-def: $sgpr85
	s_branch .LBB138_144
.LBB138_142:                            ;   in Loop: Header=BB138_144 Depth=2
	s_wait_alu 0xfffe
	s_or_b32 exec_lo, exec_lo, s86
	s_wait_loadcnt_dscnt 0x0
	s_barrier_signal -1
	s_barrier_wait -1
	global_inv scope:SCOPE_SE
	ds_load_b32 v6, v7 offset:3072
	s_mov_b32 s86, -1
	s_mov_b32 s87, -1
	s_wait_loadcnt_dscnt 0x0
	s_barrier_signal -1
	s_barrier_wait -1
	global_inv scope:SCOPE_SE
	v_and_b32_e32 v34, 0x7fff, v6
	s_delay_alu instid0(VALU_DEP_1)
	v_cmp_ne_u32_e32 vcc_lo, 0, v34
	s_cbranch_vccz .LBB138_147
.LBB138_143:                            ;   in Loop: Header=BB138_144 Depth=2
	s_wait_alu 0xfffe
	s_and_b32 s86, exec_lo, s86
	s_wait_alu 0xfffe
	s_or_b32 s23, s86, s23
	s_and_not1_b32 s85, s85, exec_lo
	s_and_b32 s86, s87, exec_lo
	s_wait_alu 0xfffe
	s_or_b32 s85, s85, s86
	s_and_not1_b32 exec_lo, exec_lo, s23
	s_cbranch_execz .LBB138_148
.LBB138_144:                            ;   Parent Loop BB138_20 Depth=1
                                        ; =>  This Inner Loop Header: Depth=2
	s_mov_b32 s86, exec_lo
	s_delay_alu instid0(VALU_DEP_1)
	v_cmpx_gt_u32_e64 s24, v4
	s_cbranch_execz .LBB138_142
; %bb.145:                              ;   in Loop: Header=BB138_144 Depth=2
	ds_load_u16 v6, v3
	s_wait_dscnt 0x0
	v_cmp_lt_i16_e32 vcc_lo, -1, v6
	v_and_b32_e32 v34, 0xffff, v6
	s_wait_alu 0xfffd
	v_dual_cndmask_b32 v35, 0xffff, v31 :: v_dual_lshlrev_b32 v36, 16, v6
	s_delay_alu instid0(VALU_DEP_1) | instskip(NEXT) | instid1(VALU_DEP_2)
	v_cmp_o_f32_e32 vcc_lo, v36, v36
	v_xor_b32_e32 v34, v35, v34
	s_wait_alu 0xfffd
	s_delay_alu instid0(VALU_DEP_1) | instskip(NEXT) | instid1(VALU_DEP_1)
	v_cndmask_b32_e32 v34, 0xffff, v34, vcc_lo
	v_and_b32_e32 v34, v34, v33
	s_delay_alu instid0(VALU_DEP_1)
	v_cmp_eq_u32_e32 vcc_lo, v34, v13
	s_and_b32 exec_lo, exec_lo, vcc_lo
	s_cbranch_execz .LBB138_142
; %bb.146:                              ;   in Loop: Header=BB138_144 Depth=2
	v_perm_b32 v6, v6, s75, 0x5040100
	ds_store_b32 v7, v6 offset:3072
	s_branch .LBB138_142
.LBB138_147:                            ;   in Loop: Header=BB138_144 Depth=2
	v_add_nc_u32_e32 v4, s29, v4
	v_add_nc_u32_e32 v3, s73, v3
	s_mov_b32 s87, 0
	s_delay_alu instid0(VALU_DEP_2)
	v_cmp_le_u32_e32 vcc_lo, s84, v4
	s_or_not1_b32 s86, vcc_lo, exec_lo
	s_branch .LBB138_143
.LBB138_148:                            ;   in Loop: Header=BB138_20 Depth=1
	s_or_b32 exec_lo, exec_lo, s23
	v_lshrrev_b32_e32 v34, 16, v6
	s_wait_alu 0xfffe
	s_and_b32 s23, s85, exec_lo
.LBB138_149:                            ;   in Loop: Header=BB138_20 Depth=1
	s_or_b32 exec_lo, exec_lo, s83
.LBB138_150:                            ;   in Loop: Header=BB138_20 Depth=1
	s_wait_alu 0xfffe
	s_and_b32 vcc_lo, exec_lo, s56
	s_wait_alu 0xfffe
	s_cbranch_vccz .LBB138_161
; %bb.151:                              ;   in Loop: Header=BB138_20 Depth=1
                                        ; implicit-def: $vgpr34
	s_and_saveexec_b32 s16, s10
	s_cbranch_execz .LBB138_160
; %bb.152:                              ;   in Loop: Header=BB138_20 Depth=1
	v_dual_mov_b32 v6, v5 :: v_dual_mov_b32 v3, v0
	s_mov_b32 s17, 0
                                        ; implicit-def: $sgpr24
	s_branch .LBB138_155
.LBB138_153:                            ;   in Loop: Header=BB138_155 Depth=2
	s_wait_alu 0xfffe
	s_or_b32 exec_lo, exec_lo, s56
	s_wait_loadcnt_dscnt 0x0
	s_barrier_signal -1
	s_barrier_wait -1
	global_inv scope:SCOPE_SE
	ds_load_b32 v4, v7 offset:3072
	s_mov_b32 s56, -1
	s_mov_b32 s83, -1
	s_wait_loadcnt_dscnt 0x0
	s_barrier_signal -1
	s_barrier_wait -1
	global_inv scope:SCOPE_SE
	v_and_b32_e32 v34, 0x7fff, v4
	s_delay_alu instid0(VALU_DEP_1)
	v_cmp_eq_u32_e32 vcc_lo, 0, v34
	s_cbranch_vccnz .LBB138_158
.LBB138_154:                            ;   in Loop: Header=BB138_155 Depth=2
	s_wait_alu 0xfffe
	s_and_b32 s56, exec_lo, s56
	s_wait_alu 0xfffe
	s_or_b32 s17, s56, s17
	s_and_not1_b32 s24, s24, exec_lo
	s_and_b32 s56, s83, exec_lo
	s_wait_alu 0xfffe
	s_or_b32 s24, s24, s56
	s_and_not1_b32 exec_lo, exec_lo, s17
	s_cbranch_execz .LBB138_159
.LBB138_155:                            ;   Parent Loop BB138_20 Depth=1
                                        ; =>  This Inner Loop Header: Depth=2
	s_mov_b32 s56, exec_lo
	s_delay_alu instid0(VALU_DEP_1)
	v_cmpx_gt_u32_e64 s28, v3
	s_cbranch_execz .LBB138_153
; %bb.156:                              ;   in Loop: Header=BB138_155 Depth=2
	v_lshlrev_b64_e32 v[34:35], 1, v[6:7]
	s_delay_alu instid0(VALU_DEP_1) | instskip(SKIP_1) | instid1(VALU_DEP_2)
	v_add_co_u32 v34, vcc_lo, s46, v34
	s_wait_alu 0xfffd
	v_add_co_ci_u32_e64 v35, null, s47, v35, vcc_lo
	global_load_u16 v4, v[34:35], off
	s_wait_loadcnt 0x0
	v_cmp_lt_i16_e32 vcc_lo, -1, v4
	v_and_b32_e32 v34, 0xffff, v4
	s_wait_alu 0xfffd
	v_dual_cndmask_b32 v35, 0xffff, v31 :: v_dual_lshlrev_b32 v36, 16, v4
	s_delay_alu instid0(VALU_DEP_1) | instskip(NEXT) | instid1(VALU_DEP_2)
	v_cmp_o_f32_e32 vcc_lo, v36, v36
	v_xor_b32_e32 v34, v35, v34
	s_wait_alu 0xfffd
	s_delay_alu instid0(VALU_DEP_1) | instskip(NEXT) | instid1(VALU_DEP_1)
	v_cndmask_b32_e32 v34, 0xffff, v34, vcc_lo
	v_and_b32_e32 v34, v34, v33
	s_delay_alu instid0(VALU_DEP_1)
	v_cmp_eq_u32_e32 vcc_lo, v34, v13
	s_and_b32 exec_lo, exec_lo, vcc_lo
	s_cbranch_execz .LBB138_153
; %bb.157:                              ;   in Loop: Header=BB138_155 Depth=2
	v_perm_b32 v4, v4, s75, 0x5040100
	ds_store_b32 v7, v4 offset:3072
	s_branch .LBB138_153
.LBB138_158:                            ;   in Loop: Header=BB138_155 Depth=2
	v_add_nc_u32_e32 v3, s29, v3
	v_add_nc_u32_e32 v6, s49, v6
	s_mov_b32 s83, 0
	s_delay_alu instid0(VALU_DEP_2)
	v_cmp_le_u32_e32 vcc_lo, s70, v3
	s_or_not1_b32 s56, vcc_lo, exec_lo
	s_branch .LBB138_154
.LBB138_159:                            ;   in Loop: Header=BB138_20 Depth=1
	s_or_b32 exec_lo, exec_lo, s17
	v_lshrrev_b32_e32 v34, 16, v4
	s_and_not1_b32 s17, s23, exec_lo
	s_wait_alu 0xfffe
	s_and_b32 s23, s24, exec_lo
	s_wait_alu 0xfffe
	s_or_b32 s23, s17, s23
.LBB138_160:                            ;   in Loop: Header=BB138_20 Depth=1
	s_wait_alu 0xfffe
	s_or_b32 exec_lo, exec_lo, s16
	s_mov_b32 s16, 0
	s_mov_b32 s17, -1
.LBB138_161:                            ;   in Loop: Header=BB138_20 Depth=1
	s_or_not1_b32 s23, s23, exec_lo
.LBB138_162:                            ;   in Loop: Header=BB138_20 Depth=1
	s_wait_alu 0xfffe
	s_or_b32 exec_lo, exec_lo, s20
	s_mov_b32 s24, 0
	s_and_saveexec_b32 s20, s23
	s_cbranch_execz .LBB138_251
; %bb.163:                              ;   in Loop: Header=BB138_20 Depth=1
	v_mov_b32_e32 v3, 1
	v_mov_b32_e32 v1, 1
	s_xor_b32 s23, s22, -1
	s_mov_b32 s56, 0
	s_wait_alu 0xfffe
	s_and_saveexec_b32 s22, s23
	s_cbranch_execz .LBB138_172
; %bb.164:                              ;   in Loop: Header=BB138_20 Depth=1
	s_mov_b32 s23, exec_lo
	v_cmpx_ge_u32_e64 s21, v2
	s_wait_alu 0xfffe
	s_xor_b32 s23, exec_lo, s23
	s_cbranch_execz .LBB138_169
; %bb.165:                              ;   in Loop: Header=BB138_20 Depth=1
	ds_load_b32 v1, v7 offset:4104
	s_lshl_b32 s24, 1, s82
	v_or_b32_e32 v33, s12, v33
	s_wait_alu 0xfffe
	v_and_or_b32 v13, v13, s19, s24
	s_wait_dscnt 0x0
	v_cmp_ne_u32_e32 vcc_lo, 0, v1
	s_cbranch_vccnz .LBB138_169
; %bb.166:                              ;   in Loop: Header=BB138_20 Depth=1
	s_and_saveexec_b32 s24, s0
; %bb.167:                              ;   in Loop: Header=BB138_20 Depth=1
	v_mov_b32_e32 v1, s21
	ds_store_b32 v7, v1 offset:4108
; %bb.168:                              ;   in Loop: Header=BB138_20 Depth=1
	s_wait_alu 0xfffe
	s_or_b32 exec_lo, exec_lo, s24
	s_wait_loadcnt_dscnt 0x0
	s_barrier_signal -1
	s_barrier_wait -1
	global_inv scope:SCOPE_SE
.LBB138_169:                            ;   in Loop: Header=BB138_20 Depth=1
	s_wait_alu 0xfffe
	s_or_saveexec_b32 s23, s23
	v_mov_b32_e32 v1, 8
	s_mov_b32 s24, 0
	s_wait_alu 0xfffe
	s_xor_b32 exec_lo, exec_lo, s23
; %bb.170:                              ;   in Loop: Header=BB138_20 Depth=1
	v_subrev_nc_u32_e32 v2, s21, v2
	v_mov_b32_e32 v1, 0
	s_mov_b32 s24, exec_lo
; %bb.171:                              ;   in Loop: Header=BB138_20 Depth=1
	s_or_b32 exec_lo, exec_lo, s23
	s_delay_alu instid0(VALU_DEP_2)
	v_mov_b32_e32 v3, v2
	s_wait_alu 0xfffe
	s_and_b32 s56, s24, exec_lo
.LBB138_172:                            ;   in Loop: Header=BB138_20 Depth=1
	s_wait_alu 0xfffe
	s_or_b32 exec_lo, exec_lo, s22
	s_mov_b32 s24, -1
                                        ; implicit-def: $sgpr22
                                        ; implicit-def: $sgpr23
	s_and_saveexec_b32 s21, s56
	s_cbranch_execz .LBB138_250
; %bb.173:                              ;   in Loop: Header=BB138_20 Depth=1
	v_cmp_eq_u32_e32 vcc_lo, 1, v3
	s_cmp_eq_u32 s18, 1
	s_mov_b32 s56, -1
	s_cselect_b32 s22, -1, 0
                                        ; implicit-def: $sgpr23
	s_wait_alu 0xfffe
	s_and_b32 s83, s22, vcc_lo
                                        ; implicit-def: $sgpr22
	s_wait_alu 0xfffe
	s_and_saveexec_b32 s24, s83
	s_cbranch_execz .LBB138_199
; %bb.174:                              ;   in Loop: Header=BB138_20 Depth=1
	ds_load_b32 v2, v7 offset:4104
	s_wait_loadcnt_dscnt 0x0
	s_barrier_signal -1
	s_barrier_wait -1
	global_inv scope:SCOPE_SE
	v_readfirstlane_b32 s84, v2
	s_and_saveexec_b32 s22, s1
; %bb.175:                              ;   in Loop: Header=BB138_20 Depth=1
	ds_store_b16 v17, v7
; %bb.176:                              ;   in Loop: Header=BB138_20 Depth=1
	s_wait_alu 0xfffe
	s_or_b32 exec_lo, exec_lo, s22
	s_lshl_b32 s22, 2, s82
	v_or_b32_e32 v33, s12, v33
	s_wait_alu 0xfffe
	v_and_or_b32 v13, v13, s19, s22
	s_mov_b32 s22, -1
	s_mov_b32 s23, 0
	s_cmp_eq_u32 s84, 0
	s_mov_b32 s56, 0
	s_mov_b32 s85, -1
	s_wait_loadcnt_dscnt 0x0
	s_barrier_signal -1
	s_barrier_wait -1
	global_inv scope:SCOPE_SE
                                        ; implicit-def: $vgpr34
	s_cbranch_scc1 .LBB138_187
; %bb.177:                              ;   in Loop: Header=BB138_20 Depth=1
	s_add_co_i32 s56, s84, s43
                                        ; implicit-def: $vgpr34
	s_wait_alu 0xfffe
	s_mul_u64 s[86:87], s[56:57], s[60:61]
	s_wait_alu 0xfffe
	s_mul_i32 s85, s87, s29
	s_wait_alu 0xfffe
	s_sub_co_i32 s85, s56, s85
	s_wait_alu 0xfffe
	s_sub_co_i32 s86, s85, s29
	s_cmp_ge_u32 s85, s29
	s_wait_alu 0xfffe
	s_cselect_b32 s85, s86, s85
	s_wait_alu 0xfffe
	s_sub_co_i32 s86, s85, s29
	s_cmp_ge_u32 s85, s29
	s_wait_alu 0xfffe
	s_cselect_b32 s85, s86, s85
	s_mov_b32 s86, exec_lo
	s_wait_alu 0xfffe
	s_sub_co_i32 s87, s56, s85
	s_mov_b32 s85, 0
	s_mov_b32 s56, 0
	s_wait_alu 0xfffe
	v_cmpx_gt_u32_e64 s87, v0
	s_cbranch_execz .LBB138_186
; %bb.178:                              ;   in Loop: Header=BB138_20 Depth=1
	v_mov_b32_e32 v2, v16
	v_mov_b32_e32 v4, v0
                                        ; implicit-def: $sgpr88
	s_branch .LBB138_181
.LBB138_179:                            ;   in Loop: Header=BB138_181 Depth=2
	s_wait_alu 0xfffe
	s_or_b32 exec_lo, exec_lo, s89
	s_wait_loadcnt_dscnt 0x0
	s_barrier_signal -1
	s_barrier_wait -1
	global_inv scope:SCOPE_SE
	ds_load_b32 v6, v7 offset:3072
	s_mov_b32 s89, -1
	s_mov_b32 s90, -1
	s_wait_loadcnt_dscnt 0x0
	s_barrier_signal -1
	s_barrier_wait -1
	global_inv scope:SCOPE_SE
	v_and_b32_e32 v34, 0x7fff, v6
	s_delay_alu instid0(VALU_DEP_1)
	v_cmp_ne_u32_e32 vcc_lo, 0, v34
	s_cbranch_vccz .LBB138_184
.LBB138_180:                            ;   in Loop: Header=BB138_181 Depth=2
	s_wait_alu 0xfffe
	s_and_b32 s89, exec_lo, s89
	s_wait_alu 0xfffe
	s_or_b32 s56, s89, s56
	s_and_not1_b32 s88, s88, exec_lo
	s_and_b32 s89, s90, exec_lo
	s_wait_alu 0xfffe
	s_or_b32 s88, s88, s89
	s_and_not1_b32 exec_lo, exec_lo, s56
	s_cbranch_execz .LBB138_185
.LBB138_181:                            ;   Parent Loop BB138_20 Depth=1
                                        ; =>  This Inner Loop Header: Depth=2
	s_mov_b32 s89, exec_lo
	s_delay_alu instid0(VALU_DEP_1)
	v_cmpx_gt_u32_e64 s84, v4
	s_cbranch_execz .LBB138_179
; %bb.182:                              ;   in Loop: Header=BB138_181 Depth=2
	ds_load_u16 v6, v2
	s_wait_dscnt 0x0
	v_cmp_lt_i16_e32 vcc_lo, -1, v6
	v_and_b32_e32 v34, 0xffff, v6
	s_wait_alu 0xfffd
	v_dual_cndmask_b32 v35, 0xffff, v31 :: v_dual_lshlrev_b32 v36, 16, v6
	s_delay_alu instid0(VALU_DEP_1) | instskip(NEXT) | instid1(VALU_DEP_2)
	v_cmp_o_f32_e32 vcc_lo, v36, v36
	v_xor_b32_e32 v34, v35, v34
	s_wait_alu 0xfffd
	s_delay_alu instid0(VALU_DEP_1) | instskip(NEXT) | instid1(VALU_DEP_1)
	v_cndmask_b32_e32 v34, 0xffff, v34, vcc_lo
	v_and_b32_e32 v34, v34, v33
	s_delay_alu instid0(VALU_DEP_1)
	v_cmp_eq_u32_e32 vcc_lo, v34, v13
	s_and_b32 exec_lo, exec_lo, vcc_lo
	s_cbranch_execz .LBB138_179
; %bb.183:                              ;   in Loop: Header=BB138_181 Depth=2
	v_perm_b32 v6, v6, s75, 0x5040100
	ds_store_b32 v7, v6 offset:3072
	s_branch .LBB138_179
.LBB138_184:                            ;   in Loop: Header=BB138_181 Depth=2
	v_add_nc_u32_e32 v4, s29, v4
	v_add_nc_u32_e32 v2, s73, v2
	s_mov_b32 s90, 0
	s_delay_alu instid0(VALU_DEP_2)
	v_cmp_le_u32_e32 vcc_lo, s87, v4
	s_or_not1_b32 s89, vcc_lo, exec_lo
	s_branch .LBB138_180
.LBB138_185:                            ;   in Loop: Header=BB138_20 Depth=1
	s_or_b32 exec_lo, exec_lo, s56
	v_lshrrev_b32_e32 v34, 16, v6
	s_wait_alu 0xfffe
	s_and_b32 s56, s88, exec_lo
.LBB138_186:                            ;   in Loop: Header=BB138_20 Depth=1
	s_or_b32 exec_lo, exec_lo, s86
.LBB138_187:                            ;   in Loop: Header=BB138_20 Depth=1
	s_wait_alu 0xfffe
	s_and_b32 vcc_lo, exec_lo, s85
	s_wait_alu 0xfffe
	s_cbranch_vccz .LBB138_198
; %bb.188:                              ;   in Loop: Header=BB138_20 Depth=1
                                        ; implicit-def: $vgpr34
	s_and_saveexec_b32 s22, s10
	s_cbranch_execz .LBB138_197
; %bb.189:                              ;   in Loop: Header=BB138_20 Depth=1
	v_mov_b32_e32 v6, v5
	v_mov_b32_e32 v2, v0
	s_mov_b32 s23, 0
                                        ; implicit-def: $sgpr84
	s_branch .LBB138_192
.LBB138_190:                            ;   in Loop: Header=BB138_192 Depth=2
	s_wait_alu 0xfffe
	s_or_b32 exec_lo, exec_lo, s85
	s_wait_loadcnt_dscnt 0x0
	s_barrier_signal -1
	s_barrier_wait -1
	global_inv scope:SCOPE_SE
	ds_load_b32 v4, v7 offset:3072
	s_mov_b32 s85, -1
	s_mov_b32 s86, -1
	s_wait_loadcnt_dscnt 0x0
	s_barrier_signal -1
	s_barrier_wait -1
	global_inv scope:SCOPE_SE
	v_and_b32_e32 v34, 0x7fff, v4
	s_delay_alu instid0(VALU_DEP_1)
	v_cmp_eq_u32_e32 vcc_lo, 0, v34
	s_cbranch_vccnz .LBB138_195
.LBB138_191:                            ;   in Loop: Header=BB138_192 Depth=2
	s_wait_alu 0xfffe
	s_and_b32 s85, exec_lo, s85
	s_wait_alu 0xfffe
	s_or_b32 s23, s85, s23
	s_and_not1_b32 s84, s84, exec_lo
	s_and_b32 s85, s86, exec_lo
	s_wait_alu 0xfffe
	s_or_b32 s84, s84, s85
	s_and_not1_b32 exec_lo, exec_lo, s23
	s_cbranch_execz .LBB138_196
.LBB138_192:                            ;   Parent Loop BB138_20 Depth=1
                                        ; =>  This Inner Loop Header: Depth=2
	s_mov_b32 s85, exec_lo
	s_delay_alu instid0(VALU_DEP_1)
	v_cmpx_gt_u32_e64 s28, v2
	s_cbranch_execz .LBB138_190
; %bb.193:                              ;   in Loop: Header=BB138_192 Depth=2
	v_lshlrev_b64_e32 v[34:35], 1, v[6:7]
	s_delay_alu instid0(VALU_DEP_1) | instskip(SKIP_1) | instid1(VALU_DEP_2)
	v_add_co_u32 v34, vcc_lo, s46, v34
	s_wait_alu 0xfffd
	v_add_co_ci_u32_e64 v35, null, s47, v35, vcc_lo
	global_load_u16 v4, v[34:35], off
	s_wait_loadcnt 0x0
	v_cmp_lt_i16_e32 vcc_lo, -1, v4
	v_and_b32_e32 v34, 0xffff, v4
	s_wait_alu 0xfffd
	v_dual_cndmask_b32 v35, 0xffff, v31 :: v_dual_lshlrev_b32 v36, 16, v4
	s_delay_alu instid0(VALU_DEP_1) | instskip(NEXT) | instid1(VALU_DEP_2)
	v_cmp_o_f32_e32 vcc_lo, v36, v36
	v_xor_b32_e32 v34, v35, v34
	s_wait_alu 0xfffd
	s_delay_alu instid0(VALU_DEP_1) | instskip(NEXT) | instid1(VALU_DEP_1)
	v_cndmask_b32_e32 v34, 0xffff, v34, vcc_lo
	v_and_b32_e32 v34, v34, v33
	s_delay_alu instid0(VALU_DEP_1)
	v_cmp_eq_u32_e32 vcc_lo, v34, v13
	s_and_b32 exec_lo, exec_lo, vcc_lo
	s_cbranch_execz .LBB138_190
; %bb.194:                              ;   in Loop: Header=BB138_192 Depth=2
	v_perm_b32 v4, v4, s75, 0x5040100
	ds_store_b32 v7, v4 offset:3072
	s_branch .LBB138_190
.LBB138_195:                            ;   in Loop: Header=BB138_192 Depth=2
	v_add_nc_u32_e32 v2, s29, v2
	v_add_nc_u32_e32 v6, s49, v6
	s_mov_b32 s86, 0
	s_delay_alu instid0(VALU_DEP_2)
	v_cmp_le_u32_e32 vcc_lo, s70, v2
	s_or_not1_b32 s85, vcc_lo, exec_lo
	s_branch .LBB138_191
.LBB138_196:                            ;   in Loop: Header=BB138_20 Depth=1
	s_or_b32 exec_lo, exec_lo, s23
	v_lshrrev_b32_e32 v34, 16, v4
	s_and_not1_b32 s23, s56, exec_lo
	s_wait_alu 0xfffe
	s_and_b32 s56, s84, exec_lo
	s_wait_alu 0xfffe
	s_or_b32 s56, s23, s56
.LBB138_197:                            ;   in Loop: Header=BB138_20 Depth=1
	s_wait_alu 0xfffe
	s_or_b32 exec_lo, exec_lo, s22
	s_mov_b32 s22, 0
	s_mov_b32 s23, -1
.LBB138_198:                            ;   in Loop: Header=BB138_20 Depth=1
	s_or_not1_b32 s56, s56, exec_lo
.LBB138_199:                            ;   in Loop: Header=BB138_20 Depth=1
	s_wait_alu 0xfffe
	s_or_b32 exec_lo, exec_lo, s24
	s_mov_b32 s84, 0
	s_and_saveexec_b32 s24, s56
	s_cbranch_execz .LBB138_249
; %bb.200:                              ;   in Loop: Header=BB138_20 Depth=1
	v_dual_mov_b32 v2, 1 :: v_dual_mov_b32 v1, 1
	s_xor_b32 s83, s83, -1
	s_mov_b32 s85, 0
	s_wait_alu 0xfffe
	s_and_saveexec_b32 s56, s83
	s_cbranch_execz .LBB138_209
; %bb.201:                              ;   in Loop: Header=BB138_20 Depth=1
	s_mov_b32 s83, exec_lo
	v_cmpx_ge_u32_e64 s18, v3
	s_wait_alu 0xfffe
	s_xor_b32 s83, exec_lo, s83
	s_cbranch_execz .LBB138_206
; %bb.202:                              ;   in Loop: Header=BB138_20 Depth=1
	ds_load_b32 v1, v7 offset:4104
	s_lshl_b32 s84, 2, s82
	v_or_b32_e32 v33, s12, v33
	s_wait_alu 0xfffe
	v_and_or_b32 v13, v13, s19, s84
	s_wait_dscnt 0x0
	v_cmp_ne_u32_e32 vcc_lo, 0, v1
	s_cbranch_vccnz .LBB138_206
; %bb.203:                              ;   in Loop: Header=BB138_20 Depth=1
	s_and_saveexec_b32 s19, s0
; %bb.204:                              ;   in Loop: Header=BB138_20 Depth=1
	v_mov_b32_e32 v1, s18
	ds_store_b32 v7, v1 offset:4108
; %bb.205:                              ;   in Loop: Header=BB138_20 Depth=1
	s_wait_alu 0xfffe
	s_or_b32 exec_lo, exec_lo, s19
	s_wait_loadcnt_dscnt 0x0
	s_barrier_signal -1
	s_barrier_wait -1
	global_inv scope:SCOPE_SE
.LBB138_206:                            ;   in Loop: Header=BB138_20 Depth=1
	s_wait_alu 0xfffe
	s_or_saveexec_b32 s19, s83
	v_mov_b32_e32 v1, 8
	s_mov_b32 s83, 0
	s_wait_alu 0xfffe
	s_xor_b32 exec_lo, exec_lo, s19
; %bb.207:                              ;   in Loop: Header=BB138_20 Depth=1
	v_subrev_nc_u32_e32 v3, s18, v3
	v_mov_b32_e32 v1, 0
	s_mov_b32 s83, exec_lo
; %bb.208:                              ;   in Loop: Header=BB138_20 Depth=1
	s_or_b32 exec_lo, exec_lo, s19
	s_delay_alu instid0(VALU_DEP_2)
	v_mov_b32_e32 v2, v3
	s_wait_alu 0xfffe
	s_and_b32 s85, s83, exec_lo
.LBB138_209:                            ;   in Loop: Header=BB138_20 Depth=1
	s_wait_alu 0xfffe
	s_or_b32 exec_lo, exec_lo, s56
	s_mov_b32 s19, -1
                                        ; implicit-def: $sgpr84
                                        ; implicit-def: $sgpr83
	s_and_saveexec_b32 s18, s85
	s_cbranch_execz .LBB138_248
; %bb.210:                              ;   in Loop: Header=BB138_20 Depth=1
	v_cmp_eq_u32_e32 vcc_lo, 1, v2
	s_cmp_eq_u32 s11, 1
	s_mov_b32 s86, -1
	s_cselect_b32 s19, -1, 0
                                        ; implicit-def: $sgpr84
                                        ; implicit-def: $sgpr83
	s_wait_alu 0xfffe
	s_and_b32 s19, s19, vcc_lo
	s_wait_alu 0xfffe
	s_and_saveexec_b32 s85, s19
	s_cbranch_execz .LBB138_236
; %bb.211:                              ;   in Loop: Header=BB138_20 Depth=1
	ds_load_b32 v3, v7 offset:4104
	s_wait_loadcnt_dscnt 0x0
	s_barrier_signal -1
	s_barrier_wait -1
	global_inv scope:SCOPE_SE
	v_readfirstlane_b32 s86, v3
	s_and_saveexec_b32 s56, s1
; %bb.212:                              ;   in Loop: Header=BB138_20 Depth=1
	ds_store_b16 v17, v7
; %bb.213:                              ;   in Loop: Header=BB138_20 Depth=1
	s_wait_alu 0xfffe
	s_or_b32 exec_lo, exec_lo, s56
	v_or_b32_e32 v13, s12, v13
	v_or_b32_e32 v33, s12, v33
	s_mov_b32 s83, -1
	s_mov_b32 s84, 0
	s_cmp_eq_u32 s86, 0
	s_mov_b32 s56, 0
	s_mov_b32 s87, -1
	s_wait_loadcnt_dscnt 0x0
	s_barrier_signal -1
	s_barrier_wait -1
	global_inv scope:SCOPE_SE
                                        ; implicit-def: $vgpr34
	s_cbranch_scc1 .LBB138_224
; %bb.214:                              ;   in Loop: Header=BB138_20 Depth=1
	s_add_co_i32 s56, s86, s43
                                        ; implicit-def: $vgpr34
	s_wait_alu 0xfffe
	s_mul_u64 s[88:89], s[56:57], s[60:61]
	s_wait_alu 0xfffe
	s_mul_i32 s87, s89, s29
	s_wait_alu 0xfffe
	s_sub_co_i32 s87, s56, s87
	s_wait_alu 0xfffe
	s_sub_co_i32 s88, s87, s29
	s_cmp_ge_u32 s87, s29
	s_wait_alu 0xfffe
	s_cselect_b32 s87, s88, s87
	s_wait_alu 0xfffe
	s_sub_co_i32 s88, s87, s29
	s_cmp_ge_u32 s87, s29
	s_wait_alu 0xfffe
	s_cselect_b32 s87, s88, s87
	s_mov_b32 s88, exec_lo
	s_wait_alu 0xfffe
	s_sub_co_i32 s89, s56, s87
	s_mov_b32 s87, 0
	s_mov_b32 s56, 0
	s_wait_alu 0xfffe
	v_cmpx_gt_u32_e64 s89, v0
	s_cbranch_execz .LBB138_223
; %bb.215:                              ;   in Loop: Header=BB138_20 Depth=1
	v_dual_mov_b32 v3, v16 :: v_dual_mov_b32 v4, v0
                                        ; implicit-def: $sgpr90
	s_branch .LBB138_218
.LBB138_216:                            ;   in Loop: Header=BB138_218 Depth=2
	s_or_b32 exec_lo, exec_lo, s91
	s_wait_loadcnt_dscnt 0x0
	s_barrier_signal -1
	s_barrier_wait -1
	global_inv scope:SCOPE_SE
	ds_load_b32 v6, v7 offset:3072
	s_mov_b32 s91, -1
	s_mov_b32 s92, -1
	s_wait_loadcnt_dscnt 0x0
	s_barrier_signal -1
	s_barrier_wait -1
	global_inv scope:SCOPE_SE
	v_and_b32_e32 v34, 0x7fff, v6
	s_delay_alu instid0(VALU_DEP_1)
	v_cmp_ne_u32_e32 vcc_lo, 0, v34
	s_cbranch_vccz .LBB138_221
.LBB138_217:                            ;   in Loop: Header=BB138_218 Depth=2
	s_and_b32 s91, exec_lo, s91
	s_delay_alu instid0(SALU_CYCLE_1) | instskip(SKIP_2) | instid1(SALU_CYCLE_1)
	s_or_b32 s56, s91, s56
	s_and_not1_b32 s90, s90, exec_lo
	s_and_b32 s91, s92, exec_lo
	s_or_b32 s90, s90, s91
	s_wait_alu 0xfffe
	s_and_not1_b32 exec_lo, exec_lo, s56
	s_cbranch_execz .LBB138_222
.LBB138_218:                            ;   Parent Loop BB138_20 Depth=1
                                        ; =>  This Inner Loop Header: Depth=2
	s_mov_b32 s91, exec_lo
	s_delay_alu instid0(VALU_DEP_1)
	v_cmpx_gt_u32_e64 s86, v4
	s_cbranch_execz .LBB138_216
; %bb.219:                              ;   in Loop: Header=BB138_218 Depth=2
	ds_load_u16 v6, v3
	s_wait_dscnt 0x0
	v_cmp_lt_i16_e32 vcc_lo, -1, v6
	v_and_b32_e32 v34, 0xffff, v6
	s_wait_alu 0xfffd
	v_dual_cndmask_b32 v35, 0xffff, v31 :: v_dual_lshlrev_b32 v36, 16, v6
	s_delay_alu instid0(VALU_DEP_1) | instskip(NEXT) | instid1(VALU_DEP_2)
	v_cmp_o_f32_e32 vcc_lo, v36, v36
	v_xor_b32_e32 v34, v35, v34
	s_wait_alu 0xfffd
	s_delay_alu instid0(VALU_DEP_1) | instskip(NEXT) | instid1(VALU_DEP_1)
	v_cndmask_b32_e32 v34, 0xffff, v34, vcc_lo
	v_and_b32_e32 v34, v34, v33
	s_delay_alu instid0(VALU_DEP_1)
	v_cmp_eq_u32_e32 vcc_lo, v34, v13
	s_and_b32 exec_lo, exec_lo, vcc_lo
	s_cbranch_execz .LBB138_216
; %bb.220:                              ;   in Loop: Header=BB138_218 Depth=2
	v_perm_b32 v6, v6, s75, 0x5040100
	ds_store_b32 v7, v6 offset:3072
	s_branch .LBB138_216
.LBB138_221:                            ;   in Loop: Header=BB138_218 Depth=2
	v_add_nc_u32_e32 v4, s29, v4
	v_add_nc_u32_e32 v3, s73, v3
	s_mov_b32 s92, 0
	s_delay_alu instid0(VALU_DEP_2)
	v_cmp_le_u32_e32 vcc_lo, s89, v4
	s_or_not1_b32 s91, vcc_lo, exec_lo
	s_branch .LBB138_217
.LBB138_222:                            ;   in Loop: Header=BB138_20 Depth=1
	s_or_b32 exec_lo, exec_lo, s56
	v_lshrrev_b32_e32 v34, 16, v6
	s_and_b32 s56, s90, exec_lo
.LBB138_223:                            ;   in Loop: Header=BB138_20 Depth=1
	s_or_b32 exec_lo, exec_lo, s88
.LBB138_224:                            ;   in Loop: Header=BB138_20 Depth=1
	s_wait_alu 0xfffe
	s_and_b32 vcc_lo, exec_lo, s87
	s_wait_alu 0xfffe
	s_cbranch_vccz .LBB138_235
; %bb.225:                              ;   in Loop: Header=BB138_20 Depth=1
                                        ; implicit-def: $vgpr34
	s_and_saveexec_b32 s83, s10
	s_cbranch_execz .LBB138_234
; %bb.226:                              ;   in Loop: Header=BB138_20 Depth=1
	v_dual_mov_b32 v6, v5 :: v_dual_mov_b32 v3, v0
	s_mov_b32 s84, 0
                                        ; implicit-def: $sgpr86
	s_branch .LBB138_229
.LBB138_227:                            ;   in Loop: Header=BB138_229 Depth=2
	s_wait_alu 0xfffe
	s_or_b32 exec_lo, exec_lo, s87
	s_wait_loadcnt_dscnt 0x0
	s_barrier_signal -1
	s_barrier_wait -1
	global_inv scope:SCOPE_SE
	ds_load_b32 v4, v7 offset:3072
	s_mov_b32 s87, -1
	s_mov_b32 s88, -1
	s_wait_loadcnt_dscnt 0x0
	s_barrier_signal -1
	s_barrier_wait -1
	global_inv scope:SCOPE_SE
	v_and_b32_e32 v34, 0x7fff, v4
	s_delay_alu instid0(VALU_DEP_1)
	v_cmp_eq_u32_e32 vcc_lo, 0, v34
	s_cbranch_vccnz .LBB138_232
.LBB138_228:                            ;   in Loop: Header=BB138_229 Depth=2
	s_wait_alu 0xfffe
	s_and_b32 s87, exec_lo, s87
	s_wait_alu 0xfffe
	s_or_b32 s84, s87, s84
	s_and_not1_b32 s86, s86, exec_lo
	s_and_b32 s87, s88, exec_lo
	s_wait_alu 0xfffe
	s_or_b32 s86, s86, s87
	s_and_not1_b32 exec_lo, exec_lo, s84
	s_cbranch_execz .LBB138_233
.LBB138_229:                            ;   Parent Loop BB138_20 Depth=1
                                        ; =>  This Inner Loop Header: Depth=2
	s_mov_b32 s87, exec_lo
	s_delay_alu instid0(VALU_DEP_1)
	v_cmpx_gt_u32_e64 s28, v3
	s_cbranch_execz .LBB138_227
; %bb.230:                              ;   in Loop: Header=BB138_229 Depth=2
	v_lshlrev_b64_e32 v[34:35], 1, v[6:7]
	s_delay_alu instid0(VALU_DEP_1) | instskip(SKIP_1) | instid1(VALU_DEP_2)
	v_add_co_u32 v34, vcc_lo, s46, v34
	s_wait_alu 0xfffd
	v_add_co_ci_u32_e64 v35, null, s47, v35, vcc_lo
	global_load_u16 v4, v[34:35], off
	s_wait_loadcnt 0x0
	v_cmp_lt_i16_e32 vcc_lo, -1, v4
	v_and_b32_e32 v34, 0xffff, v4
	s_wait_alu 0xfffd
	v_dual_cndmask_b32 v35, 0xffff, v31 :: v_dual_lshlrev_b32 v36, 16, v4
	s_delay_alu instid0(VALU_DEP_1) | instskip(NEXT) | instid1(VALU_DEP_2)
	v_cmp_o_f32_e32 vcc_lo, v36, v36
	v_xor_b32_e32 v34, v35, v34
	s_wait_alu 0xfffd
	s_delay_alu instid0(VALU_DEP_1) | instskip(NEXT) | instid1(VALU_DEP_1)
	v_cndmask_b32_e32 v34, 0xffff, v34, vcc_lo
	v_and_b32_e32 v34, v34, v33
	s_delay_alu instid0(VALU_DEP_1)
	v_cmp_eq_u32_e32 vcc_lo, v34, v13
	s_and_b32 exec_lo, exec_lo, vcc_lo
	s_cbranch_execz .LBB138_227
; %bb.231:                              ;   in Loop: Header=BB138_229 Depth=2
	v_perm_b32 v4, v4, s75, 0x5040100
	ds_store_b32 v7, v4 offset:3072
	s_branch .LBB138_227
.LBB138_232:                            ;   in Loop: Header=BB138_229 Depth=2
	v_add_nc_u32_e32 v3, s29, v3
	v_add_nc_u32_e32 v6, s49, v6
	s_mov_b32 s88, 0
	s_delay_alu instid0(VALU_DEP_2)
	v_cmp_le_u32_e32 vcc_lo, s70, v3
	s_or_not1_b32 s87, vcc_lo, exec_lo
	s_branch .LBB138_228
.LBB138_233:                            ;   in Loop: Header=BB138_20 Depth=1
	s_or_b32 exec_lo, exec_lo, s84
	v_lshrrev_b32_e32 v34, 16, v4
	s_and_not1_b32 s56, s56, exec_lo
	s_wait_alu 0xfffe
	s_and_b32 s84, s86, exec_lo
	s_wait_alu 0xfffe
	s_or_b32 s56, s56, s84
.LBB138_234:                            ;   in Loop: Header=BB138_20 Depth=1
	s_wait_alu 0xfffe
	s_or_b32 exec_lo, exec_lo, s83
	s_mov_b32 s83, 0
	s_mov_b32 s84, -1
.LBB138_235:                            ;   in Loop: Header=BB138_20 Depth=1
	s_or_not1_b32 s86, s56, exec_lo
.LBB138_236:                            ;   in Loop: Header=BB138_20 Depth=1
	s_wait_alu 0xfffe
	s_or_b32 exec_lo, exec_lo, s85
	s_mov_b32 s85, 0
	s_and_saveexec_b32 s56, s86
	s_cbranch_execz .LBB138_247
; %bb.237:                              ;   in Loop: Header=BB138_20 Depth=1
	v_mov_b32_e32 v1, 1
	v_mov_b32_e32 v3, 1
	s_xor_b32 s85, s19, -1
	s_wait_alu 0xfffe
	s_and_saveexec_b32 s19, s85
	s_cbranch_execz .LBB138_246
; %bb.238:                              ;   in Loop: Header=BB138_20 Depth=1
	s_mov_b32 s85, exec_lo
	v_cmpx_ge_u32_e64 s11, v2
	s_wait_alu 0xfffe
	s_xor_b32 s85, exec_lo, s85
	s_cbranch_execz .LBB138_243
; %bb.239:                              ;   in Loop: Header=BB138_20 Depth=1
	ds_load_b32 v1, v7 offset:4104
	v_or_b32_e32 v13, s12, v13
	v_or_b32_e32 v33, s12, v33
	s_wait_dscnt 0x0
	v_cmp_ne_u32_e32 vcc_lo, 0, v1
	s_cbranch_vccnz .LBB138_243
; %bb.240:                              ;   in Loop: Header=BB138_20 Depth=1
	s_and_saveexec_b32 s12, s0
; %bb.241:                              ;   in Loop: Header=BB138_20 Depth=1
	v_mov_b32_e32 v1, s11
	ds_store_b32 v7, v1 offset:4108
; %bb.242:                              ;   in Loop: Header=BB138_20 Depth=1
	s_wait_alu 0xfffe
	s_or_b32 exec_lo, exec_lo, s12
	s_wait_loadcnt_dscnt 0x0
	s_barrier_signal -1
	s_barrier_wait -1
	global_inv scope:SCOPE_SE
.LBB138_243:                            ;   in Loop: Header=BB138_20 Depth=1
	s_wait_alu 0xfffe
	s_and_not1_saveexec_b32 s12, s85
; %bb.244:                              ;   in Loop: Header=BB138_20 Depth=1
	v_subrev_nc_u32_e32 v2, s11, v2
; %bb.245:                              ;   in Loop: Header=BB138_20 Depth=1
	s_wait_alu 0xfffe
	s_or_b32 exec_lo, exec_lo, s12
	v_mov_b32_e32 v1, 8
	s_delay_alu instid0(VALU_DEP_2)
	v_mov_b32_e32 v3, v2
.LBB138_246:                            ;   in Loop: Header=BB138_20 Depth=1
	s_wait_alu 0xfffe
	s_or_b32 exec_lo, exec_lo, s19
	s_delay_alu instid0(VALU_DEP_1)
	v_mov_b32_e32 v2, v3
	s_mov_b32 s85, exec_lo
.LBB138_247:                            ;   in Loop: Header=BB138_20 Depth=1
	s_wait_alu 0xfffe
	s_or_b32 exec_lo, exec_lo, s56
	s_delay_alu instid0(SALU_CYCLE_1)
	s_or_not1_b32 s19, s85, exec_lo
.LBB138_248:                            ;   in Loop: Header=BB138_20 Depth=1
	s_wait_alu 0xfffe
	s_or_b32 exec_lo, exec_lo, s18
	v_mov_b32_e32 v3, v2
	s_and_not1_b32 s11, s23, exec_lo
	s_and_b32 s12, s84, exec_lo
	s_and_not1_b32 s18, s22, exec_lo
	s_and_b32 s22, s83, exec_lo
	s_wait_alu 0xfffe
	s_or_b32 s23, s11, s12
	s_or_b32 s22, s18, s22
	s_and_b32 s84, s19, exec_lo
.LBB138_249:                            ;   in Loop: Header=BB138_20 Depth=1
	s_wait_alu 0xfffe
	s_or_b32 exec_lo, exec_lo, s24
	s_delay_alu instid0(SALU_CYCLE_1)
	s_or_not1_b32 s24, s84, exec_lo
.LBB138_250:                            ;   in Loop: Header=BB138_20 Depth=1
	s_wait_alu 0xfffe
	s_or_b32 exec_lo, exec_lo, s21
	v_mov_b32_e32 v2, v3
	s_and_not1_b32 s11, s17, exec_lo
	s_and_b32 s12, s23, exec_lo
	s_and_not1_b32 s16, s16, exec_lo
	s_and_b32 s18, s22, exec_lo
	s_wait_alu 0xfffe
	s_or_b32 s17, s11, s12
	s_or_b32 s16, s16, s18
	s_and_b32 s24, s24, exec_lo
.LBB138_251:                            ;   in Loop: Header=BB138_20 Depth=1
	s_wait_alu 0xfffe
	s_or_b32 exec_lo, exec_lo, s20
	s_delay_alu instid0(SALU_CYCLE_1)
	s_or_not1_b32 s20, s24, exec_lo
.LBB138_252:                            ;   in Loop: Header=BB138_20 Depth=1
	s_wait_alu 0xfffe
	s_or_b32 exec_lo, exec_lo, s15
	s_mov_b32 s12, 0
                                        ; implicit-def: $sgpr22
	s_and_saveexec_b32 s11, s20
	s_wait_alu 0xfffe
	s_xor_b32 s11, exec_lo, s11
	s_cbranch_execz .LBB138_18
; %bb.253:                              ;   in Loop: Header=BB138_20 Depth=1
	v_and_b32_e32 v1, 7, v1
	s_mov_b32 s14, -1
	s_mov_b32 s12, -1
	s_mov_b32 s15, exec_lo
                                        ; implicit-def: $sgpr22
	s_delay_alu instid0(VALU_DEP_1)
	v_cmpx_eq_u32_e32 0, v1
	s_cbranch_execz .LBB138_17
; %bb.254:                              ;   in Loop: Header=BB138_20 Depth=1
	s_add_co_i32 s22, s82, -2
	s_cmp_eq_u32 s82, 0
	v_xor_b32_e32 v32, 1, v32
	s_cselect_b32 s14, -1, 0
	s_xor_b32 s12, exec_lo, -1
	s_wait_alu 0xfffe
	s_or_not1_b32 s14, s14, exec_lo
	s_branch .LBB138_17
.LBB138_255:
	s_or_b32 exec_lo, exec_lo, s74
	s_xor_b32 s4, s81, -1
	s_xor_b32 s3, s79, -1
	;; [unrolled: 1-line block ×3, first 2 shown]
	s_mov_b32 s0, 0
	s_wait_alu 0xfffe
	s_and_saveexec_b32 s5, s3
	s_wait_alu 0xfffe
	s_xor_b32 s3, exec_lo, s5
	s_cbranch_execnz .LBB138_260
; %bb.256:
	s_wait_alu 0xfffe
	s_and_not1_saveexec_b32 s1, s3
	s_cbranch_execnz .LBB138_273
.LBB138_257:
	s_or_b32 exec_lo, exec_lo, s1
	s_and_saveexec_b32 s1, s0
.LBB138_258:
	; divergent unreachable
.LBB138_259:
	s_endpgm
.LBB138_260:
	s_and_saveexec_b32 s0, s4
	s_delay_alu instid0(SALU_CYCLE_1)
	s_xor_b32 s4, exec_lo, s0
	s_cbranch_execz .LBB138_271
; %bb.261:
	s_and_saveexec_b32 s0, s1
	s_delay_alu instid0(SALU_CYCLE_1)
	s_xor_b32 s0, exec_lo, s0
; %bb.262:
	v_and_b32_e32 v1, 0x8000, v13
	v_mov_b32_e32 v2, 0xffff
	s_delay_alu instid0(VALU_DEP_2) | instskip(SKIP_1) | instid1(VALU_DEP_2)
	v_cmp_eq_u32_e32 vcc_lo, 0, v1
	s_wait_alu 0xfffd
	v_cndmask_b32_e32 v1, 0x8000, v2, vcc_lo
	s_delay_alu instid0(VALU_DEP_1)
	v_xor_b32_e32 v34, v1, v13
; %bb.263:
	s_or_b32 exec_lo, exec_lo, s0
	s_mul_i32 s1, s55, s34
	s_mul_i32 s0, s48, s35
	s_sub_co_i32 s1, s48, s1
	s_sub_co_i32 s0, s33, s0
	s_add_co_i32 s5, s55, 1
	s_sub_co_i32 s6, s1, s34
	s_cmp_ge_u32 s1, s34
	s_mul_i32 s0, s0, s42
	s_wait_alu 0xfffe
	s_cselect_b32 s5, s5, s55
	s_cselect_b32 s1, s6, s1
	s_wait_alu 0xfffe
	s_add_co_i32 s6, s5, 1
	s_cmp_ge_u32 s1, s34
	v_mov_b32_e32 v6, 0
	s_wait_alu 0xfffe
	s_cselect_b32 s1, s6, s5
	s_delay_alu instid0(SALU_CYCLE_1)
	s_mul_i32 s5, s1, s34
	s_mul_i32 s1, s1, s40
	s_wait_alu 0xfffe
	s_sub_co_i32 s5, s48, s5
	s_wait_alu 0xfffe
	s_mul_i32 s5, s5, s41
	s_wait_alu 0xfffe
	s_add_co_i32 s0, s5, s0
	s_delay_alu instid0(SALU_CYCLE_1) | instskip(SKIP_1) | instid1(SALU_CYCLE_1)
	s_add_co_i32 s0, s0, s1
	s_mov_b32 s1, 0
	s_lshl_b64 s[6:7], s[0:1], 1
	s_wait_alu 0xfffe
	s_add_nc_u64 s[6:7], s[52:53], s[6:7]
	global_store_b16 v6, v34, s[6:7]
	s_and_saveexec_b32 s5, s2
	s_cbranch_execz .LBB138_270
; %bb.264:
	v_lshlrev_b32_e32 v2, 16, v34
                                        ; implicit-def: $sgpr2
                                        ; implicit-def: $sgpr8
                                        ; implicit-def: $sgpr7
	s_delay_alu instid0(VALU_DEP_1)
	v_cmp_u_f32_e32 vcc_lo, v2, v2
	s_xor_b32 s6, vcc_lo, -1
	s_branch .LBB138_266
.LBB138_265:                            ;   in Loop: Header=BB138_266 Depth=1
	s_or_b32 exec_lo, exec_lo, s0
	s_wait_alu 0xfffe
	s_and_b32 s0, exec_lo, s8
	s_delay_alu instid0(SALU_CYCLE_1)
	s_or_b32 s1, s0, s1
	s_and_not1_b32 s0, s2, exec_lo
	s_and_b32 s2, s7, exec_lo
	s_wait_alu 0xfffe
	s_or_b32 s2, s0, s2
	s_and_not1_b32 exec_lo, exec_lo, s1
	s_cbranch_execz .LBB138_268
.LBB138_266:                            ; =>This Inner Loop Header: Depth=1
	v_lshlrev_b64_e32 v[3:4], 1, v[5:6]
	s_wait_alu 0xfffe
	s_or_b32 s7, s7, exec_lo
	s_or_b32 s8, s8, exec_lo
	s_delay_alu instid0(VALU_DEP_1)
	v_add_co_u32 v3, vcc_lo, s46, v3
	s_wait_alu 0xfffd
	v_add_co_ci_u32_e64 v4, null, s47, v4, vcc_lo
	global_load_u16 v1, v[3:4], off
	s_wait_loadcnt 0x0
	v_lshlrev_b32_e32 v1, 16, v1
	s_delay_alu instid0(VALU_DEP_1)
	v_cmp_o_f32_e32 vcc_lo, v1, v1
	v_cmp_neq_f32_e64 s0, v1, v2
	v_mov_b32_e32 v1, v0
                                        ; implicit-def: $vgpr0
	s_or_b32 s9, s6, vcc_lo
	s_wait_alu 0xfffe
	s_and_b32 s9, s0, s9
	s_wait_alu 0xfffe
	s_and_saveexec_b32 s0, s9
	s_cbranch_execz .LBB138_265
; %bb.267:                              ;   in Loop: Header=BB138_266 Depth=1
	v_add_nc_u32_e32 v0, s29, v1
	v_add_nc_u32_e32 v5, s49, v5
	s_and_not1_b32 s8, s8, exec_lo
	s_and_not1_b32 s7, s7, exec_lo
	s_delay_alu instid0(VALU_DEP_2)
	v_cmp_le_u32_e32 vcc_lo, s28, v0
	s_and_b32 s9, vcc_lo, exec_lo
	s_wait_alu 0xfffe
	s_or_b32 s8, s8, s9
	s_branch .LBB138_265
.LBB138_268:
	s_or_b32 exec_lo, exec_lo, s1
	s_wait_alu 0xfffe
	s_and_saveexec_b32 s0, s2
	s_delay_alu instid0(SALU_CYCLE_1)
	s_xor_b32 s0, exec_lo, s0
	s_cbranch_execz .LBB138_270
; %bb.269:
	s_mul_i32 s1, s25, s26
	s_mul_i32 s0, s44, s27
	s_sub_co_i32 s1, s44, s1
	s_sub_co_i32 s0, s33, s0
	s_add_co_i32 s2, s25, 1
	s_sub_co_i32 s6, s1, s26
	s_cmp_ge_u32 s1, s26
	s_mul_i32 s0, s0, s38
	s_wait_alu 0xfffe
	s_cselect_b32 s2, s2, s25
	s_cselect_b32 s1, s6, s1
	s_wait_alu 0xfffe
	s_add_co_i32 s6, s2, 1
	s_cmp_ge_u32 s1, s26
	v_mov_b32_e32 v2, 0
	s_wait_alu 0xfffe
	s_cselect_b32 s1, s6, s2
	s_delay_alu instid0(SALU_CYCLE_1)
	s_mul_i32 s2, s1, s26
	s_mul_i32 s1, s1, s36
	s_wait_alu 0xfffe
	s_sub_co_i32 s2, s44, s2
	s_wait_alu 0xfffe
	s_mul_i32 s2, s2, s37
	s_wait_alu 0xfffe
	s_add_co_i32 s0, s2, s0
	s_delay_alu instid0(SALU_CYCLE_1) | instskip(SKIP_1) | instid1(SALU_CYCLE_1)
	s_add_co_i32 s0, s0, s1
	s_mov_b32 s1, 0
	s_lshl_b64 s[0:1], s[0:1], 3
	s_delay_alu instid0(SALU_CYCLE_1)
	s_add_nc_u64 s[0:1], s[50:51], s[0:1]
	global_store_b64 v2, v[1:2], s[0:1]
.LBB138_270:
	s_wait_alu 0xfffe
	s_or_b32 exec_lo, exec_lo, s5
.LBB138_271:
	s_wait_alu 0xfffe
	s_or_saveexec_b32 s0, s4
	s_mov_b32 s1, 0
	s_xor_b32 exec_lo, exec_lo, s0
	s_cbranch_execnz .LBB138_274
.LBB138_272:
	s_or_b32 exec_lo, exec_lo, s0
	s_delay_alu instid0(SALU_CYCLE_1)
	s_and_b32 s0, s1, exec_lo
	s_and_not1_saveexec_b32 s1, s3
	s_cbranch_execz .LBB138_257
.LBB138_273:
	s_or_b32 s0, s0, exec_lo
	s_trap 2
	s_or_b32 exec_lo, exec_lo, s1
	s_and_saveexec_b32 s1, s0
	s_cbranch_execnz .LBB138_258
	s_branch .LBB138_259
.LBB138_274:
	s_mov_b32 s1, exec_lo
	s_trap 2
	s_branch .LBB138_272
	.section	.rodata,"a",@progbits
	.p2align	6, 0x0
	.amdhsa_kernel _ZN2at6native12_GLOBAL__N_112gatherMedianIN3c108BFloat16EjLi3EEEvNS_4cuda6detail10TensorInfoIT_T0_EENS7_IlS9_EENS7_IKS8_S9_EES9_S9_S9_b
		.amdhsa_group_segment_fixed_size 4120
		.amdhsa_private_segment_fixed_size 0
		.amdhsa_kernarg_size 920
		.amdhsa_user_sgpr_count 2
		.amdhsa_user_sgpr_dispatch_ptr 0
		.amdhsa_user_sgpr_queue_ptr 0
		.amdhsa_user_sgpr_kernarg_segment_ptr 1
		.amdhsa_user_sgpr_dispatch_id 0
		.amdhsa_user_sgpr_private_segment_size 0
		.amdhsa_wavefront_size32 1
		.amdhsa_uses_dynamic_stack 0
		.amdhsa_enable_private_segment 0
		.amdhsa_system_sgpr_workgroup_id_x 1
		.amdhsa_system_sgpr_workgroup_id_y 1
		.amdhsa_system_sgpr_workgroup_id_z 1
		.amdhsa_system_sgpr_workgroup_info 0
		.amdhsa_system_vgpr_workitem_id 0
		.amdhsa_next_free_vgpr 63
		.amdhsa_next_free_sgpr 93
		.amdhsa_reserve_vcc 1
		.amdhsa_float_round_mode_32 0
		.amdhsa_float_round_mode_16_64 0
		.amdhsa_float_denorm_mode_32 3
		.amdhsa_float_denorm_mode_16_64 3
		.amdhsa_fp16_overflow 0
		.amdhsa_workgroup_processor_mode 1
		.amdhsa_memory_ordered 1
		.amdhsa_forward_progress 1
		.amdhsa_inst_pref_size 115
		.amdhsa_round_robin_scheduling 0
		.amdhsa_exception_fp_ieee_invalid_op 0
		.amdhsa_exception_fp_denorm_src 0
		.amdhsa_exception_fp_ieee_div_zero 0
		.amdhsa_exception_fp_ieee_overflow 0
		.amdhsa_exception_fp_ieee_underflow 0
		.amdhsa_exception_fp_ieee_inexact 0
		.amdhsa_exception_int_div_zero 0
	.end_amdhsa_kernel
	.section	.text._ZN2at6native12_GLOBAL__N_112gatherMedianIN3c108BFloat16EjLi3EEEvNS_4cuda6detail10TensorInfoIT_T0_EENS7_IlS9_EENS7_IKS8_S9_EES9_S9_S9_b,"axG",@progbits,_ZN2at6native12_GLOBAL__N_112gatherMedianIN3c108BFloat16EjLi3EEEvNS_4cuda6detail10TensorInfoIT_T0_EENS7_IlS9_EENS7_IKS8_S9_EES9_S9_S9_b,comdat
.Lfunc_end138:
	.size	_ZN2at6native12_GLOBAL__N_112gatherMedianIN3c108BFloat16EjLi3EEEvNS_4cuda6detail10TensorInfoIT_T0_EENS7_IlS9_EENS7_IKS8_S9_EES9_S9_S9_b, .Lfunc_end138-_ZN2at6native12_GLOBAL__N_112gatherMedianIN3c108BFloat16EjLi3EEEvNS_4cuda6detail10TensorInfoIT_T0_EENS7_IlS9_EENS7_IKS8_S9_EES9_S9_S9_b
                                        ; -- End function
	.set _ZN2at6native12_GLOBAL__N_112gatherMedianIN3c108BFloat16EjLi3EEEvNS_4cuda6detail10TensorInfoIT_T0_EENS7_IlS9_EENS7_IKS8_S9_EES9_S9_S9_b.num_vgpr, 63
	.set _ZN2at6native12_GLOBAL__N_112gatherMedianIN3c108BFloat16EjLi3EEEvNS_4cuda6detail10TensorInfoIT_T0_EENS7_IlS9_EENS7_IKS8_S9_EES9_S9_S9_b.num_agpr, 0
	.set _ZN2at6native12_GLOBAL__N_112gatherMedianIN3c108BFloat16EjLi3EEEvNS_4cuda6detail10TensorInfoIT_T0_EENS7_IlS9_EENS7_IKS8_S9_EES9_S9_S9_b.numbered_sgpr, 93
	.set _ZN2at6native12_GLOBAL__N_112gatherMedianIN3c108BFloat16EjLi3EEEvNS_4cuda6detail10TensorInfoIT_T0_EENS7_IlS9_EENS7_IKS8_S9_EES9_S9_S9_b.num_named_barrier, 0
	.set _ZN2at6native12_GLOBAL__N_112gatherMedianIN3c108BFloat16EjLi3EEEvNS_4cuda6detail10TensorInfoIT_T0_EENS7_IlS9_EENS7_IKS8_S9_EES9_S9_S9_b.private_seg_size, 0
	.set _ZN2at6native12_GLOBAL__N_112gatherMedianIN3c108BFloat16EjLi3EEEvNS_4cuda6detail10TensorInfoIT_T0_EENS7_IlS9_EENS7_IKS8_S9_EES9_S9_S9_b.uses_vcc, 1
	.set _ZN2at6native12_GLOBAL__N_112gatherMedianIN3c108BFloat16EjLi3EEEvNS_4cuda6detail10TensorInfoIT_T0_EENS7_IlS9_EENS7_IKS8_S9_EES9_S9_S9_b.uses_flat_scratch, 0
	.set _ZN2at6native12_GLOBAL__N_112gatherMedianIN3c108BFloat16EjLi3EEEvNS_4cuda6detail10TensorInfoIT_T0_EENS7_IlS9_EENS7_IKS8_S9_EES9_S9_S9_b.has_dyn_sized_stack, 0
	.set _ZN2at6native12_GLOBAL__N_112gatherMedianIN3c108BFloat16EjLi3EEEvNS_4cuda6detail10TensorInfoIT_T0_EENS7_IlS9_EENS7_IKS8_S9_EES9_S9_S9_b.has_recursion, 0
	.set _ZN2at6native12_GLOBAL__N_112gatherMedianIN3c108BFloat16EjLi3EEEvNS_4cuda6detail10TensorInfoIT_T0_EENS7_IlS9_EENS7_IKS8_S9_EES9_S9_S9_b.has_indirect_call, 0
	.section	.AMDGPU.csdata,"",@progbits
; Kernel info:
; codeLenInByte = 14612
; TotalNumSgprs: 95
; NumVgprs: 63
; ScratchSize: 0
; MemoryBound: 0
; FloatMode: 240
; IeeeMode: 1
; LDSByteSize: 4120 bytes/workgroup (compile time only)
; SGPRBlocks: 0
; VGPRBlocks: 7
; NumSGPRsForWavesPerEU: 95
; NumVGPRsForWavesPerEU: 63
; Occupancy: 16
; WaveLimiterHint : 1
; COMPUTE_PGM_RSRC2:SCRATCH_EN: 0
; COMPUTE_PGM_RSRC2:USER_SGPR: 2
; COMPUTE_PGM_RSRC2:TRAP_HANDLER: 0
; COMPUTE_PGM_RSRC2:TGID_X_EN: 1
; COMPUTE_PGM_RSRC2:TGID_Y_EN: 1
; COMPUTE_PGM_RSRC2:TGID_Z_EN: 1
; COMPUTE_PGM_RSRC2:TIDIG_COMP_CNT: 0
	.section	.text._ZN2at6native12_GLOBAL__N_112gatherMedianIN3c108BFloat16EjLin1EEEvNS_4cuda6detail10TensorInfoIT_T0_EENS7_IlS9_EENS7_IKS8_S9_EES9_S9_S9_b,"axG",@progbits,_ZN2at6native12_GLOBAL__N_112gatherMedianIN3c108BFloat16EjLin1EEEvNS_4cuda6detail10TensorInfoIT_T0_EENS7_IlS9_EENS7_IKS8_S9_EES9_S9_S9_b,comdat
	.globl	_ZN2at6native12_GLOBAL__N_112gatherMedianIN3c108BFloat16EjLin1EEEvNS_4cuda6detail10TensorInfoIT_T0_EENS7_IlS9_EENS7_IKS8_S9_EES9_S9_S9_b ; -- Begin function _ZN2at6native12_GLOBAL__N_112gatherMedianIN3c108BFloat16EjLin1EEEvNS_4cuda6detail10TensorInfoIT_T0_EENS7_IlS9_EENS7_IKS8_S9_EES9_S9_S9_b
	.p2align	8
	.type	_ZN2at6native12_GLOBAL__N_112gatherMedianIN3c108BFloat16EjLin1EEEvNS_4cuda6detail10TensorInfoIT_T0_EENS7_IlS9_EENS7_IKS8_S9_EES9_S9_S9_b,@function
_ZN2at6native12_GLOBAL__N_112gatherMedianIN3c108BFloat16EjLin1EEEvNS_4cuda6detail10TensorInfoIT_T0_EENS7_IlS9_EENS7_IKS8_S9_EES9_S9_S9_b: ; @_ZN2at6native12_GLOBAL__N_112gatherMedianIN3c108BFloat16EjLin1EEEvNS_4cuda6detail10TensorInfoIT_T0_EENS7_IlS9_EENS7_IKS8_S9_EES9_S9_S9_b
; %bb.0:
	s_clause 0x1
	s_load_b64 s[6:7], s[0:1], 0x298
	s_load_b128 s[28:31], s[0:1], 0x288
	s_lshr_b32 s2, ttmp7, 16
	s_and_b32 s3, ttmp7, 0xffff
	s_wait_kmcnt 0x0
	s_mul_i32 s2, s7, s2
	s_delay_alu instid0(SALU_CYCLE_1) | instskip(NEXT) | instid1(SALU_CYCLE_1)
	s_add_co_i32 s2, s2, s3
	s_mul_i32 s2, s2, s6
	s_delay_alu instid0(SALU_CYCLE_1) | instskip(NEXT) | instid1(SALU_CYCLE_1)
	s_add_co_i32 s7, s2, ttmp9
	s_cmp_ge_u32 s7, s29
	s_cbranch_scc1 .LBB139_268
; %bb.1:
	s_load_b32 s2, s[0:1], 0xd0
	s_mov_b32 s27, 0
	s_mov_b32 s33, s7
	s_wait_kmcnt 0x0
	s_cmp_lt_i32 s2, 2
	s_cbranch_scc1 .LBB139_4
; %bb.2:
	s_add_co_i32 s26, s2, -1
	s_mov_b32 s33, s7
	s_lshl_b64 s[4:5], s[26:27], 2
	s_delay_alu instid0(SALU_CYCLE_1)
	s_add_nc_u64 s[8:9], s[0:1], s[4:5]
	s_add_co_i32 s4, s2, 1
	s_add_nc_u64 s[2:3], s[8:9], 8
.LBB139_3:                              ; =>This Inner Loop Header: Depth=1
	s_clause 0x1
	s_load_b32 s5, s[2:3], 0x0
	s_load_b32 s8, s[2:3], 0x64
	s_mov_b32 s11, s33
	s_add_nc_u64 s[2:3], s[2:3], -4
	s_wait_kmcnt 0x0
	s_cvt_f32_u32 s9, s5
	s_sub_co_i32 s10, 0, s5
	s_wait_alu 0xfffe
	s_delay_alu instid0(SALU_CYCLE_1) | instskip(NEXT) | instid1(TRANS32_DEP_1)
	v_rcp_iflag_f32_e32 v1, s9
	v_readfirstlane_b32 s9, v1
	s_mul_f32 s9, s9, 0x4f7ffffe
	s_wait_alu 0xfffe
	s_delay_alu instid0(SALU_CYCLE_2) | instskip(SKIP_1) | instid1(SALU_CYCLE_2)
	s_cvt_u32_f32 s9, s9
	s_wait_alu 0xfffe
	s_mul_i32 s10, s10, s9
	s_delay_alu instid0(SALU_CYCLE_1) | instskip(NEXT) | instid1(SALU_CYCLE_1)
	s_mul_hi_u32 s10, s9, s10
	s_add_co_i32 s9, s9, s10
	s_wait_alu 0xfffe
	s_mul_hi_u32 s9, s33, s9
	s_wait_alu 0xfffe
	s_mul_i32 s10, s9, s5
	s_add_co_i32 s12, s9, 1
	s_sub_co_i32 s10, s33, s10
	s_delay_alu instid0(SALU_CYCLE_1)
	s_sub_co_i32 s13, s10, s5
	s_cmp_ge_u32 s10, s5
	s_cselect_b32 s9, s12, s9
	s_cselect_b32 s10, s13, s10
	s_wait_alu 0xfffe
	s_add_co_i32 s12, s9, 1
	s_cmp_ge_u32 s10, s5
	s_cselect_b32 s33, s12, s9
	s_add_co_i32 s4, s4, -1
	s_mul_i32 s5, s33, s5
	s_delay_alu instid0(SALU_CYCLE_1) | instskip(NEXT) | instid1(SALU_CYCLE_1)
	s_sub_co_i32 s5, s11, s5
	s_mul_i32 s5, s8, s5
	s_delay_alu instid0(SALU_CYCLE_1)
	s_add_co_i32 s27, s5, s27
	s_cmp_gt_u32 s4, 2
	s_cbranch_scc1 .LBB139_3
.LBB139_4:
	s_load_b32 s4, s[0:1], 0x1a8
	s_add_nc_u64 s[12:13], s[0:1], 0x298
	s_add_nc_u64 s[2:3], s[0:1], 0xd8
	s_mov_b32 s25, 0
	s_mov_b32 s26, s7
	s_wait_kmcnt 0x0
	s_cmp_lt_i32 s4, 2
	s_cbranch_scc1 .LBB139_7
; %bb.5:
	s_add_co_i32 s24, s4, -1
	s_mov_b32 s26, s7
	s_lshl_b64 s[8:9], s[24:25], 2
	s_wait_alu 0xfffe
	s_add_nc_u64 s[10:11], s[2:3], s[8:9]
	s_add_co_i32 s8, s4, 1
	s_add_nc_u64 s[4:5], s[10:11], 8
.LBB139_6:                              ; =>This Inner Loop Header: Depth=1
	s_clause 0x1
	s_load_b32 s9, s[4:5], 0x0
	s_load_b32 s10, s[4:5], 0x64
	s_mov_b32 s15, s26
	s_add_nc_u64 s[4:5], s[4:5], -4
	s_wait_kmcnt 0x0
	s_cvt_f32_u32 s11, s9
	s_sub_co_i32 s14, 0, s9
	s_wait_alu 0xfffe
	s_delay_alu instid0(SALU_CYCLE_1) | instskip(NEXT) | instid1(TRANS32_DEP_1)
	v_rcp_iflag_f32_e32 v1, s11
	v_readfirstlane_b32 s11, v1
	s_mul_f32 s11, s11, 0x4f7ffffe
	s_wait_alu 0xfffe
	s_delay_alu instid0(SALU_CYCLE_2) | instskip(SKIP_1) | instid1(SALU_CYCLE_2)
	s_cvt_u32_f32 s11, s11
	s_wait_alu 0xfffe
	s_mul_i32 s14, s14, s11
	s_delay_alu instid0(SALU_CYCLE_1) | instskip(NEXT) | instid1(SALU_CYCLE_1)
	s_mul_hi_u32 s14, s11, s14
	s_add_co_i32 s11, s11, s14
	s_wait_alu 0xfffe
	s_mul_hi_u32 s11, s26, s11
	s_wait_alu 0xfffe
	s_mul_i32 s14, s11, s9
	s_add_co_i32 s16, s11, 1
	s_sub_co_i32 s14, s26, s14
	s_delay_alu instid0(SALU_CYCLE_1)
	s_sub_co_i32 s17, s14, s9
	s_cmp_ge_u32 s14, s9
	s_cselect_b32 s11, s16, s11
	s_cselect_b32 s14, s17, s14
	s_wait_alu 0xfffe
	s_add_co_i32 s16, s11, 1
	s_cmp_ge_u32 s14, s9
	s_cselect_b32 s26, s16, s11
	s_add_co_i32 s8, s8, -1
	s_mul_i32 s9, s26, s9
	s_wait_alu 0xfffe
	s_sub_co_i32 s9, s15, s9
	s_wait_alu 0xfffe
	s_mul_i32 s9, s10, s9
	s_wait_alu 0xfffe
	s_add_co_i32 s25, s9, s25
	s_cmp_gt_u32 s8, 2
	s_cbranch_scc1 .LBB139_6
.LBB139_7:
	s_clause 0x1
	s_load_b32 s49, s[0:1], 0x6c
	s_load_b32 s8, s[0:1], 0x280
	s_mov_b32 s5, 0
	s_wait_kmcnt 0x0
	s_cmp_lt_i32 s8, 2
	s_cbranch_scc1 .LBB139_10
; %bb.8:
	s_add_co_i32 s4, s8, -1
	s_add_nc_u64 s[10:11], s[0:1], 0x1b0
	s_lshl_b64 s[14:15], s[4:5], 2
	s_add_co_i32 s4, s8, 1
	s_wait_alu 0xfffe
	s_add_nc_u64 s[10:11], s[10:11], s[14:15]
	s_wait_alu 0xfffe
	s_add_nc_u64 s[8:9], s[10:11], 8
.LBB139_9:                              ; =>This Inner Loop Header: Depth=1
	s_clause 0x1
	s_load_b32 s10, s[8:9], 0x0
	s_load_b32 s11, s[8:9], 0x64
	s_mov_b32 s16, s7
	s_add_nc_u64 s[8:9], s[8:9], -4
	s_wait_kmcnt 0x0
	s_cvt_f32_u32 s14, s10
	s_sub_co_i32 s15, 0, s10
	s_wait_alu 0xfffe
	s_delay_alu instid0(SALU_CYCLE_1) | instskip(NEXT) | instid1(TRANS32_DEP_1)
	v_rcp_iflag_f32_e32 v1, s14
	v_readfirstlane_b32 s14, v1
	s_mul_f32 s14, s14, 0x4f7ffffe
	s_wait_alu 0xfffe
	s_delay_alu instid0(SALU_CYCLE_2) | instskip(SKIP_1) | instid1(SALU_CYCLE_2)
	s_cvt_u32_f32 s14, s14
	s_wait_alu 0xfffe
	s_mul_i32 s15, s15, s14
	s_wait_alu 0xfffe
	s_mul_hi_u32 s15, s14, s15
	s_wait_alu 0xfffe
	s_add_co_i32 s14, s14, s15
	s_wait_alu 0xfffe
	s_mul_hi_u32 s7, s7, s14
	s_delay_alu instid0(SALU_CYCLE_1)
	s_mul_i32 s14, s7, s10
	s_add_co_i32 s15, s7, 1
	s_wait_alu 0xfffe
	s_sub_co_i32 s14, s16, s14
	s_wait_alu 0xfffe
	s_sub_co_i32 s17, s14, s10
	s_cmp_ge_u32 s14, s10
	s_cselect_b32 s7, s15, s7
	s_cselect_b32 s14, s17, s14
	s_add_co_i32 s15, s7, 1
	s_wait_alu 0xfffe
	s_cmp_ge_u32 s14, s10
	s_cselect_b32 s7, s15, s7
	s_add_co_i32 s4, s4, -1
	s_mul_i32 s10, s7, s10
	s_wait_alu 0xfffe
	s_sub_co_i32 s10, s16, s10
	s_wait_alu 0xfffe
	s_mul_i32 s10, s11, s10
	s_wait_alu 0xfffe
	s_add_co_i32 s5, s10, s5
	s_cmp_gt_u32 s4, 2
	s_cbranch_scc1 .LBB139_9
.LBB139_10:
	s_clause 0x2
	s_load_b32 s48, s[2:3], 0x6c
	s_load_b32 s2, s[0:1], 0x21c
	s_load_b64 s[10:11], s[0:1], 0x1b0
	s_mov_b32 s9, 0
	v_mov_b32_e32 v3, 0
	s_wait_kmcnt 0x0
	s_mul_i32 s2, s2, s7
	s_delay_alu instid0(SALU_CYCLE_1) | instskip(SKIP_3) | instid1(SALU_CYCLE_1)
	s_add_co_i32 s8, s2, s5
	v_cmp_gt_u32_e64 s2, s28, v0
	s_wait_alu 0xfffe
	s_lshl_b64 s[4:5], s[8:9], 1
	s_add_nc_u64 s[34:35], s[10:11], s[4:5]
	s_and_saveexec_b32 s4, s2
	s_cbranch_execz .LBB139_14
; %bb.11:
	s_load_b32 s3, s[12:13], 0xc
	v_mov_b32_e32 v2, 0
	v_mul_lo_u32 v1, v0, s30
	s_delay_alu instid0(VALU_DEP_2) | instskip(SKIP_2) | instid1(SALU_CYCLE_1)
	v_dual_mov_b32 v4, v0 :: v_dual_mov_b32 v3, v2
	s_wait_kmcnt 0x0
	s_and_b32 s5, s3, 0xffff
	s_mul_i32 s7, s30, s5
.LBB139_12:                             ; =>This Inner Loop Header: Depth=1
	s_delay_alu instid0(VALU_DEP_2) | instskip(SKIP_2) | instid1(VALU_DEP_3)
	v_lshlrev_b64_e32 v[5:6], 1, v[1:2]
	v_add_nc_u32_e32 v4, s5, v4
	v_add_nc_u32_e32 v1, s7, v1
	v_add_co_u32 v5, vcc_lo, s34, v5
	s_wait_alu 0xfffd
	s_delay_alu instid0(VALU_DEP_4)
	v_add_co_ci_u32_e64 v6, null, s35, v6, vcc_lo
	v_cmp_le_u32_e32 vcc_lo, s28, v4
	global_load_u16 v5, v[5:6], off
	s_or_b32 s9, vcc_lo, s9
	s_wait_loadcnt 0x0
	v_lshlrev_b32_e32 v5, 16, v5
	s_delay_alu instid0(VALU_DEP_1) | instskip(SKIP_1) | instid1(VALU_DEP_1)
	v_cmp_u_f32_e64 s3, v5, v5
	s_wait_alu 0xf1ff
	v_add_co_ci_u32_e64 v3, null, 0, v3, s3
	s_wait_alu 0xfffe
	s_and_not1_b32 exec_lo, exec_lo, s9
	s_cbranch_execnz .LBB139_12
; %bb.13:
	s_or_b32 exec_lo, exec_lo, s9
.LBB139_14:
	s_delay_alu instid0(SALU_CYCLE_1)
	s_or_b32 exec_lo, exec_lo, s4
	s_clause 0x1
	s_load_b64 s[38:39], s[0:1], 0x0
	s_load_b64 s[36:37], s[0:1], 0xd8
	v_cmp_eq_u32_e64 s0, 0, v0
	s_and_saveexec_b32 s1, s0
; %bb.15:
	v_mov_b32_e32 v1, 0
	s_delay_alu instid0(VALU_DEP_1)
	v_mov_b32_e32 v2, v1
	ds_store_b64 v1, v[1:2] offset:4096
; %bb.16:
	s_or_b32 exec_lo, exec_lo, s1
	s_delay_alu instid0(SALU_CYCLE_1)
	s_mov_b32 s1, exec_lo
	s_wait_dscnt 0x0
	s_barrier_signal -1
	s_barrier_wait -1
	global_inv scope:SCOPE_SE
	v_cmpx_ne_u32_e32 0, v3
	s_cbranch_execz .LBB139_21
; %bb.17:
	v_mov_b32_e32 v1, 0
	s_mov_b32 s3, exec_lo
	s_mov_b64 s[4:5], 0
.LBB139_18:                             ; =>This Inner Loop Header: Depth=1
	s_wait_alu 0xfffe
	s_ctz_i32_b32 s7, s3
	s_wait_alu 0xfffe
	v_readlane_b32 s9, v1, s7
	v_readlane_b32 s8, v3, s7
	s_lshl_b32 s7, 1, s7
	s_wait_alu 0xfffe
	s_and_not1_b32 s3, s3, s7
	s_wait_alu 0xfffe
	s_cmp_lg_u32 s3, 0
	s_add_nc_u64 s[4:5], s[4:5], s[8:9]
	s_cbranch_scc1 .LBB139_18
; %bb.19:
	v_mbcnt_lo_u32_b32 v1, exec_lo, 0
	s_mov_b32 s3, exec_lo
	s_delay_alu instid0(VALU_DEP_1)
	v_cmpx_eq_u32_e32 0, v1
	s_wait_alu 0xfffe
	s_xor_b32 s3, exec_lo, s3
; %bb.20:
	v_mov_b32_e32 v1, s4
	v_dual_mov_b32 v3, 0 :: v_dual_mov_b32 v2, s5
	ds_add_u64 v3, v[1:2] offset:4096
.LBB139_21:
	s_or_b32 exec_lo, exec_lo, s1
	v_mov_b32_e32 v1, 0
	s_wait_loadcnt_dscnt 0x0
	s_barrier_signal -1
	s_barrier_wait -1
	global_inv scope:SCOPE_SE
	ds_load_b64 v[1:2], v1 offset:4096
	s_bitcmp1_b32 s31, 0
	s_mov_b32 s11, s28
	s_cselect_b32 s3, -1, 0
	s_wait_dscnt 0x0
	v_readfirstlane_b32 s4, v1
	v_readfirstlane_b32 s5, v2
	s_wait_alu 0xf1ff
	s_delay_alu instid0(VALU_DEP_1) | instskip(SKIP_2) | instid1(SALU_CYCLE_1)
	v_cmp_lt_i64_e64 s1, s[4:5], 1
	s_wait_alu 0xfffe
	s_or_b32 s1, s3, s1
	s_and_not1_b32 vcc_lo, exec_lo, s1
	s_wait_alu 0xfffe
	s_cbranch_vccnz .LBB139_23
; %bb.22:
	s_not_b64 s[4:5], s[4:5]
	s_mov_b32 s29, 0
	s_wait_alu 0xfffe
	s_add_nc_u64 s[4:5], s[4:5], s[28:29]
	s_mov_b32 s9, s29
	s_wait_alu 0xfffe
	s_lshr_b32 s8, s5, 31
	s_wait_alu 0xfffe
	s_add_nc_u64 s[4:5], s[4:5], s[8:9]
	s_wait_alu 0xfffe
	s_lshr_b64 s[4:5], s[4:5], 1
	s_wait_alu 0xfffe
	s_add_co_i32 s11, s4, 1
.LBB139_23:
	s_and_saveexec_b32 s1, s0
	s_cbranch_execz .LBB139_25
; %bb.24:
	v_dual_mov_b32 v1, 0 :: v_dual_mov_b32 v2, s28
	ds_store_b32 v1, v1 offset:4112
	ds_store_b64 v1, v[1:2] offset:4104
.LBB139_25:
	s_or_b32 exec_lo, exec_lo, s1
	s_wait_loadcnt_dscnt 0x0
	s_barrier_signal -1
	s_barrier_wait -1
	global_inv scope:SCOPE_SE
	s_load_b32 s5, s[12:13], 0xc
	v_dual_mov_b32 v7, 0 :: v_dual_lshlrev_b32 v14, 2, v0
	v_mbcnt_lo_u32_b32 v15, -1, 0
	v_mul_lo_u32 v5, s30, v0
	v_cmp_gt_u32_e32 vcc_lo, 32, v0
	v_dual_mov_b32 v35, s11 :: v_dual_lshlrev_b32 v16, 1, v0
	s_delay_alu instid0(VALU_DEP_4) | instskip(SKIP_2) | instid1(VALU_DEP_4)
	v_cmp_gt_i32_e64 s4, 4, v15
	v_mov_b32_e32 v6, v7
	v_lshlrev_b64_e64 v[3:4], v15, -1
	v_dual_mov_b32 v34, 0 :: v_dual_add_nc_u32 v17, 0xc00, v16
	s_and_b32 s50, vcc_lo, s4
	s_delay_alu instid0(VALU_DEP_3) | instskip(SKIP_1) | instid1(VALU_DEP_3)
	v_lshlrev_b64_e32 v[1:2], 1, v[5:6]
	s_mov_b32 s31, s30
	v_not_b32_e32 v18, v3
	s_wait_alu 0xfffe
	v_mad_co_u64_u32 v[12:13], null, s30, v14, s[30:31]
	v_cmp_gt_u32_e64 s1, 2, v0
	s_wait_kmcnt 0x0
	s_and_b32 s29, s5, 0xffff
	s_bfe_u32 s4, s5, 0xb0005
	s_wait_alu 0xfffe
	s_lshl_b32 s52, s29, 2
	s_add_co_i32 s51, s29, -1
	s_cvt_f32_u32 s5, s52
	s_add_co_i32 s10, s51, s28
	v_add_co_u32 v8, vcc_lo, s34, v1
	s_wait_alu 0xfffe
	v_rcp_iflag_f32_e32 v3, s5
	s_cmp_gt_u32 s28, 0x600
	s_wait_alu 0xfffd
	v_add_co_ci_u32_e64 v9, null, s35, v2, vcc_lo
	v_lshrrev_b32_e32 v2, 1, v0
	s_cselect_b32 s53, -1, 0
	s_cmp_gt_u32 s29, 31
	s_movk_i32 s5, 0x1f0
	s_cselect_b32 s55, -1, 0
	s_cmp_lt_u32 ttmp9, s6
	s_wait_alu 0xfffe
	v_and_or_b32 v19, v2, s5, 0xc00
	s_cselect_b32 s40, 12, 18
	s_add_co_i32 s5, s4, -1
	v_readfirstlane_b32 s6, v3
	s_wait_alu 0xfffe
	s_and_b32 s5, s5, 0xffff
	s_bfe_u32 s56, s29, 0x30005
	s_wait_alu 0xfffe
	s_cmp_gt_u32 s5, 6
	s_cvt_f32_u32 s5, s29
	s_cselect_b32 s57, -1, 0
	s_and_b32 s58, s4, 0x7f8
	s_mul_f32 s4, s6, 0x4f7ffffe
	s_cmp_lg_u32 s56, 0
	s_wait_alu 0xfffe
	v_rcp_iflag_f32_e32 v4, s5
	s_cselect_b32 s59, -1, 0
	s_cvt_u32_f32 s4, s4
	s_sub_co_i32 s6, 0, s52
	v_add_nc_u32_e32 v1, 2, v0
	v_mov_b32_e32 v31, 0x8000
	s_wait_alu 0xfffe
	s_mul_i32 s6, s6, s4
	v_mov_b32_e32 v13, 0
	s_wait_alu 0xfffe
	s_mul_hi_u32 s5, s4, s6
	v_max_u32_e32 v1, s28, v1
	s_wait_alu 0xfffe
	s_add_co_i32 s42, s4, s5
	v_readfirstlane_b32 s6, v4
	s_mul_hi_u32 s5, s28, s42
	v_mov_b32_e32 v32, 0
	s_wait_alu 0xfffe
	s_mul_i32 s5, s5, s52
	v_xad_u32 v1, v0, -1, v1
	s_wait_alu 0xfffe
	s_sub_co_i32 s5, s28, s5
	s_mul_f32 s6, s6, 0x4f7ffffe
	s_wait_alu 0xfffe
	s_sub_co_i32 s7, s5, s52
	s_cmp_ge_u32 s5, s52
	v_add_nc_u32_e32 v2, -2, v1
	s_wait_alu 0xfffe
	s_cselect_b32 s7, s7, s5
	s_cvt_u32_f32 s6, s6
	s_wait_alu 0xfffe
	s_sub_co_i32 s8, s7, s52
	s_cmp_ge_u32 s7, s52
	v_and_b32_e32 v20, -2, v1
	s_wait_alu 0xfffe
	s_cselect_b32 s14, s8, s7
	s_sub_co_i32 s7, 0, s29
	s_wait_alu 0xfffe
	s_sub_co_i32 s60, s28, s14
	s_mul_i32 s7, s7, s6
	v_add_nc_u32_e32 v22, s60, v0
	s_wait_alu 0xfffe
	s_mul_hi_u32 s7, s6, s7
	v_lshrrev_b32_e32 v3, 1, v2
	s_wait_alu 0xfffe
	s_add_co_i32 s44, s6, s7
	v_cmp_lt_u32_e64 s4, 31, v1
	v_mul_lo_u32 v6, v22, s30
	s_mul_hi_u32 s7, s10, s44
	v_cmp_lt_u32_e64 s5, 13, v2
	s_wait_alu 0xfffe
	s_mul_i32 s8, s7, s29
	v_cmp_ne_u32_e64 s7, v1, v20
	s_wait_alu 0xfffe
	s_sub_co_i32 s9, s10, s8
	v_add_nc_u32_e32 v3, 1, v3
	s_wait_alu 0xfffe
	s_sub_co_i32 s15, s9, s29
	v_lshlrev_b64_e32 v[1:2], 1, v[6:7]
	s_cmp_ge_u32 s9, s29
	v_cmp_eq_u32_e64 s3, 0, v15
	s_wait_alu 0xfffe
	s_cselect_b32 s15, s15, s9
	v_dual_mov_b32 v33, 0 :: v_dual_and_b32 v4, 7, v3
	v_add_co_u32 v10, vcc_lo, s34, v1
	v_add3_u32 v1, s29, s28, v0
	v_and_b32_e32 v23, -8, v3
	s_wait_alu 0xfffd
	v_add_co_ci_u32_e64 v11, null, s35, v2, vcc_lo
	v_or_b32_e32 v2, 2, v14
	v_or_b32_e32 v3, 3, v14
	v_subrev_nc_u32_e32 v1, s14, v1
	s_wait_alu 0xfffe
	s_sub_co_i32 s16, s15, s29
	s_cmp_ge_u32 s15, s29
	v_mul_lo_u32 v25, s30, v2
	s_cselect_b32 s15, s16, s15
	v_mul_lo_u32 v26, s30, v3
	v_mul_lo_u32 v28, s30, v1
	s_wait_alu 0xfffe
	s_sub_co_i32 s61, s10, s15
	v_add_nc_u32_e32 v21, v0, v20
	v_cmp_ne_u32_e64 s6, 0, v4
	v_cmp_gt_u32_e64 s8, s60, v14
	v_cmp_gt_u32_e64 s9, s28, v22
	s_wait_alu 0xfffe
	v_cmp_gt_u32_e64 s10, s61, v0
	v_lshlrev_b32_e32 v24, 2, v4
	v_lshlrev_b32_e32 v27, 2, v5
	;; [unrolled: 1-line block ×3, first 2 shown]
	v_lshl_or_b32 v30, v15, 2, 0xc00
	s_mov_b32 s41, 0
	s_mul_i32 s54, s30, s29
	s_mov_b32 s43, s41
	s_mov_b32 s45, s41
	s_lshl_b32 s62, s54, 2
	s_lshl_b32 s63, s29, 3
	;; [unrolled: 1-line block ×3, first 2 shown]
	s_mov_b32 s73, 14
	s_add_nc_u64 s[46:47], s[12:13], s[40:41]
	s_movk_i32 s66, 0x3f80
	s_mov_b32 s65, 0
                                        ; implicit-def: $sgpr70
                                        ; implicit-def: $sgpr72
                                        ; implicit-def: $sgpr67
                                        ; implicit-def: $sgpr69
                                        ; implicit-def: $sgpr71
                                        ; implicit-def: $sgpr68
	s_branch .LBB139_29
.LBB139_26:                             ;   in Loop: Header=BB139_29 Depth=1
	s_wait_alu 0xfffe
	s_or_b32 exec_lo, exec_lo, s15
	s_delay_alu instid0(SALU_CYCLE_1)
	s_and_b32 s12, s12, exec_lo
	s_and_not1_b32 s17, s17, exec_lo
	s_and_not1_b32 s16, s16, exec_lo
	s_or_not1_b32 s14, s14, exec_lo
.LBB139_27:                             ;   in Loop: Header=BB139_29 Depth=1
	s_wait_alu 0xfffe
	s_or_b32 exec_lo, exec_lo, s11
	s_delay_alu instid0(SALU_CYCLE_1)
	s_and_not1_b32 s11, s68, exec_lo
	s_and_b32 s12, s12, exec_lo
	s_and_not1_b32 s15, s69, exec_lo
	s_wait_alu 0xfffe
	s_or_b32 s68, s11, s12
	s_and_not1_b32 s11, s71, exec_lo
	s_and_b32 s12, s17, exec_lo
	s_and_b32 s16, s16, exec_lo
	s_wait_alu 0xfffe
	s_or_b32 s71, s11, s12
	s_or_b32 s69, s15, s16
	s_or_not1_b32 s15, s14, exec_lo
.LBB139_28:                             ;   in Loop: Header=BB139_29 Depth=1
	s_wait_alu 0xfffe
	s_or_b32 exec_lo, exec_lo, s13
	s_delay_alu instid0(SALU_CYCLE_1)
	s_and_b32 s11, exec_lo, s15
	v_mov_b32_e32 v35, v2
	s_wait_alu 0xfffe
	s_or_b32 s65, s11, s65
	s_and_not1_b32 s11, s67, exec_lo
	s_and_b32 s12, s68, exec_lo
	s_and_not1_b32 s13, s72, exec_lo
	s_wait_alu 0xfffe
	s_or_b32 s67, s11, s12
	s_and_b32 s11, s71, exec_lo
	s_and_not1_b32 s12, s70, exec_lo
	s_and_b32 s14, s69, exec_lo
	s_wait_alu 0xfffe
	s_or_b32 s72, s13, s11
	s_or_b32 s70, s12, s14
	s_mov_b32 s73, s22
	s_and_not1_b32 exec_lo, exec_lo, s65
	s_cbranch_execz .LBB139_264
.LBB139_29:                             ; =>This Loop Header: Depth=1
                                        ;     Child Loop BB139_34 Depth 2
                                        ;     Child Loop BB139_55 Depth 2
                                        ;     Child Loop BB139_59 Depth 2
                                        ;     Child Loop BB139_65 Depth 2
                                        ;     Child Loop BB139_97 Depth 2
                                        ;     Child Loop BB139_101 Depth 2
                                        ;     Child Loop BB139_86 Depth 2
                                        ;     Child Loop BB139_91 Depth 2
                                        ;     Child Loop BB139_82 Depth 2
                                        ;     Child Loop BB139_106 Depth 2
                                        ;     Child Loop BB139_116 Depth 2
                                        ;     Child Loop BB139_127 Depth 2
                                        ;     Child Loop BB139_153 Depth 2
                                        ;     Child Loop BB139_164 Depth 2
                                        ;     Child Loop BB139_190 Depth 2
                                        ;     Child Loop BB139_201 Depth 2
                                        ;     Child Loop BB139_227 Depth 2
                                        ;     Child Loop BB139_238 Depth 2
	ds_load_b64 v[1:2], v7 offset:4104
	s_wait_dscnt 0x0
	v_readfirstlane_b32 s40, v1
	s_cmp_lg_u32 s40, 0
	s_cbranch_scc1 .LBB139_74
; %bb.30:                               ;   in Loop: Header=BB139_29 Depth=1
	s_and_b32 vcc_lo, exec_lo, s53
	s_wait_alu 0xfffe
	s_cbranch_vccz .LBB139_42
; %bb.31:                               ;   in Loop: Header=BB139_29 Depth=1
	v_cmp_gt_u32_e32 vcc_lo, 0x601, v2
	s_mov_b32 s13, 0
	s_mov_b32 s11, 0
	s_cbranch_vccz .LBB139_43
; %bb.32:                               ;   in Loop: Header=BB139_29 Depth=1
	global_load_u16 v1, v[8:9], off
	s_load_u16 s14, s[46:47], 0x0
	s_mov_b32 s15, 0
	s_wait_kmcnt 0x0
	v_add_nc_u32_e32 v2, s14, v0
	s_mul_i32 s16, s30, s14
	s_delay_alu instid0(VALU_DEP_1)
	v_mul_lo_u32 v6, s30, v2
	v_mov_b32_e32 v2, v0
	s_branch .LBB139_34
.LBB139_33:                             ;   in Loop: Header=BB139_34 Depth=2
	s_wait_alu 0xfffe
	s_or_b32 exec_lo, exec_lo, s12
	v_dual_mov_b32 v1, v3 :: v_dual_add_nc_u32 v6, s16, v6
	s_and_not1_b32 exec_lo, exec_lo, s15
	s_cbranch_execz .LBB139_49
.LBB139_34:                             ;   Parent Loop BB139_29 Depth=1
                                        ; =>  This Inner Loop Header: Depth=2
	s_delay_alu instid0(VALU_DEP_1) | instskip(SKIP_3) | instid1(VALU_DEP_2)
	v_dual_mov_b32 v3, 0 :: v_dual_add_nc_u32 v2, s14, v2
	s_wait_dscnt 0x0
	v_mov_b32_e32 v4, 0
	s_mov_b32 s12, exec_lo
	v_cmp_le_u32_e32 vcc_lo, s28, v2
	v_cmpx_gt_u32_e64 s28, v2
	s_cbranch_execz .LBB139_36
; %bb.35:                               ;   in Loop: Header=BB139_34 Depth=2
	v_lshlrev_b64_e32 v[36:37], 1, v[6:7]
	s_delay_alu instid0(VALU_DEP_1) | instskip(SKIP_1) | instid1(VALU_DEP_2)
	v_add_co_u32 v36, s11, s34, v36
	s_wait_alu 0xf1ff
	v_add_co_ci_u32_e64 v37, null, s35, v37, s11
	global_load_u16 v3, v[36:37], off
.LBB139_36:                             ;   in Loop: Header=BB139_34 Depth=2
	s_wait_alu 0xfffe
	s_or_b32 exec_lo, exec_lo, s12
	s_wait_loadcnt 0x0
	v_cmp_lt_i16_e64 s11, -1, v1
	v_and_b32_e32 v36, 0xffff, v1
	v_lshlrev_b32_e32 v38, 16, v1
	s_wait_alu 0xf1ff
	s_delay_alu instid0(VALU_DEP_3) | instskip(NEXT) | instid1(VALU_DEP_2)
	v_cndmask_b32_e64 v37, 0xffff, v31, s11
	v_cmp_o_f32_e64 s11, v38, v38
	s_delay_alu instid0(VALU_DEP_2) | instskip(SKIP_1) | instid1(VALU_DEP_1)
	v_xor_b32_e32 v36, v37, v36
	s_wait_alu 0xf1ff
	v_cndmask_b32_e64 v36, 0xffff, v36, s11
	s_delay_alu instid0(VALU_DEP_1) | instskip(NEXT) | instid1(VALU_DEP_1)
	v_and_b32_e32 v36, v36, v33
	v_cmp_eq_u32_e64 s11, v36, v13
	s_cmp_lg_u32 s11, 0
	s_cselect_b32 s12, -1, 0
	s_wait_alu 0xfffe
	s_and_b32 s12, s3, s12
	s_wait_alu 0xfffe
	s_and_saveexec_b32 s17, s12
	s_cbranch_execz .LBB139_40
; %bb.37:                               ;   in Loop: Header=BB139_34 Depth=2
	s_mov_b32 s20, exec_lo
	s_bcnt1_i32_b32 s18, s11
	s_wait_alu 0xfffe
	v_mbcnt_lo_u32_b32 v4, s20, 0
	s_mov_b32 s19, exec_lo
                                        ; implicit-def: $vgpr36
	s_delay_alu instid0(VALU_DEP_1)
	v_cmpx_eq_u32_e32 0, v4
; %bb.38:                               ;   in Loop: Header=BB139_34 Depth=2
	s_bcnt1_i32_b32 s12, s20
	s_wait_alu 0xfffe
	s_mul_i32 s12, s18, s12
	s_wait_alu 0xfffe
	v_mov_b32_e32 v36, s12
	ds_add_rtn_u32 v36, v7, v36 offset:4112
; %bb.39:                               ;   in Loop: Header=BB139_34 Depth=2
	s_or_b32 exec_lo, exec_lo, s19
	s_wait_dscnt 0x0
	v_readfirstlane_b32 s12, v36
	s_wait_alu 0xf1ff
	s_delay_alu instid0(VALU_DEP_1)
	v_mad_u32_u24 v4, s18, v4, s12
.LBB139_40:                             ;   in Loop: Header=BB139_34 Depth=2
	s_wait_alu 0xfffe
	s_or_b32 exec_lo, exec_lo, s17
	ds_bpermute_b32 v4, v7, v4
	s_and_b32 s12, exec_lo, vcc_lo
	s_wait_alu 0xfffe
	s_or_b32 s15, s12, s15
	s_and_saveexec_b32 s12, s11
	s_cbranch_execz .LBB139_33
; %bb.41:                               ;   in Loop: Header=BB139_34 Depth=2
	v_and_b32_e32 v36, s11, v18
	s_delay_alu instid0(VALU_DEP_1) | instskip(NEXT) | instid1(VALU_DEP_1)
	v_bcnt_u32_b32 v36, v36, 0
	v_lshlrev_b32_e32 v36, 1, v36
	s_wait_dscnt 0x0
	s_delay_alu instid0(VALU_DEP_1)
	v_lshl_add_u32 v4, v4, 1, v36
	ds_store_b16 v4, v1
	s_branch .LBB139_33
.LBB139_42:                             ;   in Loop: Header=BB139_29 Depth=1
	s_mov_b32 s13, -1
	s_mov_b32 s11, 0
.LBB139_43:                             ;   in Loop: Header=BB139_29 Depth=1
	s_wait_alu 0xfffe
	s_and_b32 vcc_lo, exec_lo, s13
	s_wait_alu 0xfffe
	s_cbranch_vccz .LBB139_72
.LBB139_44:                             ;   in Loop: Header=BB139_29 Depth=1
	s_and_saveexec_b32 s12, s2
	s_cbranch_execz .LBB139_69
; %bb.45:                               ;   in Loop: Header=BB139_29 Depth=1
	global_load_u16 v36, v[8:9], off
	s_load_u16 s14, s[46:47], 0x0
	v_mov_b32_e32 v3, v0
	s_mov_b32 s13, exec_lo
	s_wait_kmcnt 0x0
	v_add_nc_u32_e32 v1, s14, v0
	s_delay_alu instid0(VALU_DEP_1)
	v_cmpx_gt_u32_e64 s28, v1
	s_cbranch_execz .LBB139_68
; %bb.46:                               ;   in Loop: Header=BB139_29 Depth=1
	s_mov_b32 s11, 0
	s_mul_i32 s15, s30, s14
                                        ; implicit-def: $vgpr3
                                        ; implicit-def: $vgpr2
                                        ; implicit-def: $vgpr4
	s_and_saveexec_b32 s16, s4
	s_wait_alu 0xfffe
	s_xor_b32 s16, exec_lo, s16
	s_cbranch_execnz .LBB139_52
; %bb.47:                               ;   in Loop: Header=BB139_29 Depth=1
	s_wait_alu 0xfffe
	s_and_not1_saveexec_b32 s16, s16
	s_cbranch_execnz .LBB139_63
.LBB139_48:                             ;   in Loop: Header=BB139_29 Depth=1
	s_wait_alu 0xfffe
	s_or_b32 exec_lo, exec_lo, s16
	s_and_saveexec_b32 s15, s11
	s_cbranch_execnz .LBB139_64
	s_branch .LBB139_67
.LBB139_49:                             ;   in Loop: Header=BB139_29 Depth=1
	s_or_b32 exec_lo, exec_lo, s15
	s_wait_dscnt 0x0
	s_barrier_signal -1
	s_barrier_wait -1
	global_inv scope:SCOPE_SE
	s_and_saveexec_b32 s11, s0
	s_cbranch_execz .LBB139_51
; %bb.50:                               ;   in Loop: Header=BB139_29 Depth=1
	ds_load_b32 v1, v7 offset:4112
	s_wait_dscnt 0x0
	ds_store_b32 v7, v1 offset:4104
.LBB139_51:                             ;   in Loop: Header=BB139_29 Depth=1
	s_wait_alu 0xfffe
	s_or_b32 exec_lo, exec_lo, s11
	s_wait_loadcnt_dscnt 0x0
	s_barrier_signal -1
	s_mov_b32 s11, -1
	s_barrier_wait -1
	s_and_b32 vcc_lo, exec_lo, s13
	s_wait_alu 0xfffe
	s_cbranch_vccnz .LBB139_44
	s_branch .LBB139_72
.LBB139_52:                             ;   in Loop: Header=BB139_29 Depth=1
	v_add_nc_u32_e32 v2, s14, v1
	s_cvt_f32_u32 s11, s14
	s_wait_alu 0xfffe
	s_delay_alu instid0(SALU_CYCLE_2) | instskip(NEXT) | instid1(VALU_DEP_1)
	v_rcp_iflag_f32_e32 v3, s11
	v_max_u32_e32 v2, s28, v2
	s_lshl_b32 s11, s14, 1
	s_delay_alu instid0(VALU_DEP_1) | instskip(NEXT) | instid1(TRANS32_DEP_1)
	v_sub_nc_u32_e32 v2, v2, v0
	v_readfirstlane_b32 s17, v3
	s_wait_alu 0xfffe
	s_delay_alu instid0(VALU_DEP_2) | instskip(SKIP_3) | instid1(VALU_DEP_1)
	v_cmp_ne_u32_e32 vcc_lo, s11, v2
	s_mul_f32 s17, s17, 0x4f7ffffe
	s_wait_alu 0xfffd
	v_cndmask_b32_e64 v3, 0, 1, vcc_lo
	v_or_b32_e32 v3, s11, v3
	s_wait_alu 0xfffe
	s_cvt_u32_f32 s11, s17
	s_sub_co_i32 s17, 0, s14
	s_wait_alu 0xfffe
	s_delay_alu instid0(SALU_CYCLE_1)
	s_mul_i32 s17, s17, s11
	v_sub_nc_u32_e32 v2, v2, v3
	s_wait_alu 0xfffe
	s_mul_hi_u32 s17, s11, s17
	s_wait_alu 0xfffe
	s_add_co_i32 s11, s11, s17
	s_not_b32 s17, s15
	s_wait_alu 0xfffe
	v_mul_hi_u32 v3, v2, s11
	s_delay_alu instid0(VALU_DEP_1) | instskip(NEXT) | instid1(VALU_DEP_1)
	v_mul_lo_u32 v4, v3, s14
	v_sub_nc_u32_e32 v2, v2, v4
	v_add_nc_u32_e32 v4, 1, v3
	s_delay_alu instid0(VALU_DEP_2) | instskip(SKIP_2) | instid1(VALU_DEP_1)
	v_subrev_nc_u32_e32 v6, s14, v2
	v_cmp_le_u32_e64 s11, s14, v2
	s_wait_alu 0xf1ff
	v_cndmask_b32_e64 v3, v3, v4, s11
	s_delay_alu instid0(VALU_DEP_3) | instskip(NEXT) | instid1(VALU_DEP_2)
	v_cndmask_b32_e64 v2, v2, v6, s11
	v_add_nc_u32_e32 v4, 1, v3
	s_delay_alu instid0(VALU_DEP_2) | instskip(SKIP_1) | instid1(VALU_DEP_1)
	v_cmp_le_u32_e64 s11, s14, v2
	s_wait_alu 0xf1ff
	v_cndmask_b32_e64 v2, v3, v4, s11
	v_mul_lo_u32 v3, s30, v1
	s_abs_i32 s11, s15
	s_delay_alu instid0(VALU_DEP_2) | instskip(SKIP_1) | instid1(VALU_DEP_1)
	v_add_co_ci_u32_e64 v2, null, 0, v2, vcc_lo
	s_wait_alu 0xfffe
	v_mul_hi_u32 v4, s11, v2
	v_mul_lo_u32 v2, s11, v2
	s_ashr_i32 s11, s17, 31
	s_cmp_eq_u32 s14, 1
	s_wait_alu 0xfffe
	v_xor_b32_e32 v3, s11, v3
	s_cselect_b32 s17, -1, 0
	s_delay_alu instid0(VALU_DEP_3) | instskip(NEXT) | instid1(VALU_DEP_2)
	v_cmp_eq_u32_e32 vcc_lo, 0, v4
	v_cmp_le_u32_e64 s11, v2, v3
	v_mov_b32_e32 v2, v0
                                        ; implicit-def: $vgpr3
	s_wait_alu 0xfffe
	s_and_b32 s17, vcc_lo, s17
	s_wait_alu 0xfffe
	s_and_b32 s18, s17, s11
	s_mov_b32 s17, -1
	s_wait_alu 0xfffe
	s_and_saveexec_b32 s11, s18
	s_cbranch_execz .LBB139_62
; %bb.53:                               ;   in Loop: Header=BB139_29 Depth=1
	v_add_nc_u32_e32 v2, 1, v1
	s_wait_loadcnt 0x0
	v_dual_mov_b32 v6, 0 :: v_dual_lshlrev_b32 v39, 16, v36
                                        ; implicit-def: $vgpr36
	s_delay_alu instid0(VALU_DEP_2)
	v_dual_mov_b32 v4, v2 :: v_dual_mov_b32 v3, v1
	s_and_saveexec_b32 s17, s5
	s_cbranch_execz .LBB139_57
; %bb.54:                               ;   in Loop: Header=BB139_29 Depth=1
	v_dual_mov_b32 v37, v23 :: v_dual_mov_b32 v38, v16
	v_dual_mov_b32 v4, v2 :: v_dual_mov_b32 v3, v1
	s_mov_b32 s18, 0
	s_mov_b32 s19, 0
.LBB139_55:                             ;   Parent Loop BB139_29 Depth=1
                                        ; =>  This Inner Loop Header: Depth=2
	s_delay_alu instid0(VALU_DEP_1) | instskip(NEXT) | instid1(VALU_DEP_2)
	v_add_nc_u32_e32 v2, 2, v4
	v_mul_lo_u32 v6, v3, s30
	v_add_nc_u32_e32 v36, 4, v4
	v_mul_lo_u32 v41, v4, s31
	v_mov_b32_e32 v42, v7
	v_lshrrev_b32_e32 v40, 16, v39
	v_add_nc_u32_e32 v39, 6, v4
	v_mul_lo_u32 v43, v2, s31
	v_dual_mov_b32 v44, v7 :: v_dual_add_nc_u32 v49, 8, v4
	v_mul_lo_u32 v45, v36, s31
	v_dual_mov_b32 v46, v7 :: v_dual_add_nc_u32 v51, 10, v4
	v_mul_lo_u32 v47, v39, s31
	v_lshlrev_b64_e32 v[53:54], 1, v[6:7]
	v_mul_lo_u32 v49, v49, s31
	v_lshlrev_b64_e32 v[41:42], 1, v[41:42]
	v_dual_mov_b32 v48, v7 :: v_dual_add_nc_u32 v39, 6, v3
	v_mul_lo_u32 v51, v51, s31
	v_lshlrev_b64_e32 v[43:44], 1, v[43:44]
	v_dual_mov_b32 v50, v7 :: v_dual_add_nc_u32 v55, 8, v3
	v_lshlrev_b64_e32 v[45:46], 1, v[45:46]
	v_add_co_u32 v53, vcc_lo, s34, v53
	v_dual_mov_b32 v52, v7 :: v_dual_add_nc_u32 v57, 10, v3
	v_lshlrev_b64_e32 v[47:48], 1, v[47:48]
	s_wait_alu 0xfffd
	v_add_co_ci_u32_e64 v54, null, s35, v54, vcc_lo
	v_add_co_u32 v41, vcc_lo, s34, v41
	v_lshlrev_b64_e32 v[49:50], 1, v[49:50]
	s_wait_alu 0xfffd
	v_add_co_ci_u32_e64 v42, null, s35, v42, vcc_lo
	v_add_co_u32 v43, vcc_lo, s34, v43
	;; [unrolled: 4-line block ×3, first 2 shown]
	s_wait_alu 0xfffd
	v_add_co_ci_u32_e64 v46, null, s35, v46, vcc_lo
	v_add_co_u32 v47, vcc_lo, s34, v47
	s_wait_alu 0xfffd
	v_add_co_ci_u32_e64 v48, null, s35, v48, vcc_lo
	v_add_co_u32 v49, vcc_lo, s34, v49
	;; [unrolled: 3-line block ×3, first 2 shown]
	s_wait_alu 0xfffd
	v_add_co_ci_u32_e64 v52, null, s35, v52, vcc_lo
	s_clause 0x6
	global_load_d16_hi_b16 v40, v[53:54], off
	global_load_u16 v41, v[41:42], off
	global_load_u16 v42, v[43:44], off
	;; [unrolled: 1-line block ×6, first 2 shown]
	v_add_nc_u32_e32 v2, 2, v3
	v_add_nc_u32_e32 v6, 12, v4
	v_dual_mov_b32 v50, v7 :: v_dual_add_nc_u32 v49, 14, v4
	v_add_nc_u32_e32 v36, 4, v3
	v_dual_mov_b32 v48, v7 :: v_dual_add_nc_u32 v59, 12, v3
	s_delay_alu instid0(VALU_DEP_4)
	v_mul_lo_u32 v47, v6, s31
	v_mul_lo_u32 v6, v2, s30
	;; [unrolled: 1-line block ×3, first 2 shown]
	s_wait_alu 0xfffe
	s_add_co_i32 s19, s19, 16
	v_add_nc_u32_e32 v61, 14, v3
	v_add_nc_u32_e32 v37, -8, v37
	v_add_nc_u32_e32 v4, 16, v4
	v_add_nc_u32_e32 v3, 16, v3
	v_lshlrev_b64_e32 v[47:48], 1, v[47:48]
	v_lshlrev_b64_e32 v[51:52], 1, v[6:7]
	v_mul_lo_u32 v6, v36, s30
	v_lshlrev_b64_e32 v[49:50], 1, v[49:50]
	s_delay_alu instid0(VALU_DEP_4) | instskip(SKIP_2) | instid1(VALU_DEP_4)
	v_add_co_u32 v47, vcc_lo, s34, v47
	s_wait_alu 0xfffd
	v_add_co_ci_u32_e64 v48, null, s35, v48, vcc_lo
	v_lshlrev_b64_e32 v[53:54], 1, v[6:7]
	v_mul_lo_u32 v6, v39, s30
	v_add_co_u32 v49, vcc_lo, s34, v49
	s_wait_alu 0xfffd
	v_add_co_ci_u32_e64 v50, null, s35, v50, vcc_lo
	v_add_co_u32 v51, vcc_lo, s34, v51
	s_wait_alu 0xfffd
	v_add_co_ci_u32_e64 v52, null, s35, v52, vcc_lo
	global_load_u16 v2, v[47:48], off
	v_add_co_u32 v47, vcc_lo, s34, v53
	s_wait_alu 0xfffd
	v_add_co_ci_u32_e64 v48, null, s35, v54, vcc_lo
	v_lshlrev_b64_e32 v[53:54], 1, v[6:7]
	v_mul_lo_u32 v6, v55, s30
	s_delay_alu instid0(VALU_DEP_2) | instskip(SKIP_1) | instid1(VALU_DEP_3)
	v_add_co_u32 v53, vcc_lo, s34, v53
	s_wait_alu 0xfffd
	v_add_co_ci_u32_e64 v54, null, s35, v54, vcc_lo
	s_delay_alu instid0(VALU_DEP_3) | instskip(SKIP_1) | instid1(VALU_DEP_2)
	v_lshlrev_b64_e32 v[55:56], 1, v[6:7]
	v_mul_lo_u32 v6, v57, s30
	v_add_co_u32 v55, vcc_lo, s34, v55
	s_wait_alu 0xfffd
	s_delay_alu instid0(VALU_DEP_3) | instskip(NEXT) | instid1(VALU_DEP_3)
	v_add_co_ci_u32_e64 v56, null, s35, v56, vcc_lo
	v_lshlrev_b64_e32 v[57:58], 1, v[6:7]
	v_mul_lo_u32 v6, v59, s30
	s_delay_alu instid0(VALU_DEP_2) | instskip(SKIP_1) | instid1(VALU_DEP_3)
	v_add_co_u32 v57, vcc_lo, s34, v57
	s_wait_alu 0xfffd
	v_add_co_ci_u32_e64 v58, null, s35, v58, vcc_lo
	s_delay_alu instid0(VALU_DEP_3) | instskip(SKIP_1) | instid1(VALU_DEP_2)
	v_lshlrev_b64_e32 v[59:60], 1, v[6:7]
	v_mul_lo_u32 v6, v61, s30
	v_add_co_u32 v59, vcc_lo, s34, v59
	s_wait_alu 0xfffd
	s_delay_alu instid0(VALU_DEP_3) | instskip(NEXT) | instid1(VALU_DEP_3)
	v_add_co_ci_u32_e64 v60, null, s35, v60, vcc_lo
	v_lshlrev_b64_e32 v[61:62], 1, v[6:7]
	s_wait_alu 0xfffe
	v_mov_b32_e32 v6, s19
	s_delay_alu instid0(VALU_DEP_2) | instskip(SKIP_1) | instid1(VALU_DEP_3)
	v_add_co_u32 v61, vcc_lo, s34, v61
	s_wait_alu 0xfffd
	v_add_co_ci_u32_e64 v62, null, s35, v62, vcc_lo
	v_cmp_eq_u32_e32 vcc_lo, 0, v37
	s_wait_loadcnt 0x6
	global_load_d16_hi_b16 v41, v[51:52], off
	s_wait_loadcnt 0x6
	global_load_d16_hi_b16 v42, v[47:48], off
	;; [unrolled: 2-line block ×3, first 2 shown]
	s_wait_loadcnt 0x6
	s_clause 0x1
	global_load_d16_hi_b16 v44, v[55:56], off
	global_load_u16 v39, v[61:62], off
	s_wait_loadcnt 0x7
	global_load_d16_hi_b16 v45, v[57:58], off
	s_wait_loadcnt 0x7
	s_clause 0x1
	global_load_d16_hi_b16 v46, v[59:60], off
	global_load_u16 v36, v[49:50], off
	s_or_b32 s18, vcc_lo, s18
	s_wait_loadcnt 0x3
	v_perm_b32 v47, v39, v2, 0x5040100
	ds_store_b128 v38, v[40:43]
	s_wait_loadcnt 0x1
	ds_store_b128 v38, v[44:47] offset:16
	s_wait_loadcnt 0x0
	v_perm_b32 v39, v36, v39, 0x5040100
	v_add_nc_u32_e32 v38, 32, v38
	s_wait_alu 0xfffe
	s_and_not1_b32 exec_lo, exec_lo, s18
	s_cbranch_execnz .LBB139_55
; %bb.56:                               ;   in Loop: Header=BB139_29 Depth=1
	s_or_b32 exec_lo, exec_lo, s18
.LBB139_57:                             ;   in Loop: Header=BB139_29 Depth=1
	s_wait_alu 0xfffe
	s_or_b32 exec_lo, exec_lo, s17
	s_and_saveexec_b32 s17, s6
	s_cbranch_execz .LBB139_61
; %bb.58:                               ;   in Loop: Header=BB139_29 Depth=1
	v_lshl_add_u32 v2, v6, 1, v16
	v_mov_b32_e32 v37, v24
	s_mov_b32 s18, 0
.LBB139_59:                             ;   Parent Loop BB139_29 Depth=1
                                        ; =>  This Inner Loop Header: Depth=2
	v_mul_lo_u32 v6, v3, s30
	v_mul_lo_u32 v40, v4, s31
	v_dual_mov_b32 v41, v7 :: v_dual_add_nc_u32 v4, 2, v4
	v_add_nc_u32_e32 v37, -4, v37
	v_add_nc_u32_e32 v3, 2, v3
	v_lshlrev_b64_e32 v[42:43], 1, v[6:7]
	s_delay_alu instid0(VALU_DEP_4) | instskip(NEXT) | instid1(VALU_DEP_2)
	v_lshlrev_b64_e32 v[40:41], 1, v[40:41]
	v_add_co_u32 v42, vcc_lo, s34, v42
	s_wait_alu 0xfffd
	s_delay_alu instid0(VALU_DEP_3) | instskip(NEXT) | instid1(VALU_DEP_3)
	v_add_co_ci_u32_e64 v43, null, s35, v43, vcc_lo
	v_add_co_u32 v40, vcc_lo, s34, v40
	s_wait_alu 0xfffd
	v_add_co_ci_u32_e64 v41, null, s35, v41, vcc_lo
	s_clause 0x1
	global_load_u16 v6, v[42:43], off
	global_load_u16 v36, v[40:41], off
	v_cmp_eq_u32_e32 vcc_lo, 0, v37
	s_wait_alu 0xfffe
	s_or_b32 s18, vcc_lo, s18
	s_wait_loadcnt 0x1
	v_alignbit_b32 v38, v6, v39, 16
	s_wait_loadcnt 0x0
	v_perm_b32 v39, v36, v6, 0x5040100
	ds_store_b32 v2, v38
	v_add_nc_u32_e32 v2, 4, v2
	s_wait_alu 0xfffe
	s_and_not1_b32 exec_lo, exec_lo, s18
	s_cbranch_execnz .LBB139_59
; %bb.60:                               ;   in Loop: Header=BB139_29 Depth=1
	s_or_b32 exec_lo, exec_lo, s18
.LBB139_61:                             ;   in Loop: Header=BB139_29 Depth=1
	s_wait_alu 0xfffe
	s_or_b32 exec_lo, exec_lo, s17
	v_add_nc_u32_e32 v1, v1, v20
	s_or_not1_b32 s17, s7, exec_lo
	s_delay_alu instid0(VALU_DEP_1)
	v_dual_mov_b32 v2, v21 :: v_dual_add_nc_u32 v3, -1, v1
.LBB139_62:                             ;   in Loop: Header=BB139_29 Depth=1
	s_wait_alu 0xfffe
	s_or_b32 exec_lo, exec_lo, s11
	v_mov_b32_e32 v4, s15
	s_and_b32 s11, s17, exec_lo
	s_and_not1_saveexec_b32 s16, s16
	s_cbranch_execz .LBB139_48
.LBB139_63:                             ;   in Loop: Header=BB139_29 Depth=1
	s_wait_alu 0xfffe
	v_mov_b32_e32 v4, s15
	v_mov_b32_e32 v2, v0
	s_or_b32 s11, s11, exec_lo
	s_or_b32 exec_lo, exec_lo, s16
	s_wait_alu 0xfffe
	s_and_saveexec_b32 s15, s11
	s_cbranch_execz .LBB139_67
.LBB139_64:                             ;   in Loop: Header=BB139_29 Depth=1
	v_mul_lo_u32 v6, s30, v1
	s_mov_b32 s16, 0
	s_sub_co_i32 s11, 0, s14
.LBB139_65:                             ;   Parent Loop BB139_29 Depth=1
                                        ; =>  This Inner Loop Header: Depth=2
	s_delay_alu instid0(VALU_DEP_1) | instskip(SKIP_2) | instid1(VALU_DEP_2)
	v_lshlrev_b64_e32 v[37:38], 1, v[6:7]
	s_wait_loadcnt 0x0
	v_dual_mov_b32 v3, v36 :: v_dual_add_nc_u32 v6, v6, v4
	v_add_co_u32 v37, vcc_lo, s34, v37
	s_wait_alu 0xfffd
	s_delay_alu instid0(VALU_DEP_3) | instskip(SKIP_2) | instid1(VALU_DEP_1)
	v_add_co_ci_u32_e64 v38, null, s35, v38, vcc_lo
	global_load_u16 v36, v[37:38], off
	v_dual_mov_b32 v37, v1 :: v_dual_lshlrev_b32 v38, 1, v2
	v_dual_mov_b32 v2, v37 :: v_dual_add_nc_u32 v1, s14, v37
	ds_store_b16 v38, v3
	v_cmp_le_u32_e32 vcc_lo, s28, v1
	s_wait_alu 0xfffe
	s_or_b32 s16, vcc_lo, s16
	s_wait_alu 0xfffe
	s_and_not1_b32 exec_lo, exec_lo, s16
	s_cbranch_execnz .LBB139_65
; %bb.66:                               ;   in Loop: Header=BB139_29 Depth=1
	s_or_b32 exec_lo, exec_lo, s16
	v_add_nc_u32_e32 v3, s11, v1
.LBB139_67:                             ;   in Loop: Header=BB139_29 Depth=1
	s_wait_alu 0xfffe
	s_or_b32 exec_lo, exec_lo, s15
.LBB139_68:                             ;   in Loop: Header=BB139_29 Depth=1
	s_wait_alu 0xfffe
	s_or_b32 exec_lo, exec_lo, s13
	v_lshlrev_b32_e32 v1, 1, v3
	s_wait_loadcnt 0x0
	ds_store_b16 v1, v36
.LBB139_69:                             ;   in Loop: Header=BB139_29 Depth=1
	s_wait_alu 0xfffe
	s_or_b32 exec_lo, exec_lo, s12
	s_wait_loadcnt_dscnt 0x0
	s_barrier_signal -1
	s_barrier_wait -1
	global_inv scope:SCOPE_SE
	s_and_saveexec_b32 s11, s0
; %bb.70:                               ;   in Loop: Header=BB139_29 Depth=1
	v_mov_b32_e32 v1, s28
	ds_store_b32 v7, v1 offset:4104
; %bb.71:                               ;   in Loop: Header=BB139_29 Depth=1
	s_wait_alu 0xfffe
	s_or_b32 exec_lo, exec_lo, s11
	s_mov_b32 s11, -1
	s_wait_loadcnt_dscnt 0x0
	s_barrier_signal -1
	s_barrier_wait -1
.LBB139_72:                             ;   in Loop: Header=BB139_29 Depth=1
	s_wait_alu 0xfffe
	s_and_b32 vcc_lo, exec_lo, s11
	s_mov_b32 s40, 0
	s_wait_alu 0xfffe
	s_cbranch_vccz .LBB139_74
; %bb.73:                               ;   in Loop: Header=BB139_29 Depth=1
	s_wait_loadcnt 0x0
	global_inv scope:SCOPE_SE
	ds_load_b32 v1, v7 offset:4104
	s_wait_dscnt 0x0
	v_readfirstlane_b32 s40, v1
.LBB139_74:                             ;   in Loop: Header=BB139_29 Depth=1
	s_delay_alu instid0(VALU_DEP_1)
	s_cmp_lt_i32 s40, 1
	s_mov_b32 s11, -1
                                        ; implicit-def: $vgpr1
	s_cbranch_scc1 .LBB139_84
; %bb.75:                               ;   in Loop: Header=BB139_29 Depth=1
	s_wait_alu 0xfffe
	s_and_b32 vcc_lo, exec_lo, s11
	s_wait_alu 0xfffe
	s_cbranch_vccnz .LBB139_95
.LBB139_76:                             ;   in Loop: Header=BB139_29 Depth=1
	v_lshlrev_b32_e32 v6, 7, v32
	s_and_saveexec_b32 s11, s3
.LBB139_77:                             ;   in Loop: Header=BB139_29 Depth=1
	s_delay_alu instid0(VALU_DEP_1)
	v_lshl_add_u32 v36, v6, 2, v19
	ds_store_b128 v36, v[1:4]
.LBB139_78:                             ;   in Loop: Header=BB139_29 Depth=1
	s_wait_alu 0xfffe
	s_or_b32 exec_lo, exec_lo, s11
	s_wait_loadcnt_dscnt 0x0
	s_barrier_signal -1
	s_barrier_wait -1
	global_inv scope:SCOPE_SE
	s_and_saveexec_b32 s11, s50
	s_cbranch_execz .LBB139_108
; %bb.79:                               ;   in Loop: Header=BB139_29 Depth=1
	v_mov_b32_e32 v1, 0
	s_and_not1_b32 vcc_lo, exec_lo, s55
	s_wait_alu 0xfffe
	s_cbranch_vccnz .LBB139_107
; %bb.80:                               ;   in Loop: Header=BB139_29 Depth=1
	s_and_not1_b32 vcc_lo, exec_lo, s57
	s_wait_alu 0xfffe
	s_cbranch_vccnz .LBB139_104
; %bb.81:                               ;   in Loop: Header=BB139_29 Depth=1
	v_lshl_add_u32 v2, v32, 9, v30
	v_mov_b32_e32 v1, 0
	s_mov_b32 s12, 0
.LBB139_82:                             ;   Parent Loop BB139_29 Depth=1
                                        ; =>  This Inner Loop Header: Depth=2
	ds_load_2addr_b32 v[3:4], v2 offset1:4
	ds_load_2addr_b32 v[36:37], v2 offset0:8 offset1:12
	ds_load_2addr_b32 v[38:39], v2 offset0:16 offset1:20
	;; [unrolled: 1-line block ×3, first 2 shown]
	v_add_nc_u32_e32 v2, 0x80, v2
	s_wait_alu 0xfffe
	s_add_co_i32 s12, s12, 8
	s_wait_alu 0xfffe
	s_cmp_eq_u32 s58, s12
	s_wait_dscnt 0x3
	v_add3_u32 v1, v3, v1, v4
	s_wait_dscnt 0x2
	s_delay_alu instid0(VALU_DEP_1) | instskip(SKIP_1) | instid1(VALU_DEP_1)
	v_add3_u32 v1, v36, v1, v37
	s_wait_dscnt 0x1
	v_add3_u32 v1, v38, v1, v39
	s_wait_dscnt 0x0
	s_delay_alu instid0(VALU_DEP_1)
	v_add3_u32 v1, v40, v1, v41
	s_cbranch_scc0 .LBB139_82
; %bb.83:                               ;   in Loop: Header=BB139_29 Depth=1
	s_mov_b32 s12, s58
	s_and_not1_b32 vcc_lo, exec_lo, s59
	s_wait_alu 0xfffe
	s_cbranch_vccz .LBB139_105
	s_branch .LBB139_107
.LBB139_84:                             ;   in Loop: Header=BB139_29 Depth=1
	v_dual_mov_b32 v1, 0 :: v_dual_mov_b32 v2, 0
	v_dual_mov_b32 v3, 0 :: v_dual_mov_b32 v4, 0
	s_and_saveexec_b32 s22, s8
	s_cbranch_execz .LBB139_88
; %bb.85:                               ;   in Loop: Header=BB139_29 Depth=1
	v_mov_b32_e32 v36, v14
	s_mov_b32 s23, 0
	s_mov_b32 s24, 0
	;; [unrolled: 1-line block ×6, first 2 shown]
.LBB139_86:                             ;   Parent Loop BB139_29 Depth=1
                                        ; =>  This Inner Loop Header: Depth=2
	s_wait_alu 0xfffe
	v_add_nc_u32_e32 v6, s24, v27
	v_add_nc_u32_e32 v36, s52, v36
	s_delay_alu instid0(VALU_DEP_2) | instskip(SKIP_1) | instid1(VALU_DEP_1)
	v_lshlrev_b64_e32 v[1:2], 1, v[6:7]
	v_add_nc_u32_e32 v6, s24, v12
	v_lshlrev_b64_e32 v[3:4], 1, v[6:7]
	s_delay_alu instid0(VALU_DEP_3) | instskip(SKIP_3) | instid1(VALU_DEP_4)
	v_add_co_u32 v1, vcc_lo, s34, v1
	v_add_nc_u32_e32 v6, s24, v25
	s_wait_alu 0xfffd
	v_add_co_ci_u32_e64 v2, null, s35, v2, vcc_lo
	v_add_co_u32 v3, vcc_lo, s34, v3
	s_delay_alu instid0(VALU_DEP_3)
	v_lshlrev_b64_e32 v[37:38], 1, v[6:7]
	v_add_nc_u32_e32 v6, s24, v26
	s_wait_alu 0xfffd
	v_add_co_ci_u32_e64 v4, null, s35, v4, vcc_lo
	global_load_u16 v39, v[1:2], off
	s_add_co_i32 s24, s24, s62
	v_lshlrev_b64_e32 v[1:2], 1, v[6:7]
	global_load_u16 v6, v[3:4], off
	v_add_co_u32 v3, vcc_lo, s34, v37
	s_wait_alu 0xfffd
	v_add_co_ci_u32_e64 v4, null, s35, v38, vcc_lo
	v_add_co_u32 v1, vcc_lo, s34, v1
	s_wait_alu 0xfffd
	v_add_co_ci_u32_e64 v2, null, s35, v2, vcc_lo
	global_load_u16 v3, v[3:4], off
	v_cmp_le_u32_e32 vcc_lo, s60, v36
	global_load_u16 v1, v[1:2], off
	s_wait_loadcnt 0x3
	v_cmp_lt_i16_e64 s11, -1, v39
	v_and_b32_e32 v2, 0xffff, v39
	v_lshlrev_b32_e32 v37, 16, v39
	s_wait_loadcnt 0x2
	v_and_b32_e32 v38, 0xffff, v6
	s_wait_alu 0xf1ff
	v_cndmask_b32_e64 v4, 0xffff, v31, s11
	v_cmp_lt_i16_e64 s11, -1, v6
	s_delay_alu instid0(VALU_DEP_2) | instskip(SKIP_1) | instid1(VALU_DEP_2)
	v_xor_b32_e32 v2, v4, v2
	s_wait_alu 0xf1ff
	v_cndmask_b32_e64 v39, 0xffff, v31, s11
	v_cmp_o_f32_e64 s11, v37, v37
	v_lshlrev_b32_e32 v4, 16, v6
	s_wait_loadcnt 0x1
	v_cmp_lt_i16_e64 s12, -1, v3
	v_and_b32_e32 v37, 0xffff, v3
	v_xor_b32_e32 v6, v39, v38
	s_wait_alu 0xf1ff
	v_cndmask_b32_e64 v2, 0xffff, v2, s11
	v_cmp_o_f32_e64 s11, v4, v4
	v_cndmask_b32_e64 v38, 0xffff, v31, s12
	v_lshlrev_b32_e32 v3, 16, v3
	s_delay_alu instid0(VALU_DEP_4)
	v_and_b32_e32 v39, v2, v33
	s_wait_alu 0xf1ff
	v_cndmask_b32_e64 v4, 0xffff, v6, s11
	s_wait_loadcnt 0x0
	v_cmp_lt_i16_e64 s11, -1, v1
	v_xor_b32_e32 v6, v38, v37
	v_bfe_u32 v2, v2, s73, 2
	v_and_b32_e32 v37, 0xffff, v1
	v_lshlrev_b32_e32 v1, 16, v1
	s_wait_alu 0xf1ff
	v_cndmask_b32_e64 v38, 0xffff, v31, s11
	v_cmp_o_f32_e64 s11, v3, v3
	v_cmp_eq_u32_e64 s12, 0, v2
	v_cmp_eq_u32_e64 s13, 1, v2
	v_cmp_o_f32_e64 s16, v1, v1
	v_cmp_eq_u32_e64 s14, 2, v2
	s_wait_alu 0xf1ff
	v_cndmask_b32_e64 v3, 0xffff, v6, s11
	v_cmp_eq_u32_e64 s11, v39, v13
	v_xor_b32_e32 v6, v38, v37
	v_and_b32_e32 v37, v4, v33
	v_bfe_u32 v4, v4, s73, 2
	v_cmp_eq_u32_e64 s15, 3, v2
	s_and_b32 s12, s11, s12
	v_cndmask_b32_e64 v1, 0xffff, v6, s16
	v_cmp_eq_u32_e64 s16, v37, v13
	v_cmp_eq_u32_e64 s17, 0, v4
	s_wait_alu 0xfffe
	v_cndmask_b32_e64 v6, 0, 1, s12
	v_cmp_eq_u32_e64 s12, 1, v4
	s_and_b32 s13, s11, s13
	v_and_b32_e32 v2, v3, v33
	v_bfe_u32 v3, v3, s73, 2
	s_wait_alu 0xfffe
	v_cndmask_b32_e64 v37, 0, 1, s13
	v_cmp_eq_u32_e64 s13, 2, v4
	s_and_b32 s14, s11, s14
	s_and_b32 s11, s11, s15
	s_wait_alu 0xfffe
	v_cndmask_b32_e64 v38, 0, 1, s14
	s_and_b32 s17, s16, s17
	s_and_b32 s12, s16, s12
	v_cmp_eq_u32_e64 s14, 3, v4
	v_cndmask_b32_e64 v4, 0, 1, s11
	v_cmp_eq_u32_e64 s11, v2, v13
	v_cmp_eq_u32_e64 s15, 0, v3
	v_cmp_ne_u32_e64 s18, 0, v6
	s_wait_alu 0xfffe
	v_cndmask_b32_e64 v6, 0, 1, s17
	v_cmp_eq_u32_e64 s17, 1, v3
	v_cmp_ne_u32_e64 s19, 0, v37
	v_cndmask_b32_e64 v37, 0, 1, s12
	v_cmp_eq_u32_e64 s12, 2, v3
	s_and_b32 s13, s16, s13
	v_and_b32_e32 v2, v1, v33
	v_bfe_u32 v1, v1, s73, 2
	v_cmp_ne_u32_e64 s20, 0, v38
	s_wait_alu 0xfffe
	v_cndmask_b32_e64 v38, 0, 1, s13
	v_cmp_eq_u32_e64 s13, 3, v3
	s_and_b32 s14, s16, s14
	s_and_b32 s15, s11, s15
	;; [unrolled: 1-line block ×4, first 2 shown]
	v_cmp_ne_u32_e64 s21, 0, v4
	s_wait_alu 0xfffe
	v_cndmask_b32_e64 v3, 0, 1, s14
	v_cmp_eq_u32_e64 s14, v2, v13
	v_cmp_eq_u32_e64 s16, 0, v1
	s_bcnt1_i32_b32 s78, s18
	v_cmp_ne_u32_e64 s18, 0, v6
	v_cndmask_b32_e64 v2, 0, 1, s15
	v_cmp_eq_u32_e64 s15, 1, v1
	v_cndmask_b32_e64 v4, 0, 1, s17
	v_cmp_eq_u32_e64 s17, 2, v1
	;; [unrolled: 2-line block ×3, first 2 shown]
	s_and_b32 s11, s11, s13
	s_bcnt1_i32_b32 s81, s21
	s_wait_alu 0xfffe
	v_cndmask_b32_e64 v1, 0, 1, s11
	v_cmp_ne_u32_e64 s21, 0, v3
	s_and_b32 s13, s14, s16
	s_and_b32 s15, s14, s15
	;; [unrolled: 1-line block ×4, first 2 shown]
	v_cmp_ne_u32_e64 s11, 0, v2
	s_wait_alu 0xfffe
	v_cndmask_b32_e64 v2, 0, 1, s13
	v_cmp_ne_u32_e64 s13, 0, v4
	v_cndmask_b32_e64 v3, 0, 1, s15
	v_cndmask_b32_e64 v4, 0, 1, s16
	v_cmp_ne_u32_e64 s16, 0, v1
	v_cndmask_b32_e64 v1, 0, 1, s12
	s_bcnt1_i32_b32 s79, s19
	v_cmp_ne_u32_e64 s19, 0, v37
	s_bcnt1_i32_b32 s80, s20
	v_cmp_ne_u32_e64 s20, 0, v38
	s_add_co_i32 s74, s81, s74
	v_cmp_ne_u32_e64 s15, 0, v6
	s_bcnt1_i32_b32 s17, s21
	s_bcnt1_i32_b32 s21, s11
	s_wait_alu 0xfffe
	s_add_co_i32 s17, s74, s17
	v_cmp_ne_u32_e64 s11, 0, v2
	s_bcnt1_i32_b32 s74, s13
	v_cmp_ne_u32_e64 s12, 0, v3
	v_cmp_ne_u32_e64 s13, 0, v4
	v_cmp_ne_u32_e64 s14, 0, v1
	s_add_co_i32 s77, s78, s77
	s_add_co_i32 s76, s79, s76
	;; [unrolled: 1-line block ×3, first 2 shown]
	s_bcnt1_i32_b32 s18, s18
	s_bcnt1_i32_b32 s19, s19
	;; [unrolled: 1-line block ×3, first 2 shown]
	s_wait_alu 0xfffe
	s_add_co_i32 s18, s77, s18
	s_add_co_i32 s19, s76, s19
	;; [unrolled: 1-line block ×3, first 2 shown]
	s_bcnt1_i32_b32 s15, s15
	s_bcnt1_i32_b32 s16, s16
	s_wait_alu 0xfffe
	s_add_co_i32 s18, s18, s21
	s_add_co_i32 s19, s19, s74
	s_add_co_i32 s15, s20, s15
	s_add_co_i32 s16, s17, s16
	s_bcnt1_i32_b32 s11, s11
	s_bcnt1_i32_b32 s12, s12
	;; [unrolled: 1-line block ×4, first 2 shown]
	s_wait_alu 0xfffe
	s_add_co_i32 s77, s18, s11
	s_add_co_i32 s76, s19, s12
	;; [unrolled: 1-line block ×4, first 2 shown]
	s_wait_alu 0xfffe
	v_dual_mov_b32 v1, s77 :: v_dual_mov_b32 v2, s76
	v_dual_mov_b32 v3, s75 :: v_dual_mov_b32 v4, s74
	s_or_b32 s23, vcc_lo, s23
	s_wait_alu 0xfffe
	s_and_not1_b32 exec_lo, exec_lo, s23
	s_cbranch_execnz .LBB139_86
; %bb.87:                               ;   in Loop: Header=BB139_29 Depth=1
	s_or_b32 exec_lo, exec_lo, s23
.LBB139_88:                             ;   in Loop: Header=BB139_29 Depth=1
	s_wait_alu 0xfffe
	s_or_b32 exec_lo, exec_lo, s22
	s_and_saveexec_b32 s15, s9
	s_cbranch_execz .LBB139_94
; %bb.89:                               ;   in Loop: Header=BB139_29 Depth=1
	global_load_u16 v38, v[10:11], off
	v_mov_b32_e32 v6, v28
	v_mov_b32_e32 v36, v22
	s_mov_b32 s16, 0
	s_branch .LBB139_91
.LBB139_90:                             ;   in Loop: Header=BB139_91 Depth=2
	s_wait_alu 0xfffe
	s_or_b32 exec_lo, exec_lo, s12
	s_wait_loadcnt 0x0
	v_cmp_lt_i16_e64 s11, -1, v38
	v_and_b32_e32 v39, 0xffff, v38
	v_lshlrev_b32_e32 v38, 16, v38
	s_and_b32 s12, exec_lo, vcc_lo
	v_add_nc_u32_e32 v6, s54, v6
	s_wait_alu 0xf1ff
	v_cndmask_b32_e64 v40, 0xffff, v31, s11
	s_wait_alu 0xfffe
	s_or_b32 s16, s12, s16
	v_cmp_o_f32_e64 s11, v38, v38
	s_delay_alu instid0(VALU_DEP_2) | instskip(SKIP_1) | instid1(VALU_DEP_1)
	v_xor_b32_e32 v39, v40, v39
	s_wait_alu 0xf1ff
	v_cndmask_b32_e64 v38, 0xffff, v39, s11
	s_delay_alu instid0(VALU_DEP_1) | instskip(SKIP_1) | instid1(VALU_DEP_2)
	v_and_b32_e32 v39, v38, v33
	v_bfe_u32 v38, v38, s73, 2
	v_cmp_eq_u32_e32 vcc_lo, v39, v13
	s_delay_alu instid0(VALU_DEP_2)
	v_cmp_eq_u32_e64 s11, 0, v38
	v_cmp_eq_u32_e64 s12, 1, v38
	;; [unrolled: 1-line block ×4, first 2 shown]
	s_and_b32 s11, vcc_lo, s11
	s_wait_alu 0xfffe
	v_cndmask_b32_e64 v38, 0, 1, s11
	s_and_b32 s11, vcc_lo, s12
	s_wait_alu 0xfffe
	v_cndmask_b32_e64 v39, 0, 1, s11
	;; [unrolled: 3-line block ×3, first 2 shown]
	s_and_b32 s11, vcc_lo, s14
	v_cmp_ne_u32_e32 vcc_lo, 0, v38
	s_wait_alu 0xfffe
	v_cndmask_b32_e64 v41, 0, 1, s11
	v_cmp_ne_u32_e64 s11, 0, v39
	v_cmp_ne_u32_e64 s12, 0, v40
	v_mov_b32_e32 v38, v37
	s_bcnt1_i32_b32 s14, vcc_lo
	v_cmp_ne_u32_e64 s13, 0, v41
	s_bcnt1_i32_b32 s11, s11
	s_bcnt1_i32_b32 s12, s12
	s_wait_alu 0xfffe
	v_add_nc_u32_e32 v1, s14, v1
	v_add_nc_u32_e32 v2, s11, v2
	s_bcnt1_i32_b32 s13, s13
	v_add_nc_u32_e32 v3, s12, v3
	s_wait_alu 0xfffe
	v_add_nc_u32_e32 v4, s13, v4
	s_and_not1_b32 exec_lo, exec_lo, s16
	s_cbranch_execz .LBB139_93
.LBB139_91:                             ;   Parent Loop BB139_29 Depth=1
                                        ; =>  This Inner Loop Header: Depth=2
	s_delay_alu instid0(VALU_DEP_1) | instskip(SKIP_1) | instid1(VALU_DEP_1)
	v_dual_mov_b32 v37, 0 :: v_dual_add_nc_u32 v36, s29, v36
	s_mov_b32 s12, exec_lo
	v_cmp_le_u32_e32 vcc_lo, s28, v36
	v_cmpx_gt_u32_e64 s28, v36
	s_cbranch_execz .LBB139_90
; %bb.92:                               ;   in Loop: Header=BB139_91 Depth=2
	v_lshlrev_b64_e32 v[39:40], 1, v[6:7]
	s_delay_alu instid0(VALU_DEP_1) | instskip(SKIP_1) | instid1(VALU_DEP_2)
	v_add_co_u32 v39, s11, s34, v39
	s_wait_alu 0xf1fe
	v_add_co_ci_u32_e64 v40, null, s35, v40, s11
	global_load_u16 v37, v[39:40], off
	s_branch .LBB139_90
.LBB139_93:                             ;   in Loop: Header=BB139_29 Depth=1
	s_or_b32 exec_lo, exec_lo, s16
.LBB139_94:                             ;   in Loop: Header=BB139_29 Depth=1
	s_wait_alu 0xfffe
	s_or_b32 exec_lo, exec_lo, s15
	s_branch .LBB139_76
.LBB139_95:                             ;   in Loop: Header=BB139_29 Depth=1
	s_mul_u64 s[12:13], s[40:41], s[42:43]
	v_dual_mov_b32 v1, 0 :: v_dual_mov_b32 v2, 0
	s_wait_alu 0xfffe
	s_mul_i32 s11, s13, s52
	v_dual_mov_b32 v3, 0 :: v_dual_mov_b32 v4, 0
	s_wait_alu 0xfffe
	s_sub_co_i32 s11, s40, s11
	s_mov_b32 s75, exec_lo
	s_wait_alu 0xfffe
	s_sub_co_i32 s12, s11, s52
	s_cmp_ge_u32 s11, s52
	s_wait_alu 0xfffe
	s_cselect_b32 s11, s12, s11
	s_wait_alu 0xfffe
	s_sub_co_i32 s12, s11, s52
	s_cmp_ge_u32 s11, s52
	s_wait_alu 0xfffe
	s_cselect_b32 s11, s12, s11
	s_wait_alu 0xfffe
	s_sub_co_i32 s74, s40, s11
	s_wait_alu 0xfffe
	v_cmpx_gt_u32_e64 s74, v14
	s_cbranch_execz .LBB139_99
; %bb.96:                               ;   in Loop: Header=BB139_29 Depth=1
	v_mov_b32_e32 v6, v29
	v_mov_b32_e32 v36, v14
	s_mov_b32 s76, 0
	s_mov_b32 s77, 0
	;; [unrolled: 1-line block ×5, first 2 shown]
.LBB139_97:                             ;   Parent Loop BB139_29 Depth=1
                                        ; =>  This Inner Loop Header: Depth=2
	ds_load_b64 v[1:2], v6
	s_wait_dscnt 0x0
	v_cmp_lt_i16_e64 s11, -1, v1
	v_lshrrev_b32_e32 v3, 16, v1
	v_lshrrev_b32_e32 v4, 16, v2
	v_and_b32_e32 v37, 0xffff, v1
	v_lshlrev_b32_e32 v39, 16, v1
	s_wait_alu 0xf1ff
	v_cndmask_b32_e64 v38, 0xffff, v31, s11
	v_cmp_lt_i16_e64 s11, -1, v2
	v_and_b32_e32 v40, 0xffff, v2
	v_cmp_lt_i16_e64 s12, -1, v4
	v_lshlrev_b32_e32 v42, 16, v2
	v_and_b32_e32 v1, 0xffff0000, v1
	s_wait_alu 0xf1ff
	v_cndmask_b32_e64 v41, 0xffff, v31, s11
	v_cmp_lt_i16_e64 s11, -1, v3
	v_xor_b32_e32 v37, v38, v37
	v_and_b32_e32 v2, 0xffff0000, v2
	s_delay_alu instid0(VALU_DEP_4)
	v_xor_b32_e32 v40, v41, v40
	s_wait_alu 0xf1ff
	v_cndmask_b32_e64 v38, 0xffff, v31, s11
	v_cndmask_b32_e64 v41, 0xffff, v31, s12
	v_cmp_o_f32_e64 s12, v39, v39
	v_cmp_o_f32_e64 s11, v42, v42
	s_delay_alu instid0(VALU_DEP_4) | instskip(NEXT) | instid1(VALU_DEP_4)
	v_xor_b32_e32 v3, v38, v3
	v_xor_b32_e32 v4, v41, v4
	s_wait_alu 0xf1ff
	v_cndmask_b32_e64 v37, 0xffff, v37, s12
	v_cmp_o_f32_e64 s12, v1, v1
	v_cndmask_b32_e64 v38, 0xffff, v40, s11
	v_cmp_o_f32_e64 s11, v2, v2
	s_delay_alu instid0(VALU_DEP_4)
	v_and_b32_e32 v2, v37, v33
	s_wait_alu 0xf1ff
	v_cndmask_b32_e64 v1, 0xffff, v3, s12
	v_bfe_u32 v37, v37, s73, 2
	v_cndmask_b32_e64 v3, 0xffff, v4, s11
	v_and_b32_e32 v4, v38, v33
	v_bfe_u32 v38, v38, s73, 2
	v_cmp_eq_u32_e64 s11, v2, v13
	v_and_b32_e32 v2, v1, v33
	v_bfe_u32 v1, v1, s73, 2
	v_cmp_eq_u32_e64 s13, 0, v37
	v_cmp_eq_u32_e64 s15, 1, v37
	;; [unrolled: 1-line block ×8, first 2 shown]
	v_and_b32_e32 v4, v3, v33
	v_bfe_u32 v3, v3, s73, 2
	v_cmp_eq_u32_e64 s20, 3, v38
	v_cmp_eq_u32_e64 s21, v2, v13
	;; [unrolled: 1-line block ×3, first 2 shown]
	s_and_b32 s13, s11, s13
	s_and_b32 s15, s11, s15
	;; [unrolled: 1-line block ×3, first 2 shown]
	s_wait_alu 0xfffe
	v_cndmask_b32_e64 v2, 0, 1, s13
	s_and_b32 s13, s12, s14
	v_cndmask_b32_e64 v37, 0, 1, s15
	s_and_b32 s15, s12, s16
	;; [unrolled: 2-line block ×3, first 2 shown]
	s_and_b32 s11, s11, s19
	v_cmp_eq_u32_e64 s22, v4, v13
	v_cmp_eq_u32_e64 s24, 0, v3
	s_wait_alu 0xfffe
	v_cndmask_b32_e64 v4, 0, 1, s13
	v_cmp_eq_u32_e64 s13, 1, v1
	v_cmp_eq_u32_e64 s14, 1, v3
	v_cndmask_b32_e64 v38, 0, 1, s15
	v_cmp_eq_u32_e64 s15, 2, v1
	v_cmp_eq_u32_e64 s16, 2, v3
	v_cndmask_b32_e64 v40, 0, 1, s17
	v_cmp_eq_u32_e64 s17, 3, v1
	v_cndmask_b32_e64 v1, 0, 1, s11
	s_and_b32 s11, s12, s20
	s_and_b32 s12, s21, s23
	v_cmp_eq_u32_e64 s18, 3, v3
	s_wait_alu 0xfffe
	v_cndmask_b32_e64 v3, 0, 1, s11
	v_cmp_ne_u32_e64 s11, 0, v2
	v_cndmask_b32_e64 v2, 0, 1, s12
	s_and_b32 s19, s22, s24
	s_and_b32 s13, s21, s13
	s_and_b32 s14, s22, s14
	s_and_b32 s15, s21, s15
	s_and_b32 s16, s22, s16
	s_and_b32 s17, s21, s17
	v_cmp_ne_u32_e64 s12, 0, v4
	s_wait_alu 0xfffe
	v_cndmask_b32_e64 v4, 0, 1, s19
	v_cmp_ne_u32_e64 s19, 0, v37
	v_cndmask_b32_e64 v37, 0, 1, s13
	v_cmp_ne_u32_e64 s13, 0, v38
	;; [unrolled: 2-line block ×5, first 2 shown]
	v_cndmask_b32_e64 v1, 0, 1, s17
	s_bcnt1_i32_b32 s20, s11
	v_cmp_ne_u32_e64 s11, 0, v2
	s_and_b32 s18, s22, s18
	v_cmp_ne_u32_e64 s17, 0, v3
	s_wait_alu 0xfffe
	v_cndmask_b32_e64 v3, 0, 1, s18
	s_bcnt1_i32_b32 s21, s12
	v_cmp_ne_u32_e64 s12, 0, v4
	v_cmp_ne_u32_e64 s18, 0, v37
	s_bcnt1_i32_b32 s23, s14
	v_cmp_ne_u32_e64 s14, 0, v39
	s_bcnt1_i32_b32 s81, s16
	v_cmp_ne_u32_e64 s16, 0, v1
	s_add_co_i32 s20, s20, s80
	s_bcnt1_i32_b32 s11, s11
	s_bcnt1_i32_b32 s19, s19
	s_wait_alu 0xfffe
	s_add_co_i32 s11, s20, s11
	s_bcnt1_i32_b32 s22, s13
	v_cmp_ne_u32_e64 s13, 0, v38
	s_bcnt1_i32_b32 s24, s15
	v_cmp_ne_u32_e64 s15, 0, v40
	;; [unrolled: 2-line block ×3, first 2 shown]
	s_bcnt1_i32_b32 s12, s12
	s_wait_alu 0xfffe
	s_add_co_i32 s11, s11, s21
	s_add_co_i32 s19, s19, s79
	;; [unrolled: 1-line block ×4, first 2 shown]
	s_bcnt1_i32_b32 s18, s18
	s_bcnt1_i32_b32 s14, s14
	;; [unrolled: 1-line block ×3, first 2 shown]
	s_wait_alu 0xfffe
	s_add_co_i32 s80, s11, s12
	s_wait_alu 0xfffe
	v_dual_mov_b32 v1, s80 :: v_dual_add_nc_u32 v36, s52, v36
	s_add_co_i32 s18, s19, s18
	s_add_co_i32 s14, s23, s14
	;; [unrolled: 1-line block ×3, first 2 shown]
	s_bcnt1_i32_b32 s13, s13
	s_bcnt1_i32_b32 s15, s15
	;; [unrolled: 1-line block ×3, first 2 shown]
	s_wait_alu 0xfffe
	s_add_co_i32 s18, s18, s22
	s_add_co_i32 s14, s14, s24
	s_add_co_i32 s16, s16, s82
	v_cmp_le_u32_e32 vcc_lo, s74, v36
	s_wait_alu 0xfffe
	s_add_co_i32 s79, s18, s13
	s_add_co_i32 s78, s14, s15
	;; [unrolled: 1-line block ×3, first 2 shown]
	s_wait_alu 0xfffe
	v_dual_mov_b32 v3, s78 :: v_dual_add_nc_u32 v6, s63, v6
	v_mov_b32_e32 v2, s79
	v_mov_b32_e32 v4, s77
	s_or_b32 s76, vcc_lo, s76
	s_wait_alu 0xfffe
	s_and_not1_b32 exec_lo, exec_lo, s76
	s_cbranch_execnz .LBB139_97
; %bb.98:                               ;   in Loop: Header=BB139_29 Depth=1
	s_or_b32 exec_lo, exec_lo, s76
.LBB139_99:                             ;   in Loop: Header=BB139_29 Depth=1
	s_delay_alu instid0(SALU_CYCLE_1) | instskip(SKIP_2) | instid1(VALU_DEP_1)
	s_or_b32 exec_lo, exec_lo, s75
	v_add_nc_u32_e32 v6, s74, v0
	s_mov_b32 s16, exec_lo
	v_cmpx_gt_u32_e64 s40, v6
	s_cbranch_execz .LBB139_103
; %bb.100:                              ;   in Loop: Header=BB139_29 Depth=1
	v_lshlrev_b32_e32 v36, 1, v6
	s_mov_b32 s17, 0
.LBB139_101:                            ;   Parent Loop BB139_29 Depth=1
                                        ; =>  This Inner Loop Header: Depth=2
	ds_load_u16 v37, v36
	v_add_nc_u32_e32 v6, s29, v6
	v_add_nc_u32_e32 v36, s64, v36
	s_delay_alu instid0(VALU_DEP_2)
	v_cmp_le_u32_e32 vcc_lo, s40, v6
	s_wait_dscnt 0x0
	v_cmp_lt_i16_e64 s11, -1, v37
	v_and_b32_e32 v38, 0xffff, v37
	v_lshlrev_b32_e32 v37, 16, v37
	s_wait_alu 0xf1ff
	s_delay_alu instid0(VALU_DEP_3) | instskip(NEXT) | instid1(VALU_DEP_2)
	v_cndmask_b32_e64 v39, 0xffff, v31, s11
	v_cmp_o_f32_e64 s11, v37, v37
	s_delay_alu instid0(VALU_DEP_2) | instskip(SKIP_1) | instid1(VALU_DEP_1)
	v_xor_b32_e32 v38, v39, v38
	s_wait_alu 0xf1ff
	v_cndmask_b32_e64 v37, 0xffff, v38, s11
	s_delay_alu instid0(VALU_DEP_1) | instskip(SKIP_1) | instid1(VALU_DEP_2)
	v_and_b32_e32 v38, v37, v33
	v_bfe_u32 v37, v37, s73, 2
	v_cmp_eq_u32_e64 s11, v38, v13
	s_delay_alu instid0(VALU_DEP_2)
	v_cmp_eq_u32_e64 s12, 0, v37
	v_cmp_eq_u32_e64 s13, 1, v37
	;; [unrolled: 1-line block ×4, first 2 shown]
	s_and_b32 s12, s11, s12
	s_wait_alu 0xfffe
	v_cndmask_b32_e64 v37, 0, 1, s12
	s_and_b32 s12, s11, s13
	s_wait_alu 0xfffe
	v_cndmask_b32_e64 v38, 0, 1, s12
	s_and_b32 s12, s11, s14
	s_and_b32 s11, s11, s15
	s_wait_alu 0xfffe
	v_cndmask_b32_e64 v39, 0, 1, s12
	v_cndmask_b32_e64 v40, 0, 1, s11
	v_cmp_ne_u32_e64 s11, 0, v37
	v_cmp_ne_u32_e64 s12, 0, v38
	s_delay_alu instid0(VALU_DEP_4) | instskip(NEXT) | instid1(VALU_DEP_4)
	v_cmp_ne_u32_e64 s13, 0, v39
	v_cmp_ne_u32_e64 s14, 0, v40
	s_bcnt1_i32_b32 s11, s11
	s_bcnt1_i32_b32 s12, s12
	s_wait_alu 0xfffe
	v_add_nc_u32_e32 v1, s11, v1
	s_bcnt1_i32_b32 s13, s13
	s_bcnt1_i32_b32 s14, s14
	v_add_nc_u32_e32 v2, s12, v2
	s_wait_alu 0xfffe
	v_add_nc_u32_e32 v3, s13, v3
	v_add_nc_u32_e32 v4, s14, v4
	s_or_b32 s17, vcc_lo, s17
	s_wait_alu 0xfffe
	s_and_not1_b32 exec_lo, exec_lo, s17
	s_cbranch_execnz .LBB139_101
; %bb.102:                              ;   in Loop: Header=BB139_29 Depth=1
	s_or_b32 exec_lo, exec_lo, s17
.LBB139_103:                            ;   in Loop: Header=BB139_29 Depth=1
	s_wait_alu 0xfffe
	s_or_b32 exec_lo, exec_lo, s16
	v_lshlrev_b32_e32 v6, 7, v32
	s_and_saveexec_b32 s11, s3
	s_cbranch_execnz .LBB139_77
	s_branch .LBB139_78
.LBB139_104:                            ;   in Loop: Header=BB139_29 Depth=1
	v_mov_b32_e32 v1, 0
	s_mov_b32 s12, 0
	s_and_not1_b32 vcc_lo, exec_lo, s59
	s_wait_alu 0xfffe
	s_cbranch_vccnz .LBB139_107
.LBB139_105:                            ;   in Loop: Header=BB139_29 Depth=1
	v_lshlrev_b32_e32 v2, 9, v32
	s_lshl_b32 s12, s12, 4
	s_wait_alu 0xfffe
	s_delay_alu instid0(VALU_DEP_1)
	v_add3_u32 v2, v2, s12, v30
	s_mov_b32 s12, s56
.LBB139_106:                            ;   Parent Loop BB139_29 Depth=1
                                        ; =>  This Inner Loop Header: Depth=2
	ds_load_b32 v3, v2
	v_add_nc_u32_e32 v2, 16, v2
	s_wait_alu 0xfffe
	s_add_co_i32 s12, s12, -1
	s_wait_alu 0xfffe
	s_cmp_lg_u32 s12, 0
	s_wait_dscnt 0x0
	v_add_nc_u32_e32 v1, v3, v1
	s_cbranch_scc1 .LBB139_106
.LBB139_107:                            ;   in Loop: Header=BB139_29 Depth=1
	v_add_lshl_u32 v2, v6, v15, 2
	ds_store_b32 v2, v1 offset:3072
.LBB139_108:                            ;   in Loop: Header=BB139_29 Depth=1
	s_wait_alu 0xfffe
	s_or_b32 exec_lo, exec_lo, s11
	v_lshlrev_b32_e32 v1, 2, v6
	s_wait_loadcnt_dscnt 0x0
	s_barrier_signal -1
	s_barrier_wait -1
	global_inv scope:SCOPE_SE
	ds_load_b128 v[1:4], v1 offset:3072
	s_lshl_b32 s12, 3, s73
	v_cmp_eq_u32_e32 vcc_lo, 1, v35
	s_wait_alu 0xfffe
	s_not_b32 s19, s12
	s_mov_b32 s15, -1
	s_mov_b32 s23, -1
                                        ; implicit-def: $sgpr20
                                        ; implicit-def: $sgpr17
	s_wait_dscnt 0x0
	v_readfirstlane_b32 s14, v1
	v_readfirstlane_b32 s21, v2
	v_readfirstlane_b32 s18, v3
	v_readfirstlane_b32 s11, v4
	s_cmp_eq_u32 s14, 1
	s_cselect_b32 s13, -1, 0
	s_wait_alu 0xfffe
	s_and_b32 s16, s13, vcc_lo
	s_wait_alu 0xfffe
	s_and_saveexec_b32 s13, s16
	s_cbranch_execz .LBB139_134
; %bb.109:                              ;   in Loop: Header=BB139_29 Depth=1
	ds_load_b32 v1, v7 offset:4104
	s_wait_loadcnt_dscnt 0x0
	s_barrier_signal -1
	s_barrier_wait -1
	global_inv scope:SCOPE_SE
	v_readfirstlane_b32 s23, v1
	s_and_saveexec_b32 s17, s1
; %bb.110:                              ;   in Loop: Header=BB139_29 Depth=1
	ds_store_b16 v17, v7
; %bb.111:                              ;   in Loop: Header=BB139_29 Depth=1
	s_wait_alu 0xfffe
	s_or_b32 exec_lo, exec_lo, s17
	v_and_b32_e32 v13, s19, v13
	v_or_b32_e32 v33, s12, v33
	s_mov_b32 s17, -1
	s_mov_b32 s20, 0
	s_cmp_eq_u32 s23, 0
	s_mov_b32 s22, 0
	s_mov_b32 s24, -1
	s_wait_loadcnt_dscnt 0x0
	s_barrier_signal -1
	s_barrier_wait -1
	global_inv scope:SCOPE_SE
                                        ; implicit-def: $vgpr34
	s_cbranch_scc1 .LBB139_122
; %bb.112:                              ;   in Loop: Header=BB139_29 Depth=1
	s_add_co_i32 s40, s23, s51
                                        ; implicit-def: $vgpr34
	s_wait_alu 0xfffe
	s_mul_u64 s[74:75], s[40:41], s[44:45]
	s_wait_alu 0xfffe
	s_mul_i32 s22, s75, s29
	s_wait_alu 0xfffe
	s_sub_co_i32 s22, s40, s22
	s_wait_alu 0xfffe
	s_sub_co_i32 s24, s22, s29
	s_cmp_ge_u32 s22, s29
	s_wait_alu 0xfffe
	s_cselect_b32 s22, s24, s22
	s_wait_alu 0xfffe
	s_sub_co_i32 s24, s22, s29
	s_cmp_ge_u32 s22, s29
	s_wait_alu 0xfffe
	s_cselect_b32 s22, s24, s22
	s_mov_b32 s24, 0
	s_wait_alu 0xfffe
	s_sub_co_i32 s74, s40, s22
	s_mov_b32 s22, 0
	s_mov_b32 s40, exec_lo
	s_wait_alu 0xfffe
	v_cmpx_gt_u32_e64 s74, v0
	s_cbranch_execz .LBB139_121
; %bb.113:                              ;   in Loop: Header=BB139_29 Depth=1
	v_dual_mov_b32 v1, v16 :: v_dual_mov_b32 v2, v0
                                        ; implicit-def: $sgpr75
	s_branch .LBB139_116
.LBB139_114:                            ;   in Loop: Header=BB139_116 Depth=2
	s_wait_alu 0xfffe
	s_or_b32 exec_lo, exec_lo, s76
	s_wait_loadcnt_dscnt 0x0
	s_barrier_signal -1
	s_barrier_wait -1
	global_inv scope:SCOPE_SE
	ds_load_b32 v3, v7 offset:3072
	s_mov_b32 s76, -1
	s_mov_b32 s77, -1
	s_wait_loadcnt_dscnt 0x0
	s_barrier_signal -1
	s_barrier_wait -1
	global_inv scope:SCOPE_SE
	v_and_b32_e32 v4, 0x7fff, v3
	s_delay_alu instid0(VALU_DEP_1)
	v_cmp_ne_u32_e32 vcc_lo, 0, v4
	s_cbranch_vccz .LBB139_119
.LBB139_115:                            ;   in Loop: Header=BB139_116 Depth=2
	s_wait_alu 0xfffe
	s_and_b32 s76, exec_lo, s76
	s_wait_alu 0xfffe
	s_or_b32 s22, s76, s22
	s_and_not1_b32 s75, s75, exec_lo
	s_and_b32 s76, s77, exec_lo
	s_wait_alu 0xfffe
	s_or_b32 s75, s75, s76
	s_and_not1_b32 exec_lo, exec_lo, s22
	s_cbranch_execz .LBB139_120
.LBB139_116:                            ;   Parent Loop BB139_29 Depth=1
                                        ; =>  This Inner Loop Header: Depth=2
	s_mov_b32 s76, exec_lo
	s_delay_alu instid0(VALU_DEP_1)
	v_cmpx_gt_u32_e64 s23, v2
	s_cbranch_execz .LBB139_114
; %bb.117:                              ;   in Loop: Header=BB139_116 Depth=2
	ds_load_u16 v3, v1
	s_wait_dscnt 0x0
	v_cmp_lt_i16_e32 vcc_lo, -1, v3
	v_and_b32_e32 v4, 0xffff, v3
	v_lshlrev_b32_e32 v34, 16, v3
	s_wait_alu 0xfffd
	v_cndmask_b32_e32 v6, 0xffff, v31, vcc_lo
	s_delay_alu instid0(VALU_DEP_2) | instskip(NEXT) | instid1(VALU_DEP_2)
	v_cmp_o_f32_e32 vcc_lo, v34, v34
	v_xor_b32_e32 v4, v6, v4
	s_wait_alu 0xfffd
	s_delay_alu instid0(VALU_DEP_1) | instskip(NEXT) | instid1(VALU_DEP_1)
	v_cndmask_b32_e32 v4, 0xffff, v4, vcc_lo
	v_and_b32_e32 v4, v4, v33
	s_delay_alu instid0(VALU_DEP_1)
	v_cmp_eq_u32_e32 vcc_lo, v4, v13
	s_and_b32 exec_lo, exec_lo, vcc_lo
	s_cbranch_execz .LBB139_114
; %bb.118:                              ;   in Loop: Header=BB139_116 Depth=2
	v_perm_b32 v3, v3, s66, 0x5040100
	ds_store_b32 v7, v3 offset:3072
	s_branch .LBB139_114
.LBB139_119:                            ;   in Loop: Header=BB139_116 Depth=2
	v_add_nc_u32_e32 v2, s29, v2
	v_add_nc_u32_e32 v1, s64, v1
	s_mov_b32 s77, 0
	s_delay_alu instid0(VALU_DEP_2)
	v_cmp_le_u32_e32 vcc_lo, s74, v2
	s_or_not1_b32 s76, vcc_lo, exec_lo
	s_branch .LBB139_115
.LBB139_120:                            ;   in Loop: Header=BB139_29 Depth=1
	s_or_b32 exec_lo, exec_lo, s22
	v_lshrrev_b32_e32 v34, 16, v3
	s_wait_alu 0xfffe
	s_and_b32 s22, s75, exec_lo
.LBB139_121:                            ;   in Loop: Header=BB139_29 Depth=1
	s_or_b32 exec_lo, exec_lo, s40
.LBB139_122:                            ;   in Loop: Header=BB139_29 Depth=1
	s_wait_alu 0xfffe
	s_and_b32 vcc_lo, exec_lo, s24
	s_wait_alu 0xfffe
	s_cbranch_vccz .LBB139_133
; %bb.123:                              ;   in Loop: Header=BB139_29 Depth=1
                                        ; implicit-def: $vgpr34
	s_and_saveexec_b32 s17, s10
	s_cbranch_execz .LBB139_132
; %bb.124:                              ;   in Loop: Header=BB139_29 Depth=1
	v_dual_mov_b32 v6, v5 :: v_dual_mov_b32 v1, v0
	s_mov_b32 s20, 0
                                        ; implicit-def: $sgpr23
	s_branch .LBB139_127
.LBB139_125:                            ;   in Loop: Header=BB139_127 Depth=2
	s_wait_alu 0xfffe
	s_or_b32 exec_lo, exec_lo, s24
	s_wait_loadcnt_dscnt 0x0
	s_barrier_signal -1
	s_barrier_wait -1
	global_inv scope:SCOPE_SE
	ds_load_b32 v2, v7 offset:3072
	s_mov_b32 s24, -1
	s_mov_b32 s40, -1
	s_wait_loadcnt_dscnt 0x0
	s_barrier_signal -1
	s_barrier_wait -1
	global_inv scope:SCOPE_SE
	v_and_b32_e32 v3, 0x7fff, v2
	s_delay_alu instid0(VALU_DEP_1)
	v_cmp_ne_u32_e32 vcc_lo, 0, v3
	s_cbranch_vccz .LBB139_130
.LBB139_126:                            ;   in Loop: Header=BB139_127 Depth=2
	s_wait_alu 0xfffe
	s_and_b32 s24, exec_lo, s24
	s_wait_alu 0xfffe
	s_or_b32 s20, s24, s20
	s_and_not1_b32 s23, s23, exec_lo
	s_and_b32 s24, s40, exec_lo
	s_wait_alu 0xfffe
	s_or_b32 s23, s23, s24
	s_and_not1_b32 exec_lo, exec_lo, s20
	s_cbranch_execz .LBB139_131
.LBB139_127:                            ;   Parent Loop BB139_29 Depth=1
                                        ; =>  This Inner Loop Header: Depth=2
	s_mov_b32 s24, exec_lo
	s_delay_alu instid0(VALU_DEP_1)
	v_cmpx_gt_u32_e64 s28, v1
	s_cbranch_execz .LBB139_125
; %bb.128:                              ;   in Loop: Header=BB139_127 Depth=2
	v_lshlrev_b64_e32 v[2:3], 1, v[6:7]
	s_delay_alu instid0(VALU_DEP_1) | instskip(SKIP_1) | instid1(VALU_DEP_2)
	v_add_co_u32 v2, vcc_lo, s34, v2
	s_wait_alu 0xfffd
	v_add_co_ci_u32_e64 v3, null, s35, v3, vcc_lo
	global_load_u16 v2, v[2:3], off
	s_wait_loadcnt 0x0
	v_cmp_lt_i16_e32 vcc_lo, -1, v2
	s_wait_alu 0xfffd
	v_dual_cndmask_b32 v4, 0xffff, v31 :: v_dual_and_b32 v3, 0xffff, v2
	s_delay_alu instid0(VALU_DEP_1) | instskip(SKIP_1) | instid1(VALU_DEP_1)
	v_xor_b32_e32 v3, v4, v3
	v_lshlrev_b32_e32 v34, 16, v2
	v_cmp_o_f32_e32 vcc_lo, v34, v34
	s_wait_alu 0xfffd
	s_delay_alu instid0(VALU_DEP_3) | instskip(NEXT) | instid1(VALU_DEP_1)
	v_cndmask_b32_e32 v3, 0xffff, v3, vcc_lo
	v_and_b32_e32 v3, v3, v33
	s_delay_alu instid0(VALU_DEP_1)
	v_cmp_eq_u32_e32 vcc_lo, v3, v13
	s_and_b32 exec_lo, exec_lo, vcc_lo
	s_cbranch_execz .LBB139_125
; %bb.129:                              ;   in Loop: Header=BB139_127 Depth=2
	v_perm_b32 v2, v2, s66, 0x5040100
	ds_store_b32 v7, v2 offset:3072
	s_branch .LBB139_125
.LBB139_130:                            ;   in Loop: Header=BB139_127 Depth=2
	v_add_nc_u32_e32 v1, s29, v1
	v_add_nc_u32_e32 v6, s54, v6
	s_mov_b32 s40, 0
	s_delay_alu instid0(VALU_DEP_2)
	v_cmp_le_u32_e32 vcc_lo, s61, v1
	s_or_not1_b32 s24, vcc_lo, exec_lo
	s_branch .LBB139_126
.LBB139_131:                            ;   in Loop: Header=BB139_29 Depth=1
	s_or_b32 exec_lo, exec_lo, s20
	v_lshrrev_b32_e32 v34, 16, v2
	s_and_not1_b32 s20, s22, exec_lo
	s_wait_alu 0xfffe
	s_and_b32 s22, s23, exec_lo
	s_wait_alu 0xfffe
	s_or_b32 s22, s20, s22
.LBB139_132:                            ;   in Loop: Header=BB139_29 Depth=1
	s_wait_alu 0xfffe
	s_or_b32 exec_lo, exec_lo, s17
	s_mov_b32 s17, 0
	s_mov_b32 s20, -1
.LBB139_133:                            ;   in Loop: Header=BB139_29 Depth=1
	s_or_not1_b32 s23, s22, exec_lo
.LBB139_134:                            ;   in Loop: Header=BB139_29 Depth=1
	s_wait_alu 0xfffe
	s_or_b32 exec_lo, exec_lo, s13
	v_readfirstlane_b32 s22, v0
	s_and_not1_b32 s13, s71, exec_lo
	s_and_b32 s20, s20, exec_lo
	s_and_not1_b32 s24, s69, exec_lo
	s_and_b32 s17, s17, exec_lo
	s_and_not1_b32 s68, s68, exec_lo
	s_wait_alu 0xfffe
	s_or_b32 s71, s13, s20
	s_or_b32 s69, s24, s17
                                        ; implicit-def: $vgpr2
	s_and_saveexec_b32 s13, s23
	s_cbranch_execz .LBB139_28
; %bb.135:                              ;   in Loop: Header=BB139_29 Depth=1
	v_dual_mov_b32 v2, 1 :: v_dual_mov_b32 v1, 1
	s_xor_b32 s16, s16, -1
	s_mov_b32 s22, 0
	s_wait_alu 0xfffe
	s_and_saveexec_b32 s15, s16
	s_cbranch_execz .LBB139_144
; %bb.136:                              ;   in Loop: Header=BB139_29 Depth=1
	s_mov_b32 s16, exec_lo
	v_cmpx_ge_u32_e64 s14, v35
	s_wait_alu 0xfffe
	s_xor_b32 s16, exec_lo, s16
	s_cbranch_execz .LBB139_141
; %bb.137:                              ;   in Loop: Header=BB139_29 Depth=1
	ds_load_b32 v1, v7 offset:4104
	v_and_b32_e32 v13, s19, v13
	v_or_b32_e32 v33, s12, v33
	s_wait_dscnt 0x0
	v_cmp_ne_u32_e32 vcc_lo, 0, v1
	s_cbranch_vccnz .LBB139_141
; %bb.138:                              ;   in Loop: Header=BB139_29 Depth=1
	s_and_saveexec_b32 s17, s0
; %bb.139:                              ;   in Loop: Header=BB139_29 Depth=1
	v_mov_b32_e32 v1, s14
	ds_store_b32 v7, v1 offset:4108
; %bb.140:                              ;   in Loop: Header=BB139_29 Depth=1
	s_wait_alu 0xfffe
	s_or_b32 exec_lo, exec_lo, s17
	s_wait_loadcnt_dscnt 0x0
	s_barrier_signal -1
	s_barrier_wait -1
	global_inv scope:SCOPE_SE
.LBB139_141:                            ;   in Loop: Header=BB139_29 Depth=1
	s_wait_alu 0xfffe
	s_or_saveexec_b32 s16, s16
	v_mov_b32_e32 v1, 8
	s_mov_b32 s17, 0
	s_wait_alu 0xfffe
	s_xor_b32 exec_lo, exec_lo, s16
; %bb.142:                              ;   in Loop: Header=BB139_29 Depth=1
	v_subrev_nc_u32_e32 v35, s14, v35
	v_mov_b32_e32 v1, 0
	s_mov_b32 s17, exec_lo
; %bb.143:                              ;   in Loop: Header=BB139_29 Depth=1
	s_or_b32 exec_lo, exec_lo, s16
	s_delay_alu instid0(VALU_DEP_2)
	v_mov_b32_e32 v2, v35
	s_wait_alu 0xfffe
	s_and_b32 s22, s17, exec_lo
.LBB139_144:                            ;   in Loop: Header=BB139_29 Depth=1
	s_wait_alu 0xfffe
	s_or_b32 exec_lo, exec_lo, s15
	s_mov_b32 s14, -1
	s_mov_b32 s20, -1
                                        ; implicit-def: $sgpr16
                                        ; implicit-def: $sgpr17
	s_and_saveexec_b32 s15, s22
	s_wait_alu 0xfffe
	s_xor_b32 s15, exec_lo, s15
	s_cbranch_execz .LBB139_261
; %bb.145:                              ;   in Loop: Header=BB139_29 Depth=1
	v_cmp_eq_u32_e32 vcc_lo, 1, v2
	s_cmp_eq_u32 s21, 1
	s_mov_b32 s23, -1
	s_cselect_b32 s16, -1, 0
                                        ; implicit-def: $sgpr17
	s_wait_alu 0xfffe
	s_and_b32 s22, s16, vcc_lo
                                        ; implicit-def: $sgpr16
	s_wait_alu 0xfffe
	s_and_saveexec_b32 s20, s22
	s_cbranch_execz .LBB139_171
; %bb.146:                              ;   in Loop: Header=BB139_29 Depth=1
	ds_load_b32 v3, v7 offset:4104
	s_wait_loadcnt_dscnt 0x0
	s_barrier_signal -1
	s_barrier_wait -1
	global_inv scope:SCOPE_SE
	v_readfirstlane_b32 s24, v3
	s_and_saveexec_b32 s16, s1
; %bb.147:                              ;   in Loop: Header=BB139_29 Depth=1
	ds_store_b16 v17, v7
; %bb.148:                              ;   in Loop: Header=BB139_29 Depth=1
	s_wait_alu 0xfffe
	s_or_b32 exec_lo, exec_lo, s16
	s_lshl_b32 s16, 1, s73
	v_or_b32_e32 v33, s12, v33
	s_wait_alu 0xfffe
	v_and_or_b32 v13, v13, s19, s16
	s_mov_b32 s16, -1
	s_mov_b32 s17, 0
	s_cmp_eq_u32 s24, 0
	s_mov_b32 s23, 0
	s_mov_b32 s40, -1
	s_wait_loadcnt_dscnt 0x0
	s_barrier_signal -1
	s_barrier_wait -1
	global_inv scope:SCOPE_SE
                                        ; implicit-def: $vgpr34
	s_cbranch_scc1 .LBB139_159
; %bb.149:                              ;   in Loop: Header=BB139_29 Depth=1
	s_add_co_i32 s40, s24, s51
                                        ; implicit-def: $vgpr34
	s_wait_alu 0xfffe
	s_mul_u64 s[74:75], s[40:41], s[44:45]
	s_wait_alu 0xfffe
	s_mul_i32 s23, s75, s29
	s_wait_alu 0xfffe
	s_sub_co_i32 s23, s40, s23
	s_wait_alu 0xfffe
	s_sub_co_i32 s74, s23, s29
	s_cmp_ge_u32 s23, s29
	s_wait_alu 0xfffe
	s_cselect_b32 s23, s74, s23
	s_wait_alu 0xfffe
	s_sub_co_i32 s74, s23, s29
	s_cmp_ge_u32 s23, s29
	s_wait_alu 0xfffe
	s_cselect_b32 s23, s74, s23
	s_mov_b32 s74, exec_lo
	s_wait_alu 0xfffe
	s_sub_co_i32 s75, s40, s23
	s_mov_b32 s40, 0
	s_mov_b32 s23, 0
	s_wait_alu 0xfffe
	v_cmpx_gt_u32_e64 s75, v0
	s_cbranch_execz .LBB139_158
; %bb.150:                              ;   in Loop: Header=BB139_29 Depth=1
	v_dual_mov_b32 v3, v16 :: v_dual_mov_b32 v4, v0
                                        ; implicit-def: $sgpr76
	s_branch .LBB139_153
.LBB139_151:                            ;   in Loop: Header=BB139_153 Depth=2
	s_wait_alu 0xfffe
	s_or_b32 exec_lo, exec_lo, s77
	s_wait_loadcnt_dscnt 0x0
	s_barrier_signal -1
	s_barrier_wait -1
	global_inv scope:SCOPE_SE
	ds_load_b32 v6, v7 offset:3072
	s_mov_b32 s77, -1
	s_mov_b32 s78, -1
	s_wait_loadcnt_dscnt 0x0
	s_barrier_signal -1
	s_barrier_wait -1
	global_inv scope:SCOPE_SE
	v_and_b32_e32 v34, 0x7fff, v6
	s_delay_alu instid0(VALU_DEP_1)
	v_cmp_ne_u32_e32 vcc_lo, 0, v34
	s_cbranch_vccz .LBB139_156
.LBB139_152:                            ;   in Loop: Header=BB139_153 Depth=2
	s_wait_alu 0xfffe
	s_and_b32 s77, exec_lo, s77
	s_wait_alu 0xfffe
	s_or_b32 s23, s77, s23
	s_and_not1_b32 s76, s76, exec_lo
	s_and_b32 s77, s78, exec_lo
	s_wait_alu 0xfffe
	s_or_b32 s76, s76, s77
	s_and_not1_b32 exec_lo, exec_lo, s23
	s_cbranch_execz .LBB139_157
.LBB139_153:                            ;   Parent Loop BB139_29 Depth=1
                                        ; =>  This Inner Loop Header: Depth=2
	s_mov_b32 s77, exec_lo
	s_delay_alu instid0(VALU_DEP_1)
	v_cmpx_gt_u32_e64 s24, v4
	s_cbranch_execz .LBB139_151
; %bb.154:                              ;   in Loop: Header=BB139_153 Depth=2
	ds_load_u16 v6, v3
	s_wait_dscnt 0x0
	v_cmp_lt_i16_e32 vcc_lo, -1, v6
	v_and_b32_e32 v34, 0xffff, v6
	s_wait_alu 0xfffd
	v_dual_cndmask_b32 v35, 0xffff, v31 :: v_dual_lshlrev_b32 v36, 16, v6
	s_delay_alu instid0(VALU_DEP_1) | instskip(NEXT) | instid1(VALU_DEP_2)
	v_cmp_o_f32_e32 vcc_lo, v36, v36
	v_xor_b32_e32 v34, v35, v34
	s_wait_alu 0xfffd
	s_delay_alu instid0(VALU_DEP_1) | instskip(NEXT) | instid1(VALU_DEP_1)
	v_cndmask_b32_e32 v34, 0xffff, v34, vcc_lo
	v_and_b32_e32 v34, v34, v33
	s_delay_alu instid0(VALU_DEP_1)
	v_cmp_eq_u32_e32 vcc_lo, v34, v13
	s_and_b32 exec_lo, exec_lo, vcc_lo
	s_cbranch_execz .LBB139_151
; %bb.155:                              ;   in Loop: Header=BB139_153 Depth=2
	v_perm_b32 v6, v6, s66, 0x5040100
	ds_store_b32 v7, v6 offset:3072
	s_branch .LBB139_151
.LBB139_156:                            ;   in Loop: Header=BB139_153 Depth=2
	v_add_nc_u32_e32 v4, s29, v4
	v_add_nc_u32_e32 v3, s64, v3
	s_mov_b32 s78, 0
	s_delay_alu instid0(VALU_DEP_2)
	v_cmp_le_u32_e32 vcc_lo, s75, v4
	s_or_not1_b32 s77, vcc_lo, exec_lo
	s_branch .LBB139_152
.LBB139_157:                            ;   in Loop: Header=BB139_29 Depth=1
	s_or_b32 exec_lo, exec_lo, s23
	v_lshrrev_b32_e32 v34, 16, v6
	s_wait_alu 0xfffe
	s_and_b32 s23, s76, exec_lo
.LBB139_158:                            ;   in Loop: Header=BB139_29 Depth=1
	s_or_b32 exec_lo, exec_lo, s74
.LBB139_159:                            ;   in Loop: Header=BB139_29 Depth=1
	s_wait_alu 0xfffe
	s_and_b32 vcc_lo, exec_lo, s40
	s_wait_alu 0xfffe
	s_cbranch_vccz .LBB139_170
; %bb.160:                              ;   in Loop: Header=BB139_29 Depth=1
                                        ; implicit-def: $vgpr34
	s_and_saveexec_b32 s16, s10
	s_cbranch_execz .LBB139_169
; %bb.161:                              ;   in Loop: Header=BB139_29 Depth=1
	v_dual_mov_b32 v6, v5 :: v_dual_mov_b32 v3, v0
	s_mov_b32 s17, 0
                                        ; implicit-def: $sgpr24
	s_branch .LBB139_164
.LBB139_162:                            ;   in Loop: Header=BB139_164 Depth=2
	s_wait_alu 0xfffe
	s_or_b32 exec_lo, exec_lo, s40
	s_wait_loadcnt_dscnt 0x0
	s_barrier_signal -1
	s_barrier_wait -1
	global_inv scope:SCOPE_SE
	ds_load_b32 v4, v7 offset:3072
	s_mov_b32 s40, -1
	s_mov_b32 s74, -1
	s_wait_loadcnt_dscnt 0x0
	s_barrier_signal -1
	s_barrier_wait -1
	global_inv scope:SCOPE_SE
	v_and_b32_e32 v34, 0x7fff, v4
	s_delay_alu instid0(VALU_DEP_1)
	v_cmp_eq_u32_e32 vcc_lo, 0, v34
	s_cbranch_vccnz .LBB139_167
.LBB139_163:                            ;   in Loop: Header=BB139_164 Depth=2
	s_wait_alu 0xfffe
	s_and_b32 s40, exec_lo, s40
	s_wait_alu 0xfffe
	s_or_b32 s17, s40, s17
	s_and_not1_b32 s24, s24, exec_lo
	s_and_b32 s40, s74, exec_lo
	s_wait_alu 0xfffe
	s_or_b32 s24, s24, s40
	s_and_not1_b32 exec_lo, exec_lo, s17
	s_cbranch_execz .LBB139_168
.LBB139_164:                            ;   Parent Loop BB139_29 Depth=1
                                        ; =>  This Inner Loop Header: Depth=2
	s_mov_b32 s40, exec_lo
	s_delay_alu instid0(VALU_DEP_1)
	v_cmpx_gt_u32_e64 s28, v3
	s_cbranch_execz .LBB139_162
; %bb.165:                              ;   in Loop: Header=BB139_164 Depth=2
	v_lshlrev_b64_e32 v[34:35], 1, v[6:7]
	s_delay_alu instid0(VALU_DEP_1) | instskip(SKIP_1) | instid1(VALU_DEP_2)
	v_add_co_u32 v34, vcc_lo, s34, v34
	s_wait_alu 0xfffd
	v_add_co_ci_u32_e64 v35, null, s35, v35, vcc_lo
	global_load_u16 v4, v[34:35], off
	s_wait_loadcnt 0x0
	v_cmp_lt_i16_e32 vcc_lo, -1, v4
	v_and_b32_e32 v34, 0xffff, v4
	s_wait_alu 0xfffd
	v_dual_cndmask_b32 v35, 0xffff, v31 :: v_dual_lshlrev_b32 v36, 16, v4
	s_delay_alu instid0(VALU_DEP_1) | instskip(NEXT) | instid1(VALU_DEP_2)
	v_cmp_o_f32_e32 vcc_lo, v36, v36
	v_xor_b32_e32 v34, v35, v34
	s_wait_alu 0xfffd
	s_delay_alu instid0(VALU_DEP_1) | instskip(NEXT) | instid1(VALU_DEP_1)
	v_cndmask_b32_e32 v34, 0xffff, v34, vcc_lo
	v_and_b32_e32 v34, v34, v33
	s_delay_alu instid0(VALU_DEP_1)
	v_cmp_eq_u32_e32 vcc_lo, v34, v13
	s_and_b32 exec_lo, exec_lo, vcc_lo
	s_cbranch_execz .LBB139_162
; %bb.166:                              ;   in Loop: Header=BB139_164 Depth=2
	v_perm_b32 v4, v4, s66, 0x5040100
	ds_store_b32 v7, v4 offset:3072
	s_branch .LBB139_162
.LBB139_167:                            ;   in Loop: Header=BB139_164 Depth=2
	v_add_nc_u32_e32 v3, s29, v3
	v_add_nc_u32_e32 v6, s54, v6
	s_mov_b32 s74, 0
	s_delay_alu instid0(VALU_DEP_2)
	v_cmp_le_u32_e32 vcc_lo, s61, v3
	s_or_not1_b32 s40, vcc_lo, exec_lo
	s_branch .LBB139_163
.LBB139_168:                            ;   in Loop: Header=BB139_29 Depth=1
	s_or_b32 exec_lo, exec_lo, s17
	v_lshrrev_b32_e32 v34, 16, v4
	s_and_not1_b32 s17, s23, exec_lo
	s_wait_alu 0xfffe
	s_and_b32 s23, s24, exec_lo
	s_wait_alu 0xfffe
	s_or_b32 s23, s17, s23
.LBB139_169:                            ;   in Loop: Header=BB139_29 Depth=1
	s_wait_alu 0xfffe
	s_or_b32 exec_lo, exec_lo, s16
	s_mov_b32 s16, 0
	s_mov_b32 s17, -1
.LBB139_170:                            ;   in Loop: Header=BB139_29 Depth=1
	s_or_not1_b32 s23, s23, exec_lo
.LBB139_171:                            ;   in Loop: Header=BB139_29 Depth=1
	s_wait_alu 0xfffe
	s_or_b32 exec_lo, exec_lo, s20
	s_mov_b32 s24, 0
	s_and_saveexec_b32 s20, s23
	s_cbranch_execz .LBB139_260
; %bb.172:                              ;   in Loop: Header=BB139_29 Depth=1
	v_mov_b32_e32 v3, 1
	v_mov_b32_e32 v1, 1
	s_xor_b32 s23, s22, -1
	s_mov_b32 s40, 0
	s_wait_alu 0xfffe
	s_and_saveexec_b32 s22, s23
	s_cbranch_execz .LBB139_181
; %bb.173:                              ;   in Loop: Header=BB139_29 Depth=1
	s_mov_b32 s23, exec_lo
	v_cmpx_ge_u32_e64 s21, v2
	s_wait_alu 0xfffe
	s_xor_b32 s23, exec_lo, s23
	s_cbranch_execz .LBB139_178
; %bb.174:                              ;   in Loop: Header=BB139_29 Depth=1
	ds_load_b32 v1, v7 offset:4104
	s_lshl_b32 s24, 1, s73
	v_or_b32_e32 v33, s12, v33
	s_wait_alu 0xfffe
	v_and_or_b32 v13, v13, s19, s24
	s_wait_dscnt 0x0
	v_cmp_ne_u32_e32 vcc_lo, 0, v1
	s_cbranch_vccnz .LBB139_178
; %bb.175:                              ;   in Loop: Header=BB139_29 Depth=1
	s_and_saveexec_b32 s24, s0
; %bb.176:                              ;   in Loop: Header=BB139_29 Depth=1
	v_mov_b32_e32 v1, s21
	ds_store_b32 v7, v1 offset:4108
; %bb.177:                              ;   in Loop: Header=BB139_29 Depth=1
	s_wait_alu 0xfffe
	s_or_b32 exec_lo, exec_lo, s24
	s_wait_loadcnt_dscnt 0x0
	s_barrier_signal -1
	s_barrier_wait -1
	global_inv scope:SCOPE_SE
.LBB139_178:                            ;   in Loop: Header=BB139_29 Depth=1
	s_wait_alu 0xfffe
	s_or_saveexec_b32 s23, s23
	v_mov_b32_e32 v1, 8
	s_mov_b32 s24, 0
	s_wait_alu 0xfffe
	s_xor_b32 exec_lo, exec_lo, s23
; %bb.179:                              ;   in Loop: Header=BB139_29 Depth=1
	v_subrev_nc_u32_e32 v2, s21, v2
	v_mov_b32_e32 v1, 0
	s_mov_b32 s24, exec_lo
; %bb.180:                              ;   in Loop: Header=BB139_29 Depth=1
	s_or_b32 exec_lo, exec_lo, s23
	s_delay_alu instid0(VALU_DEP_2)
	v_mov_b32_e32 v3, v2
	s_wait_alu 0xfffe
	s_and_b32 s40, s24, exec_lo
.LBB139_181:                            ;   in Loop: Header=BB139_29 Depth=1
	s_wait_alu 0xfffe
	s_or_b32 exec_lo, exec_lo, s22
	s_mov_b32 s24, -1
                                        ; implicit-def: $sgpr22
                                        ; implicit-def: $sgpr23
	s_and_saveexec_b32 s21, s40
	s_cbranch_execz .LBB139_259
; %bb.182:                              ;   in Loop: Header=BB139_29 Depth=1
	v_cmp_eq_u32_e32 vcc_lo, 1, v3
	s_cmp_eq_u32 s18, 1
	s_mov_b32 s40, -1
	s_cselect_b32 s22, -1, 0
                                        ; implicit-def: $sgpr23
	s_wait_alu 0xfffe
	s_and_b32 s74, s22, vcc_lo
                                        ; implicit-def: $sgpr22
	s_wait_alu 0xfffe
	s_and_saveexec_b32 s24, s74
	s_cbranch_execz .LBB139_208
; %bb.183:                              ;   in Loop: Header=BB139_29 Depth=1
	ds_load_b32 v2, v7 offset:4104
	s_wait_loadcnt_dscnt 0x0
	s_barrier_signal -1
	s_barrier_wait -1
	global_inv scope:SCOPE_SE
	v_readfirstlane_b32 s75, v2
	s_and_saveexec_b32 s22, s1
; %bb.184:                              ;   in Loop: Header=BB139_29 Depth=1
	ds_store_b16 v17, v7
; %bb.185:                              ;   in Loop: Header=BB139_29 Depth=1
	s_wait_alu 0xfffe
	s_or_b32 exec_lo, exec_lo, s22
	s_lshl_b32 s22, 2, s73
	v_or_b32_e32 v33, s12, v33
	s_wait_alu 0xfffe
	v_and_or_b32 v13, v13, s19, s22
	s_mov_b32 s22, -1
	s_mov_b32 s23, 0
	s_cmp_eq_u32 s75, 0
	s_mov_b32 s40, 0
	s_mov_b32 s76, -1
	s_wait_loadcnt_dscnt 0x0
	s_barrier_signal -1
	s_barrier_wait -1
	global_inv scope:SCOPE_SE
                                        ; implicit-def: $vgpr34
	s_cbranch_scc1 .LBB139_196
; %bb.186:                              ;   in Loop: Header=BB139_29 Depth=1
	s_add_co_i32 s40, s75, s51
                                        ; implicit-def: $vgpr34
	s_wait_alu 0xfffe
	s_mul_u64 s[76:77], s[40:41], s[44:45]
	s_wait_alu 0xfffe
	s_mul_i32 s76, s77, s29
	s_wait_alu 0xfffe
	s_sub_co_i32 s76, s40, s76
	s_wait_alu 0xfffe
	s_sub_co_i32 s77, s76, s29
	s_cmp_ge_u32 s76, s29
	s_wait_alu 0xfffe
	s_cselect_b32 s76, s77, s76
	s_wait_alu 0xfffe
	s_sub_co_i32 s77, s76, s29
	s_cmp_ge_u32 s76, s29
	s_wait_alu 0xfffe
	s_cselect_b32 s76, s77, s76
	s_mov_b32 s77, exec_lo
	s_wait_alu 0xfffe
	s_sub_co_i32 s78, s40, s76
	s_mov_b32 s76, 0
	s_mov_b32 s40, 0
	s_wait_alu 0xfffe
	v_cmpx_gt_u32_e64 s78, v0
	s_cbranch_execz .LBB139_195
; %bb.187:                              ;   in Loop: Header=BB139_29 Depth=1
	v_mov_b32_e32 v2, v16
	v_mov_b32_e32 v4, v0
                                        ; implicit-def: $sgpr79
	s_branch .LBB139_190
.LBB139_188:                            ;   in Loop: Header=BB139_190 Depth=2
	s_wait_alu 0xfffe
	s_or_b32 exec_lo, exec_lo, s80
	s_wait_loadcnt_dscnt 0x0
	s_barrier_signal -1
	s_barrier_wait -1
	global_inv scope:SCOPE_SE
	ds_load_b32 v6, v7 offset:3072
	s_mov_b32 s80, -1
	s_mov_b32 s81, -1
	s_wait_loadcnt_dscnt 0x0
	s_barrier_signal -1
	s_barrier_wait -1
	global_inv scope:SCOPE_SE
	v_and_b32_e32 v34, 0x7fff, v6
	s_delay_alu instid0(VALU_DEP_1)
	v_cmp_ne_u32_e32 vcc_lo, 0, v34
	s_cbranch_vccz .LBB139_193
.LBB139_189:                            ;   in Loop: Header=BB139_190 Depth=2
	s_wait_alu 0xfffe
	s_and_b32 s80, exec_lo, s80
	s_wait_alu 0xfffe
	s_or_b32 s40, s80, s40
	s_and_not1_b32 s79, s79, exec_lo
	s_and_b32 s80, s81, exec_lo
	s_wait_alu 0xfffe
	s_or_b32 s79, s79, s80
	s_and_not1_b32 exec_lo, exec_lo, s40
	s_cbranch_execz .LBB139_194
.LBB139_190:                            ;   Parent Loop BB139_29 Depth=1
                                        ; =>  This Inner Loop Header: Depth=2
	s_mov_b32 s80, exec_lo
	s_delay_alu instid0(VALU_DEP_1)
	v_cmpx_gt_u32_e64 s75, v4
	s_cbranch_execz .LBB139_188
; %bb.191:                              ;   in Loop: Header=BB139_190 Depth=2
	ds_load_u16 v6, v2
	s_wait_dscnt 0x0
	v_cmp_lt_i16_e32 vcc_lo, -1, v6
	v_and_b32_e32 v34, 0xffff, v6
	s_wait_alu 0xfffd
	v_dual_cndmask_b32 v35, 0xffff, v31 :: v_dual_lshlrev_b32 v36, 16, v6
	s_delay_alu instid0(VALU_DEP_1) | instskip(NEXT) | instid1(VALU_DEP_2)
	v_cmp_o_f32_e32 vcc_lo, v36, v36
	v_xor_b32_e32 v34, v35, v34
	s_wait_alu 0xfffd
	s_delay_alu instid0(VALU_DEP_1) | instskip(NEXT) | instid1(VALU_DEP_1)
	v_cndmask_b32_e32 v34, 0xffff, v34, vcc_lo
	v_and_b32_e32 v34, v34, v33
	s_delay_alu instid0(VALU_DEP_1)
	v_cmp_eq_u32_e32 vcc_lo, v34, v13
	s_and_b32 exec_lo, exec_lo, vcc_lo
	s_cbranch_execz .LBB139_188
; %bb.192:                              ;   in Loop: Header=BB139_190 Depth=2
	v_perm_b32 v6, v6, s66, 0x5040100
	ds_store_b32 v7, v6 offset:3072
	s_branch .LBB139_188
.LBB139_193:                            ;   in Loop: Header=BB139_190 Depth=2
	v_add_nc_u32_e32 v4, s29, v4
	v_add_nc_u32_e32 v2, s64, v2
	s_mov_b32 s81, 0
	s_delay_alu instid0(VALU_DEP_2)
	v_cmp_le_u32_e32 vcc_lo, s78, v4
	s_or_not1_b32 s80, vcc_lo, exec_lo
	s_branch .LBB139_189
.LBB139_194:                            ;   in Loop: Header=BB139_29 Depth=1
	s_or_b32 exec_lo, exec_lo, s40
	v_lshrrev_b32_e32 v34, 16, v6
	s_wait_alu 0xfffe
	s_and_b32 s40, s79, exec_lo
.LBB139_195:                            ;   in Loop: Header=BB139_29 Depth=1
	s_or_b32 exec_lo, exec_lo, s77
.LBB139_196:                            ;   in Loop: Header=BB139_29 Depth=1
	s_wait_alu 0xfffe
	s_and_b32 vcc_lo, exec_lo, s76
	s_wait_alu 0xfffe
	s_cbranch_vccz .LBB139_207
; %bb.197:                              ;   in Loop: Header=BB139_29 Depth=1
                                        ; implicit-def: $vgpr34
	s_and_saveexec_b32 s22, s10
	s_cbranch_execz .LBB139_206
; %bb.198:                              ;   in Loop: Header=BB139_29 Depth=1
	v_mov_b32_e32 v6, v5
	v_mov_b32_e32 v2, v0
	s_mov_b32 s23, 0
                                        ; implicit-def: $sgpr75
	s_branch .LBB139_201
.LBB139_199:                            ;   in Loop: Header=BB139_201 Depth=2
	s_wait_alu 0xfffe
	s_or_b32 exec_lo, exec_lo, s76
	s_wait_loadcnt_dscnt 0x0
	s_barrier_signal -1
	s_barrier_wait -1
	global_inv scope:SCOPE_SE
	ds_load_b32 v4, v7 offset:3072
	s_mov_b32 s76, -1
	s_mov_b32 s77, -1
	s_wait_loadcnt_dscnt 0x0
	s_barrier_signal -1
	s_barrier_wait -1
	global_inv scope:SCOPE_SE
	v_and_b32_e32 v34, 0x7fff, v4
	s_delay_alu instid0(VALU_DEP_1)
	v_cmp_eq_u32_e32 vcc_lo, 0, v34
	s_cbranch_vccnz .LBB139_204
.LBB139_200:                            ;   in Loop: Header=BB139_201 Depth=2
	s_wait_alu 0xfffe
	s_and_b32 s76, exec_lo, s76
	s_wait_alu 0xfffe
	s_or_b32 s23, s76, s23
	s_and_not1_b32 s75, s75, exec_lo
	s_and_b32 s76, s77, exec_lo
	s_wait_alu 0xfffe
	s_or_b32 s75, s75, s76
	s_and_not1_b32 exec_lo, exec_lo, s23
	s_cbranch_execz .LBB139_205
.LBB139_201:                            ;   Parent Loop BB139_29 Depth=1
                                        ; =>  This Inner Loop Header: Depth=2
	s_mov_b32 s76, exec_lo
	s_delay_alu instid0(VALU_DEP_1)
	v_cmpx_gt_u32_e64 s28, v2
	s_cbranch_execz .LBB139_199
; %bb.202:                              ;   in Loop: Header=BB139_201 Depth=2
	v_lshlrev_b64_e32 v[34:35], 1, v[6:7]
	s_delay_alu instid0(VALU_DEP_1) | instskip(SKIP_1) | instid1(VALU_DEP_2)
	v_add_co_u32 v34, vcc_lo, s34, v34
	s_wait_alu 0xfffd
	v_add_co_ci_u32_e64 v35, null, s35, v35, vcc_lo
	global_load_u16 v4, v[34:35], off
	s_wait_loadcnt 0x0
	v_cmp_lt_i16_e32 vcc_lo, -1, v4
	v_and_b32_e32 v34, 0xffff, v4
	s_wait_alu 0xfffd
	v_dual_cndmask_b32 v35, 0xffff, v31 :: v_dual_lshlrev_b32 v36, 16, v4
	s_delay_alu instid0(VALU_DEP_1) | instskip(NEXT) | instid1(VALU_DEP_2)
	v_cmp_o_f32_e32 vcc_lo, v36, v36
	v_xor_b32_e32 v34, v35, v34
	s_wait_alu 0xfffd
	s_delay_alu instid0(VALU_DEP_1) | instskip(NEXT) | instid1(VALU_DEP_1)
	v_cndmask_b32_e32 v34, 0xffff, v34, vcc_lo
	v_and_b32_e32 v34, v34, v33
	s_delay_alu instid0(VALU_DEP_1)
	v_cmp_eq_u32_e32 vcc_lo, v34, v13
	s_and_b32 exec_lo, exec_lo, vcc_lo
	s_cbranch_execz .LBB139_199
; %bb.203:                              ;   in Loop: Header=BB139_201 Depth=2
	v_perm_b32 v4, v4, s66, 0x5040100
	ds_store_b32 v7, v4 offset:3072
	s_branch .LBB139_199
.LBB139_204:                            ;   in Loop: Header=BB139_201 Depth=2
	v_add_nc_u32_e32 v2, s29, v2
	v_add_nc_u32_e32 v6, s54, v6
	s_mov_b32 s77, 0
	s_delay_alu instid0(VALU_DEP_2)
	v_cmp_le_u32_e32 vcc_lo, s61, v2
	s_or_not1_b32 s76, vcc_lo, exec_lo
	s_branch .LBB139_200
.LBB139_205:                            ;   in Loop: Header=BB139_29 Depth=1
	s_or_b32 exec_lo, exec_lo, s23
	v_lshrrev_b32_e32 v34, 16, v4
	s_and_not1_b32 s23, s40, exec_lo
	s_wait_alu 0xfffe
	s_and_b32 s40, s75, exec_lo
	s_wait_alu 0xfffe
	s_or_b32 s40, s23, s40
.LBB139_206:                            ;   in Loop: Header=BB139_29 Depth=1
	s_wait_alu 0xfffe
	s_or_b32 exec_lo, exec_lo, s22
	s_mov_b32 s22, 0
	s_mov_b32 s23, -1
.LBB139_207:                            ;   in Loop: Header=BB139_29 Depth=1
	s_or_not1_b32 s40, s40, exec_lo
.LBB139_208:                            ;   in Loop: Header=BB139_29 Depth=1
	s_wait_alu 0xfffe
	s_or_b32 exec_lo, exec_lo, s24
	s_mov_b32 s75, 0
	s_and_saveexec_b32 s24, s40
	s_cbranch_execz .LBB139_258
; %bb.209:                              ;   in Loop: Header=BB139_29 Depth=1
	v_dual_mov_b32 v2, 1 :: v_dual_mov_b32 v1, 1
	s_xor_b32 s74, s74, -1
	s_mov_b32 s76, 0
	s_wait_alu 0xfffe
	s_and_saveexec_b32 s40, s74
	s_cbranch_execz .LBB139_218
; %bb.210:                              ;   in Loop: Header=BB139_29 Depth=1
	s_mov_b32 s74, exec_lo
	v_cmpx_ge_u32_e64 s18, v3
	s_wait_alu 0xfffe
	s_xor_b32 s74, exec_lo, s74
	s_cbranch_execz .LBB139_215
; %bb.211:                              ;   in Loop: Header=BB139_29 Depth=1
	ds_load_b32 v1, v7 offset:4104
	s_lshl_b32 s75, 2, s73
	v_or_b32_e32 v33, s12, v33
	s_wait_alu 0xfffe
	v_and_or_b32 v13, v13, s19, s75
	s_wait_dscnt 0x0
	v_cmp_ne_u32_e32 vcc_lo, 0, v1
	s_cbranch_vccnz .LBB139_215
; %bb.212:                              ;   in Loop: Header=BB139_29 Depth=1
	s_and_saveexec_b32 s19, s0
; %bb.213:                              ;   in Loop: Header=BB139_29 Depth=1
	v_mov_b32_e32 v1, s18
	ds_store_b32 v7, v1 offset:4108
; %bb.214:                              ;   in Loop: Header=BB139_29 Depth=1
	s_wait_alu 0xfffe
	s_or_b32 exec_lo, exec_lo, s19
	s_wait_loadcnt_dscnt 0x0
	s_barrier_signal -1
	s_barrier_wait -1
	global_inv scope:SCOPE_SE
.LBB139_215:                            ;   in Loop: Header=BB139_29 Depth=1
	s_wait_alu 0xfffe
	s_or_saveexec_b32 s19, s74
	v_mov_b32_e32 v1, 8
	s_mov_b32 s74, 0
	s_wait_alu 0xfffe
	s_xor_b32 exec_lo, exec_lo, s19
; %bb.216:                              ;   in Loop: Header=BB139_29 Depth=1
	v_subrev_nc_u32_e32 v3, s18, v3
	v_mov_b32_e32 v1, 0
	s_mov_b32 s74, exec_lo
; %bb.217:                              ;   in Loop: Header=BB139_29 Depth=1
	s_or_b32 exec_lo, exec_lo, s19
	s_delay_alu instid0(VALU_DEP_2)
	v_mov_b32_e32 v2, v3
	s_wait_alu 0xfffe
	s_and_b32 s76, s74, exec_lo
.LBB139_218:                            ;   in Loop: Header=BB139_29 Depth=1
	s_wait_alu 0xfffe
	s_or_b32 exec_lo, exec_lo, s40
	s_mov_b32 s19, -1
                                        ; implicit-def: $sgpr75
                                        ; implicit-def: $sgpr74
	s_and_saveexec_b32 s18, s76
	s_cbranch_execz .LBB139_257
; %bb.219:                              ;   in Loop: Header=BB139_29 Depth=1
	v_cmp_eq_u32_e32 vcc_lo, 1, v2
	s_cmp_eq_u32 s11, 1
	s_mov_b32 s77, -1
	s_cselect_b32 s19, -1, 0
                                        ; implicit-def: $sgpr75
                                        ; implicit-def: $sgpr74
	s_wait_alu 0xfffe
	s_and_b32 s19, s19, vcc_lo
	s_wait_alu 0xfffe
	s_and_saveexec_b32 s76, s19
	s_cbranch_execz .LBB139_245
; %bb.220:                              ;   in Loop: Header=BB139_29 Depth=1
	ds_load_b32 v3, v7 offset:4104
	s_wait_loadcnt_dscnt 0x0
	s_barrier_signal -1
	s_barrier_wait -1
	global_inv scope:SCOPE_SE
	v_readfirstlane_b32 s77, v3
	s_and_saveexec_b32 s40, s1
; %bb.221:                              ;   in Loop: Header=BB139_29 Depth=1
	ds_store_b16 v17, v7
; %bb.222:                              ;   in Loop: Header=BB139_29 Depth=1
	s_wait_alu 0xfffe
	s_or_b32 exec_lo, exec_lo, s40
	v_or_b32_e32 v13, s12, v13
	v_or_b32_e32 v33, s12, v33
	s_mov_b32 s74, -1
	s_mov_b32 s75, 0
	s_cmp_eq_u32 s77, 0
	s_mov_b32 s40, 0
	s_mov_b32 s78, -1
	s_wait_loadcnt_dscnt 0x0
	s_barrier_signal -1
	s_barrier_wait -1
	global_inv scope:SCOPE_SE
                                        ; implicit-def: $vgpr34
	s_cbranch_scc1 .LBB139_233
; %bb.223:                              ;   in Loop: Header=BB139_29 Depth=1
	s_add_co_i32 s40, s77, s51
                                        ; implicit-def: $vgpr34
	s_wait_alu 0xfffe
	s_mul_u64 s[78:79], s[40:41], s[44:45]
	s_wait_alu 0xfffe
	s_mul_i32 s78, s79, s29
	s_wait_alu 0xfffe
	s_sub_co_i32 s78, s40, s78
	s_wait_alu 0xfffe
	s_sub_co_i32 s79, s78, s29
	s_cmp_ge_u32 s78, s29
	s_wait_alu 0xfffe
	s_cselect_b32 s78, s79, s78
	s_wait_alu 0xfffe
	s_sub_co_i32 s79, s78, s29
	s_cmp_ge_u32 s78, s29
	s_wait_alu 0xfffe
	s_cselect_b32 s78, s79, s78
	s_mov_b32 s79, exec_lo
	s_wait_alu 0xfffe
	s_sub_co_i32 s80, s40, s78
	s_mov_b32 s78, 0
	s_mov_b32 s40, 0
	s_wait_alu 0xfffe
	v_cmpx_gt_u32_e64 s80, v0
	s_cbranch_execz .LBB139_232
; %bb.224:                              ;   in Loop: Header=BB139_29 Depth=1
	v_dual_mov_b32 v3, v16 :: v_dual_mov_b32 v4, v0
                                        ; implicit-def: $sgpr81
	s_branch .LBB139_227
.LBB139_225:                            ;   in Loop: Header=BB139_227 Depth=2
	s_or_b32 exec_lo, exec_lo, s82
	s_wait_loadcnt_dscnt 0x0
	s_barrier_signal -1
	s_barrier_wait -1
	global_inv scope:SCOPE_SE
	ds_load_b32 v6, v7 offset:3072
	s_mov_b32 s82, -1
	s_mov_b32 s83, -1
	s_wait_loadcnt_dscnt 0x0
	s_barrier_signal -1
	s_barrier_wait -1
	global_inv scope:SCOPE_SE
	v_and_b32_e32 v34, 0x7fff, v6
	s_delay_alu instid0(VALU_DEP_1)
	v_cmp_ne_u32_e32 vcc_lo, 0, v34
	s_cbranch_vccz .LBB139_230
.LBB139_226:                            ;   in Loop: Header=BB139_227 Depth=2
	s_and_b32 s82, exec_lo, s82
	s_delay_alu instid0(SALU_CYCLE_1)
	s_or_b32 s40, s82, s40
	s_wait_alu 0xfffe
	s_and_not1_b32 s81, s81, exec_lo
	s_and_b32 s82, s83, exec_lo
	s_wait_alu 0xfffe
	s_or_b32 s81, s81, s82
	s_and_not1_b32 exec_lo, exec_lo, s40
	s_cbranch_execz .LBB139_231
.LBB139_227:                            ;   Parent Loop BB139_29 Depth=1
                                        ; =>  This Inner Loop Header: Depth=2
	s_mov_b32 s82, exec_lo
	s_delay_alu instid0(VALU_DEP_1)
	v_cmpx_gt_u32_e64 s77, v4
	s_cbranch_execz .LBB139_225
; %bb.228:                              ;   in Loop: Header=BB139_227 Depth=2
	ds_load_u16 v6, v3
	s_wait_dscnt 0x0
	v_cmp_lt_i16_e32 vcc_lo, -1, v6
	v_and_b32_e32 v34, 0xffff, v6
	s_wait_alu 0xfffd
	v_dual_cndmask_b32 v35, 0xffff, v31 :: v_dual_lshlrev_b32 v36, 16, v6
	s_delay_alu instid0(VALU_DEP_1) | instskip(NEXT) | instid1(VALU_DEP_2)
	v_cmp_o_f32_e32 vcc_lo, v36, v36
	v_xor_b32_e32 v34, v35, v34
	s_wait_alu 0xfffd
	s_delay_alu instid0(VALU_DEP_1) | instskip(NEXT) | instid1(VALU_DEP_1)
	v_cndmask_b32_e32 v34, 0xffff, v34, vcc_lo
	v_and_b32_e32 v34, v34, v33
	s_delay_alu instid0(VALU_DEP_1)
	v_cmp_eq_u32_e32 vcc_lo, v34, v13
	s_and_b32 exec_lo, exec_lo, vcc_lo
	s_cbranch_execz .LBB139_225
; %bb.229:                              ;   in Loop: Header=BB139_227 Depth=2
	v_perm_b32 v6, v6, s66, 0x5040100
	ds_store_b32 v7, v6 offset:3072
	s_branch .LBB139_225
.LBB139_230:                            ;   in Loop: Header=BB139_227 Depth=2
	v_add_nc_u32_e32 v4, s29, v4
	v_add_nc_u32_e32 v3, s64, v3
	s_mov_b32 s83, 0
	s_delay_alu instid0(VALU_DEP_2)
	v_cmp_le_u32_e32 vcc_lo, s80, v4
	s_or_not1_b32 s82, vcc_lo, exec_lo
	s_branch .LBB139_226
.LBB139_231:                            ;   in Loop: Header=BB139_29 Depth=1
	s_or_b32 exec_lo, exec_lo, s40
	v_lshrrev_b32_e32 v34, 16, v6
	s_wait_alu 0xfffe
	s_and_b32 s40, s81, exec_lo
.LBB139_232:                            ;   in Loop: Header=BB139_29 Depth=1
	s_or_b32 exec_lo, exec_lo, s79
.LBB139_233:                            ;   in Loop: Header=BB139_29 Depth=1
	s_wait_alu 0xfffe
	s_and_b32 vcc_lo, exec_lo, s78
	s_wait_alu 0xfffe
	s_cbranch_vccz .LBB139_244
; %bb.234:                              ;   in Loop: Header=BB139_29 Depth=1
                                        ; implicit-def: $vgpr34
	s_and_saveexec_b32 s74, s10
	s_cbranch_execz .LBB139_243
; %bb.235:                              ;   in Loop: Header=BB139_29 Depth=1
	v_dual_mov_b32 v6, v5 :: v_dual_mov_b32 v3, v0
	s_mov_b32 s75, 0
                                        ; implicit-def: $sgpr77
	s_branch .LBB139_238
.LBB139_236:                            ;   in Loop: Header=BB139_238 Depth=2
	s_wait_alu 0xfffe
	s_or_b32 exec_lo, exec_lo, s78
	s_wait_loadcnt_dscnt 0x0
	s_barrier_signal -1
	s_barrier_wait -1
	global_inv scope:SCOPE_SE
	ds_load_b32 v4, v7 offset:3072
	s_mov_b32 s78, -1
	s_mov_b32 s79, -1
	s_wait_loadcnt_dscnt 0x0
	s_barrier_signal -1
	s_barrier_wait -1
	global_inv scope:SCOPE_SE
	v_and_b32_e32 v34, 0x7fff, v4
	s_delay_alu instid0(VALU_DEP_1)
	v_cmp_eq_u32_e32 vcc_lo, 0, v34
	s_cbranch_vccnz .LBB139_241
.LBB139_237:                            ;   in Loop: Header=BB139_238 Depth=2
	s_wait_alu 0xfffe
	s_and_b32 s78, exec_lo, s78
	s_wait_alu 0xfffe
	s_or_b32 s75, s78, s75
	s_and_not1_b32 s77, s77, exec_lo
	s_and_b32 s78, s79, exec_lo
	s_wait_alu 0xfffe
	s_or_b32 s77, s77, s78
	s_and_not1_b32 exec_lo, exec_lo, s75
	s_cbranch_execz .LBB139_242
.LBB139_238:                            ;   Parent Loop BB139_29 Depth=1
                                        ; =>  This Inner Loop Header: Depth=2
	s_mov_b32 s78, exec_lo
	s_delay_alu instid0(VALU_DEP_1)
	v_cmpx_gt_u32_e64 s28, v3
	s_cbranch_execz .LBB139_236
; %bb.239:                              ;   in Loop: Header=BB139_238 Depth=2
	v_lshlrev_b64_e32 v[34:35], 1, v[6:7]
	s_delay_alu instid0(VALU_DEP_1) | instskip(SKIP_1) | instid1(VALU_DEP_2)
	v_add_co_u32 v34, vcc_lo, s34, v34
	s_wait_alu 0xfffd
	v_add_co_ci_u32_e64 v35, null, s35, v35, vcc_lo
	global_load_u16 v4, v[34:35], off
	s_wait_loadcnt 0x0
	v_cmp_lt_i16_e32 vcc_lo, -1, v4
	v_and_b32_e32 v34, 0xffff, v4
	s_wait_alu 0xfffd
	v_dual_cndmask_b32 v35, 0xffff, v31 :: v_dual_lshlrev_b32 v36, 16, v4
	s_delay_alu instid0(VALU_DEP_1) | instskip(NEXT) | instid1(VALU_DEP_2)
	v_cmp_o_f32_e32 vcc_lo, v36, v36
	v_xor_b32_e32 v34, v35, v34
	s_wait_alu 0xfffd
	s_delay_alu instid0(VALU_DEP_1) | instskip(NEXT) | instid1(VALU_DEP_1)
	v_cndmask_b32_e32 v34, 0xffff, v34, vcc_lo
	v_and_b32_e32 v34, v34, v33
	s_delay_alu instid0(VALU_DEP_1)
	v_cmp_eq_u32_e32 vcc_lo, v34, v13
	s_and_b32 exec_lo, exec_lo, vcc_lo
	s_cbranch_execz .LBB139_236
; %bb.240:                              ;   in Loop: Header=BB139_238 Depth=2
	v_perm_b32 v4, v4, s66, 0x5040100
	ds_store_b32 v7, v4 offset:3072
	s_branch .LBB139_236
.LBB139_241:                            ;   in Loop: Header=BB139_238 Depth=2
	v_add_nc_u32_e32 v3, s29, v3
	v_add_nc_u32_e32 v6, s54, v6
	s_mov_b32 s79, 0
	s_delay_alu instid0(VALU_DEP_2)
	v_cmp_le_u32_e32 vcc_lo, s61, v3
	s_or_not1_b32 s78, vcc_lo, exec_lo
	s_branch .LBB139_237
.LBB139_242:                            ;   in Loop: Header=BB139_29 Depth=1
	s_or_b32 exec_lo, exec_lo, s75
	v_lshrrev_b32_e32 v34, 16, v4
	s_and_not1_b32 s40, s40, exec_lo
	s_wait_alu 0xfffe
	s_and_b32 s75, s77, exec_lo
	s_wait_alu 0xfffe
	s_or_b32 s40, s40, s75
.LBB139_243:                            ;   in Loop: Header=BB139_29 Depth=1
	s_wait_alu 0xfffe
	s_or_b32 exec_lo, exec_lo, s74
	s_mov_b32 s74, 0
	s_mov_b32 s75, -1
.LBB139_244:                            ;   in Loop: Header=BB139_29 Depth=1
	s_or_not1_b32 s77, s40, exec_lo
.LBB139_245:                            ;   in Loop: Header=BB139_29 Depth=1
	s_wait_alu 0xfffe
	s_or_b32 exec_lo, exec_lo, s76
	s_mov_b32 s76, 0
	s_and_saveexec_b32 s40, s77
	s_cbranch_execz .LBB139_256
; %bb.246:                              ;   in Loop: Header=BB139_29 Depth=1
	v_mov_b32_e32 v1, 1
	v_mov_b32_e32 v3, 1
	s_xor_b32 s76, s19, -1
	s_wait_alu 0xfffe
	s_and_saveexec_b32 s19, s76
	s_cbranch_execz .LBB139_255
; %bb.247:                              ;   in Loop: Header=BB139_29 Depth=1
	s_mov_b32 s76, exec_lo
	v_cmpx_ge_u32_e64 s11, v2
	s_wait_alu 0xfffe
	s_xor_b32 s76, exec_lo, s76
	s_cbranch_execz .LBB139_252
; %bb.248:                              ;   in Loop: Header=BB139_29 Depth=1
	ds_load_b32 v1, v7 offset:4104
	v_or_b32_e32 v13, s12, v13
	v_or_b32_e32 v33, s12, v33
	s_wait_dscnt 0x0
	v_cmp_ne_u32_e32 vcc_lo, 0, v1
	s_cbranch_vccnz .LBB139_252
; %bb.249:                              ;   in Loop: Header=BB139_29 Depth=1
	s_and_saveexec_b32 s12, s0
; %bb.250:                              ;   in Loop: Header=BB139_29 Depth=1
	v_mov_b32_e32 v1, s11
	ds_store_b32 v7, v1 offset:4108
; %bb.251:                              ;   in Loop: Header=BB139_29 Depth=1
	s_wait_alu 0xfffe
	s_or_b32 exec_lo, exec_lo, s12
	s_wait_loadcnt_dscnt 0x0
	s_barrier_signal -1
	s_barrier_wait -1
	global_inv scope:SCOPE_SE
.LBB139_252:                            ;   in Loop: Header=BB139_29 Depth=1
	s_wait_alu 0xfffe
	s_and_not1_saveexec_b32 s12, s76
; %bb.253:                              ;   in Loop: Header=BB139_29 Depth=1
	v_subrev_nc_u32_e32 v2, s11, v2
; %bb.254:                              ;   in Loop: Header=BB139_29 Depth=1
	s_wait_alu 0xfffe
	s_or_b32 exec_lo, exec_lo, s12
	v_mov_b32_e32 v1, 8
	s_delay_alu instid0(VALU_DEP_2)
	v_mov_b32_e32 v3, v2
.LBB139_255:                            ;   in Loop: Header=BB139_29 Depth=1
	s_wait_alu 0xfffe
	s_or_b32 exec_lo, exec_lo, s19
	s_delay_alu instid0(VALU_DEP_1)
	v_mov_b32_e32 v2, v3
	s_mov_b32 s76, exec_lo
.LBB139_256:                            ;   in Loop: Header=BB139_29 Depth=1
	s_wait_alu 0xfffe
	s_or_b32 exec_lo, exec_lo, s40
	s_delay_alu instid0(SALU_CYCLE_1)
	s_or_not1_b32 s19, s76, exec_lo
.LBB139_257:                            ;   in Loop: Header=BB139_29 Depth=1
	s_wait_alu 0xfffe
	s_or_b32 exec_lo, exec_lo, s18
	v_mov_b32_e32 v3, v2
	s_and_not1_b32 s11, s23, exec_lo
	s_and_b32 s12, s75, exec_lo
	s_and_not1_b32 s18, s22, exec_lo
	s_and_b32 s22, s74, exec_lo
	s_wait_alu 0xfffe
	s_or_b32 s23, s11, s12
	s_or_b32 s22, s18, s22
	s_and_b32 s75, s19, exec_lo
.LBB139_258:                            ;   in Loop: Header=BB139_29 Depth=1
	s_wait_alu 0xfffe
	s_or_b32 exec_lo, exec_lo, s24
	s_delay_alu instid0(SALU_CYCLE_1)
	s_or_not1_b32 s24, s75, exec_lo
.LBB139_259:                            ;   in Loop: Header=BB139_29 Depth=1
	s_wait_alu 0xfffe
	s_or_b32 exec_lo, exec_lo, s21
	v_mov_b32_e32 v2, v3
	s_and_not1_b32 s11, s17, exec_lo
	s_and_b32 s12, s23, exec_lo
	s_and_not1_b32 s16, s16, exec_lo
	s_and_b32 s18, s22, exec_lo
	s_wait_alu 0xfffe
	s_or_b32 s17, s11, s12
	s_or_b32 s16, s16, s18
	s_and_b32 s24, s24, exec_lo
.LBB139_260:                            ;   in Loop: Header=BB139_29 Depth=1
	s_wait_alu 0xfffe
	s_or_b32 exec_lo, exec_lo, s20
	s_delay_alu instid0(SALU_CYCLE_1)
	s_or_not1_b32 s20, s24, exec_lo
.LBB139_261:                            ;   in Loop: Header=BB139_29 Depth=1
	s_wait_alu 0xfffe
	s_or_b32 exec_lo, exec_lo, s15
	s_mov_b32 s12, 0
                                        ; implicit-def: $sgpr22
	s_and_saveexec_b32 s11, s20
	s_wait_alu 0xfffe
	s_xor_b32 s11, exec_lo, s11
	s_cbranch_execz .LBB139_27
; %bb.262:                              ;   in Loop: Header=BB139_29 Depth=1
	v_and_b32_e32 v1, 7, v1
	s_mov_b32 s14, -1
	s_mov_b32 s12, -1
	s_mov_b32 s15, exec_lo
                                        ; implicit-def: $sgpr22
	s_delay_alu instid0(VALU_DEP_1)
	v_cmpx_eq_u32_e32 0, v1
	s_cbranch_execz .LBB139_26
; %bb.263:                              ;   in Loop: Header=BB139_29 Depth=1
	s_add_co_i32 s22, s73, -2
	s_cmp_eq_u32 s73, 0
	v_xor_b32_e32 v32, 1, v32
	s_cselect_b32 s14, -1, 0
	s_xor_b32 s12, exec_lo, -1
	s_wait_alu 0xfffe
	s_or_not1_b32 s14, s14, exec_lo
	s_branch .LBB139_26
.LBB139_264:
	s_or_b32 exec_lo, exec_lo, s65
	s_wait_alu 0xfffe
	s_xor_b32 s4, s72, -1
	s_xor_b32 s3, s70, -1
	;; [unrolled: 1-line block ×3, first 2 shown]
	s_mov_b32 s0, 0
	s_wait_alu 0xfffe
	s_and_saveexec_b32 s5, s3
	s_wait_alu 0xfffe
	s_xor_b32 s3, exec_lo, s5
	s_cbranch_execnz .LBB139_269
; %bb.265:
	s_wait_alu 0xfffe
	s_and_not1_saveexec_b32 s1, s3
	s_cbranch_execnz .LBB139_282
.LBB139_266:
	s_or_b32 exec_lo, exec_lo, s1
	s_and_saveexec_b32 s1, s0
.LBB139_267:
	; divergent unreachable
.LBB139_268:
	s_endpgm
.LBB139_269:
	s_and_saveexec_b32 s0, s4
	s_delay_alu instid0(SALU_CYCLE_1)
	s_xor_b32 s4, exec_lo, s0
	s_cbranch_execz .LBB139_280
; %bb.270:
	s_and_saveexec_b32 s0, s1
	s_delay_alu instid0(SALU_CYCLE_1)
	s_xor_b32 s0, exec_lo, s0
; %bb.271:
	v_and_b32_e32 v1, 0x8000, v13
	v_mov_b32_e32 v2, 0xffff
	s_delay_alu instid0(VALU_DEP_2) | instskip(SKIP_1) | instid1(VALU_DEP_2)
	v_cmp_eq_u32_e32 vcc_lo, 0, v1
	s_wait_alu 0xfffd
	v_cndmask_b32_e32 v1, 0x8000, v2, vcc_lo
	s_delay_alu instid0(VALU_DEP_1)
	v_xor_b32_e32 v34, v1, v13
; %bb.272:
	s_or_b32 exec_lo, exec_lo, s0
	s_mul_i32 s0, s49, s33
	s_mov_b32 s1, 0
	s_add_co_i32 s0, s0, s27
	v_mov_b32_e32 v6, 0
	s_lshl_b64 s[6:7], s[0:1], 1
	s_wait_alu 0xfffe
	s_add_nc_u64 s[6:7], s[38:39], s[6:7]
	global_store_b16 v6, v34, s[6:7]
	s_and_saveexec_b32 s5, s2
	s_cbranch_execz .LBB139_279
; %bb.273:
	v_lshlrev_b32_e32 v2, 16, v34
                                        ; implicit-def: $sgpr2
                                        ; implicit-def: $sgpr8
                                        ; implicit-def: $sgpr7
	s_delay_alu instid0(VALU_DEP_1)
	v_cmp_u_f32_e32 vcc_lo, v2, v2
	s_xor_b32 s6, vcc_lo, -1
	s_branch .LBB139_275
.LBB139_274:                            ;   in Loop: Header=BB139_275 Depth=1
	s_or_b32 exec_lo, exec_lo, s0
	s_wait_alu 0xfffe
	s_and_b32 s0, exec_lo, s8
	s_delay_alu instid0(SALU_CYCLE_1)
	s_or_b32 s1, s0, s1
	s_and_not1_b32 s0, s2, exec_lo
	s_and_b32 s2, s7, exec_lo
	s_wait_alu 0xfffe
	s_or_b32 s2, s0, s2
	s_and_not1_b32 exec_lo, exec_lo, s1
	s_cbranch_execz .LBB139_277
.LBB139_275:                            ; =>This Inner Loop Header: Depth=1
	v_lshlrev_b64_e32 v[3:4], 1, v[5:6]
	s_wait_alu 0xfffe
	s_or_b32 s7, s7, exec_lo
	s_or_b32 s8, s8, exec_lo
	s_delay_alu instid0(VALU_DEP_1)
	v_add_co_u32 v3, vcc_lo, s34, v3
	s_wait_alu 0xfffd
	v_add_co_ci_u32_e64 v4, null, s35, v4, vcc_lo
	global_load_u16 v1, v[3:4], off
	s_wait_loadcnt 0x0
	v_lshlrev_b32_e32 v1, 16, v1
	s_delay_alu instid0(VALU_DEP_1)
	v_cmp_o_f32_e32 vcc_lo, v1, v1
	v_cmp_neq_f32_e64 s0, v1, v2
	v_mov_b32_e32 v1, v0
                                        ; implicit-def: $vgpr0
	s_or_b32 s9, s6, vcc_lo
	s_wait_alu 0xfffe
	s_and_b32 s9, s0, s9
	s_wait_alu 0xfffe
	s_and_saveexec_b32 s0, s9
	s_cbranch_execz .LBB139_274
; %bb.276:                              ;   in Loop: Header=BB139_275 Depth=1
	v_add_nc_u32_e32 v0, s29, v1
	v_add_nc_u32_e32 v5, s54, v5
	s_and_not1_b32 s8, s8, exec_lo
	s_and_not1_b32 s7, s7, exec_lo
	s_delay_alu instid0(VALU_DEP_2)
	v_cmp_le_u32_e32 vcc_lo, s28, v0
	s_and_b32 s9, vcc_lo, exec_lo
	s_wait_alu 0xfffe
	s_or_b32 s8, s8, s9
	s_branch .LBB139_274
.LBB139_277:
	s_or_b32 exec_lo, exec_lo, s1
	s_wait_alu 0xfffe
	s_and_saveexec_b32 s0, s2
	s_delay_alu instid0(SALU_CYCLE_1)
	s_xor_b32 s0, exec_lo, s0
	s_cbranch_execz .LBB139_279
; %bb.278:
	s_mul_i32 s0, s48, s26
	s_mov_b32 s1, 0
	s_add_co_i32 s0, s0, s25
	v_mov_b32_e32 v2, 0
	s_lshl_b64 s[0:1], s[0:1], 3
	s_delay_alu instid0(SALU_CYCLE_1)
	s_add_nc_u64 s[0:1], s[36:37], s[0:1]
	global_store_b64 v2, v[1:2], s[0:1]
.LBB139_279:
	s_wait_alu 0xfffe
	s_or_b32 exec_lo, exec_lo, s5
.LBB139_280:
	s_wait_alu 0xfffe
	s_or_saveexec_b32 s0, s4
	s_mov_b32 s1, 0
	s_xor_b32 exec_lo, exec_lo, s0
	s_cbranch_execnz .LBB139_283
.LBB139_281:
	s_or_b32 exec_lo, exec_lo, s0
	s_delay_alu instid0(SALU_CYCLE_1)
	s_and_b32 s0, s1, exec_lo
	s_and_not1_saveexec_b32 s1, s3
	s_cbranch_execz .LBB139_266
.LBB139_282:
	s_or_b32 s0, s0, exec_lo
	s_trap 2
	s_or_b32 exec_lo, exec_lo, s1
	s_and_saveexec_b32 s1, s0
	s_cbranch_execnz .LBB139_267
	s_branch .LBB139_268
.LBB139_283:
	s_mov_b32 s1, exec_lo
	s_trap 2
	s_branch .LBB139_281
	.section	.rodata,"a",@progbits
	.p2align	6, 0x0
	.amdhsa_kernel _ZN2at6native12_GLOBAL__N_112gatherMedianIN3c108BFloat16EjLin1EEEvNS_4cuda6detail10TensorInfoIT_T0_EENS7_IlS9_EENS7_IKS8_S9_EES9_S9_S9_b
		.amdhsa_group_segment_fixed_size 4120
		.amdhsa_private_segment_fixed_size 0
		.amdhsa_kernarg_size 920
		.amdhsa_user_sgpr_count 2
		.amdhsa_user_sgpr_dispatch_ptr 0
		.amdhsa_user_sgpr_queue_ptr 0
		.amdhsa_user_sgpr_kernarg_segment_ptr 1
		.amdhsa_user_sgpr_dispatch_id 0
		.amdhsa_user_sgpr_private_segment_size 0
		.amdhsa_wavefront_size32 1
		.amdhsa_uses_dynamic_stack 0
		.amdhsa_enable_private_segment 0
		.amdhsa_system_sgpr_workgroup_id_x 1
		.amdhsa_system_sgpr_workgroup_id_y 1
		.amdhsa_system_sgpr_workgroup_id_z 1
		.amdhsa_system_sgpr_workgroup_info 0
		.amdhsa_system_vgpr_workitem_id 0
		.amdhsa_next_free_vgpr 63
		.amdhsa_next_free_sgpr 84
		.amdhsa_reserve_vcc 1
		.amdhsa_float_round_mode_32 0
		.amdhsa_float_round_mode_16_64 0
		.amdhsa_float_denorm_mode_32 3
		.amdhsa_float_denorm_mode_16_64 3
		.amdhsa_fp16_overflow 0
		.amdhsa_workgroup_processor_mode 1
		.amdhsa_memory_ordered 1
		.amdhsa_forward_progress 1
		.amdhsa_inst_pref_size 114
		.amdhsa_round_robin_scheduling 0
		.amdhsa_exception_fp_ieee_invalid_op 0
		.amdhsa_exception_fp_denorm_src 0
		.amdhsa_exception_fp_ieee_div_zero 0
		.amdhsa_exception_fp_ieee_overflow 0
		.amdhsa_exception_fp_ieee_underflow 0
		.amdhsa_exception_fp_ieee_inexact 0
		.amdhsa_exception_int_div_zero 0
	.end_amdhsa_kernel
	.section	.text._ZN2at6native12_GLOBAL__N_112gatherMedianIN3c108BFloat16EjLin1EEEvNS_4cuda6detail10TensorInfoIT_T0_EENS7_IlS9_EENS7_IKS8_S9_EES9_S9_S9_b,"axG",@progbits,_ZN2at6native12_GLOBAL__N_112gatherMedianIN3c108BFloat16EjLin1EEEvNS_4cuda6detail10TensorInfoIT_T0_EENS7_IlS9_EENS7_IKS8_S9_EES9_S9_S9_b,comdat
.Lfunc_end139:
	.size	_ZN2at6native12_GLOBAL__N_112gatherMedianIN3c108BFloat16EjLin1EEEvNS_4cuda6detail10TensorInfoIT_T0_EENS7_IlS9_EENS7_IKS8_S9_EES9_S9_S9_b, .Lfunc_end139-_ZN2at6native12_GLOBAL__N_112gatherMedianIN3c108BFloat16EjLin1EEEvNS_4cuda6detail10TensorInfoIT_T0_EENS7_IlS9_EENS7_IKS8_S9_EES9_S9_S9_b
                                        ; -- End function
	.set _ZN2at6native12_GLOBAL__N_112gatherMedianIN3c108BFloat16EjLin1EEEvNS_4cuda6detail10TensorInfoIT_T0_EENS7_IlS9_EENS7_IKS8_S9_EES9_S9_S9_b.num_vgpr, 63
	.set _ZN2at6native12_GLOBAL__N_112gatherMedianIN3c108BFloat16EjLin1EEEvNS_4cuda6detail10TensorInfoIT_T0_EENS7_IlS9_EENS7_IKS8_S9_EES9_S9_S9_b.num_agpr, 0
	.set _ZN2at6native12_GLOBAL__N_112gatherMedianIN3c108BFloat16EjLin1EEEvNS_4cuda6detail10TensorInfoIT_T0_EENS7_IlS9_EENS7_IKS8_S9_EES9_S9_S9_b.numbered_sgpr, 84
	.set _ZN2at6native12_GLOBAL__N_112gatherMedianIN3c108BFloat16EjLin1EEEvNS_4cuda6detail10TensorInfoIT_T0_EENS7_IlS9_EENS7_IKS8_S9_EES9_S9_S9_b.num_named_barrier, 0
	.set _ZN2at6native12_GLOBAL__N_112gatherMedianIN3c108BFloat16EjLin1EEEvNS_4cuda6detail10TensorInfoIT_T0_EENS7_IlS9_EENS7_IKS8_S9_EES9_S9_S9_b.private_seg_size, 0
	.set _ZN2at6native12_GLOBAL__N_112gatherMedianIN3c108BFloat16EjLin1EEEvNS_4cuda6detail10TensorInfoIT_T0_EENS7_IlS9_EENS7_IKS8_S9_EES9_S9_S9_b.uses_vcc, 1
	.set _ZN2at6native12_GLOBAL__N_112gatherMedianIN3c108BFloat16EjLin1EEEvNS_4cuda6detail10TensorInfoIT_T0_EENS7_IlS9_EENS7_IKS8_S9_EES9_S9_S9_b.uses_flat_scratch, 0
	.set _ZN2at6native12_GLOBAL__N_112gatherMedianIN3c108BFloat16EjLin1EEEvNS_4cuda6detail10TensorInfoIT_T0_EENS7_IlS9_EENS7_IKS8_S9_EES9_S9_S9_b.has_dyn_sized_stack, 0
	.set _ZN2at6native12_GLOBAL__N_112gatherMedianIN3c108BFloat16EjLin1EEEvNS_4cuda6detail10TensorInfoIT_T0_EENS7_IlS9_EENS7_IKS8_S9_EES9_S9_S9_b.has_recursion, 0
	.set _ZN2at6native12_GLOBAL__N_112gatherMedianIN3c108BFloat16EjLin1EEEvNS_4cuda6detail10TensorInfoIT_T0_EENS7_IlS9_EENS7_IKS8_S9_EES9_S9_S9_b.has_indirect_call, 0
	.section	.AMDGPU.csdata,"",@progbits
; Kernel info:
; codeLenInByte = 14576
; TotalNumSgprs: 86
; NumVgprs: 63
; ScratchSize: 0
; MemoryBound: 0
; FloatMode: 240
; IeeeMode: 1
; LDSByteSize: 4120 bytes/workgroup (compile time only)
; SGPRBlocks: 0
; VGPRBlocks: 7
; NumSGPRsForWavesPerEU: 86
; NumVGPRsForWavesPerEU: 63
; Occupancy: 16
; WaveLimiterHint : 1
; COMPUTE_PGM_RSRC2:SCRATCH_EN: 0
; COMPUTE_PGM_RSRC2:USER_SGPR: 2
; COMPUTE_PGM_RSRC2:TRAP_HANDLER: 0
; COMPUTE_PGM_RSRC2:TGID_X_EN: 1
; COMPUTE_PGM_RSRC2:TGID_Y_EN: 1
; COMPUTE_PGM_RSRC2:TGID_Z_EN: 1
; COMPUTE_PGM_RSRC2:TIDIG_COMP_CNT: 0
	.section	.text._ZN2at6native12_GLOBAL__N_112gatherMedianIN3c108BFloat16EmLi1EEEvNS_4cuda6detail10TensorInfoIT_T0_EENS7_IlS9_EENS7_IKS8_S9_EES9_S9_S9_b,"axG",@progbits,_ZN2at6native12_GLOBAL__N_112gatherMedianIN3c108BFloat16EmLi1EEEvNS_4cuda6detail10TensorInfoIT_T0_EENS7_IlS9_EENS7_IKS8_S9_EES9_S9_S9_b,comdat
	.globl	_ZN2at6native12_GLOBAL__N_112gatherMedianIN3c108BFloat16EmLi1EEEvNS_4cuda6detail10TensorInfoIT_T0_EENS7_IlS9_EENS7_IKS8_S9_EES9_S9_S9_b ; -- Begin function _ZN2at6native12_GLOBAL__N_112gatherMedianIN3c108BFloat16EmLi1EEEvNS_4cuda6detail10TensorInfoIT_T0_EENS7_IlS9_EENS7_IKS8_S9_EES9_S9_S9_b
	.p2align	8
	.type	_ZN2at6native12_GLOBAL__N_112gatherMedianIN3c108BFloat16EmLi1EEEvNS_4cuda6detail10TensorInfoIT_T0_EENS7_IlS9_EENS7_IKS8_S9_EES9_S9_S9_b,@function
_ZN2at6native12_GLOBAL__N_112gatherMedianIN3c108BFloat16EmLi1EEEvNS_4cuda6detail10TensorInfoIT_T0_EENS7_IlS9_EENS7_IKS8_S9_EES9_S9_S9_b: ; @_ZN2at6native12_GLOBAL__N_112gatherMedianIN3c108BFloat16EmLi1EEEvNS_4cuda6detail10TensorInfoIT_T0_EENS7_IlS9_EENS7_IKS8_S9_EES9_S9_S9_b
; %bb.0:
	s_clause 0x1
	s_load_b64 s[8:9], s[0:1], 0x500
	s_load_b128 s[28:31], s[0:1], 0x4e0
	s_lshr_b32 s2, ttmp7, 16
	s_and_b32 s3, ttmp7, 0xffff
	s_mov_b32 s27, 0
	s_wait_kmcnt 0x0
	s_mul_i32 s2, s9, s2
	s_delay_alu instid0(SALU_CYCLE_1) | instskip(NEXT) | instid1(SALU_CYCLE_1)
	s_add_co_i32 s2, s2, s3
	s_mul_i32 s2, s2, s8
	s_delay_alu instid0(SALU_CYCLE_1) | instskip(NEXT) | instid1(SALU_CYCLE_1)
	s_add_co_i32 s26, s2, ttmp9
	v_cmp_le_u64_e64 s2, s[30:31], s[26:27]
	s_and_b32 vcc_lo, exec_lo, s2
	s_cbranch_vccnz .LBB140_286
; %bb.1:
	s_clause 0x2
	s_load_b64 s[10:11], s[0:1], 0x410
	s_load_b64 s[36:37], s[0:1], 0x4f0
	;; [unrolled: 1-line block ×3, first 2 shown]
	v_dual_mov_b32 v1, 0 :: v_dual_mov_b32 v2, 0
	v_mov_b32_e32 v3, 0
	s_add_nc_u64 s[6:7], s[0:1], 0x500
	s_delay_alu instid0(VALU_DEP_2)
	v_cmp_gt_u64_e64 s2, s[28:29], v[0:1]
	s_wait_kmcnt 0x0
	s_mul_u64 s[10:11], s[10:11], s[26:27]
	s_and_saveexec_b32 s9, s2
	s_cbranch_execz .LBB140_5
; %bb.2:
	v_mad_co_u64_u32 v[2:3], null, s36, v0, 0
	s_load_b32 s3, s[6:7], 0xc
	s_lshl_b64 s[14:15], s[10:11], 1
	s_mov_b32 s13, 0
	s_add_nc_u64 s[14:15], s[4:5], s[14:15]
	v_dual_mov_b32 v7, v1 :: v_dual_mov_b32 v6, v0
	v_mad_co_u64_u32 v[3:4], null, s37, v0, v[3:4]
	s_delay_alu instid0(VALU_DEP_1) | instskip(SKIP_4) | instid1(VALU_DEP_3)
	v_lshlrev_b64_e32 v[4:5], 1, v[2:3]
	v_mov_b32_e32 v2, 0
	v_mov_b32_e32 v3, 0
	s_wait_kmcnt 0x0
	s_and_b32 s12, s3, 0xffff
	v_add_co_u32 v4, vcc_lo, s14, v4
	s_delay_alu instid0(VALU_DEP_1)
	v_add_co_ci_u32_e64 v5, null, s15, v5, vcc_lo
	s_mul_u64 s[14:15], s[36:37], s[12:13]
	s_wait_alu 0xfffe
	s_lshl_b64 s[14:15], s[14:15], 1
.LBB140_3:                              ; =>This Inner Loop Header: Depth=1
	global_load_u16 v8, v[4:5], off
	v_add_co_u32 v6, vcc_lo, v6, s12
	s_wait_alu 0xfffd
	v_add_co_ci_u32_e64 v7, null, 0, v7, vcc_lo
	s_wait_alu 0xfffe
	v_add_co_u32 v4, vcc_lo, v4, s14
	s_wait_alu 0xfffd
	v_add_co_ci_u32_e64 v5, null, s15, v5, vcc_lo
	s_wait_loadcnt 0x0
	v_lshlrev_b32_e32 v8, 16, v8
	s_delay_alu instid0(VALU_DEP_1) | instskip(SKIP_3) | instid1(VALU_DEP_2)
	v_cmp_u_f32_e32 vcc_lo, v8, v8
	s_wait_alu 0xfffd
	v_cndmask_b32_e64 v8, 0, 1, vcc_lo
	v_cmp_le_u64_e32 vcc_lo, s[28:29], v[6:7]
	v_add_co_u32 v2, s3, v2, v8
	s_wait_alu 0xf1ff
	v_add_co_ci_u32_e64 v3, null, 0, v3, s3
	s_or_b32 s13, vcc_lo, s13
	s_wait_alu 0xfffe
	s_and_not1_b32 exec_lo, exec_lo, s13
	s_cbranch_execnz .LBB140_3
; %bb.4:
	s_or_b32 exec_lo, exec_lo, s13
.LBB140_5:
	s_delay_alu instid0(SALU_CYCLE_1)
	s_or_b32 exec_lo, exec_lo, s9
	s_clause 0x3
	s_load_b64 s[34:35], s[0:1], 0x270
	s_load_b64 s[30:31], s[0:1], 0x1a0
	;; [unrolled: 1-line block ×4, first 2 shown]
	v_cmp_eq_u32_e64 s3, 0, v0
	s_and_saveexec_b32 s9, s3
; %bb.6:
	v_mov_b32_e32 v4, 0
	s_delay_alu instid0(VALU_DEP_1)
	v_mov_b32_e32 v5, v4
	ds_store_b64 v4, v[4:5] offset:5136
; %bb.7:
	s_or_b32 exec_lo, exec_lo, s9
	s_mov_b64 s[12:13], 0
	s_mov_b32 s9, exec_lo
	s_wait_dscnt 0x0
	s_barrier_signal -1
	s_barrier_wait -1
	global_inv scope:SCOPE_SE
	v_cmpx_ne_u64_e32 0, v[2:3]
	s_cbranch_execz .LBB140_12
; %bb.8:
	s_mov_b32 s14, exec_lo
.LBB140_9:                              ; =>This Inner Loop Header: Depth=1
	s_wait_alu 0xfffe
	s_ctz_i32_b32 s15, s14
	s_wait_alu 0xfffe
	v_readlane_b32 s17, v3, s15
	v_readlane_b32 s16, v2, s15
	s_lshl_b32 s15, 1, s15
	s_wait_alu 0xfffe
	s_and_not1_b32 s14, s14, s15
	s_wait_alu 0xfffe
	s_cmp_lg_u32 s14, 0
	s_add_nc_u64 s[12:13], s[12:13], s[16:17]
	s_cbranch_scc1 .LBB140_9
; %bb.10:
	v_mbcnt_lo_u32_b32 v2, exec_lo, 0
	s_mov_b32 s14, exec_lo
	s_delay_alu instid0(VALU_DEP_1)
	v_cmpx_eq_u32_e32 0, v2
	s_wait_alu 0xfffe
	s_xor_b32 s14, exec_lo, s14
; %bb.11:
	v_mov_b32_e32 v2, s12
	v_dual_mov_b32 v4, 0 :: v_dual_mov_b32 v3, s13
	ds_add_u64 v4, v[2:3] offset:5136
.LBB140_12:
	s_or_b32 exec_lo, exec_lo, s9
	v_mov_b32_e32 v2, 0
	v_mov_b32_e32 v26, s28
	s_wait_loadcnt_dscnt 0x0
	s_barrier_signal -1
	s_barrier_wait -1
	global_inv scope:SCOPE_SE
	v_mov_b32_e32 v27, s29
	ds_load_b64 v[2:3], v2 offset:5136
	s_load_b32 s0, s[0:1], 0x4f8
	s_wait_dscnt 0x0
	v_cmp_gt_i64_e32 vcc_lo, 1, v[2:3]
	s_wait_kmcnt 0x0
	s_bitcmp1_b32 s0, 0
	s_cselect_b32 s0, -1, 0
	s_delay_alu instid0(SALU_CYCLE_1) | instskip(NEXT) | instid1(SALU_CYCLE_1)
	s_or_b32 s0, s0, vcc_lo
	s_and_not1_b32 vcc_lo, exec_lo, s0
	s_wait_alu 0xfffe
	s_cbranch_vccnz .LBB140_14
; %bb.13:
	v_not_b32_e32 v2, v2
	v_not_b32_e32 v3, v3
	s_delay_alu instid0(VALU_DEP_2) | instskip(SKIP_1) | instid1(VALU_DEP_2)
	v_add_co_u32 v2, vcc_lo, s28, v2
	s_wait_alu 0xfffd
	v_add_co_ci_u32_e64 v3, null, s29, v3, vcc_lo
	s_delay_alu instid0(VALU_DEP_1) | instskip(NEXT) | instid1(VALU_DEP_1)
	v_lshrrev_b64 v[2:3], 1, v[2:3]
	v_add_co_u32 v26, vcc_lo, v2, 1
	s_wait_alu 0xfffd
	s_delay_alu instid0(VALU_DEP_2)
	v_add_co_ci_u32_e64 v27, null, 0, v3, vcc_lo
.LBB140_14:
	s_and_saveexec_b32 s0, s3
	s_cbranch_execz .LBB140_16
; %bb.15:
	v_dual_mov_b32 v2, 0 :: v_dual_mov_b32 v5, s29
	s_delay_alu instid0(VALU_DEP_1)
	v_dual_mov_b32 v4, s28 :: v_dual_mov_b32 v3, v2
	ds_store_b32 v2, v2 offset:5144
	ds_store_b128 v2, v[2:5] offset:5120
.LBB140_16:
	s_or_b32 exec_lo, exec_lo, s0
	v_mad_co_u64_u32 v[4:5], null, s36, v0, 0
	v_mbcnt_lo_u32_b32 v32, -1, 0
	s_lshl_b64 s[10:11], s[10:11], 1
	v_cmp_gt_u32_e32 vcc_lo, 32, v0
	s_add_nc_u64 s[48:49], s[4:5], s[10:11]
	v_lshlrev_b32_e32 v14, 2, v0
	v_cmp_gt_i32_e64 s4, 4, v32
	v_dual_mov_b32 v2, v5 :: v_dual_lshlrev_b32 v33, 1, v0
	v_lshlrev_b64_e64 v[8:9], v32, -1
	s_wait_loadcnt_dscnt 0x0
	s_and_b32 s74, vcc_lo, s4
	s_delay_alu instid0(VALU_DEP_2)
	v_mad_co_u64_u32 v[2:3], null, s37, v0, v[2:3]
	v_mov_b32_e32 v3, 0
	s_barrier_signal -1
	s_barrier_wait -1
	global_inv scope:SCOPE_SE
	s_load_b32 s9, s[6:7], 0xc
	v_not_b32_e32 v35, v8
	v_dual_mov_b32 v5, v2 :: v_dual_add_nc_u32 v2, 2, v0
	s_mov_b32 s45, 0
	s_movk_i32 s4, 0x3e0
	v_cmp_lt_u64_e64 s33, 0x600, s[28:29]
	s_delay_alu instid0(VALU_DEP_2)
	v_lshlrev_b64_e32 v[6:7], 1, v[4:5]
	s_mov_b32 s43, s45
	v_and_or_b32 v36, v0, s4, 0xc00
	v_cmp_gt_u32_e64 s0, 2, v0
	v_cmp_eq_u32_e64 s1, 0, v32
	v_dual_mov_b32 v15, v3 :: v_dual_add_nc_u32 v34, 0xc00, v33
	v_add_co_u32 v12, vcc_lo, s48, v6
	s_wait_alu 0xfffd
	v_add_co_ci_u32_e64 v13, null, s49, v7, vcc_lo
	v_cmp_gt_u64_e32 vcc_lo, s[28:29], v[2:3]
	v_not_b32_e32 v6, v0
	s_wait_kmcnt 0x0
	s_and_b32 s42, s9, 0xffff
	s_bfe_u32 s5, s9, 0xb0005
	s_cmp_gt_u32 s42, 31
	v_lshl_or_b32 v40, v32, 3, 0xc00
	s_wait_alu 0xfffd
	v_cndmask_b32_e64 v2, v2, s28, vcc_lo
	v_cndmask_b32_e64 v7, 0, s29, vcc_lo
	s_cselect_b32 s75, -1, 0
	s_cmp_lt_u32 ttmp9, s8
	v_mov_b32_e32 v42, 0x8000
	v_add_co_u32 v6, vcc_lo, v2, v6
	v_lshlrev_b32_e32 v2, 3, v0
	s_wait_alu 0xfffd
	v_add_co_ci_u32_e64 v7, null, -1, v7, vcc_lo
	s_delay_alu instid0(VALU_DEP_3) | instskip(SKIP_2) | instid1(VALU_DEP_3)
	v_and_b32_e32 v16, -2, v6
	s_cselect_b32 s44, 12, 18
	v_or_b32_e32 v28, 2, v2
	v_mov_b32_e32 v17, v7
	s_wait_alu 0xfffe
	s_add_co_i32 s8, s5, -1
	v_add_co_u32 v18, vcc_lo, v16, v0
	v_mad_co_u64_u32 v[23:24], null, s36, v28, 0
	s_wait_alu 0xfffd
	v_add_co_ci_u32_e64 v8, null, 0, v7, vcc_lo
	s_and_b32 s8, s8, 0xffff
	s_bfe_u32 s77, s42, 0x30005
	s_cmp_gt_u32 s8, 6
	v_cmp_lt_u64_e64 s4, 1, v[6:7]
	v_mov_b32_e32 v9, v24
	v_or_b32_e32 v25, 4, v2
	v_or_b32_e32 v10, 6, v2
	s_cselect_b32 s79, -1, 0
	s_and_b32 s80, s5, 0x7f8
	s_cmp_lg_u32 s77, 0
	v_mad_co_u64_u32 v[21:22], null, s36, v25, 0
	v_mad_co_u64_u32 v[19:20], null, s36, v10, 0
	v_lshlrev_b32_e32 v39, 3, v0
	s_cselect_b32 s81, -1, 0
	s_lshl_b64 s[54:55], s[36:37], 1
	v_cmp_ne_u64_e64 s5, v[6:7], v[16:17]
	s_delay_alu instid0(VALU_DEP_4)
	v_mov_b32_e32 v8, v22
	v_mul_lo_u32 v41, 0, s54
	v_mov_b32_e32 v44, 0
	s_add_nc_u64 s[50:51], s[42:43], -1
	s_mul_u64 s[8:9], s[36:37], s[42:43]
	v_mad_co_u64_u32 v[24:25], null, s37, v25, v[8:9]
	v_mov_b32_e32 v2, v20
	v_mov_b32_e32 v20, 0
	s_add_nc_u64 s[52:53], s[50:51], s[28:29]
	s_mov_b32 s76, s36
	s_mov_b32 s78, s37
	s_lshl_b64 s[56:57], s[36:37], 3
	s_delay_alu instid0(VALU_DEP_3)
	v_mov_b32_e32 v37, v24
	v_mad_co_u64_u32 v[10:11], null, s37, v10, v[2:3]
	v_lshlrev_b64_e32 v[24:25], 3, v[4:5]
	v_mov_b32_e32 v43, 0
	s_lshl_b32 s82, s42, 1
	s_lshl_b64 s[46:47], s[8:9], 1
	s_mov_b32 s84, 14
	s_add_nc_u64 s[58:59], s[6:7], s[44:45]
	s_delay_alu instid0(VALU_DEP_3)
	v_mad_co_u64_u32 v[8:9], null, s37, v28, v[9:10]
	v_mov_b32_e32 v22, v10
	s_mov_b32 s83, 0x4f800000
	s_movk_i32 s86, 0x3f80
	s_mov_b32 s85, 0
	s_mov_b32 s87, 0
                                        ; implicit-def: $sgpr91
                                        ; implicit-def: $sgpr93
                                        ; implicit-def: $sgpr88
                                        ; implicit-def: $sgpr90
                                        ; implicit-def: $sgpr92
                                        ; implicit-def: $sgpr89
	s_delay_alu instid0(VALU_DEP_2)
	v_mov_b32_e32 v38, v8
	s_branch .LBB140_20
.LBB140_17:                             ;   in Loop: Header=BB140_20 Depth=1
	s_wait_alu 0xfffe
	s_or_b32 exec_lo, exec_lo, s9
	s_delay_alu instid0(SALU_CYCLE_1)
	s_and_b32 s7, s7, exec_lo
	s_and_not1_b32 s22, s22, exec_lo
	s_and_not1_b32 s21, s21, exec_lo
	s_or_not1_b32 s18, s8, exec_lo
.LBB140_18:                             ;   in Loop: Header=BB140_20 Depth=1
	s_wait_alu 0xfffe
	s_or_b32 exec_lo, exec_lo, s6
	s_delay_alu instid0(SALU_CYCLE_1)
	s_and_not1_b32 s6, s89, exec_lo
	s_and_b32 s7, s7, exec_lo
	s_and_not1_b32 s8, s90, exec_lo
	s_wait_alu 0xfffe
	s_or_b32 s89, s6, s7
	s_and_not1_b32 s6, s92, exec_lo
	s_and_b32 s7, s22, exec_lo
	s_and_b32 s9, s21, exec_lo
	s_wait_alu 0xfffe
	s_or_b32 s92, s6, s7
	s_or_b32 s90, s8, s9
	s_or_not1_b32 s18, s18, exec_lo
.LBB140_19:                             ;   in Loop: Header=BB140_20 Depth=1
	s_wait_alu 0xfffe
	s_or_b32 exec_lo, exec_lo, s17
	s_delay_alu instid0(SALU_CYCLE_1)
	s_and_b32 s6, exec_lo, s18
	v_dual_mov_b32 v27, v9 :: v_dual_mov_b32 v26, v8
	s_wait_alu 0xfffe
	s_or_b32 s85, s6, s85
	s_and_not1_b32 s6, s88, exec_lo
	s_and_b32 s7, s89, exec_lo
	s_and_not1_b32 s8, s93, exec_lo
	s_wait_alu 0xfffe
	s_or_b32 s88, s6, s7
	s_and_b32 s6, s92, exec_lo
	s_and_not1_b32 s7, s91, exec_lo
	s_and_b32 s9, s90, exec_lo
	s_wait_alu 0xfffe
	s_or_b32 s93, s8, s6
	s_or_b32 s91, s7, s9
	s_and_not1_b32 exec_lo, exec_lo, s85
	s_cbranch_execz .LBB140_282
.LBB140_20:                             ; =>This Loop Header: Depth=1
                                        ;     Child Loop BB140_25 Depth 2
                                        ;     Child Loop BB140_39 Depth 2
	;; [unrolled: 1-line block ×17, first 2 shown]
	ds_load_b128 v[4:7], v3 offset:5120
	s_wait_dscnt 0x0
	v_readfirstlane_b32 s61, v5
	v_readfirstlane_b32 s60, v4
	s_cmp_lg_u64 s[60:61], 0
	s_cbranch_scc1 .LBB140_52
; %bb.21:                               ;   in Loop: Header=BB140_20 Depth=1
	s_and_b32 vcc_lo, exec_lo, s33
	s_wait_alu 0xfffe
	s_cbranch_vccz .LBB140_33
; %bb.22:                               ;   in Loop: Header=BB140_20 Depth=1
	v_cmp_gt_u64_e32 vcc_lo, 0x601, v[6:7]
	s_mov_b32 s8, 0
	s_mov_b32 s6, 0
	s_cbranch_vccz .LBB140_34
; %bb.23:                               ;   in Loop: Header=BB140_20 Depth=1
	global_load_u16 v2, v3, s[58:59]
	global_load_u16 v8, v[12:13], off
	s_mov_b32 s9, 0
	s_wait_loadcnt 0x1
	v_and_b32_e32 v2, 0xffff, v2
	s_delay_alu instid0(VALU_DEP_1) | instskip(SKIP_2) | instid1(VALU_DEP_3)
	v_add_nc_u32_e32 v6, v0, v2
	v_mul_lo_u32 v7, v2, s55
	v_mul_hi_u32 v10, v2, s54
	v_mad_co_u64_u32 v[4:5], null, s54, v6, s[48:49]
	s_delay_alu instid0(VALU_DEP_1) | instskip(NEXT) | instid1(VALU_DEP_4)
	v_mad_co_u64_u32 v[5:6], null, s55, v6, v[5:6]
	v_add_nc_u32_e32 v6, v7, v41
	s_delay_alu instid0(VALU_DEP_1)
	v_dual_mov_b32 v7, v1 :: v_dual_add_nc_u32 v10, v6, v10
	v_mul_lo_u32 v9, v2, s54
	v_mov_b32_e32 v6, v0
	s_branch .LBB140_25
.LBB140_24:                             ;   in Loop: Header=BB140_25 Depth=2
	s_wait_alu 0xfffe
	s_or_b32 exec_lo, exec_lo, s7
	v_add_co_u32 v4, vcc_lo, v4, v9
	s_wait_alu 0xfffd
	v_add_co_ci_u32_e64 v5, null, v5, v10, vcc_lo
	v_mov_b32_e32 v8, v11
	s_and_not1_b32 exec_lo, exec_lo, s9
	s_cbranch_execz .LBB140_149
.LBB140_25:                             ;   Parent Loop BB140_20 Depth=1
                                        ; =>  This Inner Loop Header: Depth=2
	s_delay_alu instid0(VALU_DEP_1)
	v_add_co_u32 v6, vcc_lo, v6, v2
	s_wait_alu 0xfffd
	v_add_co_ci_u32_e64 v7, null, 0, v7, vcc_lo
	s_wait_dscnt 0x0
	v_dual_mov_b32 v28, 0 :: v_dual_mov_b32 v11, 0
	s_mov_b32 s7, exec_lo
	s_delay_alu instid0(VALU_DEP_2)
	v_cmp_le_u64_e32 vcc_lo, s[28:29], v[6:7]
	v_cmpx_gt_u64_e64 s[28:29], v[6:7]
	s_cbranch_execz .LBB140_27
; %bb.26:                               ;   in Loop: Header=BB140_25 Depth=2
	global_load_u16 v11, v[4:5], off
.LBB140_27:                             ;   in Loop: Header=BB140_25 Depth=2
	s_wait_alu 0xfffe
	s_or_b32 exec_lo, exec_lo, s7
	s_wait_loadcnt 0x0
	v_cmp_lt_i16_e64 s6, -1, v8
	v_and_b32_e32 v29, 0xffff, v8
	v_lshlrev_b32_e32 v31, 16, v8
	s_wait_alu 0xf1ff
	s_delay_alu instid0(VALU_DEP_3) | instskip(NEXT) | instid1(VALU_DEP_2)
	v_cndmask_b32_e64 v30, 0xffff, v42, s6
	v_cmp_o_f32_e64 s6, v31, v31
	s_delay_alu instid0(VALU_DEP_2) | instskip(SKIP_1) | instid1(VALU_DEP_1)
	v_xor_b32_e32 v29, v30, v29
	s_wait_alu 0xf1ff
	v_cndmask_b32_e64 v29, 0xffff, v29, s6
	s_delay_alu instid0(VALU_DEP_1) | instskip(NEXT) | instid1(VALU_DEP_1)
	v_and_b32_e32 v29, v29, v43
	v_cmp_eq_u32_e64 s6, v29, v20
	s_cmp_lg_u32 s6, 0
	s_cselect_b32 s7, -1, 0
	s_wait_alu 0xfffe
	s_and_b32 s7, s1, s7
	s_wait_alu 0xfffe
	s_and_saveexec_b32 s10, s7
	s_cbranch_execz .LBB140_31
; %bb.28:                               ;   in Loop: Header=BB140_25 Depth=2
	s_mov_b32 s13, exec_lo
	s_bcnt1_i32_b32 s11, s6
	s_wait_alu 0xfffe
	v_mbcnt_lo_u32_b32 v28, s13, 0
	s_mov_b32 s12, exec_lo
                                        ; implicit-def: $vgpr29
	s_delay_alu instid0(VALU_DEP_1)
	v_cmpx_eq_u32_e32 0, v28
; %bb.29:                               ;   in Loop: Header=BB140_25 Depth=2
	s_bcnt1_i32_b32 s7, s13
	s_wait_alu 0xfffe
	s_mul_i32 s7, s11, s7
	s_wait_alu 0xfffe
	v_mov_b32_e32 v29, s7
	ds_add_rtn_u32 v29, v3, v29 offset:5144
; %bb.30:                               ;   in Loop: Header=BB140_25 Depth=2
	s_or_b32 exec_lo, exec_lo, s12
	s_wait_dscnt 0x0
	v_readfirstlane_b32 s7, v29
	s_wait_alu 0xf1ff
	s_delay_alu instid0(VALU_DEP_1)
	v_mad_u32_u24 v28, s11, v28, s7
.LBB140_31:                             ;   in Loop: Header=BB140_25 Depth=2
	s_wait_alu 0xfffe
	s_or_b32 exec_lo, exec_lo, s10
	ds_bpermute_b32 v28, v3, v28
	s_and_b32 s7, exec_lo, vcc_lo
	s_wait_alu 0xfffe
	s_or_b32 s9, s7, s9
	s_and_saveexec_b32 s7, s6
	s_cbranch_execz .LBB140_24
; %bb.32:                               ;   in Loop: Header=BB140_25 Depth=2
	v_and_b32_e32 v29, s6, v35
	s_delay_alu instid0(VALU_DEP_1) | instskip(NEXT) | instid1(VALU_DEP_1)
	v_bcnt_u32_b32 v29, v29, 0
	v_lshlrev_b32_e32 v29, 1, v29
	s_wait_dscnt 0x0
	s_delay_alu instid0(VALU_DEP_1)
	v_lshl_add_u32 v28, v28, 1, v29
	ds_store_b16 v28, v8
	s_branch .LBB140_24
.LBB140_33:                             ;   in Loop: Header=BB140_20 Depth=1
	s_mov_b32 s8, -1
	s_mov_b32 s6, 0
.LBB140_34:                             ;   in Loop: Header=BB140_20 Depth=1
	s_wait_alu 0xfffe
	s_and_b32 vcc_lo, exec_lo, s8
	s_wait_alu 0xfffe
	s_cbranch_vccz .LBB140_50
.LBB140_35:                             ;   in Loop: Header=BB140_20 Depth=1
	s_and_saveexec_b32 s7, s2
	s_cbranch_execz .LBB140_47
; %bb.36:                               ;   in Loop: Header=BB140_20 Depth=1
	global_load_u16 v4, v3, s[58:59]
	global_load_u16 v28, v[12:13], off
	v_mov_b32_e32 v6, v0
	s_mov_b32 s12, exec_lo
	s_wait_loadcnt 0x1
	v_and_b32_e32 v2, 0xffff, v4
	v_readfirstlane_b32 s6, v4
	s_delay_alu instid0(VALU_DEP_2) | instskip(NEXT) | instid1(VALU_DEP_1)
	v_add_nc_u32_e32 v2, v2, v0
	v_cmpx_gt_u64_e64 s[28:29], v[2:3]
	s_cbranch_execz .LBB140_46
; %bb.37:                               ;   in Loop: Header=BB140_20 Depth=1
	s_and_b32 s44, s6, 0xffff
	v_dual_mov_b32 v9, v1 :: v_dual_mov_b32 v8, v0
	s_wait_alu 0xfffe
	s_cmp_eq_u32 s44, 1
	v_dual_mov_b32 v5, v3 :: v_dual_mov_b32 v4, v2
	s_cselect_b32 s6, -1, 0
                                        ; implicit-def: $vgpr6_vgpr7
	s_wait_alu 0xfffe
	s_and_b32 s9, s4, s6
	s_mov_b32 s6, -1
	s_wait_alu 0xfffe
	s_and_saveexec_b32 s8, s9
	s_cbranch_execz .LBB140_41
; %bb.38:                               ;   in Loop: Header=BB140_20 Depth=1
	v_add_co_u32 v4, s6, v2, 1
	s_wait_alu 0xf1ff
	v_add_co_ci_u32_e64 v5, null, 0, 0, s6
	s_wait_loadcnt 0x0
	v_dual_mov_b32 v8, v16 :: v_dual_lshlrev_b32 v11, 16, v28
	v_dual_mov_b32 v9, v17 :: v_dual_mov_b32 v10, v33
	s_delay_alu instid0(VALU_DEP_3)
	v_mov_b32_e32 v7, v5
	v_dual_mov_b32 v6, v4 :: v_dual_mov_b32 v5, v3
	v_mov_b32_e32 v4, v2
	s_mov_b32 s9, 0
.LBB140_39:                             ;   Parent Loop BB140_20 Depth=1
                                        ; =>  This Inner Loop Header: Depth=2
	s_delay_alu instid0(VALU_DEP_2) | instskip(NEXT) | instid1(VALU_DEP_2)
	v_mul_lo_u32 v45, v5, s36
	v_mul_lo_u32 v46, v4, s37
	v_mad_co_u64_u32 v[28:29], null, v4, s36, 0
	v_mul_lo_u32 v47, v7, s76
	v_mul_lo_u32 v48, v6, s78
	v_mad_co_u64_u32 v[30:31], null, v6, s76, 0
	s_delay_alu instid0(VALU_DEP_4) | instskip(NEXT) | instid1(VALU_DEP_2)
	v_add3_u32 v29, v29, v46, v45
	v_add3_u32 v31, v31, v48, v47
	s_delay_alu instid0(VALU_DEP_2) | instskip(NEXT) | instid1(VALU_DEP_2)
	v_lshlrev_b64_e32 v[28:29], 1, v[28:29]
	v_lshlrev_b64_e32 v[30:31], 1, v[30:31]
	s_delay_alu instid0(VALU_DEP_2) | instskip(SKIP_1) | instid1(VALU_DEP_3)
	v_add_co_u32 v28, vcc_lo, s48, v28
	s_wait_alu 0xfffd
	v_add_co_ci_u32_e64 v29, null, s49, v29, vcc_lo
	s_delay_alu instid0(VALU_DEP_3)
	v_add_co_u32 v30, vcc_lo, s48, v30
	s_wait_alu 0xfffd
	v_add_co_ci_u32_e64 v31, null, s49, v31, vcc_lo
	s_clause 0x1
	global_load_u16 v29, v[28:29], off
	global_load_u16 v28, v[30:31], off
	v_add_co_u32 v8, vcc_lo, v8, -2
	s_wait_alu 0xfffd
	v_add_co_ci_u32_e64 v9, null, -1, v9, vcc_lo
	v_add_co_u32 v6, vcc_lo, v6, 2
	s_wait_alu 0xfffd
	v_add_co_ci_u32_e64 v7, null, 0, v7, vcc_lo
	s_delay_alu instid0(VALU_DEP_3) | instskip(SKIP_4) | instid1(VALU_DEP_3)
	v_cmp_eq_u64_e64 s6, 0, v[8:9]
	v_add_co_u32 v4, vcc_lo, v4, 2
	s_wait_alu 0xfffd
	v_add_co_ci_u32_e64 v5, null, 0, v5, vcc_lo
	s_wait_alu 0xfffe
	s_or_b32 s9, s6, s9
	s_wait_loadcnt 0x1
	v_alignbit_b32 v11, v29, v11, 16
	s_wait_loadcnt 0x0
	v_perm_b32 v29, v28, v29, 0x5040100
	ds_store_b32 v10, v11
	v_dual_mov_b32 v11, v29 :: v_dual_add_nc_u32 v10, 4, v10
	s_wait_alu 0xfffe
	s_and_not1_b32 exec_lo, exec_lo, s9
	s_cbranch_execnz .LBB140_39
; %bb.40:                               ;   in Loop: Header=BB140_20 Depth=1
	s_or_b32 exec_lo, exec_lo, s9
	v_add_co_u32 v4, vcc_lo, v2, v16
	s_wait_alu 0xfffd
	v_add_co_ci_u32_e64 v5, null, 0, v17, vcc_lo
	v_dual_mov_b32 v8, v18 :: v_dual_mov_b32 v9, v19
	s_delay_alu instid0(VALU_DEP_3)
	v_add_co_u32 v6, vcc_lo, v4, -1
	s_or_not1_b32 s6, s5, exec_lo
	s_wait_alu 0xfffd
	v_add_co_ci_u32_e64 v2, null, -1, v5, vcc_lo
.LBB140_41:                             ;   in Loop: Header=BB140_20 Depth=1
	s_wait_alu 0xfffe
	s_or_b32 exec_lo, exec_lo, s8
	s_and_saveexec_b32 s13, s6
	s_cbranch_execz .LBB140_45
; %bb.42:                               ;   in Loop: Header=BB140_20 Depth=1
	v_mad_co_u64_u32 v[10:11], null, s54, v4, s[48:49]
	v_mul_lo_u32 v2, s54, v5
	v_mul_lo_u32 v6, s55, v4
	s_sub_nc_u64 s[8:9], 0, s[44:45]
	s_mul_u64 s[10:11], s[54:55], s[44:45]
	s_mov_b32 s14, 0
	s_delay_alu instid0(VALU_DEP_1)
	v_add3_u32 v11, v6, v11, v2
.LBB140_43:                             ;   Parent Loop BB140_20 Depth=1
                                        ; =>  This Inner Loop Header: Depth=2
	s_wait_loadcnt 0x0
	v_mov_b32_e32 v2, v28
	global_load_u16 v28, v[10:11], off
	v_dual_mov_b32 v30, v5 :: v_dual_lshlrev_b32 v7, 1, v8
	v_mov_b32_e32 v29, v4
	ds_store_b16 v7, v2
	v_add_co_u32 v4, vcc_lo, v29, s44
	s_wait_alu 0xfffd
	v_add_co_ci_u32_e64 v5, null, 0, v30, vcc_lo
	s_wait_alu 0xfffe
	v_add_co_u32 v10, vcc_lo, v10, s10
	s_wait_alu 0xfffd
	v_add_co_ci_u32_e64 v11, null, s11, v11, vcc_lo
	v_cmp_le_u64_e32 vcc_lo, s[28:29], v[4:5]
	v_add_co_u32 v6, s6, s8, v4
	s_wait_alu 0xf1ff
	v_add_co_ci_u32_e64 v8, null, s9, v5, s6
	v_dual_mov_b32 v8, v29 :: v_dual_mov_b32 v9, v30
	s_or_b32 s14, vcc_lo, s14
	s_wait_alu 0xfffe
	s_and_not1_b32 exec_lo, exec_lo, s14
	s_cbranch_execnz .LBB140_43
; %bb.44:                               ;   in Loop: Header=BB140_20 Depth=1
	s_or_b32 exec_lo, exec_lo, s14
.LBB140_45:                             ;   in Loop: Header=BB140_20 Depth=1
	s_wait_alu 0xfffe
	s_or_b32 exec_lo, exec_lo, s13
.LBB140_46:                             ;   in Loop: Header=BB140_20 Depth=1
	s_wait_alu 0xfffe
	s_or_b32 exec_lo, exec_lo, s12
	v_lshlrev_b32_e32 v2, 1, v6
	s_wait_loadcnt 0x0
	ds_store_b16 v2, v28
.LBB140_47:                             ;   in Loop: Header=BB140_20 Depth=1
	s_wait_alu 0xfffe
	s_or_b32 exec_lo, exec_lo, s7
	s_wait_loadcnt_dscnt 0x0
	s_barrier_signal -1
	s_barrier_wait -1
	global_inv scope:SCOPE_SE
	s_and_saveexec_b32 s6, s3
; %bb.48:                               ;   in Loop: Header=BB140_20 Depth=1
	v_dual_mov_b32 v4, s28 :: v_dual_mov_b32 v5, s29
	ds_store_b64 v3, v[4:5] offset:5120
; %bb.49:                               ;   in Loop: Header=BB140_20 Depth=1
	s_wait_alu 0xfffe
	s_or_b32 exec_lo, exec_lo, s6
	s_mov_b32 s6, -1
	s_wait_loadcnt_dscnt 0x0
	s_barrier_signal -1
	s_barrier_wait -1
.LBB140_50:                             ;   in Loop: Header=BB140_20 Depth=1
	s_wait_alu 0xfffe
	s_and_b32 vcc_lo, exec_lo, s6
	s_mov_b64 s[60:61], 0
	s_wait_alu 0xfffe
	s_cbranch_vccz .LBB140_52
; %bb.51:                               ;   in Loop: Header=BB140_20 Depth=1
	s_wait_loadcnt 0x0
	global_inv scope:SCOPE_SE
	ds_load_b64 v[4:5], v3 offset:5120
	s_wait_dscnt 0x0
	v_readfirstlane_b32 s60, v4
.LBB140_52:                             ;   in Loop: Header=BB140_20 Depth=1
	s_delay_alu instid0(VALU_DEP_1)
	s_cmp_lt_i32 s60, 1
	s_mov_b32 s6, -1
                                        ; implicit-def: $vgpr4_vgpr5
                                        ; implicit-def: $vgpr8_vgpr9
	s_cbranch_scc1 .LBB140_62
; %bb.53:                               ;   in Loop: Header=BB140_20 Depth=1
	s_wait_alu 0xfffe
	s_and_b32 vcc_lo, exec_lo, s6
	s_wait_alu 0xfffe
	s_cbranch_vccnz .LBB140_76
.LBB140_54:                             ;   in Loop: Header=BB140_20 Depth=1
	s_lshl_b32 s6, s87, 7
	s_and_saveexec_b32 s7, s1
	s_cbranch_execz .LBB140_56
.LBB140_55:                             ;   in Loop: Header=BB140_20 Depth=1
	s_wait_alu 0xfffe
	v_lshl_add_u32 v2, s6, 3, v36
	ds_store_b128 v2, v[4:7]
	ds_store_b128 v2, v[8:11] offset:16
.LBB140_56:                             ;   in Loop: Header=BB140_20 Depth=1
	s_wait_alu 0xfffe
	s_or_b32 exec_lo, exec_lo, s7
	s_wait_loadcnt_dscnt 0x0
	s_barrier_signal -1
	s_barrier_wait -1
	global_inv scope:SCOPE_SE
	s_and_saveexec_b32 s7, s74
	s_cbranch_execz .LBB140_90
; %bb.57:                               ;   in Loop: Header=BB140_20 Depth=1
	v_mov_b32_e32 v4, 0
	v_mov_b32_e32 v5, 0
	s_and_not1_b32 vcc_lo, exec_lo, s75
	s_wait_alu 0xfffe
	s_cbranch_vccnz .LBB140_89
; %bb.58:                               ;   in Loop: Header=BB140_20 Depth=1
	v_mov_b32_e32 v4, 0
	v_mov_b32_e32 v5, 0
	s_and_not1_b32 vcc_lo, exec_lo, s79
	s_wait_alu 0xfffe
	s_cbranch_vccnz .LBB140_86
; %bb.59:                               ;   in Loop: Header=BB140_20 Depth=1
	v_lshl_add_u32 v2, s87, 10, v40
	s_mov_b32 s8, 0
.LBB140_60:                             ;   Parent Loop BB140_20 Depth=1
                                        ; =>  This Inner Loop Header: Depth=2
	ds_load_2addr_b64 v[6:9], v2 offset1:4
	ds_load_2addr_b64 v[28:31], v2 offset0:8 offset1:12
	ds_load_2addr_b64 v[45:48], v2 offset0:16 offset1:20
	s_wait_alu 0xfffe
	s_add_co_i32 s8, s8, 8
	s_wait_alu 0xfffe
	s_cmp_eq_u32 s80, s8
	s_wait_dscnt 0x2
	v_add_co_u32 v4, vcc_lo, v6, v4
	s_wait_alu 0xfffd
	v_add_co_ci_u32_e64 v5, null, v7, v5, vcc_lo
	s_delay_alu instid0(VALU_DEP_2) | instskip(SKIP_1) | instid1(VALU_DEP_2)
	v_add_co_u32 v8, vcc_lo, v8, v4
	s_wait_alu 0xfffd
	v_add_co_ci_u32_e64 v9, null, v9, v5, vcc_lo
	ds_load_2addr_b64 v[4:7], v2 offset0:24 offset1:28
	s_wait_dscnt 0x2
	v_add_co_u32 v8, vcc_lo, v28, v8
	s_wait_alu 0xfffd
	v_add_co_ci_u32_e64 v9, null, v29, v9, vcc_lo
	v_add_nc_u32_e32 v2, 0x100, v2
	s_delay_alu instid0(VALU_DEP_3) | instskip(SKIP_1) | instid1(VALU_DEP_3)
	v_add_co_u32 v8, vcc_lo, v30, v8
	s_wait_alu 0xfffd
	v_add_co_ci_u32_e64 v9, null, v31, v9, vcc_lo
	s_wait_dscnt 0x1
	s_delay_alu instid0(VALU_DEP_2) | instskip(SKIP_1) | instid1(VALU_DEP_2)
	v_add_co_u32 v8, vcc_lo, v45, v8
	s_wait_alu 0xfffd
	v_add_co_ci_u32_e64 v9, null, v46, v9, vcc_lo
	s_delay_alu instid0(VALU_DEP_2) | instskip(SKIP_1) | instid1(VALU_DEP_2)
	v_add_co_u32 v8, vcc_lo, v47, v8
	s_wait_alu 0xfffd
	v_add_co_ci_u32_e64 v9, null, v48, v9, vcc_lo
	s_wait_dscnt 0x0
	s_delay_alu instid0(VALU_DEP_2) | instskip(SKIP_1) | instid1(VALU_DEP_2)
	v_add_co_u32 v4, vcc_lo, v4, v8
	s_wait_alu 0xfffd
	v_add_co_ci_u32_e64 v5, null, v5, v9, vcc_lo
	s_delay_alu instid0(VALU_DEP_2) | instskip(SKIP_1) | instid1(VALU_DEP_2)
	v_add_co_u32 v4, vcc_lo, v6, v4
	s_wait_alu 0xfffd
	v_add_co_ci_u32_e64 v5, null, v7, v5, vcc_lo
	s_cbranch_scc0 .LBB140_60
; %bb.61:                               ;   in Loop: Header=BB140_20 Depth=1
	s_mov_b32 s8, s80
	s_and_not1_b32 vcc_lo, exec_lo, s81
	s_wait_alu 0xfffe
	s_cbranch_vccz .LBB140_87
	s_branch .LBB140_89
.LBB140_62:                             ;   in Loop: Header=BB140_20 Depth=1
	global_load_u16 v2, v3, s[58:59]
	s_mov_b32 s7, s29
	s_wait_loadcnt 0x0
	v_readfirstlane_b32 s6, v2
	s_wait_alu 0xfffe
	s_and_b32 s8, 0xffff, s6
	s_mov_b32 s6, s45
	s_wait_alu 0xfffe
	s_lshl_b32 s62, s8, 2
	s_cmp_lg_u64 s[6:7], 0
	s_cbranch_scc0 .LBB140_85
; %bb.63:                               ;   in Loop: Header=BB140_20 Depth=1
	s_wait_alu 0xfffe
	s_cvt_f32_u32 s6, s62
	s_mov_b32 s63, s45
	s_wait_alu 0xfffe
	s_sub_nc_u64 s[8:9], 0, s[62:63]
	s_fmamk_f32 s6, s83, 0x0, s6
	s_wait_alu 0xfffe
	s_delay_alu instid0(SALU_CYCLE_2) | instskip(NEXT) | instid1(TRANS32_DEP_1)
	v_s_rcp_f32 s6, s6
	s_mul_f32 s6, s6, 0x5f7ffffc
	s_wait_alu 0xfffe
	s_delay_alu instid0(SALU_CYCLE_2) | instskip(SKIP_1) | instid1(SALU_CYCLE_2)
	s_mul_f32 s7, s6, 0x2f800000
	s_wait_alu 0xfffe
	s_trunc_f32 s7, s7
	s_wait_alu 0xfffe
	s_delay_alu instid0(SALU_CYCLE_2) | instskip(SKIP_2) | instid1(SALU_CYCLE_1)
	s_fmamk_f32 s6, s7, 0xcf800000, s6
	s_cvt_u32_f32 s7, s7
	s_wait_alu 0xfffe
	s_cvt_u32_f32 s6, s6
	s_wait_alu 0xfffe
	s_delay_alu instid0(SALU_CYCLE_2)
	s_mul_u64 s[10:11], s[8:9], s[6:7]
	s_wait_alu 0xfffe
	s_mul_hi_u32 s13, s6, s11
	s_mul_i32 s12, s6, s11
	s_mul_hi_u32 s44, s6, s10
	s_mul_i32 s15, s7, s10
	s_wait_alu 0xfffe
	s_add_nc_u64 s[12:13], s[44:45], s[12:13]
	s_mul_hi_u32 s14, s7, s10
	s_mul_hi_u32 s16, s7, s11
	s_mul_i32 s10, s7, s11
	s_wait_alu 0xfffe
	s_add_co_u32 s11, s12, s15
	s_add_co_ci_u32 s44, s13, s14
	s_add_co_ci_u32 s11, s16, 0
	s_wait_alu 0xfffe
	s_add_nc_u64 s[10:11], s[44:45], s[10:11]
	s_wait_alu 0xfffe
	s_add_co_u32 s6, s6, s10
	s_cselect_b32 s10, -1, 0
	s_wait_alu 0xfffe
	s_cmp_lg_u32 s10, 0
	s_add_co_ci_u32 s7, s7, s11
	s_wait_alu 0xfffe
	s_mul_u64 s[8:9], s[8:9], s[6:7]
	s_wait_alu 0xfffe
	s_mul_hi_u32 s11, s6, s9
	s_mul_i32 s10, s6, s9
	s_mul_hi_u32 s44, s6, s8
	s_mul_i32 s13, s7, s8
	s_wait_alu 0xfffe
	s_add_nc_u64 s[10:11], s[44:45], s[10:11]
	s_mul_hi_u32 s12, s7, s8
	s_mul_hi_u32 s14, s7, s9
	s_mul_i32 s8, s7, s9
	s_wait_alu 0xfffe
	s_add_co_u32 s9, s10, s13
	s_add_co_ci_u32 s44, s11, s12
	s_add_co_ci_u32 s9, s14, 0
	s_wait_alu 0xfffe
	s_add_nc_u64 s[8:9], s[44:45], s[8:9]
	s_wait_alu 0xfffe
	s_add_co_u32 s6, s6, s8
	s_cselect_b32 s8, -1, 0
	s_wait_alu 0xfffe
	s_mul_hi_u32 s44, s28, s6
	s_cmp_lg_u32 s8, 0
	s_mul_hi_u32 s10, s29, s6
	s_add_co_ci_u32 s8, s7, s9
	s_mul_i32 s9, s29, s6
	s_wait_alu 0xfffe
	s_mul_hi_u32 s7, s28, s8
	s_mul_i32 s6, s28, s8
	s_mul_hi_u32 s11, s29, s8
	s_wait_alu 0xfffe
	s_add_nc_u64 s[6:7], s[44:45], s[6:7]
	s_mul_i32 s8, s29, s8
	s_wait_alu 0xfffe
	s_add_co_u32 s6, s6, s9
	s_add_co_ci_u32 s44, s7, s10
	s_add_co_ci_u32 s9, s11, 0
	s_wait_alu 0xfffe
	s_add_nc_u64 s[6:7], s[44:45], s[8:9]
	s_wait_alu 0xfffe
	s_mul_u64 s[6:7], s[62:63], s[6:7]
	s_wait_alu 0xfffe
	s_sub_co_u32 s6, s28, s6
	s_cselect_b32 s8, -1, 0
	s_wait_alu 0xfffe
	s_cmp_lg_u32 s8, 0
	s_sub_co_ci_u32 s7, s29, s7
	s_sub_co_u32 s8, s6, s62
	s_cselect_b32 s9, -1, 0
	s_wait_alu 0xfffe
	s_cmp_lg_u32 s9, 0
	s_sub_co_ci_u32 s9, s7, 0
	;; [unrolled: 5-line block ×3, first 2 shown]
	s_cmp_ge_u32 s8, s62
	s_cselect_b32 s12, -1, 0
	s_cmp_eq_u32 s9, 0
	s_wait_alu 0xfffe
	s_cselect_b32 s12, s12, -1
	s_wait_alu 0xfffe
	s_cmp_lg_u32 s12, 0
	s_cselect_b32 s9, s11, s9
	s_cselect_b32 s8, s10, s8
	s_cmp_ge_u32 s6, s62
	s_cselect_b32 s10, -1, 0
	s_cmp_eq_u32 s7, 0
	s_wait_alu 0xfffe
	s_cselect_b32 s10, s10, -1
	s_wait_alu 0xfffe
	s_cmp_lg_u32 s10, 0
	s_cselect_b32 s7, s9, s7
	s_cselect_b32 s6, s8, s6
	s_cbranch_execnz .LBB140_65
.LBB140_64:                             ;   in Loop: Header=BB140_20 Depth=1
	s_wait_alu 0xfffe
	v_cvt_f32_u32_e32 v4, s62
	s_sub_co_i32 s7, 0, s62
	s_delay_alu instid0(VALU_DEP_1) | instskip(NEXT) | instid1(TRANS32_DEP_1)
	v_rcp_iflag_f32_e32 v4, v4
	v_mul_f32_e32 v4, 0x4f7ffffe, v4
	s_delay_alu instid0(VALU_DEP_1) | instskip(NEXT) | instid1(VALU_DEP_1)
	v_cvt_u32_f32_e32 v4, v4
	v_readfirstlane_b32 s6, v4
	s_wait_alu 0xfffe
	s_mul_i32 s7, s7, s6
	s_wait_alu 0xfffe
	s_mul_hi_u32 s7, s6, s7
	s_wait_alu 0xfffe
	s_add_co_i32 s6, s6, s7
	s_wait_alu 0xfffe
	s_mul_hi_u32 s6, s28, s6
	s_wait_alu 0xfffe
	s_mul_i32 s6, s6, s62
	s_wait_alu 0xfffe
	s_sub_co_i32 s6, s28, s6
	s_wait_alu 0xfffe
	s_sub_co_i32 s7, s6, s62
	s_cmp_ge_u32 s6, s62
	s_wait_alu 0xfffe
	s_cselect_b32 s6, s7, s6
	s_wait_alu 0xfffe
	s_sub_co_i32 s7, s6, s62
	s_cmp_ge_u32 s6, s62
	s_wait_alu 0xfffe
	s_cselect_b32 s44, s7, s6
	s_wait_alu 0xfffe
	s_mov_b64 s[6:7], s[44:45]
.LBB140_65:                             ;   in Loop: Header=BB140_20 Depth=1
	v_mov_b32_e32 v4, 0
	v_dual_mov_b32 v8, 0 :: v_dual_mov_b32 v5, 0
	v_dual_mov_b32 v6, 0 :: v_dual_mov_b32 v9, 0
	;; [unrolled: 1-line block ×3, first 2 shown]
	v_dual_mov_b32 v11, 0 :: v_dual_and_b32 v2, 0xffff, v2
	s_wait_alu 0xfffe
	s_sub_nc_u64 s[64:65], s[28:29], s[6:7]
	s_mov_b32 s61, exec_lo
	s_wait_alu 0xfffe
	v_cmpx_gt_u64_e64 s[64:65], v[14:15]
	s_cbranch_execz .LBB140_69
; %bb.66:                               ;   in Loop: Header=BB140_20 Depth=1
	v_mul_lo_u32 v4, v2, s57
	v_mul_lo_u32 v5, 0, s56
	v_mul_hi_u32 v6, v2, s56
	v_mul_lo_u32 v45, v2, s56
	v_dual_mov_b32 v28, s48 :: v_dual_mov_b32 v31, v15
	v_mov_b32_e32 v30, v14
	s_mov_b64 s[66:67], 0
	v_dual_mov_b32 v29, s49 :: v_dual_add_nc_u32 v4, v4, v5
	s_mov_b32 s63, 0
	s_mov_b64 s[68:69], 0
	s_mov_b64 s[70:71], 0
	;; [unrolled: 1-line block ×3, first 2 shown]
	v_add_nc_u32_e32 v46, v4, v6
.LBB140_67:                             ;   Parent Loop BB140_20 Depth=1
                                        ; =>  This Inner Loop Header: Depth=2
	v_add_co_u32 v4, vcc_lo, v28, v24
	s_wait_alu 0xfffd
	v_add_co_ci_u32_e64 v5, null, v29, v25, vcc_lo
	v_add_co_u32 v6, vcc_lo, v28, v23
	s_wait_alu 0xfffd
	v_add_co_ci_u32_e64 v7, null, v29, v38, vcc_lo
	;; [unrolled: 3-line block ×4, first 2 shown]
	s_clause 0x3
	global_load_u16 v4, v[4:5], off
	global_load_u16 v5, v[6:7], off
	;; [unrolled: 1-line block ×4, first 2 shown]
	v_add_co_u32 v30, vcc_lo, v30, s62
	s_wait_alu 0xfffd
	v_add_co_ci_u32_e64 v31, null, 0, v31, vcc_lo
	v_add_co_u32 v28, vcc_lo, v28, v45
	s_wait_alu 0xfffd
	v_add_co_ci_u32_e64 v29, null, v29, v46, vcc_lo
	s_delay_alu instid0(VALU_DEP_3)
	v_cmp_le_u64_e32 vcc_lo, s[64:65], v[30:31]
	s_wait_loadcnt 0x3
	v_cmp_lt_i16_e64 s6, -1, v4
	v_and_b32_e32 v8, 0xffff, v4
	v_lshlrev_b32_e32 v4, 16, v4
	s_wait_loadcnt 0x2
	v_and_b32_e32 v10, 0xffff, v5
	s_wait_loadcnt 0x1
	v_and_b32_e32 v47, 0xffff, v6
	s_wait_alu 0xf1ff
	v_cndmask_b32_e64 v9, 0xffff, v42, s6
	v_cmp_lt_i16_e64 s6, -1, v5
	v_lshlrev_b32_e32 v5, 16, v5
	v_cmp_o_f32_e64 s9, v4, v4
	s_wait_loadcnt 0x0
	v_and_b32_e32 v49, 0xffff, v7
	v_xor_b32_e32 v8, v9, v8
	s_wait_alu 0xf1ff
	v_cndmask_b32_e64 v11, 0xffff, v42, s6
	v_cmp_lt_i16_e64 s6, -1, v6
	v_lshlrev_b32_e32 v6, 16, v6
	v_cndmask_b32_e64 v4, 0xffff, v8, s9
	s_delay_alu instid0(VALU_DEP_4)
	v_xor_b32_e32 v9, v11, v10
	s_wait_alu 0xf1ff
	v_cndmask_b32_e64 v48, 0xffff, v42, s6
	v_cmp_lt_i16_e64 s6, -1, v7
	v_lshlrev_b32_e32 v7, 16, v7
	v_cmp_o_f32_e64 s7, v6, v6
	v_and_b32_e32 v8, v4, v43
	v_bfe_u32 v4, v4, s84, 2
	s_wait_alu 0xf1ff
	v_cndmask_b32_e64 v50, 0xffff, v42, s6
	v_cmp_o_f32_e64 s6, v5, v5
	v_xor_b32_e32 v5, v48, v47
	v_cmp_o_f32_e64 s8, v7, v7
	v_cmp_eq_u32_e64 s10, 0, v4
	v_xor_b32_e32 v6, v50, v49
	s_wait_alu 0xf1ff
	v_cndmask_b32_e64 v7, 0xffff, v9, s6
	v_cndmask_b32_e64 v5, 0xffff, v5, s7
	v_cmp_eq_u32_e64 s6, v8, v20
	v_cmp_eq_u32_e64 s14, 1, v4
	v_cndmask_b32_e64 v6, 0xffff, v6, s8
	v_and_b32_e32 v9, v7, v43
	v_bfe_u32 v7, v7, s84, 2
	v_and_b32_e32 v10, v5, v43
	v_bfe_u32 v5, v5, s84, 2
	;; [unrolled: 2-line block ×3, first 2 shown]
	v_cmp_eq_u32_e64 s7, v9, v20
	v_cmp_eq_u32_e64 s11, 0, v7
	;; [unrolled: 1-line block ×4, first 2 shown]
	s_and_b32 s10, s6, s10
	v_cmp_eq_u32_e64 s9, v11, v20
	v_cmp_eq_u32_e64 s13, 0, v6
	;; [unrolled: 1-line block ×4, first 2 shown]
	s_wait_alu 0xfffe
	v_cndmask_b32_e64 v4, 0, 1, s10
	s_and_b32 s10, s7, s11
	v_cmp_eq_u32_e64 s16, 1, v5
	v_cmp_eq_u32_e64 s20, 2, v5
	;; [unrolled: 1-line block ×3, first 2 shown]
	s_wait_alu 0xfffe
	v_cndmask_b32_e64 v5, 0, 1, s10
	s_and_b32 s10, s8, s12
	v_cmp_eq_u32_e64 s15, 1, v7
	v_cmp_eq_u32_e64 s17, 1, v6
	;; [unrolled: 1-line block ×4, first 2 shown]
	s_wait_alu 0xfffe
	v_cndmask_b32_e64 v6, 0, 1, s10
	s_and_b32 s10, s9, s13
	v_cmp_eq_u32_e64 s19, 2, v7
	v_cmp_eq_u32_e64 s23, 3, v7
	s_wait_alu 0xfffe
	v_cndmask_b32_e64 v7, 0, 1, s10
	s_and_b32 s10, s6, s14
	s_wait_alu 0xfffe
	v_cndmask_b32_e64 v8, 0, 1, s10
	s_and_b32 s10, s7, s15
	;; [unrolled: 3-line block ×4, first 2 shown]
	v_cmp_ne_u32_e64 s11, 0, v9
	s_wait_alu 0xfffe
	v_cndmask_b32_e64 v11, 0, 1, s10
	s_and_b32 s10, s6, s18
	s_and_b32 s6, s6, s22
	s_wait_alu 0xfffe
	v_cndmask_b32_e64 v47, 0, 1, s10
	v_cndmask_b32_e64 v51, 0, 1, s6
	s_and_b32 s6, s7, s23
	s_and_b32 s10, s7, s19
	s_wait_alu 0xfffe
	v_cndmask_b32_e64 v52, 0, 1, s6
	s_and_b32 s6, s8, s24
	v_cndmask_b32_e64 v48, 0, 1, s10
	s_and_b32 s10, s8, s20
	s_wait_alu 0xfffe
	v_cndmask_b32_e64 v53, 0, 1, s6
	s_and_b32 s6, s9, s25
	v_cndmask_b32_e64 v49, 0, 1, s10
	s_and_b32 s10, s9, s21
	s_wait_alu 0xfffe
	v_cndmask_b32_e64 v54, 0, 1, s6
	v_cmp_ne_u32_e64 s6, 0, v4
	v_cmp_ne_u32_e64 s7, 0, v5
	v_cndmask_b32_e64 v50, 0, 1, s10
	v_cmp_ne_u32_e64 s8, 0, v6
	v_cmp_ne_u32_e64 s10, 0, v8
	;; [unrolled: 1-line block ×6, first 2 shown]
	s_bcnt1_i32_b32 s6, s6
	s_bcnt1_i32_b32 s7, s7
	v_cmp_ne_u32_e64 s13, 0, v11
	v_cmp_ne_u32_e64 s16, 0, v49
	;; [unrolled: 1-line block ×4, first 2 shown]
	s_bcnt1_i32_b32 s8, s8
	s_bcnt1_i32_b32 s10, s10
	;; [unrolled: 1-line block ×3, first 2 shown]
	s_wait_alu 0xfffe
	s_add_co_i32 s6, s7, s6
	v_cmp_ne_u32_e64 s17, 0, v50
	v_cmp_ne_u32_e64 s20, 0, v53
	s_bcnt1_i32_b32 s9, s9
	s_bcnt1_i32_b32 s12, s12
	;; [unrolled: 1-line block ×4, first 2 shown]
	s_add_co_i32 s7, s11, s10
	s_wait_alu 0xfffe
	s_add_co_i32 s6, s6, s8
	v_cmp_ne_u32_e64 s21, 0, v54
	s_bcnt1_i32_b32 s13, s13
	s_bcnt1_i32_b32 s16, s16
	;; [unrolled: 1-line block ×4, first 2 shown]
	s_add_co_i32 s10, s15, s14
	s_add_co_i32 s7, s7, s12
	s_wait_alu 0xfffe
	s_add_co_i32 s44, s6, s9
	s_bcnt1_i32_b32 s17, s17
	s_bcnt1_i32_b32 s20, s20
	s_add_co_i32 s11, s19, s18
	s_add_co_i32 s8, s10, s16
	s_wait_alu 0xfffe
	s_add_nc_u64 s[72:73], s[72:73], s[44:45]
	s_add_co_i32 s44, s7, s13
	s_bcnt1_i32_b32 s21, s21
	s_add_co_i32 s10, s11, s20
	s_wait_alu 0xfffe
	s_add_nc_u64 s[70:71], s[70:71], s[44:45]
	s_add_co_i32 s44, s8, s17
	v_mov_b32_e32 v4, s72
	s_wait_alu 0xfffe
	s_add_nc_u64 s[68:69], s[68:69], s[44:45]
	s_add_co_i32 s44, s10, s21
	v_mov_b32_e32 v6, s70
	s_wait_alu 0xfffe
	s_add_nc_u64 s[66:67], s[66:67], s[44:45]
	v_mov_b32_e32 v8, s68
	s_wait_alu 0xfffe
	v_dual_mov_b32 v10, s66 :: v_dual_mov_b32 v5, s73
	v_mov_b32_e32 v7, s71
	v_mov_b32_e32 v9, s69
	;; [unrolled: 1-line block ×3, first 2 shown]
	s_or_b32 s63, vcc_lo, s63
	s_wait_alu 0xfffe
	s_and_not1_b32 exec_lo, exec_lo, s63
	s_cbranch_execnz .LBB140_67
; %bb.68:                               ;   in Loop: Header=BB140_20 Depth=1
	s_or_b32 exec_lo, exec_lo, s63
.LBB140_69:                             ;   in Loop: Header=BB140_20 Depth=1
	s_delay_alu instid0(SALU_CYCLE_1)
	s_or_b32 exec_lo, exec_lo, s61
	v_add_co_u32 v28, s6, s64, v0
	s_wait_alu 0xf1ff
	v_add_co_ci_u32_e64 v29, null, s65, 0, s6
	s_mov_b32 s10, exec_lo
	v_cmpx_gt_u64_e64 s[28:29], v[28:29]
	s_cbranch_execz .LBB140_75
; %bb.70:                               ;   in Loop: Header=BB140_20 Depth=1
	v_mul_lo_u32 v45, v29, s36
	v_mul_lo_u32 v46, v28, s37
	v_mad_co_u64_u32 v[30:31], null, v28, s36, 0
	s_mov_b32 s11, 0
	v_add3_u32 v31, v31, v46, v45
	s_delay_alu instid0(VALU_DEP_1) | instskip(NEXT) | instid1(VALU_DEP_1)
	v_lshlrev_b64_e32 v[30:31], 1, v[30:31]
	v_add_co_u32 v30, vcc_lo, s48, v30
	s_wait_alu 0xfffd
	s_delay_alu instid0(VALU_DEP_2)
	v_add_co_ci_u32_e64 v31, null, s49, v31, vcc_lo
	global_load_u16 v31, v[30:31], off
	s_branch .LBB140_72
.LBB140_71:                             ;   in Loop: Header=BB140_72 Depth=2
	s_wait_alu 0xfffe
	s_or_b32 exec_lo, exec_lo, s7
	s_wait_loadcnt 0x0
	v_cmp_lt_i16_e64 s6, -1, v31
	v_and_b32_e32 v45, 0xffff, v31
	v_lshlrev_b32_e32 v31, 16, v31
	s_and_b32 s8, exec_lo, vcc_lo
	s_wait_alu 0xfffe
	s_or_b32 s11, s8, s11
	v_cndmask_b32_e64 v46, 0xffff, v42, s6
	v_cmp_o_f32_e64 s6, v31, v31
	s_delay_alu instid0(VALU_DEP_2) | instskip(SKIP_1) | instid1(VALU_DEP_1)
	v_xor_b32_e32 v45, v46, v45
	s_wait_alu 0xf1ff
	v_cndmask_b32_e64 v31, 0xffff, v45, s6
	s_delay_alu instid0(VALU_DEP_1) | instskip(SKIP_1) | instid1(VALU_DEP_2)
	v_and_b32_e32 v45, v31, v43
	v_bfe_u32 v31, v31, s84, 2
	v_cmp_eq_u32_e64 s6, v45, v20
	s_delay_alu instid0(VALU_DEP_2)
	v_cmp_eq_u32_e64 s7, 0, v31
	v_cmp_eq_u32_e32 vcc_lo, 1, v31
	v_cmp_eq_u32_e64 s8, 2, v31
	s_and_b32 s7, s6, s7
	s_wait_alu 0xfffe
	v_cndmask_b32_e64 v45, 0, 1, s7
	s_and_b32 s7, s6, vcc_lo
	v_cmp_eq_u32_e32 vcc_lo, 3, v31
	s_wait_alu 0xfffe
	v_cndmask_b32_e64 v46, 0, 1, s7
	s_and_b32 s7, s6, s8
	s_wait_alu 0xfffe
	v_cndmask_b32_e64 v47, 0, 1, s7
	v_cmp_ne_u32_e64 s7, 0, v45
	v_cmp_ne_u32_e64 s8, 0, v46
	s_and_b32 s6, s6, vcc_lo
	s_wait_alu 0xfffe
	v_cndmask_b32_e64 v31, 0, 1, s6
	s_bcnt1_i32_b32 s6, s7
	v_cmp_ne_u32_e64 s9, 0, v47
	s_bcnt1_i32_b32 s7, s8
	s_wait_alu 0xfffe
	v_add_co_u32 v4, vcc_lo, v4, s6
	s_wait_alu 0xfffd
	v_add_co_ci_u32_e64 v5, null, 0, v5, vcc_lo
	v_add_co_u32 v6, vcc_lo, v6, s7
	s_wait_alu 0xfffd
	v_add_co_ci_u32_e64 v7, null, 0, v7, vcc_lo
	v_cmp_ne_u32_e32 vcc_lo, 0, v31
	s_bcnt1_i32_b32 s8, s9
	v_mov_b32_e32 v31, v30
	s_wait_alu 0xfffe
	v_add_co_u32 v8, s6, v8, s8
	s_wait_alu 0xf1ff
	v_add_co_ci_u32_e64 v9, null, 0, v9, s6
	s_bcnt1_i32_b32 s6, vcc_lo
	s_wait_alu 0xfffe
	v_add_co_u32 v10, vcc_lo, v10, s6
	s_wait_alu 0xfffd
	v_add_co_ci_u32_e64 v11, null, 0, v11, vcc_lo
	s_and_not1_b32 exec_lo, exec_lo, s11
	s_cbranch_execz .LBB140_74
.LBB140_72:                             ;   Parent Loop BB140_20 Depth=1
                                        ; =>  This Inner Loop Header: Depth=2
	v_add_co_u32 v28, vcc_lo, v28, v2
	s_wait_alu 0xfffd
	v_add_co_ci_u32_e64 v29, null, 0, v29, vcc_lo
	v_mov_b32_e32 v30, 0
	s_mov_b32 s7, exec_lo
	s_delay_alu instid0(VALU_DEP_2)
	v_cmp_le_u64_e32 vcc_lo, s[28:29], v[28:29]
	v_cmpx_gt_u64_e64 s[28:29], v[28:29]
	s_cbranch_execz .LBB140_71
; %bb.73:                               ;   in Loop: Header=BB140_72 Depth=2
	v_mul_lo_u32 v30, v29, s36
	v_mul_lo_u32 v47, v28, s37
	v_mad_co_u64_u32 v[45:46], null, v28, s36, 0
	s_delay_alu instid0(VALU_DEP_1) | instskip(NEXT) | instid1(VALU_DEP_1)
	v_add3_u32 v46, v46, v47, v30
	v_lshlrev_b64_e32 v[45:46], 1, v[45:46]
	s_delay_alu instid0(VALU_DEP_1) | instskip(SKIP_1) | instid1(VALU_DEP_2)
	v_add_co_u32 v45, s6, s48, v45
	s_wait_alu 0xf1ff
	v_add_co_ci_u32_e64 v46, null, s49, v46, s6
	global_load_u16 v30, v[45:46], off
	s_branch .LBB140_71
.LBB140_74:                             ;   in Loop: Header=BB140_20 Depth=1
	s_or_b32 exec_lo, exec_lo, s11
.LBB140_75:                             ;   in Loop: Header=BB140_20 Depth=1
	s_wait_alu 0xfffe
	s_or_b32 exec_lo, exec_lo, s10
	s_branch .LBB140_54
.LBB140_76:                             ;   in Loop: Header=BB140_20 Depth=1
	global_load_u16 v2, v3, s[58:59]
	v_mov_b32_e32 v6, 0
	v_mov_b32_e32 v8, 0
	v_dual_mov_b32 v10, 0 :: v_dual_mov_b32 v9, 0
	v_mov_b32_e32 v11, 0
	s_mov_b32 s66, exec_lo
	v_mov_b32_e32 v7, 0
	s_wait_loadcnt 0x0
	v_readfirstlane_b32 s6, v2
	v_and_b32_e32 v2, 0xffff, v2
	s_and_b32 s61, 0xffff, s6
	s_delay_alu instid0(SALU_CYCLE_1) | instskip(SKIP_4) | instid1(SALU_CYCLE_1)
	s_lshl_b32 s65, s61, 2
	s_wait_alu 0xfffe
	s_cvt_f32_u32 s6, s65
	s_sub_co_i32 s7, 0, s65
	s_wait_alu 0xfffe
	v_rcp_iflag_f32_e32 v4, s6
	s_delay_alu instid0(TRANS32_DEP_1) | instskip(SKIP_2) | instid1(SALU_CYCLE_2)
	v_readfirstlane_b32 s6, v4
	s_mul_f32 s6, s6, 0x4f7ffffe
	s_wait_alu 0xfffe
	s_cvt_u32_f32 s6, s6
	s_wait_alu 0xfffe
	s_delay_alu instid0(SALU_CYCLE_2)
	s_mul_i32 s7, s7, s6
	s_wait_alu 0xfffe
	s_mul_hi_u32 s7, s6, s7
	s_wait_alu 0xfffe
	s_add_co_i32 s6, s6, s7
	s_wait_alu 0xfffe
	s_mul_hi_u32 s6, s60, s6
	s_wait_alu 0xfffe
	s_mul_i32 s7, s6, s65
	s_add_co_i32 s8, s6, 1
	s_wait_alu 0xfffe
	s_sub_co_i32 s7, s60, s7
	s_wait_alu 0xfffe
	s_sub_co_i32 s9, s7, s65
	s_cmp_ge_u32 s7, s65
	s_cselect_b32 s6, s8, s6
	s_wait_alu 0xfffe
	s_cselect_b32 s7, s9, s7
	s_add_co_i32 s8, s6, 1
	s_wait_alu 0xfffe
	s_cmp_ge_u32 s7, s65
	s_cselect_b32 s64, s8, s6
	s_wait_alu 0xfffe
	v_mul_hi_u32 v5, s64, v2
	v_mul_lo_u32 v4, s64, v2
	s_delay_alu instid0(VALU_DEP_1) | instskip(SKIP_2) | instid1(VALU_DEP_3)
	v_lshlrev_b64_e32 v[28:29], 2, v[4:5]
	v_mov_b32_e32 v4, 0
	v_mov_b32_e32 v5, 0
	v_cmpx_gt_u64_e64 v[28:29], v[14:15]
	s_cbranch_execz .LBB140_80
; %bb.77:                               ;   in Loop: Header=BB140_20 Depth=1
	v_mov_b32_e32 v31, v15
	v_dual_mov_b32 v45, v39 :: v_dual_mov_b32 v30, v14
	s_lshl_b32 s67, s61, 3
	s_mov_b64 s[20:21], 0
	s_mov_b32 s68, 0
	s_mov_b64 s[22:23], 0
	s_mov_b64 s[24:25], 0
	;; [unrolled: 1-line block ×3, first 2 shown]
.LBB140_78:                             ;   Parent Loop BB140_20 Depth=1
                                        ; =>  This Inner Loop Header: Depth=2
	ds_load_b64 v[4:5], v45
	v_add_co_u32 v30, vcc_lo, v30, s65
	s_wait_alu 0xfffd
	v_add_co_ci_u32_e64 v31, null, 0, v31, vcc_lo
	s_delay_alu instid0(VALU_DEP_1)
	v_cmp_ge_u64_e32 vcc_lo, v[30:31], v[28:29]
	s_wait_dscnt 0x0
	v_cmp_lt_i16_e64 s6, -1, v4
	v_lshrrev_b32_e32 v7, 16, v5
	v_lshrrev_b32_e32 v6, 16, v4
	v_and_b32_e32 v8, 0xffff, v4
	v_lshlrev_b32_e32 v10, 16, v4
	s_wait_alu 0xf1ff
	v_cndmask_b32_e64 v9, 0xffff, v42, s6
	v_cmp_lt_i16_e64 s6, -1, v5
	v_and_b32_e32 v11, 0xffff, v5
	v_cmp_lt_i16_e64 s7, -1, v7
	v_lshlrev_b32_e32 v47, 16, v5
	v_xor_b32_e32 v8, v9, v8
	s_wait_alu 0xf1ff
	v_cndmask_b32_e64 v46, 0xffff, v42, s6
	v_cmp_lt_i16_e64 s6, -1, v6
	v_and_b32_e32 v4, 0xffff0000, v4
	v_and_b32_e32 v5, 0xffff0000, v5
	s_delay_alu instid0(VALU_DEP_4)
	v_xor_b32_e32 v11, v46, v11
	v_cndmask_b32_e64 v46, 0xffff, v42, s7
	v_cmp_o_f32_e64 s7, v10, v10
	s_wait_alu 0xf1ff
	v_cndmask_b32_e64 v9, 0xffff, v42, s6
	v_cmp_o_f32_e64 s6, v47, v47
	v_xor_b32_e32 v7, v46, v7
	v_cndmask_b32_e64 v8, 0xffff, v8, s7
	s_delay_alu instid0(VALU_DEP_4)
	v_xor_b32_e32 v6, v9, v6
	s_wait_alu 0xf1ff
	v_cndmask_b32_e64 v9, 0xffff, v11, s6
	v_cmp_o_f32_e64 s6, v5, v5
	v_cmp_o_f32_e64 s7, v4, v4
	v_and_b32_e32 v5, v8, v43
	v_bfe_u32 v8, v8, s84, 2
	s_wait_alu 0xf1ff
	s_delay_alu instid0(VALU_DEP_3)
	v_cndmask_b32_e64 v4, 0xffff, v6, s7
	v_cndmask_b32_e64 v6, 0xffff, v7, s6
	v_and_b32_e32 v7, v9, v43
	v_bfe_u32 v9, v9, s84, 2
	v_cmp_eq_u32_e64 s6, v5, v20
	v_cmp_eq_u32_e64 s8, 0, v8
	v_and_b32_e32 v5, v4, v43
	v_cmp_eq_u32_e64 s7, v7, v20
	v_bfe_u32 v4, v4, s84, 2
	v_cmp_eq_u32_e64 s9, 0, v9
	v_cmp_eq_u32_e64 s10, 1, v8
	;; [unrolled: 1-line block ×3, first 2 shown]
	v_and_b32_e32 v7, v6, v43
	v_bfe_u32 v6, v6, s84, 2
	v_cmp_eq_u32_e64 s11, 1, v9
	v_cmp_eq_u32_e64 s13, 2, v9
	;; [unrolled: 1-line block ×3, first 2 shown]
	s_and_b32 s8, s6, s8
	v_cmp_eq_u32_e64 s15, 3, v9
	v_cmp_eq_u32_e64 s16, v5, v20
	;; [unrolled: 1-line block ×3, first 2 shown]
	s_wait_alu 0xfffe
	v_cndmask_b32_e64 v5, 0, 1, s8
	s_and_b32 s8, s7, s9
	s_and_b32 s10, s6, s10
	s_and_b32 s12, s6, s12
	v_cmp_eq_u32_e64 s17, v7, v20
	v_cmp_eq_u32_e64 s19, 0, v6
	s_wait_alu 0xfffe
	v_cndmask_b32_e64 v7, 0, 1, s8
	v_cmp_eq_u32_e64 s8, 1, v4
	v_cndmask_b32_e64 v8, 0, 1, s10
	s_and_b32 s10, s7, s11
	v_cndmask_b32_e64 v10, 0, 1, s12
	s_and_b32 s12, s7, s13
	s_and_b32 s6, s6, s14
	v_cmp_eq_u32_e64 s9, 1, v6
	s_wait_alu 0xfffe
	v_cndmask_b32_e64 v9, 0, 1, s10
	v_cmp_eq_u32_e64 s10, 2, v4
	v_cmp_eq_u32_e64 s11, 2, v6
	v_cndmask_b32_e64 v11, 0, 1, s12
	v_cmp_eq_u32_e64 s12, 3, v4
	v_cndmask_b32_e64 v4, 0, 1, s6
	s_and_b32 s6, s7, s15
	s_and_b32 s7, s16, s18
	v_cmp_eq_u32_e64 s13, 3, v6
	s_wait_alu 0xfffe
	v_cndmask_b32_e64 v6, 0, 1, s6
	v_cmp_ne_u32_e64 s6, 0, v5
	v_cndmask_b32_e64 v5, 0, 1, s7
	s_and_b32 s14, s17, s19
	s_and_b32 s8, s16, s8
	v_cmp_ne_u32_e64 s7, 0, v7
	s_wait_alu 0xfffe
	v_cndmask_b32_e64 v7, 0, 1, s14
	v_cmp_ne_u32_e64 s14, 0, v8
	v_cndmask_b32_e64 v8, 0, 1, s8
	s_and_b32 s9, s17, s9
	s_and_b32 s10, s16, s10
	;; [unrolled: 1-line block ×4, first 2 shown]
	v_cmp_ne_u32_e64 s8, 0, v9
	s_wait_alu 0xfffe
	v_cndmask_b32_e64 v9, 0, 1, s9
	v_cmp_ne_u32_e64 s9, 0, v10
	v_cndmask_b32_e64 v10, 0, 1, s10
	v_cmp_ne_u32_e64 s10, 0, v11
	;; [unrolled: 2-line block ×3, first 2 shown]
	v_cndmask_b32_e64 v4, 0, 1, s12
	s_and_b32 s13, s17, s13
	s_bcnt1_i32_b32 s15, s6
	v_cmp_ne_u32_e64 s6, 0, v5
	v_cmp_ne_u32_e64 s12, 0, v6
	s_wait_alu 0xfffe
	v_cndmask_b32_e64 v6, 0, 1, s13
	v_cmp_ne_u32_e64 s13, 0, v8
	s_bcnt1_i32_b32 s16, s7
	v_cmp_ne_u32_e64 s7, 0, v7
	s_bcnt1_i32_b32 s18, s9
	;; [unrolled: 2-line block ×4, first 2 shown]
	s_bcnt1_i32_b32 s17, s8
	v_cmp_ne_u32_e64 s8, 0, v9
	s_bcnt1_i32_b32 s14, s14
	s_bcnt1_i32_b32 s13, s13
	s_wait_alu 0xfffe
	s_add_co_i32 s6, s6, s15
	s_bcnt1_i32_b32 s19, s10
	v_cmp_ne_u32_e64 s10, 0, v11
	s_bcnt1_i32_b32 s7, s7
	s_bcnt1_i32_b32 s9, s9
	;; [unrolled: 1-line block ×3, first 2 shown]
	s_add_co_i32 s13, s13, s14
	s_wait_alu 0xfffe
	s_add_co_i32 s6, s6, s16
	s_bcnt1_i32_b32 s69, s12
	v_cmp_ne_u32_e64 s12, 0, v6
	s_bcnt1_i32_b32 s8, s8
	s_add_co_i32 s9, s9, s18
	s_add_co_i32 s11, s11, s44
	;; [unrolled: 1-line block ×3, first 2 shown]
	s_wait_alu 0xfffe
	s_add_co_i32 s44, s6, s7
	s_bcnt1_i32_b32 s10, s10
	s_add_co_i32 s9, s9, s19
	s_wait_alu 0xfffe
	s_add_nc_u64 s[62:63], s[62:63], s[44:45]
	s_add_co_i32 s44, s13, s8
	s_bcnt1_i32_b32 s12, s12
	s_add_co_i32 s11, s11, s69
	s_wait_alu 0xfffe
	s_add_nc_u64 s[24:25], s[24:25], s[44:45]
	s_add_co_i32 s44, s9, s10
	v_dual_mov_b32 v4, s62 :: v_dual_add_nc_u32 v45, s67, v45
	s_wait_alu 0xfffe
	s_add_nc_u64 s[22:23], s[22:23], s[44:45]
	s_add_co_i32 s44, s11, s12
	v_mov_b32_e32 v6, s24
	s_wait_alu 0xfffe
	s_add_nc_u64 s[20:21], s[20:21], s[44:45]
	v_mov_b32_e32 v8, s22
	s_wait_alu 0xfffe
	v_dual_mov_b32 v10, s20 :: v_dual_mov_b32 v5, s63
	v_mov_b32_e32 v7, s25
	v_mov_b32_e32 v9, s23
	;; [unrolled: 1-line block ×3, first 2 shown]
	s_or_b32 s68, vcc_lo, s68
	s_wait_alu 0xfffe
	s_and_not1_b32 exec_lo, exec_lo, s68
	s_cbranch_execnz .LBB140_78
; %bb.79:                               ;   in Loop: Header=BB140_20 Depth=1
	s_or_b32 exec_lo, exec_lo, s68
.LBB140_80:                             ;   in Loop: Header=BB140_20 Depth=1
	s_delay_alu instid0(SALU_CYCLE_1)
	s_or_b32 exec_lo, exec_lo, s66
	v_add_co_u32 v28, vcc_lo, v28, v0
	s_wait_alu 0xfffd
	v_add_co_ci_u32_e64 v29, null, 0, v29, vcc_lo
	s_and_b32 s44, s60, 0x7fffffff
	s_mov_b32 s11, exec_lo
	s_wait_alu 0xfffe
	v_cmpx_gt_u64_e64 s[44:45], v[28:29]
	s_cbranch_execz .LBB140_84
; %bb.81:                               ;   in Loop: Header=BB140_20 Depth=1
	s_mul_i32 s64, s64, s61
	s_lshl_b32 s13, s61, 1
	s_wait_alu 0xfffe
	v_lshl_add_u32 v30, s64, 3, v33
	s_mov_b32 s12, 0
.LBB140_82:                             ;   Parent Loop BB140_20 Depth=1
                                        ; =>  This Inner Loop Header: Depth=2
	ds_load_u16 v31, v30
	v_add_co_u32 v28, vcc_lo, v28, v2
	s_wait_alu 0xfffd
	v_add_co_ci_u32_e64 v29, null, 0, v29, vcc_lo
	v_add_nc_u32_e32 v30, s13, v30
	s_delay_alu instid0(VALU_DEP_2)
	v_cmp_le_u64_e32 vcc_lo, s[44:45], v[28:29]
	s_wait_dscnt 0x0
	v_cmp_lt_i16_e64 s6, -1, v31
	v_and_b32_e32 v45, 0xffff, v31
	v_lshlrev_b32_e32 v31, 16, v31
	s_wait_alu 0xf1ff
	s_delay_alu instid0(VALU_DEP_3) | instskip(NEXT) | instid1(VALU_DEP_2)
	v_cndmask_b32_e64 v46, 0xffff, v42, s6
	v_cmp_o_f32_e64 s6, v31, v31
	s_delay_alu instid0(VALU_DEP_2) | instskip(SKIP_1) | instid1(VALU_DEP_1)
	v_xor_b32_e32 v45, v46, v45
	s_wait_alu 0xf1ff
	v_cndmask_b32_e64 v31, 0xffff, v45, s6
	s_delay_alu instid0(VALU_DEP_1) | instskip(SKIP_1) | instid1(VALU_DEP_2)
	v_and_b32_e32 v45, v31, v43
	v_bfe_u32 v31, v31, s84, 2
	v_cmp_eq_u32_e64 s6, v45, v20
	s_delay_alu instid0(VALU_DEP_2)
	v_cmp_eq_u32_e64 s7, 0, v31
	v_cmp_eq_u32_e64 s8, 1, v31
	;; [unrolled: 1-line block ×4, first 2 shown]
	s_and_b32 s7, s6, s7
	s_wait_alu 0xfffe
	v_cndmask_b32_e64 v31, 0, 1, s7
	s_and_b32 s7, s6, s8
	s_wait_alu 0xfffe
	v_cndmask_b32_e64 v45, 0, 1, s7
	s_and_b32 s7, s6, s9
	s_and_b32 s6, s6, s10
	s_wait_alu 0xfffe
	v_cndmask_b32_e64 v46, 0, 1, s7
	v_cndmask_b32_e64 v47, 0, 1, s6
	v_cmp_ne_u32_e64 s6, 0, v31
	v_cmp_ne_u32_e64 s7, 0, v45
	s_delay_alu instid0(VALU_DEP_4) | instskip(NEXT) | instid1(VALU_DEP_4)
	v_cmp_ne_u32_e64 s8, 0, v46
	v_cmp_ne_u32_e64 s9, 0, v47
	s_bcnt1_i32_b32 s6, s6
	s_bcnt1_i32_b32 s7, s7
	s_wait_alu 0xfffe
	v_add_co_u32 v4, s6, v4, s6
	s_bcnt1_i32_b32 s8, s8
	v_add_co_ci_u32_e64 v5, null, 0, v5, s6
	v_add_co_u32 v6, s6, v6, s7
	s_bcnt1_i32_b32 s9, s9
	v_add_co_ci_u32_e64 v7, null, 0, v7, s6
	s_wait_alu 0xfffe
	v_add_co_u32 v8, s6, v8, s8
	s_wait_alu 0xf1ff
	v_add_co_ci_u32_e64 v9, null, 0, v9, s6
	v_add_co_u32 v10, s6, v10, s9
	s_wait_alu 0xf1ff
	v_add_co_ci_u32_e64 v11, null, 0, v11, s6
	s_or_b32 s12, vcc_lo, s12
	s_wait_alu 0xfffe
	s_and_not1_b32 exec_lo, exec_lo, s12
	s_cbranch_execnz .LBB140_82
; %bb.83:                               ;   in Loop: Header=BB140_20 Depth=1
	s_or_b32 exec_lo, exec_lo, s12
.LBB140_84:                             ;   in Loop: Header=BB140_20 Depth=1
	s_delay_alu instid0(SALU_CYCLE_1)
	s_or_b32 exec_lo, exec_lo, s11
	s_lshl_b32 s6, s87, 7
	s_and_saveexec_b32 s7, s1
	s_cbranch_execnz .LBB140_55
	s_branch .LBB140_56
.LBB140_85:                             ;   in Loop: Header=BB140_20 Depth=1
                                        ; implicit-def: $sgpr6_sgpr7
	s_branch .LBB140_64
.LBB140_86:                             ;   in Loop: Header=BB140_20 Depth=1
	s_mov_b32 s8, 0
	s_and_not1_b32 vcc_lo, exec_lo, s81
	s_wait_alu 0xfffe
	s_cbranch_vccnz .LBB140_89
.LBB140_87:                             ;   in Loop: Header=BB140_20 Depth=1
	s_lshl_b32 s9, s87, 10
	s_lshl_b32 s8, s8, 5
	s_wait_alu 0xfffe
	v_add3_u32 v2, s9, s8, v40
	s_mov_b32 s8, s77
.LBB140_88:                             ;   Parent Loop BB140_20 Depth=1
                                        ; =>  This Inner Loop Header: Depth=2
	ds_load_b64 v[6:7], v2
	v_add_nc_u32_e32 v2, 32, v2
	s_wait_alu 0xfffe
	s_add_co_i32 s8, s8, -1
	s_wait_alu 0xfffe
	s_cmp_lg_u32 s8, 0
	s_wait_dscnt 0x0
	v_add_co_u32 v4, vcc_lo, v6, v4
	s_wait_alu 0xfffd
	v_add_co_ci_u32_e64 v5, null, v7, v5, vcc_lo
	s_cbranch_scc1 .LBB140_88
.LBB140_89:                             ;   in Loop: Header=BB140_20 Depth=1
	v_add_lshl_u32 v2, s6, v32, 3
	ds_store_b64 v2, v[4:5] offset:3072
.LBB140_90:                             ;   in Loop: Header=BB140_20 Depth=1
	s_wait_alu 0xfffe
	s_or_b32 exec_lo, exec_lo, s7
	s_lshl_b32 s6, s6, 3
	s_wait_loadcnt_dscnt 0x0
	s_wait_alu 0xfffe
	v_mov_b32_e32 v2, s6
	s_barrier_signal -1
	s_barrier_wait -1
	global_inv scope:SCOPE_SE
	v_cmp_eq_u64_e32 vcc_lo, 1, v[26:27]
	ds_load_b128 v[4:7], v2 offset:3072
	ds_load_b128 v[8:11], v2 offset:3088
	s_lshl_b32 s16, 3, s84
	s_mov_b32 s18, -1
	s_wait_alu 0xfffe
	s_not_b32 s20, s16
                                        ; implicit-def: $sgpr22
                                        ; implicit-def: $sgpr21
	s_wait_dscnt 0x1
	v_cmp_eq_u64_e64 s6, 1, v[4:5]
	s_wait_dscnt 0x0
	v_readfirstlane_b32 s10, v8
	v_readfirstlane_b32 s11, v9
	;; [unrolled: 1-line block ×4, first 2 shown]
	s_and_b32 s19, s6, vcc_lo
	s_mov_b32 s6, -1
	s_and_saveexec_b32 s17, s19
	s_cbranch_execz .LBB140_122
; %bb.91:                               ;   in Loop: Header=BB140_20 Depth=1
	ds_load_b64 v[8:9], v3 offset:5120
	s_wait_loadcnt_dscnt 0x0
	s_barrier_signal -1
	s_barrier_wait -1
	global_inv scope:SCOPE_SE
	v_readfirstlane_b32 s6, v8
	v_readfirstlane_b32 s7, v9
	s_and_saveexec_b32 s12, s0
; %bb.92:                               ;   in Loop: Header=BB140_20 Depth=1
	ds_store_b16 v34, v3
; %bb.93:                               ;   in Loop: Header=BB140_20 Depth=1
	s_wait_alu 0xfffe
	s_or_b32 exec_lo, exec_lo, s12
	v_and_b32_e32 v20, s20, v20
	v_or_b32_e32 v43, s16, v43
	s_mov_b32 s21, -1
	s_mov_b32 s22, 0
	s_cmp_eq_u64 s[6:7], 0
	s_mov_b32 s14, 0
	s_mov_b32 s15, -1
	s_wait_loadcnt_dscnt 0x0
	s_barrier_signal -1
	s_barrier_wait -1
	global_inv scope:SCOPE_SE
                                        ; implicit-def: $vgpr44
	s_cbranch_scc1 .LBB140_107
; %bb.94:                               ;   in Loop: Header=BB140_20 Depth=1
	s_add_nc_u64 s[12:13], s[6:7], s[50:51]
	s_mov_b32 s14, s45
	s_wait_alu 0xfffe
	s_mov_b32 s15, s13
	s_wait_alu 0xfffe
	s_cmp_lg_u64 s[14:15], 0
	s_cbranch_scc0 .LBB140_148
; %bb.95:                               ;   in Loop: Header=BB140_20 Depth=1
	s_cvt_f32_u32 s14, s42
	s_sub_nc_u64 s[24:25], 0, s[42:43]
	s_wait_alu 0xfffe
	s_delay_alu instid0(SALU_CYCLE_1) | instskip(SKIP_1) | instid1(SALU_CYCLE_2)
	s_fmamk_f32 s14, s83, 0x0, s14
	s_wait_alu 0xfffe
	v_s_rcp_f32 s14, s14
	s_delay_alu instid0(TRANS32_DEP_1) | instskip(SKIP_1) | instid1(SALU_CYCLE_2)
	s_mul_f32 s14, s14, 0x5f7ffffc
	s_wait_alu 0xfffe
	s_mul_f32 s15, s14, 0x2f800000
	s_wait_alu 0xfffe
	s_delay_alu instid0(SALU_CYCLE_2) | instskip(SKIP_1) | instid1(SALU_CYCLE_2)
	s_trunc_f32 s15, s15
	s_wait_alu 0xfffe
	s_fmamk_f32 s14, s15, 0xcf800000, s14
	s_cvt_u32_f32 s15, s15
	s_wait_alu 0xfffe
	s_delay_alu instid0(SALU_CYCLE_1) | instskip(SKIP_1) | instid1(SALU_CYCLE_2)
	s_cvt_u32_f32 s14, s14
	s_wait_alu 0xfffe
	s_mul_u64 s[60:61], s[24:25], s[14:15]
	s_delay_alu instid0(SALU_CYCLE_1)
	s_mul_hi_u32 s63, s14, s61
	s_mul_i32 s62, s14, s61
	s_mul_hi_u32 s44, s14, s60
	s_mul_i32 s64, s15, s60
	s_wait_alu 0xfffe
	s_add_nc_u64 s[62:63], s[44:45], s[62:63]
	s_mul_hi_u32 s23, s15, s60
	s_mul_hi_u32 s65, s15, s61
	s_wait_alu 0xfffe
	s_add_co_u32 s44, s62, s64
	s_add_co_ci_u32 s44, s63, s23
	s_mul_i32 s60, s15, s61
	s_add_co_ci_u32 s61, s65, 0
	s_wait_alu 0xfffe
	s_add_nc_u64 s[60:61], s[44:45], s[60:61]
	s_delay_alu instid0(SALU_CYCLE_1)
	s_add_co_u32 s14, s14, s60
	s_cselect_b32 s23, -1, 0
	s_wait_alu 0xfffe
	s_cmp_lg_u32 s23, 0
	s_add_co_ci_u32 s15, s15, s61
	s_wait_alu 0xfffe
	s_mul_u64 s[24:25], s[24:25], s[14:15]
	s_wait_alu 0xfffe
	s_mul_hi_u32 s61, s14, s25
	s_mul_i32 s60, s14, s25
	s_mul_hi_u32 s44, s14, s24
	s_mul_i32 s62, s15, s24
	s_wait_alu 0xfffe
	s_add_nc_u64 s[60:61], s[44:45], s[60:61]
	s_mul_hi_u32 s23, s15, s24
	s_mul_hi_u32 s63, s15, s25
	s_mul_i32 s24, s15, s25
	s_add_co_u32 s25, s60, s62
	s_wait_alu 0xfffe
	s_add_co_ci_u32 s44, s61, s23
	s_add_co_ci_u32 s25, s63, 0
	s_wait_alu 0xfffe
	s_add_nc_u64 s[24:25], s[44:45], s[24:25]
	s_wait_alu 0xfffe
	s_add_co_u32 s14, s14, s24
	s_cselect_b32 s23, -1, 0
	s_wait_alu 0xfffe
	s_mul_hi_u32 s44, s12, s14
	s_cmp_lg_u32 s23, 0
	s_mul_hi_u32 s23, s13, s14
	s_add_co_ci_u32 s24, s15, s25
	s_mul_i32 s25, s13, s14
	s_wait_alu 0xfffe
	s_mul_hi_u32 s15, s12, s24
	s_mul_i32 s14, s12, s24
	s_mul_hi_u32 s60, s13, s24
	s_wait_alu 0xfffe
	s_add_nc_u64 s[14:15], s[44:45], s[14:15]
	s_mul_i32 s24, s13, s24
	s_wait_alu 0xfffe
	s_add_co_u32 s14, s14, s25
	s_add_co_ci_u32 s44, s15, s23
	s_add_co_ci_u32 s25, s60, 0
	s_wait_alu 0xfffe
	s_add_nc_u64 s[14:15], s[44:45], s[24:25]
	s_wait_alu 0xfffe
	s_mul_u64 s[14:15], s[42:43], s[14:15]
	s_wait_alu 0xfffe
	s_sub_co_u32 s14, s12, s14
	s_cselect_b32 s23, -1, 0
	s_wait_alu 0xfffe
	s_cmp_lg_u32 s23, 0
	s_sub_co_ci_u32 s15, s13, s15
	s_sub_co_u32 s23, s14, s42
	s_cselect_b32 s24, -1, 0
	s_wait_alu 0xfffe
	s_cmp_lg_u32 s24, 0
	s_sub_co_ci_u32 s24, s15, 0
	;; [unrolled: 5-line block ×3, first 2 shown]
	s_cmp_ge_u32 s23, s42
	s_cselect_b32 s60, -1, 0
	s_cmp_eq_u32 s24, 0
	s_cselect_b32 s60, s60, -1
	s_delay_alu instid0(SALU_CYCLE_1)
	s_cmp_lg_u32 s60, 0
	s_wait_alu 0xfffe
	s_cselect_b32 s24, s44, s24
	s_cselect_b32 s23, s25, s23
	s_cmp_ge_u32 s14, s42
	s_cselect_b32 s25, -1, 0
	s_cmp_eq_u32 s15, 0
	s_wait_alu 0xfffe
	s_cselect_b32 s25, s25, -1
	s_wait_alu 0xfffe
	s_cmp_lg_u32 s25, 0
	s_cselect_b32 s15, s24, s15
	s_cselect_b32 s14, s23, s14
	s_cbranch_execnz .LBB140_97
.LBB140_96:                             ;   in Loop: Header=BB140_20 Depth=1
	v_cvt_f32_u32_e32 v2, s42
	s_sub_co_i32 s15, 0, s42
	s_delay_alu instid0(VALU_DEP_1) | instskip(NEXT) | instid1(TRANS32_DEP_1)
	v_rcp_iflag_f32_e32 v2, v2
	v_mul_f32_e32 v2, 0x4f7ffffe, v2
	s_delay_alu instid0(VALU_DEP_1) | instskip(NEXT) | instid1(VALU_DEP_1)
	v_cvt_u32_f32_e32 v2, v2
	v_readfirstlane_b32 s14, v2
	s_wait_alu 0xfffe
	s_mul_i32 s15, s15, s14
	s_wait_alu 0xfffe
	s_mul_hi_u32 s15, s14, s15
	s_wait_alu 0xfffe
	s_add_co_i32 s14, s14, s15
	s_wait_alu 0xfffe
	s_mul_hi_u32 s14, s12, s14
	s_wait_alu 0xfffe
	s_mul_i32 s14, s14, s42
	s_wait_alu 0xfffe
	s_sub_co_i32 s14, s12, s14
	s_wait_alu 0xfffe
	s_sub_co_i32 s15, s14, s42
	s_cmp_ge_u32 s14, s42
	s_wait_alu 0xfffe
	s_cselect_b32 s14, s15, s14
	s_wait_alu 0xfffe
	s_sub_co_i32 s15, s14, s42
	s_cmp_ge_u32 s14, s42
	s_wait_alu 0xfffe
	s_cselect_b32 s44, s15, s14
	s_wait_alu 0xfffe
	s_mov_b64 s[14:15], s[44:45]
.LBB140_97:                             ;   in Loop: Header=BB140_20 Depth=1
	s_wait_alu 0xfffe
	s_sub_nc_u64 s[12:13], s[12:13], s[14:15]
	s_mov_b32 s15, 0
	s_mov_b32 s14, 0
	s_mov_b32 s23, exec_lo
                                        ; implicit-def: $vgpr44
	s_wait_alu 0xfffe
	v_cmpx_gt_u64_e64 s[12:13], v[0:1]
	s_cbranch_execz .LBB140_106
; %bb.98:                               ;   in Loop: Header=BB140_20 Depth=1
	v_dual_mov_b32 v2, v33 :: v_dual_mov_b32 v9, v1
	v_mov_b32_e32 v8, v0
                                        ; implicit-def: $sgpr24
	s_branch .LBB140_101
.LBB140_99:                             ;   in Loop: Header=BB140_101 Depth=2
	s_wait_alu 0xfffe
	s_or_b32 exec_lo, exec_lo, s25
	s_wait_loadcnt_dscnt 0x0
	s_barrier_signal -1
	s_barrier_wait -1
	global_inv scope:SCOPE_SE
	ds_load_b32 v10, v3 offset:3072
	s_mov_b32 s25, -1
	s_mov_b32 s44, -1
	s_wait_loadcnt_dscnt 0x0
	s_barrier_signal -1
	s_barrier_wait -1
	global_inv scope:SCOPE_SE
	v_and_b32_e32 v11, 0x7fff, v10
	s_delay_alu instid0(VALU_DEP_1)
	v_cmp_ne_u32_e32 vcc_lo, 0, v11
	s_cbranch_vccz .LBB140_104
.LBB140_100:                            ;   in Loop: Header=BB140_101 Depth=2
	s_wait_alu 0xfffe
	s_and_b32 s25, exec_lo, s25
	s_wait_alu 0xfffe
	s_or_b32 s14, s25, s14
	s_and_not1_b32 s24, s24, exec_lo
	s_and_b32 s25, s44, exec_lo
	s_wait_alu 0xfffe
	s_or_b32 s24, s24, s25
	s_and_not1_b32 exec_lo, exec_lo, s14
	s_cbranch_execz .LBB140_105
.LBB140_101:                            ;   Parent Loop BB140_20 Depth=1
                                        ; =>  This Inner Loop Header: Depth=2
	s_mov_b32 s25, exec_lo
	s_delay_alu instid0(VALU_DEP_1)
	v_cmpx_gt_u64_e64 s[6:7], v[8:9]
	s_cbranch_execz .LBB140_99
; %bb.102:                              ;   in Loop: Header=BB140_101 Depth=2
	ds_load_u16 v10, v2
	s_wait_dscnt 0x0
	v_cmp_lt_i16_e32 vcc_lo, -1, v10
	v_and_b32_e32 v11, 0xffff, v10
	v_lshlrev_b32_e32 v29, 16, v10
	s_wait_alu 0xfffd
	v_cndmask_b32_e32 v28, 0xffff, v42, vcc_lo
	s_delay_alu instid0(VALU_DEP_2) | instskip(NEXT) | instid1(VALU_DEP_2)
	v_cmp_o_f32_e32 vcc_lo, v29, v29
	v_xor_b32_e32 v11, v28, v11
	s_wait_alu 0xfffd
	s_delay_alu instid0(VALU_DEP_1) | instskip(NEXT) | instid1(VALU_DEP_1)
	v_cndmask_b32_e32 v11, 0xffff, v11, vcc_lo
	v_and_b32_e32 v11, v11, v43
	s_delay_alu instid0(VALU_DEP_1)
	v_cmp_eq_u32_e32 vcc_lo, v11, v20
	s_and_b32 exec_lo, exec_lo, vcc_lo
	s_cbranch_execz .LBB140_99
; %bb.103:                              ;   in Loop: Header=BB140_101 Depth=2
	v_perm_b32 v10, v10, s86, 0x5040100
	ds_store_b32 v3, v10 offset:3072
	s_branch .LBB140_99
.LBB140_104:                            ;   in Loop: Header=BB140_101 Depth=2
	v_add_co_u32 v8, vcc_lo, v8, s42
	s_wait_alu 0xfffd
	v_add_co_ci_u32_e64 v9, null, 0, v9, vcc_lo
	v_add_nc_u32_e32 v2, s82, v2
	s_mov_b32 s44, 0
	s_delay_alu instid0(VALU_DEP_2)
	v_cmp_le_u64_e32 vcc_lo, s[12:13], v[8:9]
	s_or_not1_b32 s25, vcc_lo, exec_lo
	s_branch .LBB140_100
.LBB140_105:                            ;   in Loop: Header=BB140_20 Depth=1
	s_or_b32 exec_lo, exec_lo, s14
	v_lshrrev_b32_e32 v44, 16, v10
	s_wait_alu 0xfffe
	s_and_b32 s14, s24, exec_lo
.LBB140_106:                            ;   in Loop: Header=BB140_20 Depth=1
	s_or_b32 exec_lo, exec_lo, s23
.LBB140_107:                            ;   in Loop: Header=BB140_20 Depth=1
	s_wait_alu 0xfffe
	s_and_b32 vcc_lo, exec_lo, s15
	s_wait_alu 0xfffe
	s_cbranch_vccz .LBB140_121
; %bb.108:                              ;   in Loop: Header=BB140_20 Depth=1
	s_mov_b32 s6, s45
	s_mov_b32 s7, s53
	s_wait_alu 0xfffe
	s_cmp_lg_u64 s[6:7], 0
	s_cbranch_scc0 .LBB140_152
; %bb.109:                              ;   in Loop: Header=BB140_20 Depth=1
	s_cvt_f32_u32 s6, s42
	s_sub_nc_u64 s[12:13], 0, s[42:43]
	s_wait_alu 0xfffe
	s_delay_alu instid0(SALU_CYCLE_1) | instskip(SKIP_1) | instid1(SALU_CYCLE_2)
	s_fmamk_f32 s6, s83, 0x0, s6
	s_wait_alu 0xfffe
	v_s_rcp_f32 s6, s6
	s_delay_alu instid0(TRANS32_DEP_1) | instskip(SKIP_1) | instid1(SALU_CYCLE_2)
	s_mul_f32 s6, s6, 0x5f7ffffc
	s_wait_alu 0xfffe
	s_mul_f32 s7, s6, 0x2f800000
	s_wait_alu 0xfffe
	s_delay_alu instid0(SALU_CYCLE_2) | instskip(SKIP_1) | instid1(SALU_CYCLE_2)
	s_trunc_f32 s7, s7
	s_wait_alu 0xfffe
	s_fmamk_f32 s6, s7, 0xcf800000, s6
	s_cvt_u32_f32 s7, s7
	s_wait_alu 0xfffe
	s_delay_alu instid0(SALU_CYCLE_1) | instskip(SKIP_1) | instid1(SALU_CYCLE_2)
	s_cvt_u32_f32 s6, s6
	s_wait_alu 0xfffe
	s_mul_u64 s[22:23], s[12:13], s[6:7]
	s_wait_alu 0xfffe
	s_mul_hi_u32 s25, s6, s23
	s_mul_i32 s24, s6, s23
	s_mul_hi_u32 s44, s6, s22
	s_mul_i32 s21, s7, s22
	s_wait_alu 0xfffe
	s_add_nc_u64 s[24:25], s[44:45], s[24:25]
	s_mul_hi_u32 s15, s7, s22
	s_mul_hi_u32 s60, s7, s23
	s_wait_alu 0xfffe
	s_add_co_u32 s21, s24, s21
	s_add_co_ci_u32 s44, s25, s15
	s_mul_i32 s22, s7, s23
	s_add_co_ci_u32 s23, s60, 0
	s_wait_alu 0xfffe
	s_add_nc_u64 s[22:23], s[44:45], s[22:23]
	s_wait_alu 0xfffe
	s_add_co_u32 s6, s6, s22
	s_cselect_b32 s15, -1, 0
	s_wait_alu 0xfffe
	s_cmp_lg_u32 s15, 0
	s_add_co_ci_u32 s7, s7, s23
	s_wait_alu 0xfffe
	s_mul_u64 s[12:13], s[12:13], s[6:7]
	s_wait_alu 0xfffe
	s_mul_hi_u32 s23, s6, s13
	s_mul_i32 s22, s6, s13
	s_mul_hi_u32 s44, s6, s12
	s_mul_i32 s21, s7, s12
	s_wait_alu 0xfffe
	s_add_nc_u64 s[22:23], s[44:45], s[22:23]
	s_mul_hi_u32 s15, s7, s12
	s_mul_hi_u32 s24, s7, s13
	s_mul_i32 s12, s7, s13
	s_wait_alu 0xfffe
	s_add_co_u32 s13, s22, s21
	s_add_co_ci_u32 s44, s23, s15
	s_add_co_ci_u32 s13, s24, 0
	s_wait_alu 0xfffe
	s_add_nc_u64 s[12:13], s[44:45], s[12:13]
	s_wait_alu 0xfffe
	s_add_co_u32 s6, s6, s12
	s_cselect_b32 s12, -1, 0
	s_wait_alu 0xfffe
	s_mul_hi_u32 s44, s52, s6
	s_cmp_lg_u32 s12, 0
	s_mul_hi_u32 s15, s53, s6
	s_add_co_ci_u32 s12, s7, s13
	s_mul_i32 s13, s53, s6
	s_wait_alu 0xfffe
	s_mul_hi_u32 s7, s52, s12
	s_mul_i32 s6, s52, s12
	s_mul_hi_u32 s21, s53, s12
	s_wait_alu 0xfffe
	s_add_nc_u64 s[6:7], s[44:45], s[6:7]
	s_mul_i32 s12, s53, s12
	s_wait_alu 0xfffe
	s_add_co_u32 s6, s6, s13
	s_add_co_ci_u32 s44, s7, s15
	s_add_co_ci_u32 s13, s21, 0
	s_wait_alu 0xfffe
	s_add_nc_u64 s[6:7], s[44:45], s[12:13]
	s_wait_alu 0xfffe
	s_mul_u64 s[6:7], s[42:43], s[6:7]
	s_wait_alu 0xfffe
	s_sub_co_u32 s6, s52, s6
	s_cselect_b32 s12, -1, 0
	s_wait_alu 0xfffe
	s_cmp_lg_u32 s12, 0
	s_sub_co_ci_u32 s7, s53, s7
	s_sub_co_u32 s12, s6, s42
	s_cselect_b32 s13, -1, 0
	s_wait_alu 0xfffe
	s_cmp_lg_u32 s13, 0
	s_sub_co_ci_u32 s13, s7, 0
	;; [unrolled: 5-line block ×3, first 2 shown]
	s_cmp_ge_u32 s12, s42
	s_cselect_b32 s22, -1, 0
	s_cmp_eq_u32 s13, 0
	s_wait_alu 0xfffe
	s_cselect_b32 s22, s22, -1
	s_wait_alu 0xfffe
	s_cmp_lg_u32 s22, 0
	s_cselect_b32 s13, s21, s13
	s_cselect_b32 s12, s15, s12
	s_cmp_ge_u32 s6, s42
	s_cselect_b32 s15, -1, 0
	s_cmp_eq_u32 s7, 0
	s_wait_alu 0xfffe
	s_cselect_b32 s15, s15, -1
	s_wait_alu 0xfffe
	s_cmp_lg_u32 s15, 0
	s_cselect_b32 s7, s13, s7
	s_cselect_b32 s6, s12, s6
	s_cbranch_execnz .LBB140_111
.LBB140_110:                            ;   in Loop: Header=BB140_20 Depth=1
	v_cvt_f32_u32_e32 v2, s42
	s_sub_co_i32 s7, 0, s42
	s_delay_alu instid0(VALU_DEP_1) | instskip(NEXT) | instid1(TRANS32_DEP_1)
	v_rcp_iflag_f32_e32 v2, v2
	v_mul_f32_e32 v2, 0x4f7ffffe, v2
	s_delay_alu instid0(VALU_DEP_1) | instskip(NEXT) | instid1(VALU_DEP_1)
	v_cvt_u32_f32_e32 v2, v2
	v_readfirstlane_b32 s6, v2
	s_wait_alu 0xfffe
	s_mul_i32 s7, s7, s6
	s_wait_alu 0xfffe
	s_mul_hi_u32 s7, s6, s7
	s_wait_alu 0xfffe
	s_add_co_i32 s6, s6, s7
	s_wait_alu 0xfffe
	s_mul_hi_u32 s6, s52, s6
	s_wait_alu 0xfffe
	s_mul_i32 s6, s6, s42
	s_wait_alu 0xfffe
	s_sub_co_i32 s6, s52, s6
	s_wait_alu 0xfffe
	s_sub_co_i32 s7, s6, s42
	s_cmp_ge_u32 s6, s42
	s_wait_alu 0xfffe
	s_cselect_b32 s6, s7, s6
	s_wait_alu 0xfffe
	s_sub_co_i32 s7, s6, s42
	s_cmp_ge_u32 s6, s42
	s_wait_alu 0xfffe
	s_cselect_b32 s44, s7, s6
	s_wait_alu 0xfffe
	s_mov_b64 s[6:7], s[44:45]
.LBB140_111:                            ;   in Loop: Header=BB140_20 Depth=1
	s_wait_alu 0xfffe
	s_sub_nc_u64 s[12:13], s[52:53], s[6:7]
	s_mov_b32 s7, exec_lo
                                        ; implicit-def: $vgpr44
	s_wait_alu 0xfffe
	v_cmpx_gt_u64_e64 s[12:13], v[0:1]
	s_cbranch_execz .LBB140_120
; %bb.112:                              ;   in Loop: Header=BB140_20 Depth=1
	v_dual_mov_b32 v8, v12 :: v_dual_mov_b32 v9, v13
	v_dual_mov_b32 v11, v1 :: v_dual_mov_b32 v10, v0
	s_mov_b32 s15, 0
                                        ; implicit-def: $sgpr21
	s_branch .LBB140_115
.LBB140_113:                            ;   in Loop: Header=BB140_115 Depth=2
	s_wait_alu 0xfffe
	s_or_b32 exec_lo, exec_lo, s6
	s_wait_loadcnt_dscnt 0x0
	s_barrier_signal -1
	s_barrier_wait -1
	global_inv scope:SCOPE_SE
	ds_load_b32 v2, v3 offset:3072
	s_mov_b32 s6, -1
	s_mov_b32 s22, -1
	s_wait_loadcnt_dscnt 0x0
	s_barrier_signal -1
	s_barrier_wait -1
	global_inv scope:SCOPE_SE
	v_and_b32_e32 v28, 0x7fff, v2
	s_delay_alu instid0(VALU_DEP_1)
	v_cmp_ne_u32_e32 vcc_lo, 0, v28
	s_cbranch_vccz .LBB140_118
.LBB140_114:                            ;   in Loop: Header=BB140_115 Depth=2
	s_wait_alu 0xfffe
	s_and_b32 s6, exec_lo, s6
	s_wait_alu 0xfffe
	s_or_b32 s15, s6, s15
	s_and_not1_b32 s6, s21, exec_lo
	s_and_b32 s21, s22, exec_lo
	s_wait_alu 0xfffe
	s_or_b32 s21, s6, s21
	s_and_not1_b32 exec_lo, exec_lo, s15
	s_cbranch_execz .LBB140_119
.LBB140_115:                            ;   Parent Loop BB140_20 Depth=1
                                        ; =>  This Inner Loop Header: Depth=2
	s_mov_b32 s6, exec_lo
	s_delay_alu instid0(VALU_DEP_1)
	v_cmpx_gt_u64_e64 s[28:29], v[10:11]
	s_cbranch_execz .LBB140_113
; %bb.116:                              ;   in Loop: Header=BB140_115 Depth=2
	global_load_u16 v2, v[8:9], off
	s_wait_loadcnt 0x0
	v_cmp_lt_i16_e32 vcc_lo, -1, v2
	v_and_b32_e32 v28, 0xffff, v2
	v_lshlrev_b32_e32 v30, 16, v2
	s_wait_alu 0xfffd
	v_cndmask_b32_e32 v29, 0xffff, v42, vcc_lo
	s_delay_alu instid0(VALU_DEP_2) | instskip(NEXT) | instid1(VALU_DEP_2)
	v_cmp_o_f32_e32 vcc_lo, v30, v30
	v_xor_b32_e32 v28, v29, v28
	s_wait_alu 0xfffd
	s_delay_alu instid0(VALU_DEP_1) | instskip(NEXT) | instid1(VALU_DEP_1)
	v_cndmask_b32_e32 v28, 0xffff, v28, vcc_lo
	v_and_b32_e32 v28, v28, v43
	s_delay_alu instid0(VALU_DEP_1)
	v_cmp_eq_u32_e32 vcc_lo, v28, v20
	s_and_b32 exec_lo, exec_lo, vcc_lo
	s_cbranch_execz .LBB140_113
; %bb.117:                              ;   in Loop: Header=BB140_115 Depth=2
	v_perm_b32 v2, v2, s86, 0x5040100
	ds_store_b32 v3, v2 offset:3072
	s_branch .LBB140_113
.LBB140_118:                            ;   in Loop: Header=BB140_115 Depth=2
	v_add_co_u32 v10, vcc_lo, v10, s42
	s_wait_alu 0xfffd
	v_add_co_ci_u32_e64 v11, null, 0, v11, vcc_lo
	v_add_co_u32 v8, s6, v8, s46
	s_wait_alu 0xf1fe
	v_add_co_ci_u32_e64 v9, null, s47, v9, s6
	s_delay_alu instid0(VALU_DEP_3)
	v_cmp_le_u64_e32 vcc_lo, s[12:13], v[10:11]
	s_mov_b32 s22, 0
	s_or_not1_b32 s6, vcc_lo, exec_lo
	s_branch .LBB140_114
.LBB140_119:                            ;   in Loop: Header=BB140_20 Depth=1
	s_or_b32 exec_lo, exec_lo, s15
	v_lshrrev_b32_e32 v44, 16, v2
	s_and_not1_b32 s6, s14, exec_lo
	s_wait_alu 0xfffe
	s_and_b32 s12, s21, exec_lo
	s_wait_alu 0xfffe
	s_or_b32 s14, s6, s12
.LBB140_120:                            ;   in Loop: Header=BB140_20 Depth=1
	s_or_b32 exec_lo, exec_lo, s7
	s_mov_b32 s21, 0
	s_mov_b32 s22, -1
.LBB140_121:                            ;   in Loop: Header=BB140_20 Depth=1
	s_wait_alu 0xfffe
	s_or_not1_b32 s6, s14, exec_lo
.LBB140_122:                            ;   in Loop: Header=BB140_20 Depth=1
	s_wait_alu 0xfffe
	s_or_b32 exec_lo, exec_lo, s17
	s_delay_alu instid0(SALU_CYCLE_1)
	s_and_not1_b32 s7, s92, exec_lo
	s_and_b32 s12, s22, exec_lo
	s_and_not1_b32 s13, s90, exec_lo
	s_and_b32 s14, s21, exec_lo
	s_and_not1_b32 s89, s89, exec_lo
	s_wait_alu 0xfffe
	s_or_b32 s92, s7, s12
	s_or_b32 s90, s13, s14
                                        ; implicit-def: $vgpr8_vgpr9
	s_and_saveexec_b32 s17, s6
	s_cbranch_execz .LBB140_19
; %bb.123:                              ;   in Loop: Header=BB140_20 Depth=1
	v_mov_b32_e32 v8, 1
	v_dual_mov_b32 v9, 0 :: v_dual_mov_b32 v2, 1
	s_xor_b32 s12, s19, -1
	s_mov_b32 s7, 0
	s_wait_alu 0xfffe
	s_and_saveexec_b32 s6, s12
	s_cbranch_execz .LBB140_132
; %bb.124:                              ;   in Loop: Header=BB140_20 Depth=1
	s_mov_b32 s7, exec_lo
	v_cmpx_le_u64_e64 v[26:27], v[4:5]
	s_wait_alu 0xfffe
	s_xor_b32 s7, exec_lo, s7
	s_cbranch_execz .LBB140_129
; %bb.125:                              ;   in Loop: Header=BB140_20 Depth=1
	ds_load_b64 v[8:9], v3 offset:5120
	v_and_b32_e32 v20, s20, v20
	v_or_b32_e32 v43, s16, v43
	s_wait_dscnt 0x0
	v_cmp_ne_u64_e32 vcc_lo, 0, v[8:9]
	s_cbranch_vccnz .LBB140_129
; %bb.126:                              ;   in Loop: Header=BB140_20 Depth=1
	s_and_saveexec_b32 s12, s3
; %bb.127:                              ;   in Loop: Header=BB140_20 Depth=1
	ds_store_b64 v3, v[4:5] offset:5128
; %bb.128:                              ;   in Loop: Header=BB140_20 Depth=1
	s_wait_alu 0xfffe
	s_or_b32 exec_lo, exec_lo, s12
	s_wait_loadcnt_dscnt 0x0
	s_barrier_signal -1
	s_barrier_wait -1
	global_inv scope:SCOPE_SE
.LBB140_129:                            ;   in Loop: Header=BB140_20 Depth=1
	s_wait_alu 0xfffe
	s_or_saveexec_b32 s7, s7
	v_mov_b32_e32 v2, 8
	s_mov_b32 s12, 0
	s_wait_alu 0xfffe
	s_xor_b32 exec_lo, exec_lo, s7
; %bb.130:                              ;   in Loop: Header=BB140_20 Depth=1
	v_sub_co_u32 v26, vcc_lo, v26, v4
	s_wait_alu 0xfffd
	v_sub_co_ci_u32_e64 v27, null, v27, v5, vcc_lo
	v_mov_b32_e32 v2, 0
	s_mov_b32 s12, exec_lo
; %bb.131:                              ;   in Loop: Header=BB140_20 Depth=1
	s_or_b32 exec_lo, exec_lo, s7
	s_delay_alu instid0(VALU_DEP_2)
	v_dual_mov_b32 v8, v26 :: v_dual_mov_b32 v9, v27
	s_wait_alu 0xfffe
	s_and_b32 s7, s12, exec_lo
.LBB140_132:                            ;   in Loop: Header=BB140_20 Depth=1
	s_wait_alu 0xfffe
	s_or_b32 exec_lo, exec_lo, s6
	s_mov_b32 s18, -1
	s_mov_b32 s6, -1
                                        ; implicit-def: $sgpr21
                                        ; implicit-def: $sgpr22
	s_and_saveexec_b32 s12, s7
	s_wait_alu 0xfffe
	s_xor_b32 s19, exec_lo, s12
	s_cbranch_execz .LBB140_277
; %bb.133:                              ;   in Loop: Header=BB140_20 Depth=1
	v_cmp_eq_u64_e32 vcc_lo, 1, v[6:7]
	v_cmp_eq_u64_e64 s6, 1, v[8:9]
                                        ; implicit-def: $sgpr22
                                        ; implicit-def: $sgpr21
	s_and_b32 s24, vcc_lo, s6
	s_mov_b32 s6, -1
	s_wait_alu 0xfffe
	s_and_saveexec_b32 s23, s24
	s_cbranch_execz .LBB140_170
; %bb.134:                              ;   in Loop: Header=BB140_20 Depth=1
	ds_load_b64 v[4:5], v3 offset:5120
	s_wait_loadcnt_dscnt 0x0
	s_barrier_signal -1
	s_barrier_wait -1
	global_inv scope:SCOPE_SE
	v_readfirstlane_b32 s6, v4
	v_readfirstlane_b32 s7, v5
	s_and_saveexec_b32 s12, s0
; %bb.135:                              ;   in Loop: Header=BB140_20 Depth=1
	ds_store_b16 v34, v3
; %bb.136:                              ;   in Loop: Header=BB140_20 Depth=1
	s_wait_alu 0xfffe
	s_or_b32 exec_lo, exec_lo, s12
	s_lshl_b32 s12, 1, s84
	v_or_b32_e32 v43, s16, v43
	s_wait_alu 0xfffe
	v_and_or_b32 v20, v20, s20, s12
	s_mov_b32 s21, -1
	s_mov_b32 s22, 0
	s_cmp_eq_u64 s[6:7], 0
	s_mov_b32 s14, 0
	s_mov_b32 s15, -1
	s_wait_loadcnt_dscnt 0x0
	s_barrier_signal -1
	s_barrier_wait -1
	global_inv scope:SCOPE_SE
                                        ; implicit-def: $vgpr44
	s_cbranch_scc1 .LBB140_155
; %bb.137:                              ;   in Loop: Header=BB140_20 Depth=1
	s_add_nc_u64 s[12:13], s[6:7], s[50:51]
	s_mov_b32 s14, s45
	s_wait_alu 0xfffe
	s_mov_b32 s15, s13
	s_wait_alu 0xfffe
	s_cmp_lg_u64 s[14:15], 0
	s_cbranch_scc0 .LBB140_197
; %bb.138:                              ;   in Loop: Header=BB140_20 Depth=1
	s_cvt_f32_u32 s14, s42
	s_sub_nc_u64 s[60:61], 0, s[42:43]
	s_wait_alu 0xfffe
	s_delay_alu instid0(SALU_CYCLE_1) | instskip(SKIP_1) | instid1(SALU_CYCLE_2)
	s_fmamk_f32 s14, s83, 0x0, s14
	s_wait_alu 0xfffe
	v_s_rcp_f32 s14, s14
	s_delay_alu instid0(TRANS32_DEP_1) | instskip(SKIP_1) | instid1(SALU_CYCLE_2)
	s_mul_f32 s14, s14, 0x5f7ffffc
	s_wait_alu 0xfffe
	s_mul_f32 s15, s14, 0x2f800000
	s_wait_alu 0xfffe
	s_delay_alu instid0(SALU_CYCLE_2) | instskip(SKIP_1) | instid1(SALU_CYCLE_2)
	s_trunc_f32 s15, s15
	s_wait_alu 0xfffe
	s_fmamk_f32 s14, s15, 0xcf800000, s14
	s_cvt_u32_f32 s15, s15
	s_wait_alu 0xfffe
	s_delay_alu instid0(SALU_CYCLE_1) | instskip(SKIP_1) | instid1(SALU_CYCLE_2)
	s_cvt_u32_f32 s14, s14
	s_wait_alu 0xfffe
	s_mul_u64 s[62:63], s[60:61], s[14:15]
	s_wait_alu 0xfffe
	s_mul_hi_u32 s65, s14, s63
	s_mul_i32 s64, s14, s63
	s_mul_hi_u32 s44, s14, s62
	s_mul_i32 s66, s15, s62
	s_wait_alu 0xfffe
	s_add_nc_u64 s[64:65], s[44:45], s[64:65]
	s_mul_hi_u32 s25, s15, s62
	s_mul_hi_u32 s67, s15, s63
	s_wait_alu 0xfffe
	s_add_co_u32 s44, s64, s66
	s_add_co_ci_u32 s44, s65, s25
	s_mul_i32 s62, s15, s63
	s_add_co_ci_u32 s63, s67, 0
	s_wait_alu 0xfffe
	s_add_nc_u64 s[62:63], s[44:45], s[62:63]
	s_wait_alu 0xfffe
	s_add_co_u32 s14, s14, s62
	s_cselect_b32 s25, -1, 0
	s_wait_alu 0xfffe
	s_cmp_lg_u32 s25, 0
	s_add_co_ci_u32 s15, s15, s63
	s_wait_alu 0xfffe
	s_mul_u64 s[60:61], s[60:61], s[14:15]
	s_delay_alu instid0(SALU_CYCLE_1)
	s_mul_hi_u32 s63, s14, s61
	s_mul_i32 s62, s14, s61
	s_mul_hi_u32 s44, s14, s60
	s_mul_i32 s64, s15, s60
	s_wait_alu 0xfffe
	s_add_nc_u64 s[62:63], s[44:45], s[62:63]
	s_mul_hi_u32 s25, s15, s60
	s_mul_hi_u32 s65, s15, s61
	s_wait_alu 0xfffe
	s_add_co_u32 s44, s62, s64
	s_add_co_ci_u32 s44, s63, s25
	s_mul_i32 s60, s15, s61
	s_add_co_ci_u32 s61, s65, 0
	s_wait_alu 0xfffe
	s_add_nc_u64 s[60:61], s[44:45], s[60:61]
	s_delay_alu instid0(SALU_CYCLE_1)
	s_add_co_u32 s14, s14, s60
	s_cselect_b32 s25, -1, 0
	s_wait_alu 0xfffe
	s_mul_hi_u32 s44, s12, s14
	s_cmp_lg_u32 s25, 0
	s_mul_hi_u32 s25, s13, s14
	s_add_co_ci_u32 s60, s15, s61
	s_mul_i32 s61, s13, s14
	s_mul_hi_u32 s15, s12, s60
	s_mul_i32 s14, s12, s60
	s_mul_hi_u32 s62, s13, s60
	s_wait_alu 0xfffe
	s_add_nc_u64 s[14:15], s[44:45], s[14:15]
	s_mul_i32 s60, s13, s60
	s_wait_alu 0xfffe
	s_add_co_u32 s14, s14, s61
	s_add_co_ci_u32 s44, s15, s25
	s_add_co_ci_u32 s61, s62, 0
	s_wait_alu 0xfffe
	s_add_nc_u64 s[14:15], s[44:45], s[60:61]
	s_wait_alu 0xfffe
	s_mul_u64 s[14:15], s[42:43], s[14:15]
	s_wait_alu 0xfffe
	s_sub_co_u32 s14, s12, s14
	s_cselect_b32 s25, -1, 0
	s_wait_alu 0xfffe
	s_cmp_lg_u32 s25, 0
	s_sub_co_ci_u32 s15, s13, s15
	s_sub_co_u32 s25, s14, s42
	s_cselect_b32 s44, -1, 0
	s_wait_alu 0xfffe
	s_cmp_lg_u32 s44, 0
	s_sub_co_ci_u32 s44, s15, 0
	s_sub_co_u32 s60, s25, s42
	s_cselect_b32 s61, -1, 0
	s_delay_alu instid0(SALU_CYCLE_1)
	s_cmp_lg_u32 s61, 0
	s_wait_alu 0xfffe
	s_sub_co_ci_u32 s61, s44, 0
	s_cmp_ge_u32 s25, s42
	s_cselect_b32 s62, -1, 0
	s_cmp_eq_u32 s44, 0
	s_wait_alu 0xfffe
	s_cselect_b32 s62, s62, -1
	s_wait_alu 0xfffe
	s_cmp_lg_u32 s62, 0
	s_cselect_b32 s44, s61, s44
	s_cselect_b32 s25, s60, s25
	s_cmp_ge_u32 s14, s42
	s_cselect_b32 s60, -1, 0
	s_cmp_eq_u32 s15, 0
	s_cselect_b32 s60, s60, -1
	s_delay_alu instid0(SALU_CYCLE_1)
	s_cmp_lg_u32 s60, 0
	s_wait_alu 0xfffe
	s_cselect_b32 s15, s44, s15
	s_cselect_b32 s14, s25, s14
	s_cbranch_execnz .LBB140_140
.LBB140_139:                            ;   in Loop: Header=BB140_20 Depth=1
	v_cvt_f32_u32_e32 v4, s42
	s_sub_co_i32 s15, 0, s42
	s_delay_alu instid0(VALU_DEP_1) | instskip(NEXT) | instid1(TRANS32_DEP_1)
	v_rcp_iflag_f32_e32 v4, v4
	v_mul_f32_e32 v4, 0x4f7ffffe, v4
	s_delay_alu instid0(VALU_DEP_1) | instskip(NEXT) | instid1(VALU_DEP_1)
	v_cvt_u32_f32_e32 v4, v4
	v_readfirstlane_b32 s14, v4
	s_wait_alu 0xfffe
	s_mul_i32 s15, s15, s14
	s_wait_alu 0xfffe
	s_mul_hi_u32 s15, s14, s15
	s_wait_alu 0xfffe
	s_add_co_i32 s14, s14, s15
	s_wait_alu 0xfffe
	s_mul_hi_u32 s14, s12, s14
	s_wait_alu 0xfffe
	s_mul_i32 s14, s14, s42
	s_wait_alu 0xfffe
	s_sub_co_i32 s14, s12, s14
	s_wait_alu 0xfffe
	s_sub_co_i32 s15, s14, s42
	s_cmp_ge_u32 s14, s42
	s_wait_alu 0xfffe
	s_cselect_b32 s14, s15, s14
	s_wait_alu 0xfffe
	s_sub_co_i32 s15, s14, s42
	s_cmp_ge_u32 s14, s42
	s_wait_alu 0xfffe
	s_cselect_b32 s44, s15, s14
	s_wait_alu 0xfffe
	s_mov_b64 s[14:15], s[44:45]
.LBB140_140:                            ;   in Loop: Header=BB140_20 Depth=1
	s_wait_alu 0xfffe
	s_sub_nc_u64 s[12:13], s[12:13], s[14:15]
	s_mov_b32 s15, 0
	s_mov_b32 s14, 0
	s_mov_b32 s25, exec_lo
                                        ; implicit-def: $vgpr44
	s_wait_alu 0xfffe
	v_cmpx_gt_u64_e64 s[12:13], v[0:1]
	s_cbranch_execz .LBB140_154
; %bb.141:                              ;   in Loop: Header=BB140_20 Depth=1
	v_dual_mov_b32 v10, v33 :: v_dual_mov_b32 v5, v1
	v_mov_b32_e32 v4, v0
                                        ; implicit-def: $sgpr44
	s_branch .LBB140_144
.LBB140_142:                            ;   in Loop: Header=BB140_144 Depth=2
	s_or_b32 exec_lo, exec_lo, s60
	s_wait_loadcnt_dscnt 0x0
	s_barrier_signal -1
	s_barrier_wait -1
	global_inv scope:SCOPE_SE
	ds_load_b32 v11, v3 offset:3072
	s_mov_b32 s60, -1
	s_mov_b32 s61, -1
	s_wait_loadcnt_dscnt 0x0
	s_barrier_signal -1
	s_barrier_wait -1
	global_inv scope:SCOPE_SE
	v_and_b32_e32 v26, 0x7fff, v11
	s_delay_alu instid0(VALU_DEP_1)
	v_cmp_ne_u32_e32 vcc_lo, 0, v26
	s_cbranch_vccz .LBB140_147
.LBB140_143:                            ;   in Loop: Header=BB140_144 Depth=2
	s_and_b32 s60, exec_lo, s60
	s_delay_alu instid0(SALU_CYCLE_1)
	s_or_b32 s14, s60, s14
	s_wait_alu 0xfffe
	s_and_not1_b32 s44, s44, exec_lo
	s_and_b32 s60, s61, exec_lo
	s_wait_alu 0xfffe
	s_or_b32 s44, s44, s60
	s_and_not1_b32 exec_lo, exec_lo, s14
	s_cbranch_execz .LBB140_153
.LBB140_144:                            ;   Parent Loop BB140_20 Depth=1
                                        ; =>  This Inner Loop Header: Depth=2
	s_mov_b32 s60, exec_lo
	s_delay_alu instid0(VALU_DEP_1)
	v_cmpx_gt_u64_e64 s[6:7], v[4:5]
	s_cbranch_execz .LBB140_142
; %bb.145:                              ;   in Loop: Header=BB140_144 Depth=2
	ds_load_u16 v11, v10
	s_wait_dscnt 0x0
	v_cmp_lt_i16_e32 vcc_lo, -1, v11
	v_and_b32_e32 v26, 0xffff, v11
	s_wait_alu 0xfffd
	v_dual_cndmask_b32 v27, 0xffff, v42 :: v_dual_lshlrev_b32 v28, 16, v11
	s_delay_alu instid0(VALU_DEP_1) | instskip(NEXT) | instid1(VALU_DEP_2)
	v_cmp_o_f32_e32 vcc_lo, v28, v28
	v_xor_b32_e32 v26, v27, v26
	s_wait_alu 0xfffd
	s_delay_alu instid0(VALU_DEP_1) | instskip(NEXT) | instid1(VALU_DEP_1)
	v_cndmask_b32_e32 v26, 0xffff, v26, vcc_lo
	v_and_b32_e32 v26, v26, v43
	s_delay_alu instid0(VALU_DEP_1)
	v_cmp_eq_u32_e32 vcc_lo, v26, v20
	s_and_b32 exec_lo, exec_lo, vcc_lo
	s_cbranch_execz .LBB140_142
; %bb.146:                              ;   in Loop: Header=BB140_144 Depth=2
	v_perm_b32 v11, v11, s86, 0x5040100
	ds_store_b32 v3, v11 offset:3072
	s_branch .LBB140_142
.LBB140_147:                            ;   in Loop: Header=BB140_144 Depth=2
	v_add_co_u32 v4, vcc_lo, v4, s42
	s_wait_alu 0xfffd
	v_add_co_ci_u32_e64 v5, null, 0, v5, vcc_lo
	v_add_nc_u32_e32 v10, s82, v10
	s_mov_b32 s61, 0
	s_delay_alu instid0(VALU_DEP_2)
	v_cmp_le_u64_e32 vcc_lo, s[12:13], v[4:5]
	s_or_not1_b32 s60, vcc_lo, exec_lo
	s_branch .LBB140_143
.LBB140_148:                            ;   in Loop: Header=BB140_20 Depth=1
                                        ; implicit-def: $sgpr14_sgpr15
	s_branch .LBB140_96
.LBB140_149:                            ;   in Loop: Header=BB140_20 Depth=1
	s_or_b32 exec_lo, exec_lo, s9
	s_wait_dscnt 0x0
	s_barrier_signal -1
	s_barrier_wait -1
	global_inv scope:SCOPE_SE
	s_and_saveexec_b32 s6, s3
	s_cbranch_execz .LBB140_151
; %bb.150:                              ;   in Loop: Header=BB140_20 Depth=1
	ds_load_b32 v4, v3 offset:5144
	s_wait_dscnt 0x0
	v_ashrrev_i32_e32 v5, 31, v4
	ds_store_b64 v3, v[4:5] offset:5120
.LBB140_151:                            ;   in Loop: Header=BB140_20 Depth=1
	s_wait_alu 0xfffe
	s_or_b32 exec_lo, exec_lo, s6
	s_wait_loadcnt_dscnt 0x0
	s_barrier_signal -1
	s_mov_b32 s6, -1
	s_barrier_wait -1
	s_and_b32 vcc_lo, exec_lo, s8
	s_wait_alu 0xfffe
	s_cbranch_vccnz .LBB140_35
	s_branch .LBB140_50
.LBB140_152:                            ;   in Loop: Header=BB140_20 Depth=1
                                        ; implicit-def: $sgpr6_sgpr7
	s_branch .LBB140_110
.LBB140_153:                            ;   in Loop: Header=BB140_20 Depth=1
	s_or_b32 exec_lo, exec_lo, s14
	v_lshrrev_b32_e32 v44, 16, v11
	s_wait_alu 0xfffe
	s_and_b32 s14, s44, exec_lo
.LBB140_154:                            ;   in Loop: Header=BB140_20 Depth=1
	s_or_b32 exec_lo, exec_lo, s25
.LBB140_155:                            ;   in Loop: Header=BB140_20 Depth=1
	s_wait_alu 0xfffe
	s_and_b32 vcc_lo, exec_lo, s15
	s_wait_alu 0xfffe
	s_cbranch_vccz .LBB140_169
; %bb.156:                              ;   in Loop: Header=BB140_20 Depth=1
	s_mov_b32 s6, s45
	s_mov_b32 s7, s53
	s_wait_alu 0xfffe
	s_cmp_lg_u64 s[6:7], 0
	s_cbranch_scc0 .LBB140_198
; %bb.157:                              ;   in Loop: Header=BB140_20 Depth=1
	s_cvt_f32_u32 s6, s42
	s_sub_nc_u64 s[12:13], 0, s[42:43]
	s_wait_alu 0xfffe
	s_delay_alu instid0(SALU_CYCLE_1) | instskip(SKIP_1) | instid1(SALU_CYCLE_2)
	s_fmamk_f32 s6, s83, 0x0, s6
	s_wait_alu 0xfffe
	v_s_rcp_f32 s6, s6
	s_delay_alu instid0(TRANS32_DEP_1) | instskip(SKIP_1) | instid1(SALU_CYCLE_2)
	s_mul_f32 s6, s6, 0x5f7ffffc
	s_wait_alu 0xfffe
	s_mul_f32 s7, s6, 0x2f800000
	s_wait_alu 0xfffe
	s_delay_alu instid0(SALU_CYCLE_2) | instskip(SKIP_1) | instid1(SALU_CYCLE_2)
	s_trunc_f32 s7, s7
	s_wait_alu 0xfffe
	s_fmamk_f32 s6, s7, 0xcf800000, s6
	s_cvt_u32_f32 s7, s7
	s_wait_alu 0xfffe
	s_delay_alu instid0(SALU_CYCLE_1) | instskip(SKIP_1) | instid1(SALU_CYCLE_2)
	s_cvt_u32_f32 s6, s6
	s_wait_alu 0xfffe
	s_mul_u64 s[60:61], s[12:13], s[6:7]
	s_delay_alu instid0(SALU_CYCLE_1)
	s_mul_hi_u32 s63, s6, s61
	s_mul_i32 s62, s6, s61
	s_mul_hi_u32 s44, s6, s60
	s_mul_i32 s21, s7, s60
	s_wait_alu 0xfffe
	s_add_nc_u64 s[62:63], s[44:45], s[62:63]
	s_mul_hi_u32 s15, s7, s60
	s_mul_hi_u32 s22, s7, s61
	s_wait_alu 0xfffe
	s_add_co_u32 s21, s62, s21
	s_add_co_ci_u32 s44, s63, s15
	s_mul_i32 s60, s7, s61
	s_add_co_ci_u32 s61, s22, 0
	s_wait_alu 0xfffe
	s_add_nc_u64 s[60:61], s[44:45], s[60:61]
	s_delay_alu instid0(SALU_CYCLE_1)
	s_add_co_u32 s6, s6, s60
	s_cselect_b32 s15, -1, 0
	s_wait_alu 0xfffe
	s_cmp_lg_u32 s15, 0
	s_add_co_ci_u32 s7, s7, s61
	s_wait_alu 0xfffe
	s_mul_u64 s[12:13], s[12:13], s[6:7]
	s_wait_alu 0xfffe
	s_mul_hi_u32 s61, s6, s13
	s_mul_i32 s60, s6, s13
	s_mul_hi_u32 s44, s6, s12
	s_mul_i32 s21, s7, s12
	s_wait_alu 0xfffe
	s_add_nc_u64 s[60:61], s[44:45], s[60:61]
	s_mul_hi_u32 s15, s7, s12
	s_mul_hi_u32 s22, s7, s13
	s_mul_i32 s12, s7, s13
	s_add_co_u32 s13, s60, s21
	s_wait_alu 0xfffe
	s_add_co_ci_u32 s44, s61, s15
	s_add_co_ci_u32 s13, s22, 0
	s_wait_alu 0xfffe
	s_add_nc_u64 s[12:13], s[44:45], s[12:13]
	s_wait_alu 0xfffe
	s_add_co_u32 s6, s6, s12
	s_cselect_b32 s12, -1, 0
	s_wait_alu 0xfffe
	s_mul_hi_u32 s44, s52, s6
	s_cmp_lg_u32 s12, 0
	s_mul_hi_u32 s15, s53, s6
	s_add_co_ci_u32 s12, s7, s13
	s_mul_i32 s13, s53, s6
	s_wait_alu 0xfffe
	s_mul_hi_u32 s7, s52, s12
	s_mul_i32 s6, s52, s12
	s_mul_hi_u32 s21, s53, s12
	s_wait_alu 0xfffe
	s_add_nc_u64 s[6:7], s[44:45], s[6:7]
	s_mul_i32 s12, s53, s12
	s_wait_alu 0xfffe
	s_add_co_u32 s6, s6, s13
	s_add_co_ci_u32 s44, s7, s15
	s_add_co_ci_u32 s13, s21, 0
	s_wait_alu 0xfffe
	s_add_nc_u64 s[6:7], s[44:45], s[12:13]
	s_wait_alu 0xfffe
	s_mul_u64 s[6:7], s[42:43], s[6:7]
	s_wait_alu 0xfffe
	s_sub_co_u32 s6, s52, s6
	s_cselect_b32 s12, -1, 0
	s_wait_alu 0xfffe
	s_cmp_lg_u32 s12, 0
	s_sub_co_ci_u32 s7, s53, s7
	s_sub_co_u32 s12, s6, s42
	s_cselect_b32 s13, -1, 0
	s_wait_alu 0xfffe
	s_cmp_lg_u32 s13, 0
	s_sub_co_ci_u32 s13, s7, 0
	;; [unrolled: 5-line block ×3, first 2 shown]
	s_cmp_ge_u32 s12, s42
	s_cselect_b32 s22, -1, 0
	s_cmp_eq_u32 s13, 0
	s_wait_alu 0xfffe
	s_cselect_b32 s22, s22, -1
	s_wait_alu 0xfffe
	s_cmp_lg_u32 s22, 0
	s_cselect_b32 s13, s21, s13
	s_cselect_b32 s12, s15, s12
	s_cmp_ge_u32 s6, s42
	s_cselect_b32 s15, -1, 0
	s_cmp_eq_u32 s7, 0
	s_wait_alu 0xfffe
	s_cselect_b32 s15, s15, -1
	s_wait_alu 0xfffe
	s_cmp_lg_u32 s15, 0
	s_cselect_b32 s7, s13, s7
	s_cselect_b32 s6, s12, s6
	s_cbranch_execnz .LBB140_159
.LBB140_158:                            ;   in Loop: Header=BB140_20 Depth=1
	v_cvt_f32_u32_e32 v4, s42
	s_sub_co_i32 s7, 0, s42
	s_delay_alu instid0(VALU_DEP_1) | instskip(NEXT) | instid1(TRANS32_DEP_1)
	v_rcp_iflag_f32_e32 v4, v4
	v_mul_f32_e32 v4, 0x4f7ffffe, v4
	s_delay_alu instid0(VALU_DEP_1) | instskip(NEXT) | instid1(VALU_DEP_1)
	v_cvt_u32_f32_e32 v4, v4
	v_readfirstlane_b32 s6, v4
	s_wait_alu 0xfffe
	s_mul_i32 s7, s7, s6
	s_wait_alu 0xfffe
	s_mul_hi_u32 s7, s6, s7
	s_wait_alu 0xfffe
	s_add_co_i32 s6, s6, s7
	s_wait_alu 0xfffe
	s_mul_hi_u32 s6, s52, s6
	s_wait_alu 0xfffe
	s_mul_i32 s6, s6, s42
	s_wait_alu 0xfffe
	s_sub_co_i32 s6, s52, s6
	s_wait_alu 0xfffe
	s_sub_co_i32 s7, s6, s42
	s_cmp_ge_u32 s6, s42
	s_wait_alu 0xfffe
	s_cselect_b32 s6, s7, s6
	s_wait_alu 0xfffe
	s_sub_co_i32 s7, s6, s42
	s_cmp_ge_u32 s6, s42
	s_wait_alu 0xfffe
	s_cselect_b32 s44, s7, s6
	s_wait_alu 0xfffe
	s_mov_b64 s[6:7], s[44:45]
.LBB140_159:                            ;   in Loop: Header=BB140_20 Depth=1
	s_wait_alu 0xfffe
	s_sub_nc_u64 s[12:13], s[52:53], s[6:7]
	s_mov_b32 s7, exec_lo
                                        ; implicit-def: $vgpr44
	s_wait_alu 0xfffe
	v_cmpx_gt_u64_e64 s[12:13], v[0:1]
	s_cbranch_execz .LBB140_168
; %bb.160:                              ;   in Loop: Header=BB140_20 Depth=1
	v_dual_mov_b32 v4, v12 :: v_dual_mov_b32 v5, v13
	v_dual_mov_b32 v11, v1 :: v_dual_mov_b32 v10, v0
	s_mov_b32 s15, 0
                                        ; implicit-def: $sgpr21
	s_branch .LBB140_163
.LBB140_161:                            ;   in Loop: Header=BB140_163 Depth=2
	s_wait_alu 0xfffe
	s_or_b32 exec_lo, exec_lo, s6
	s_wait_loadcnt_dscnt 0x0
	s_barrier_signal -1
	s_barrier_wait -1
	global_inv scope:SCOPE_SE
	ds_load_b32 v26, v3 offset:3072
	s_mov_b32 s6, -1
	s_mov_b32 s22, -1
	s_wait_loadcnt_dscnt 0x0
	s_barrier_signal -1
	s_barrier_wait -1
	global_inv scope:SCOPE_SE
	v_and_b32_e32 v27, 0x7fff, v26
	s_delay_alu instid0(VALU_DEP_1)
	v_cmp_eq_u32_e32 vcc_lo, 0, v27
	s_cbranch_vccnz .LBB140_166
.LBB140_162:                            ;   in Loop: Header=BB140_163 Depth=2
	s_wait_alu 0xfffe
	s_and_b32 s6, exec_lo, s6
	s_wait_alu 0xfffe
	s_or_b32 s15, s6, s15
	s_and_not1_b32 s6, s21, exec_lo
	s_and_b32 s21, s22, exec_lo
	s_wait_alu 0xfffe
	s_or_b32 s21, s6, s21
	s_and_not1_b32 exec_lo, exec_lo, s15
	s_cbranch_execz .LBB140_167
.LBB140_163:                            ;   Parent Loop BB140_20 Depth=1
                                        ; =>  This Inner Loop Header: Depth=2
	s_mov_b32 s6, exec_lo
	s_delay_alu instid0(VALU_DEP_1)
	v_cmpx_gt_u64_e64 s[28:29], v[10:11]
	s_cbranch_execz .LBB140_161
; %bb.164:                              ;   in Loop: Header=BB140_163 Depth=2
	global_load_u16 v26, v[4:5], off
	s_wait_loadcnt 0x0
	v_cmp_lt_i16_e32 vcc_lo, -1, v26
	v_and_b32_e32 v27, 0xffff, v26
	v_lshlrev_b32_e32 v29, 16, v26
	s_wait_alu 0xfffd
	v_cndmask_b32_e32 v28, 0xffff, v42, vcc_lo
	s_delay_alu instid0(VALU_DEP_2) | instskip(NEXT) | instid1(VALU_DEP_2)
	v_cmp_o_f32_e32 vcc_lo, v29, v29
	v_xor_b32_e32 v27, v28, v27
	s_wait_alu 0xfffd
	s_delay_alu instid0(VALU_DEP_1) | instskip(NEXT) | instid1(VALU_DEP_1)
	v_cndmask_b32_e32 v27, 0xffff, v27, vcc_lo
	v_and_b32_e32 v27, v27, v43
	s_delay_alu instid0(VALU_DEP_1)
	v_cmp_eq_u32_e32 vcc_lo, v27, v20
	s_and_b32 exec_lo, exec_lo, vcc_lo
	s_cbranch_execz .LBB140_161
; %bb.165:                              ;   in Loop: Header=BB140_163 Depth=2
	v_perm_b32 v26, v26, s86, 0x5040100
	ds_store_b32 v3, v26 offset:3072
	s_branch .LBB140_161
.LBB140_166:                            ;   in Loop: Header=BB140_163 Depth=2
	v_add_co_u32 v10, vcc_lo, v10, s42
	s_wait_alu 0xfffd
	v_add_co_ci_u32_e64 v11, null, 0, v11, vcc_lo
	v_add_co_u32 v4, s6, v4, s46
	s_wait_alu 0xf1fe
	v_add_co_ci_u32_e64 v5, null, s47, v5, s6
	s_delay_alu instid0(VALU_DEP_3)
	v_cmp_le_u64_e32 vcc_lo, s[12:13], v[10:11]
	s_mov_b32 s22, 0
	s_or_not1_b32 s6, vcc_lo, exec_lo
	s_branch .LBB140_162
.LBB140_167:                            ;   in Loop: Header=BB140_20 Depth=1
	s_or_b32 exec_lo, exec_lo, s15
	v_lshrrev_b32_e32 v44, 16, v26
	s_and_not1_b32 s6, s14, exec_lo
	s_wait_alu 0xfffe
	s_and_b32 s12, s21, exec_lo
	s_wait_alu 0xfffe
	s_or_b32 s14, s6, s12
.LBB140_168:                            ;   in Loop: Header=BB140_20 Depth=1
	s_or_b32 exec_lo, exec_lo, s7
	s_mov_b32 s21, 0
	s_mov_b32 s22, -1
.LBB140_169:                            ;   in Loop: Header=BB140_20 Depth=1
	s_wait_alu 0xfffe
	s_or_not1_b32 s6, s14, exec_lo
.LBB140_170:                            ;   in Loop: Header=BB140_20 Depth=1
	s_wait_alu 0xfffe
	s_or_b32 exec_lo, exec_lo, s23
	s_mov_b32 s7, 0
	s_and_saveexec_b32 s23, s6
	s_cbranch_execz .LBB140_276
; %bb.171:                              ;   in Loop: Header=BB140_20 Depth=1
	v_mov_b32_e32 v4, 1
	v_dual_mov_b32 v5, 0 :: v_dual_mov_b32 v2, 1
	s_xor_b32 s12, s24, -1
	s_wait_alu 0xfffe
	s_and_saveexec_b32 s6, s12
	s_cbranch_execz .LBB140_181
; %bb.172:                              ;   in Loop: Header=BB140_20 Depth=1
	s_mov_b32 s7, exec_lo
	v_cmpx_le_u64_e64 v[8:9], v[6:7]
	s_wait_alu 0xfffe
	s_xor_b32 s7, exec_lo, s7
	s_cbranch_execz .LBB140_178
; %bb.173:                              ;   in Loop: Header=BB140_20 Depth=1
	ds_load_b64 v[4:5], v3 offset:5120
	s_lshl_b32 s12, 1, s84
	v_or_b32_e32 v43, s16, v43
	s_wait_alu 0xfffe
	v_and_or_b32 v20, v20, s20, s12
	s_wait_dscnt 0x0
	v_cmp_ne_u64_e32 vcc_lo, 0, v[4:5]
	s_cbranch_vccnz .LBB140_177
; %bb.174:                              ;   in Loop: Header=BB140_20 Depth=1
	s_and_saveexec_b32 s12, s3
; %bb.175:                              ;   in Loop: Header=BB140_20 Depth=1
	ds_store_b64 v3, v[6:7] offset:5128
; %bb.176:                              ;   in Loop: Header=BB140_20 Depth=1
	s_wait_alu 0xfffe
	s_or_b32 exec_lo, exec_lo, s12
	s_wait_loadcnt_dscnt 0x0
	s_barrier_signal -1
	s_barrier_wait -1
	global_inv scope:SCOPE_SE
.LBB140_177:                            ;   in Loop: Header=BB140_20 Depth=1
                                        ; implicit-def: $vgpr4_vgpr5_vgpr6_vgpr7
.LBB140_178:                            ;   in Loop: Header=BB140_20 Depth=1
	s_wait_alu 0xfffe
	s_or_saveexec_b32 s7, s7
	v_mov_b32_e32 v2, 8
	s_mov_b32 s12, 0
	s_wait_alu 0xfffe
	s_xor_b32 exec_lo, exec_lo, s7
; %bb.179:                              ;   in Loop: Header=BB140_20 Depth=1
	v_sub_co_u32 v8, vcc_lo, v8, v6
	s_wait_alu 0xfffd
	v_sub_co_ci_u32_e64 v9, null, v9, v7, vcc_lo
	v_mov_b32_e32 v2, 0
	s_mov_b32 s12, exec_lo
; %bb.180:                              ;   in Loop: Header=BB140_20 Depth=1
	s_or_b32 exec_lo, exec_lo, s7
	s_delay_alu instid0(VALU_DEP_2)
	v_dual_mov_b32 v4, v8 :: v_dual_mov_b32 v5, v9
	s_wait_alu 0xfffe
	s_and_b32 s7, s12, exec_lo
.LBB140_181:                            ;   in Loop: Header=BB140_20 Depth=1
	s_wait_alu 0xfffe
	s_or_b32 exec_lo, exec_lo, s6
	s_mov_b32 s6, -1
                                        ; implicit-def: $sgpr25
                                        ; implicit-def: $sgpr60
	s_and_saveexec_b32 s24, s7
	s_cbranch_execz .LBB140_275
; %bb.182:                              ;   in Loop: Header=BB140_20 Depth=1
	v_cmp_eq_u64_e32 vcc_lo, 1, v[4:5]
	s_cmp_eq_u64 s[10:11], 1
                                        ; implicit-def: $sgpr60
                                        ; implicit-def: $sgpr25
	s_cselect_b32 s6, -1, 0
	s_wait_alu 0xfffe
	s_and_b32 s61, s6, vcc_lo
	s_mov_b32 s6, -1
	s_and_saveexec_b32 s62, s61
	s_cbranch_execz .LBB140_216
; %bb.183:                              ;   in Loop: Header=BB140_20 Depth=1
	ds_load_b64 v[6:7], v3 offset:5120
	s_wait_loadcnt_dscnt 0x0
	s_barrier_signal -1
	s_barrier_wait -1
	global_inv scope:SCOPE_SE
	v_readfirstlane_b32 s6, v6
	v_readfirstlane_b32 s7, v7
	s_and_saveexec_b32 s12, s0
; %bb.184:                              ;   in Loop: Header=BB140_20 Depth=1
	ds_store_b16 v34, v3
; %bb.185:                              ;   in Loop: Header=BB140_20 Depth=1
	s_wait_alu 0xfffe
	s_or_b32 exec_lo, exec_lo, s12
	s_lshl_b32 s12, 2, s84
	v_or_b32_e32 v43, s16, v43
	s_wait_alu 0xfffe
	v_and_or_b32 v20, v20, s20, s12
	s_mov_b32 s25, -1
	s_mov_b32 s60, 0
	s_cmp_eq_u64 s[6:7], 0
	s_mov_b32 s14, 0
	s_mov_b32 s15, -1
	s_wait_loadcnt_dscnt 0x0
	s_barrier_signal -1
	s_barrier_wait -1
	global_inv scope:SCOPE_SE
                                        ; implicit-def: $vgpr44
	s_cbranch_scc1 .LBB140_201
; %bb.186:                              ;   in Loop: Header=BB140_20 Depth=1
	s_add_nc_u64 s[12:13], s[6:7], s[50:51]
	s_mov_b32 s14, s45
	s_wait_alu 0xfffe
	s_mov_b32 s15, s13
	s_wait_alu 0xfffe
	s_cmp_lg_u64 s[14:15], 0
	s_cbranch_scc0 .LBB140_242
; %bb.187:                              ;   in Loop: Header=BB140_20 Depth=1
	s_cvt_f32_u32 s14, s42
	s_sub_nc_u64 s[64:65], 0, s[42:43]
	s_wait_alu 0xfffe
	s_delay_alu instid0(SALU_CYCLE_1) | instskip(SKIP_1) | instid1(SALU_CYCLE_2)
	s_fmamk_f32 s14, s83, 0x0, s14
	s_wait_alu 0xfffe
	v_s_rcp_f32 s14, s14
	s_delay_alu instid0(TRANS32_DEP_1) | instskip(SKIP_1) | instid1(SALU_CYCLE_2)
	s_mul_f32 s14, s14, 0x5f7ffffc
	s_wait_alu 0xfffe
	s_mul_f32 s15, s14, 0x2f800000
	s_wait_alu 0xfffe
	s_delay_alu instid0(SALU_CYCLE_2) | instskip(SKIP_1) | instid1(SALU_CYCLE_2)
	s_trunc_f32 s15, s15
	s_wait_alu 0xfffe
	s_fmamk_f32 s14, s15, 0xcf800000, s14
	s_cvt_u32_f32 s15, s15
	s_wait_alu 0xfffe
	s_delay_alu instid0(SALU_CYCLE_1) | instskip(SKIP_1) | instid1(SALU_CYCLE_2)
	s_cvt_u32_f32 s14, s14
	s_wait_alu 0xfffe
	s_mul_u64 s[66:67], s[64:65], s[14:15]
	s_wait_alu 0xfffe
	s_mul_hi_u32 s69, s14, s67
	s_mul_i32 s68, s14, s67
	s_mul_hi_u32 s44, s14, s66
	s_mul_i32 s70, s15, s66
	s_wait_alu 0xfffe
	s_add_nc_u64 s[68:69], s[44:45], s[68:69]
	s_mul_hi_u32 s63, s15, s66
	s_mul_hi_u32 s71, s15, s67
	s_wait_alu 0xfffe
	s_add_co_u32 s44, s68, s70
	s_add_co_ci_u32 s44, s69, s63
	s_mul_i32 s66, s15, s67
	s_add_co_ci_u32 s67, s71, 0
	s_wait_alu 0xfffe
	s_add_nc_u64 s[66:67], s[44:45], s[66:67]
	s_wait_alu 0xfffe
	s_add_co_u32 s14, s14, s66
	s_cselect_b32 s44, -1, 0
	s_wait_alu 0xfffe
	s_cmp_lg_u32 s44, 0
	s_add_co_ci_u32 s15, s15, s67
	s_wait_alu 0xfffe
	s_mul_u64 s[64:65], s[64:65], s[14:15]
	s_wait_alu 0xfffe
	s_mul_hi_u32 s67, s14, s65
	s_mul_i32 s66, s14, s65
	s_mul_hi_u32 s44, s14, s64
	s_mul_i32 s68, s15, s64
	s_wait_alu 0xfffe
	s_add_nc_u64 s[66:67], s[44:45], s[66:67]
	s_mul_hi_u32 s63, s15, s64
	s_mul_hi_u32 s69, s15, s65
	s_wait_alu 0xfffe
	s_add_co_u32 s44, s66, s68
	s_add_co_ci_u32 s44, s67, s63
	s_mul_i32 s64, s15, s65
	s_add_co_ci_u32 s65, s69, 0
	s_wait_alu 0xfffe
	s_add_nc_u64 s[64:65], s[44:45], s[64:65]
	s_wait_alu 0xfffe
	s_add_co_u32 s14, s14, s64
	s_cselect_b32 s63, -1, 0
	s_wait_alu 0xfffe
	s_mul_hi_u32 s44, s12, s14
	s_cmp_lg_u32 s63, 0
	s_mul_hi_u32 s63, s13, s14
	s_add_co_ci_u32 s64, s15, s65
	s_mul_i32 s65, s13, s14
	s_wait_alu 0xfffe
	s_mul_hi_u32 s15, s12, s64
	s_mul_i32 s14, s12, s64
	s_mul_hi_u32 s66, s13, s64
	s_wait_alu 0xfffe
	s_add_nc_u64 s[14:15], s[44:45], s[14:15]
	s_mul_i32 s64, s13, s64
	s_wait_alu 0xfffe
	s_add_co_u32 s14, s14, s65
	s_add_co_ci_u32 s44, s15, s63
	s_add_co_ci_u32 s65, s66, 0
	s_wait_alu 0xfffe
	s_add_nc_u64 s[14:15], s[44:45], s[64:65]
	s_wait_alu 0xfffe
	s_mul_u64 s[14:15], s[42:43], s[14:15]
	s_wait_alu 0xfffe
	s_sub_co_u32 s14, s12, s14
	s_cselect_b32 s44, -1, 0
	s_wait_alu 0xfffe
	s_cmp_lg_u32 s44, 0
	s_sub_co_ci_u32 s15, s13, s15
	s_sub_co_u32 s44, s14, s42
	s_cselect_b32 s63, -1, 0
	s_wait_alu 0xfffe
	s_cmp_lg_u32 s63, 0
	s_sub_co_ci_u32 s63, s15, 0
	;; [unrolled: 5-line block ×3, first 2 shown]
	s_cmp_ge_u32 s44, s42
	s_cselect_b32 s66, -1, 0
	s_cmp_eq_u32 s63, 0
	s_wait_alu 0xfffe
	s_cselect_b32 s66, s66, -1
	s_wait_alu 0xfffe
	s_cmp_lg_u32 s66, 0
	s_cselect_b32 s63, s65, s63
	s_cselect_b32 s44, s64, s44
	s_cmp_ge_u32 s14, s42
	s_cselect_b32 s64, -1, 0
	s_cmp_eq_u32 s15, 0
	s_wait_alu 0xfffe
	s_cselect_b32 s64, s64, -1
	s_wait_alu 0xfffe
	s_cmp_lg_u32 s64, 0
	s_cselect_b32 s15, s63, s15
	s_cselect_b32 s14, s44, s14
	s_cbranch_execnz .LBB140_189
.LBB140_188:                            ;   in Loop: Header=BB140_20 Depth=1
	v_cvt_f32_u32_e32 v6, s42
	s_sub_co_i32 s15, 0, s42
	s_delay_alu instid0(VALU_DEP_1) | instskip(NEXT) | instid1(TRANS32_DEP_1)
	v_rcp_iflag_f32_e32 v6, v6
	v_mul_f32_e32 v6, 0x4f7ffffe, v6
	s_delay_alu instid0(VALU_DEP_1) | instskip(NEXT) | instid1(VALU_DEP_1)
	v_cvt_u32_f32_e32 v6, v6
	v_readfirstlane_b32 s14, v6
	s_wait_alu 0xfffe
	s_mul_i32 s15, s15, s14
	s_wait_alu 0xfffe
	s_mul_hi_u32 s15, s14, s15
	s_wait_alu 0xfffe
	s_add_co_i32 s14, s14, s15
	s_wait_alu 0xfffe
	s_mul_hi_u32 s14, s12, s14
	s_wait_alu 0xfffe
	s_mul_i32 s14, s14, s42
	s_wait_alu 0xfffe
	s_sub_co_i32 s14, s12, s14
	s_wait_alu 0xfffe
	s_sub_co_i32 s15, s14, s42
	s_cmp_ge_u32 s14, s42
	s_wait_alu 0xfffe
	s_cselect_b32 s14, s15, s14
	s_wait_alu 0xfffe
	s_sub_co_i32 s15, s14, s42
	s_cmp_ge_u32 s14, s42
	s_wait_alu 0xfffe
	s_cselect_b32 s44, s15, s14
	s_wait_alu 0xfffe
	s_mov_b64 s[14:15], s[44:45]
.LBB140_189:                            ;   in Loop: Header=BB140_20 Depth=1
	s_wait_alu 0xfffe
	s_sub_nc_u64 s[12:13], s[12:13], s[14:15]
	s_mov_b32 s15, 0
	s_mov_b32 s14, 0
	s_mov_b32 s44, exec_lo
                                        ; implicit-def: $vgpr44
	s_wait_alu 0xfffe
	v_cmpx_gt_u64_e64 s[12:13], v[0:1]
	s_cbranch_execz .LBB140_200
; %bb.190:                              ;   in Loop: Header=BB140_20 Depth=1
	v_dual_mov_b32 v8, v33 :: v_dual_mov_b32 v7, v1
	v_mov_b32_e32 v6, v0
                                        ; implicit-def: $sgpr63
	s_branch .LBB140_193
.LBB140_191:                            ;   in Loop: Header=BB140_193 Depth=2
	s_wait_alu 0xfffe
	s_or_b32 exec_lo, exec_lo, s64
	s_wait_loadcnt_dscnt 0x0
	s_barrier_signal -1
	s_barrier_wait -1
	global_inv scope:SCOPE_SE
	ds_load_b32 v9, v3 offset:3072
	s_mov_b32 s64, -1
	s_mov_b32 s65, -1
	s_wait_loadcnt_dscnt 0x0
	s_barrier_signal -1
	s_barrier_wait -1
	global_inv scope:SCOPE_SE
	v_and_b32_e32 v10, 0x7fff, v9
	s_delay_alu instid0(VALU_DEP_1)
	v_cmp_ne_u32_e32 vcc_lo, 0, v10
	s_cbranch_vccz .LBB140_196
.LBB140_192:                            ;   in Loop: Header=BB140_193 Depth=2
	s_wait_alu 0xfffe
	s_and_b32 s64, exec_lo, s64
	s_wait_alu 0xfffe
	s_or_b32 s14, s64, s14
	s_and_not1_b32 s63, s63, exec_lo
	s_and_b32 s64, s65, exec_lo
	s_wait_alu 0xfffe
	s_or_b32 s63, s63, s64
	s_and_not1_b32 exec_lo, exec_lo, s14
	s_cbranch_execz .LBB140_199
.LBB140_193:                            ;   Parent Loop BB140_20 Depth=1
                                        ; =>  This Inner Loop Header: Depth=2
	s_mov_b32 s64, exec_lo
	s_delay_alu instid0(VALU_DEP_1)
	v_cmpx_gt_u64_e64 s[6:7], v[6:7]
	s_cbranch_execz .LBB140_191
; %bb.194:                              ;   in Loop: Header=BB140_193 Depth=2
	ds_load_u16 v9, v8
	s_wait_dscnt 0x0
	v_cmp_lt_i16_e32 vcc_lo, -1, v9
	v_and_b32_e32 v10, 0xffff, v9
	s_wait_alu 0xfffd
	v_dual_cndmask_b32 v11, 0xffff, v42 :: v_dual_lshlrev_b32 v26, 16, v9
	s_delay_alu instid0(VALU_DEP_1) | instskip(NEXT) | instid1(VALU_DEP_2)
	v_cmp_o_f32_e32 vcc_lo, v26, v26
	v_xor_b32_e32 v10, v11, v10
	s_wait_alu 0xfffd
	s_delay_alu instid0(VALU_DEP_1) | instskip(NEXT) | instid1(VALU_DEP_1)
	v_cndmask_b32_e32 v10, 0xffff, v10, vcc_lo
	v_and_b32_e32 v10, v10, v43
	s_delay_alu instid0(VALU_DEP_1)
	v_cmp_eq_u32_e32 vcc_lo, v10, v20
	s_and_b32 exec_lo, exec_lo, vcc_lo
	s_cbranch_execz .LBB140_191
; %bb.195:                              ;   in Loop: Header=BB140_193 Depth=2
	v_perm_b32 v9, v9, s86, 0x5040100
	ds_store_b32 v3, v9 offset:3072
	s_branch .LBB140_191
.LBB140_196:                            ;   in Loop: Header=BB140_193 Depth=2
	v_add_co_u32 v6, vcc_lo, v6, s42
	s_wait_alu 0xfffd
	v_add_co_ci_u32_e64 v7, null, 0, v7, vcc_lo
	v_add_nc_u32_e32 v8, s82, v8
	s_mov_b32 s65, 0
	s_delay_alu instid0(VALU_DEP_2)
	v_cmp_le_u64_e32 vcc_lo, s[12:13], v[6:7]
	s_or_not1_b32 s64, vcc_lo, exec_lo
	s_branch .LBB140_192
.LBB140_197:                            ;   in Loop: Header=BB140_20 Depth=1
                                        ; implicit-def: $sgpr14_sgpr15
	s_branch .LBB140_139
.LBB140_198:                            ;   in Loop: Header=BB140_20 Depth=1
                                        ; implicit-def: $sgpr6_sgpr7
	s_branch .LBB140_158
.LBB140_199:                            ;   in Loop: Header=BB140_20 Depth=1
	s_or_b32 exec_lo, exec_lo, s14
	v_lshrrev_b32_e32 v44, 16, v9
	s_wait_alu 0xfffe
	s_and_b32 s14, s63, exec_lo
.LBB140_200:                            ;   in Loop: Header=BB140_20 Depth=1
	s_or_b32 exec_lo, exec_lo, s44
.LBB140_201:                            ;   in Loop: Header=BB140_20 Depth=1
	s_wait_alu 0xfffe
	s_and_b32 vcc_lo, exec_lo, s15
	s_wait_alu 0xfffe
	s_cbranch_vccz .LBB140_215
; %bb.202:                              ;   in Loop: Header=BB140_20 Depth=1
	s_mov_b32 s6, s45
	s_mov_b32 s7, s53
	s_wait_alu 0xfffe
	s_cmp_lg_u64 s[6:7], 0
	s_cbranch_scc0 .LBB140_243
; %bb.203:                              ;   in Loop: Header=BB140_20 Depth=1
	s_cvt_f32_u32 s6, s42
	s_sub_nc_u64 s[12:13], 0, s[42:43]
	s_wait_alu 0xfffe
	s_delay_alu instid0(SALU_CYCLE_1) | instskip(SKIP_1) | instid1(SALU_CYCLE_2)
	s_fmamk_f32 s6, s83, 0x0, s6
	s_wait_alu 0xfffe
	v_s_rcp_f32 s6, s6
	s_delay_alu instid0(TRANS32_DEP_1) | instskip(SKIP_1) | instid1(SALU_CYCLE_2)
	s_mul_f32 s6, s6, 0x5f7ffffc
	s_wait_alu 0xfffe
	s_mul_f32 s7, s6, 0x2f800000
	s_wait_alu 0xfffe
	s_delay_alu instid0(SALU_CYCLE_2) | instskip(SKIP_1) | instid1(SALU_CYCLE_2)
	s_trunc_f32 s7, s7
	s_wait_alu 0xfffe
	s_fmamk_f32 s6, s7, 0xcf800000, s6
	s_cvt_u32_f32 s7, s7
	s_wait_alu 0xfffe
	s_delay_alu instid0(SALU_CYCLE_1) | instskip(SKIP_1) | instid1(SALU_CYCLE_2)
	s_cvt_u32_f32 s6, s6
	s_wait_alu 0xfffe
	s_mul_u64 s[64:65], s[12:13], s[6:7]
	s_wait_alu 0xfffe
	s_mul_hi_u32 s67, s6, s65
	s_mul_i32 s66, s6, s65
	s_mul_hi_u32 s44, s6, s64
	s_mul_i32 s25, s7, s64
	s_wait_alu 0xfffe
	s_add_nc_u64 s[66:67], s[44:45], s[66:67]
	s_mul_hi_u32 s15, s7, s64
	s_mul_hi_u32 s60, s7, s65
	s_wait_alu 0xfffe
	s_add_co_u32 s25, s66, s25
	s_add_co_ci_u32 s44, s67, s15
	s_mul_i32 s64, s7, s65
	s_add_co_ci_u32 s65, s60, 0
	s_wait_alu 0xfffe
	s_add_nc_u64 s[64:65], s[44:45], s[64:65]
	s_wait_alu 0xfffe
	s_add_co_u32 s6, s6, s64
	s_cselect_b32 s15, -1, 0
	s_wait_alu 0xfffe
	s_cmp_lg_u32 s15, 0
	s_add_co_ci_u32 s7, s7, s65
	s_wait_alu 0xfffe
	s_mul_u64 s[12:13], s[12:13], s[6:7]
	s_wait_alu 0xfffe
	s_mul_hi_u32 s65, s6, s13
	s_mul_i32 s64, s6, s13
	s_mul_hi_u32 s44, s6, s12
	s_mul_i32 s25, s7, s12
	s_wait_alu 0xfffe
	s_add_nc_u64 s[64:65], s[44:45], s[64:65]
	s_mul_hi_u32 s15, s7, s12
	s_mul_hi_u32 s60, s7, s13
	s_mul_i32 s12, s7, s13
	s_wait_alu 0xfffe
	s_add_co_u32 s13, s64, s25
	s_add_co_ci_u32 s44, s65, s15
	s_add_co_ci_u32 s13, s60, 0
	s_wait_alu 0xfffe
	s_add_nc_u64 s[12:13], s[44:45], s[12:13]
	s_wait_alu 0xfffe
	s_add_co_u32 s6, s6, s12
	s_cselect_b32 s12, -1, 0
	s_wait_alu 0xfffe
	s_mul_hi_u32 s44, s52, s6
	s_cmp_lg_u32 s12, 0
	s_mul_hi_u32 s15, s53, s6
	s_add_co_ci_u32 s12, s7, s13
	s_mul_i32 s13, s53, s6
	s_wait_alu 0xfffe
	s_mul_hi_u32 s7, s52, s12
	s_mul_i32 s6, s52, s12
	s_mul_hi_u32 s25, s53, s12
	s_wait_alu 0xfffe
	s_add_nc_u64 s[6:7], s[44:45], s[6:7]
	s_mul_i32 s12, s53, s12
	s_wait_alu 0xfffe
	s_add_co_u32 s6, s6, s13
	s_add_co_ci_u32 s44, s7, s15
	s_add_co_ci_u32 s13, s25, 0
	s_wait_alu 0xfffe
	s_add_nc_u64 s[6:7], s[44:45], s[12:13]
	s_wait_alu 0xfffe
	s_mul_u64 s[6:7], s[42:43], s[6:7]
	s_wait_alu 0xfffe
	s_sub_co_u32 s6, s52, s6
	s_cselect_b32 s12, -1, 0
	s_wait_alu 0xfffe
	s_cmp_lg_u32 s12, 0
	s_sub_co_ci_u32 s7, s53, s7
	s_sub_co_u32 s12, s6, s42
	s_cselect_b32 s13, -1, 0
	s_wait_alu 0xfffe
	s_cmp_lg_u32 s13, 0
	s_sub_co_ci_u32 s13, s7, 0
	;; [unrolled: 5-line block ×3, first 2 shown]
	s_cmp_ge_u32 s12, s42
	s_cselect_b32 s44, -1, 0
	s_cmp_eq_u32 s13, 0
	s_wait_alu 0xfffe
	s_cselect_b32 s44, s44, -1
	s_wait_alu 0xfffe
	s_cmp_lg_u32 s44, 0
	s_cselect_b32 s13, s25, s13
	s_cselect_b32 s12, s15, s12
	s_cmp_ge_u32 s6, s42
	s_cselect_b32 s15, -1, 0
	s_cmp_eq_u32 s7, 0
	s_wait_alu 0xfffe
	s_cselect_b32 s15, s15, -1
	s_wait_alu 0xfffe
	s_cmp_lg_u32 s15, 0
	s_cselect_b32 s7, s13, s7
	s_cselect_b32 s6, s12, s6
	s_cbranch_execnz .LBB140_205
.LBB140_204:                            ;   in Loop: Header=BB140_20 Depth=1
	v_cvt_f32_u32_e32 v6, s42
	s_sub_co_i32 s7, 0, s42
	s_delay_alu instid0(VALU_DEP_1) | instskip(NEXT) | instid1(TRANS32_DEP_1)
	v_rcp_iflag_f32_e32 v6, v6
	v_mul_f32_e32 v6, 0x4f7ffffe, v6
	s_delay_alu instid0(VALU_DEP_1) | instskip(NEXT) | instid1(VALU_DEP_1)
	v_cvt_u32_f32_e32 v6, v6
	v_readfirstlane_b32 s6, v6
	s_wait_alu 0xfffe
	s_mul_i32 s7, s7, s6
	s_wait_alu 0xfffe
	s_mul_hi_u32 s7, s6, s7
	s_wait_alu 0xfffe
	s_add_co_i32 s6, s6, s7
	s_wait_alu 0xfffe
	s_mul_hi_u32 s6, s52, s6
	s_wait_alu 0xfffe
	s_mul_i32 s6, s6, s42
	s_wait_alu 0xfffe
	s_sub_co_i32 s6, s52, s6
	s_wait_alu 0xfffe
	s_sub_co_i32 s7, s6, s42
	s_cmp_ge_u32 s6, s42
	s_wait_alu 0xfffe
	s_cselect_b32 s6, s7, s6
	s_wait_alu 0xfffe
	s_sub_co_i32 s7, s6, s42
	s_cmp_ge_u32 s6, s42
	s_wait_alu 0xfffe
	s_cselect_b32 s44, s7, s6
	s_wait_alu 0xfffe
	s_mov_b64 s[6:7], s[44:45]
.LBB140_205:                            ;   in Loop: Header=BB140_20 Depth=1
	s_wait_alu 0xfffe
	s_sub_nc_u64 s[12:13], s[52:53], s[6:7]
	s_mov_b32 s7, exec_lo
                                        ; implicit-def: $vgpr44
	s_wait_alu 0xfffe
	v_cmpx_gt_u64_e64 s[12:13], v[0:1]
	s_cbranch_execz .LBB140_214
; %bb.206:                              ;   in Loop: Header=BB140_20 Depth=1
	v_dual_mov_b32 v6, v12 :: v_dual_mov_b32 v7, v13
	v_dual_mov_b32 v9, v1 :: v_dual_mov_b32 v8, v0
	s_mov_b32 s15, 0
                                        ; implicit-def: $sgpr25
	s_branch .LBB140_209
.LBB140_207:                            ;   in Loop: Header=BB140_209 Depth=2
	s_wait_alu 0xfffe
	s_or_b32 exec_lo, exec_lo, s6
	s_wait_loadcnt_dscnt 0x0
	s_barrier_signal -1
	s_barrier_wait -1
	global_inv scope:SCOPE_SE
	ds_load_b32 v10, v3 offset:3072
	s_mov_b32 s6, -1
	s_mov_b32 s44, -1
	s_wait_loadcnt_dscnt 0x0
	s_barrier_signal -1
	s_barrier_wait -1
	global_inv scope:SCOPE_SE
	v_and_b32_e32 v11, 0x7fff, v10
	s_delay_alu instid0(VALU_DEP_1)
	v_cmp_eq_u32_e32 vcc_lo, 0, v11
	s_cbranch_vccnz .LBB140_212
.LBB140_208:                            ;   in Loop: Header=BB140_209 Depth=2
	s_wait_alu 0xfffe
	s_and_b32 s6, exec_lo, s6
	s_wait_alu 0xfffe
	s_or_b32 s15, s6, s15
	s_and_not1_b32 s6, s25, exec_lo
	s_and_b32 s25, s44, exec_lo
	s_wait_alu 0xfffe
	s_or_b32 s25, s6, s25
	s_and_not1_b32 exec_lo, exec_lo, s15
	s_cbranch_execz .LBB140_213
.LBB140_209:                            ;   Parent Loop BB140_20 Depth=1
                                        ; =>  This Inner Loop Header: Depth=2
	s_mov_b32 s6, exec_lo
	s_delay_alu instid0(VALU_DEP_1)
	v_cmpx_gt_u64_e64 s[28:29], v[8:9]
	s_cbranch_execz .LBB140_207
; %bb.210:                              ;   in Loop: Header=BB140_209 Depth=2
	global_load_u16 v10, v[6:7], off
	s_wait_loadcnt 0x0
	v_cmp_lt_i16_e32 vcc_lo, -1, v10
	v_and_b32_e32 v11, 0xffff, v10
	v_lshlrev_b32_e32 v27, 16, v10
	s_wait_alu 0xfffd
	v_cndmask_b32_e32 v26, 0xffff, v42, vcc_lo
	s_delay_alu instid0(VALU_DEP_2) | instskip(NEXT) | instid1(VALU_DEP_2)
	v_cmp_o_f32_e32 vcc_lo, v27, v27
	v_xor_b32_e32 v11, v26, v11
	s_wait_alu 0xfffd
	s_delay_alu instid0(VALU_DEP_1) | instskip(NEXT) | instid1(VALU_DEP_1)
	v_cndmask_b32_e32 v11, 0xffff, v11, vcc_lo
	v_and_b32_e32 v11, v11, v43
	s_delay_alu instid0(VALU_DEP_1)
	v_cmp_eq_u32_e32 vcc_lo, v11, v20
	s_and_b32 exec_lo, exec_lo, vcc_lo
	s_cbranch_execz .LBB140_207
; %bb.211:                              ;   in Loop: Header=BB140_209 Depth=2
	v_perm_b32 v10, v10, s86, 0x5040100
	ds_store_b32 v3, v10 offset:3072
	s_branch .LBB140_207
.LBB140_212:                            ;   in Loop: Header=BB140_209 Depth=2
	v_add_co_u32 v8, vcc_lo, v8, s42
	s_wait_alu 0xfffd
	v_add_co_ci_u32_e64 v9, null, 0, v9, vcc_lo
	v_add_co_u32 v6, s6, v6, s46
	s_wait_alu 0xf1fe
	v_add_co_ci_u32_e64 v7, null, s47, v7, s6
	s_delay_alu instid0(VALU_DEP_3)
	v_cmp_le_u64_e32 vcc_lo, s[12:13], v[8:9]
	s_mov_b32 s44, 0
	s_or_not1_b32 s6, vcc_lo, exec_lo
	s_branch .LBB140_208
.LBB140_213:                            ;   in Loop: Header=BB140_20 Depth=1
	s_or_b32 exec_lo, exec_lo, s15
	v_lshrrev_b32_e32 v44, 16, v10
	s_and_not1_b32 s6, s14, exec_lo
	s_wait_alu 0xfffe
	s_and_b32 s12, s25, exec_lo
	s_wait_alu 0xfffe
	s_or_b32 s14, s6, s12
.LBB140_214:                            ;   in Loop: Header=BB140_20 Depth=1
	s_or_b32 exec_lo, exec_lo, s7
	s_mov_b32 s25, 0
	s_mov_b32 s60, -1
.LBB140_215:                            ;   in Loop: Header=BB140_20 Depth=1
	s_wait_alu 0xfffe
	s_or_not1_b32 s6, s14, exec_lo
.LBB140_216:                            ;   in Loop: Header=BB140_20 Depth=1
	s_wait_alu 0xfffe
	s_or_b32 exec_lo, exec_lo, s62
	s_mov_b32 s7, 0
	s_and_saveexec_b32 s14, s6
	s_cbranch_execz .LBB140_274
; %bb.217:                              ;   in Loop: Header=BB140_20 Depth=1
	v_mov_b32_e32 v6, 1
	v_dual_mov_b32 v7, 0 :: v_dual_mov_b32 v2, 1
	s_xor_b32 s12, s61, -1
	s_wait_alu 0xfffe
	s_and_saveexec_b32 s6, s12
	s_cbranch_execz .LBB140_226
; %bb.218:                              ;   in Loop: Header=BB140_20 Depth=1
	s_mov_b32 s7, exec_lo
	v_cmpx_ge_u64_e64 s[10:11], v[4:5]
	s_wait_alu 0xfffe
	s_xor_b32 s7, exec_lo, s7
	s_cbranch_execz .LBB140_223
; %bb.219:                              ;   in Loop: Header=BB140_20 Depth=1
	ds_load_b64 v[6:7], v3 offset:5120
	s_lshl_b32 s12, 2, s84
	v_or_b32_e32 v43, s16, v43
	s_wait_alu 0xfffe
	v_and_or_b32 v20, v20, s20, s12
	s_wait_dscnt 0x0
	v_cmp_ne_u64_e32 vcc_lo, 0, v[6:7]
	s_cbranch_vccnz .LBB140_223
; %bb.220:                              ;   in Loop: Header=BB140_20 Depth=1
	s_and_saveexec_b32 s12, s3
; %bb.221:                              ;   in Loop: Header=BB140_20 Depth=1
	v_dual_mov_b32 v6, s10 :: v_dual_mov_b32 v7, s11
	ds_store_b64 v3, v[6:7] offset:5128
; %bb.222:                              ;   in Loop: Header=BB140_20 Depth=1
	s_wait_alu 0xfffe
	s_or_b32 exec_lo, exec_lo, s12
	s_wait_loadcnt_dscnt 0x0
	s_barrier_signal -1
	s_barrier_wait -1
	global_inv scope:SCOPE_SE
.LBB140_223:                            ;   in Loop: Header=BB140_20 Depth=1
	s_wait_alu 0xfffe
	s_or_saveexec_b32 s7, s7
	v_mov_b32_e32 v2, 8
	s_mov_b32 s12, 0
	s_wait_alu 0xfffe
	s_xor_b32 exec_lo, exec_lo, s7
; %bb.224:                              ;   in Loop: Header=BB140_20 Depth=1
	v_sub_co_u32 v4, vcc_lo, v4, s10
	s_wait_alu 0xfffd
	v_subrev_co_ci_u32_e64 v5, null, s11, v5, vcc_lo
	v_mov_b32_e32 v2, 0
	s_mov_b32 s12, exec_lo
; %bb.225:                              ;   in Loop: Header=BB140_20 Depth=1
	s_or_b32 exec_lo, exec_lo, s7
	s_delay_alu instid0(VALU_DEP_2)
	v_dual_mov_b32 v7, v5 :: v_dual_mov_b32 v6, v4
	s_wait_alu 0xfffe
	s_and_b32 s7, s12, exec_lo
.LBB140_226:                            ;   in Loop: Header=BB140_20 Depth=1
	s_wait_alu 0xfffe
	s_or_b32 exec_lo, exec_lo, s6
	s_mov_b32 s6, -1
                                        ; implicit-def: $sgpr63
                                        ; implicit-def: $sgpr62
	s_and_saveexec_b32 s15, s7
	s_cbranch_execz .LBB140_273
; %bb.227:                              ;   in Loop: Header=BB140_20 Depth=1
	v_cmp_eq_u64_e32 vcc_lo, 1, v[6:7]
	s_cmp_eq_u64 s[8:9], 1
	s_mov_b32 s7, -1
	s_cselect_b32 s6, -1, 0
                                        ; implicit-def: $sgpr63
                                        ; implicit-def: $sgpr62
	s_wait_alu 0xfffe
	s_and_b32 s20, s6, vcc_lo
	s_wait_alu 0xfffe
	s_and_saveexec_b32 s61, s20
	s_cbranch_execz .LBB140_261
; %bb.228:                              ;   in Loop: Header=BB140_20 Depth=1
	ds_load_b64 v[4:5], v3 offset:5120
	s_wait_loadcnt_dscnt 0x0
	s_barrier_signal -1
	s_barrier_wait -1
	global_inv scope:SCOPE_SE
	v_readfirstlane_b32 s6, v4
	v_readfirstlane_b32 s7, v5
	s_and_saveexec_b32 s10, s0
; %bb.229:                              ;   in Loop: Header=BB140_20 Depth=1
	ds_store_b16 v34, v3
; %bb.230:                              ;   in Loop: Header=BB140_20 Depth=1
	s_wait_alu 0xfffe
	s_or_b32 exec_lo, exec_lo, s10
	v_or_b32_e32 v20, s16, v20
	v_or_b32_e32 v43, s16, v43
	s_mov_b32 s62, -1
	s_mov_b32 s63, 0
	s_cmp_eq_u64 s[6:7], 0
	s_mov_b32 s12, 0
	s_mov_b32 s13, -1
	s_wait_loadcnt_dscnt 0x0
	s_barrier_signal -1
	s_barrier_wait -1
	global_inv scope:SCOPE_SE
                                        ; implicit-def: $vgpr44
	s_cbranch_scc1 .LBB140_246
; %bb.231:                              ;   in Loop: Header=BB140_20 Depth=1
	s_add_nc_u64 s[10:11], s[6:7], s[50:51]
	s_mov_b32 s12, s45
	s_wait_alu 0xfffe
	s_mov_b32 s13, s11
	s_wait_alu 0xfffe
	s_cmp_lg_u64 s[12:13], 0
	s_cbranch_scc0 .LBB140_280
; %bb.232:                              ;   in Loop: Header=BB140_20 Depth=1
	s_cvt_f32_u32 s12, s42
	s_sub_nc_u64 s[64:65], 0, s[42:43]
	s_wait_alu 0xfffe
	s_delay_alu instid0(SALU_CYCLE_1) | instskip(SKIP_1) | instid1(SALU_CYCLE_2)
	s_fmamk_f32 s12, s83, 0x0, s12
	s_wait_alu 0xfffe
	v_s_rcp_f32 s12, s12
	s_delay_alu instid0(TRANS32_DEP_1) | instskip(SKIP_1) | instid1(SALU_CYCLE_2)
	s_mul_f32 s12, s12, 0x5f7ffffc
	s_wait_alu 0xfffe
	s_mul_f32 s13, s12, 0x2f800000
	s_wait_alu 0xfffe
	s_delay_alu instid0(SALU_CYCLE_2) | instskip(SKIP_1) | instid1(SALU_CYCLE_2)
	s_trunc_f32 s13, s13
	s_wait_alu 0xfffe
	s_fmamk_f32 s12, s13, 0xcf800000, s12
	s_cvt_u32_f32 s13, s13
	s_wait_alu 0xfffe
	s_delay_alu instid0(SALU_CYCLE_1) | instskip(SKIP_1) | instid1(SALU_CYCLE_2)
	s_cvt_u32_f32 s12, s12
	s_wait_alu 0xfffe
	s_mul_u64 s[66:67], s[64:65], s[12:13]
	s_wait_alu 0xfffe
	s_mul_hi_u32 s69, s12, s67
	s_mul_i32 s68, s12, s67
	s_mul_hi_u32 s44, s12, s66
	s_mul_i32 s71, s13, s66
	s_wait_alu 0xfffe
	s_add_nc_u64 s[68:69], s[44:45], s[68:69]
	s_mul_hi_u32 s70, s13, s66
	s_mul_hi_u32 s72, s13, s67
	s_wait_alu 0xfffe
	s_add_co_u32 s44, s68, s71
	s_add_co_ci_u32 s44, s69, s70
	s_mul_i32 s66, s13, s67
	s_add_co_ci_u32 s67, s72, 0
	s_wait_alu 0xfffe
	s_add_nc_u64 s[66:67], s[44:45], s[66:67]
	s_wait_alu 0xfffe
	s_add_co_u32 s12, s12, s66
	s_cselect_b32 s44, -1, 0
	s_wait_alu 0xfffe
	s_cmp_lg_u32 s44, 0
	s_add_co_ci_u32 s13, s13, s67
	s_wait_alu 0xfffe
	s_mul_u64 s[64:65], s[64:65], s[12:13]
	s_wait_alu 0xfffe
	s_mul_hi_u32 s67, s12, s65
	s_mul_i32 s66, s12, s65
	s_mul_hi_u32 s44, s12, s64
	s_mul_i32 s69, s13, s64
	s_wait_alu 0xfffe
	s_add_nc_u64 s[66:67], s[44:45], s[66:67]
	s_mul_hi_u32 s68, s13, s64
	s_mul_hi_u32 s70, s13, s65
	s_wait_alu 0xfffe
	s_add_co_u32 s44, s66, s69
	s_add_co_ci_u32 s44, s67, s68
	s_mul_i32 s64, s13, s65
	s_add_co_ci_u32 s65, s70, 0
	s_wait_alu 0xfffe
	s_add_nc_u64 s[64:65], s[44:45], s[64:65]
	s_wait_alu 0xfffe
	s_add_co_u32 s12, s12, s64
	s_cselect_b32 s64, -1, 0
	s_wait_alu 0xfffe
	s_mul_hi_u32 s44, s10, s12
	s_cmp_lg_u32 s64, 0
	s_mul_hi_u32 s66, s11, s12
	s_add_co_ci_u32 s64, s13, s65
	s_mul_i32 s65, s11, s12
	s_wait_alu 0xfffe
	s_mul_hi_u32 s13, s10, s64
	s_mul_i32 s12, s10, s64
	s_mul_hi_u32 s67, s11, s64
	s_wait_alu 0xfffe
	s_add_nc_u64 s[12:13], s[44:45], s[12:13]
	s_mul_i32 s64, s11, s64
	s_wait_alu 0xfffe
	s_add_co_u32 s12, s12, s65
	s_add_co_ci_u32 s44, s13, s66
	s_add_co_ci_u32 s65, s67, 0
	s_wait_alu 0xfffe
	s_add_nc_u64 s[12:13], s[44:45], s[64:65]
	s_wait_alu 0xfffe
	s_mul_u64 s[12:13], s[42:43], s[12:13]
	s_wait_alu 0xfffe
	s_sub_co_u32 s12, s10, s12
	s_cselect_b32 s44, -1, 0
	s_wait_alu 0xfffe
	s_cmp_lg_u32 s44, 0
	s_sub_co_ci_u32 s13, s11, s13
	s_sub_co_u32 s44, s12, s42
	s_cselect_b32 s64, -1, 0
	s_wait_alu 0xfffe
	s_cmp_lg_u32 s64, 0
	s_sub_co_ci_u32 s64, s13, 0
	;; [unrolled: 5-line block ×3, first 2 shown]
	s_cmp_ge_u32 s44, s42
	s_cselect_b32 s67, -1, 0
	s_cmp_eq_u32 s64, 0
	s_wait_alu 0xfffe
	s_cselect_b32 s67, s67, -1
	s_wait_alu 0xfffe
	s_cmp_lg_u32 s67, 0
	s_cselect_b32 s64, s66, s64
	s_cselect_b32 s44, s65, s44
	s_cmp_ge_u32 s12, s42
	s_cselect_b32 s65, -1, 0
	s_cmp_eq_u32 s13, 0
	s_wait_alu 0xfffe
	s_cselect_b32 s65, s65, -1
	s_wait_alu 0xfffe
	s_cmp_lg_u32 s65, 0
	s_cselect_b32 s13, s64, s13
	s_cselect_b32 s12, s44, s12
	s_cbranch_execnz .LBB140_234
.LBB140_233:                            ;   in Loop: Header=BB140_20 Depth=1
	v_cvt_f32_u32_e32 v4, s42
	s_sub_co_i32 s13, 0, s42
	s_delay_alu instid0(VALU_DEP_1) | instskip(NEXT) | instid1(TRANS32_DEP_1)
	v_rcp_iflag_f32_e32 v4, v4
	v_mul_f32_e32 v4, 0x4f7ffffe, v4
	s_delay_alu instid0(VALU_DEP_1) | instskip(NEXT) | instid1(VALU_DEP_1)
	v_cvt_u32_f32_e32 v4, v4
	v_readfirstlane_b32 s12, v4
	s_wait_alu 0xfffe
	s_mul_i32 s13, s13, s12
	s_wait_alu 0xfffe
	s_mul_hi_u32 s13, s12, s13
	s_wait_alu 0xfffe
	s_add_co_i32 s12, s12, s13
	s_wait_alu 0xfffe
	s_mul_hi_u32 s12, s10, s12
	s_wait_alu 0xfffe
	s_mul_i32 s12, s12, s42
	s_wait_alu 0xfffe
	s_sub_co_i32 s12, s10, s12
	s_wait_alu 0xfffe
	s_sub_co_i32 s13, s12, s42
	s_cmp_ge_u32 s12, s42
	s_wait_alu 0xfffe
	s_cselect_b32 s12, s13, s12
	s_wait_alu 0xfffe
	s_sub_co_i32 s13, s12, s42
	s_cmp_ge_u32 s12, s42
	s_wait_alu 0xfffe
	s_cselect_b32 s44, s13, s12
	s_wait_alu 0xfffe
	s_mov_b64 s[12:13], s[44:45]
.LBB140_234:                            ;   in Loop: Header=BB140_20 Depth=1
	s_wait_alu 0xfffe
	s_sub_nc_u64 s[10:11], s[10:11], s[12:13]
	s_mov_b32 s13, 0
	s_mov_b32 s12, 0
	s_mov_b32 s44, exec_lo
                                        ; implicit-def: $vgpr44
	s_wait_alu 0xfffe
	v_cmpx_gt_u64_e64 s[10:11], v[0:1]
	s_cbranch_execz .LBB140_245
; %bb.235:                              ;   in Loop: Header=BB140_20 Depth=1
	v_dual_mov_b32 v8, v33 :: v_dual_mov_b32 v5, v1
	v_mov_b32_e32 v4, v0
                                        ; implicit-def: $sgpr64
	s_branch .LBB140_238
.LBB140_236:                            ;   in Loop: Header=BB140_238 Depth=2
	s_wait_alu 0xfffe
	s_or_b32 exec_lo, exec_lo, s65
	s_wait_loadcnt_dscnt 0x0
	s_barrier_signal -1
	s_barrier_wait -1
	global_inv scope:SCOPE_SE
	ds_load_b32 v9, v3 offset:3072
	s_mov_b32 s65, -1
	s_mov_b32 s66, -1
	s_wait_loadcnt_dscnt 0x0
	s_barrier_signal -1
	s_barrier_wait -1
	global_inv scope:SCOPE_SE
	v_and_b32_e32 v10, 0x7fff, v9
	s_delay_alu instid0(VALU_DEP_1)
	v_cmp_ne_u32_e32 vcc_lo, 0, v10
	s_cbranch_vccz .LBB140_241
.LBB140_237:                            ;   in Loop: Header=BB140_238 Depth=2
	s_wait_alu 0xfffe
	s_and_b32 s65, exec_lo, s65
	s_wait_alu 0xfffe
	s_or_b32 s12, s65, s12
	s_and_not1_b32 s64, s64, exec_lo
	s_and_b32 s65, s66, exec_lo
	s_wait_alu 0xfffe
	s_or_b32 s64, s64, s65
	s_and_not1_b32 exec_lo, exec_lo, s12
	s_cbranch_execz .LBB140_244
.LBB140_238:                            ;   Parent Loop BB140_20 Depth=1
                                        ; =>  This Inner Loop Header: Depth=2
	s_mov_b32 s65, exec_lo
	s_delay_alu instid0(VALU_DEP_1)
	v_cmpx_gt_u64_e64 s[6:7], v[4:5]
	s_cbranch_execz .LBB140_236
; %bb.239:                              ;   in Loop: Header=BB140_238 Depth=2
	ds_load_u16 v9, v8
	s_wait_dscnt 0x0
	v_cmp_lt_i16_e32 vcc_lo, -1, v9
	v_and_b32_e32 v10, 0xffff, v9
	s_wait_alu 0xfffd
	v_dual_cndmask_b32 v11, 0xffff, v42 :: v_dual_lshlrev_b32 v26, 16, v9
	s_delay_alu instid0(VALU_DEP_1) | instskip(NEXT) | instid1(VALU_DEP_2)
	v_cmp_o_f32_e32 vcc_lo, v26, v26
	v_xor_b32_e32 v10, v11, v10
	s_wait_alu 0xfffd
	s_delay_alu instid0(VALU_DEP_1) | instskip(NEXT) | instid1(VALU_DEP_1)
	v_cndmask_b32_e32 v10, 0xffff, v10, vcc_lo
	v_and_b32_e32 v10, v10, v43
	s_delay_alu instid0(VALU_DEP_1)
	v_cmp_eq_u32_e32 vcc_lo, v10, v20
	s_and_b32 exec_lo, exec_lo, vcc_lo
	s_cbranch_execz .LBB140_236
; %bb.240:                              ;   in Loop: Header=BB140_238 Depth=2
	v_perm_b32 v9, v9, s86, 0x5040100
	ds_store_b32 v3, v9 offset:3072
	s_branch .LBB140_236
.LBB140_241:                            ;   in Loop: Header=BB140_238 Depth=2
	v_add_co_u32 v4, vcc_lo, v4, s42
	s_wait_alu 0xfffd
	v_add_co_ci_u32_e64 v5, null, 0, v5, vcc_lo
	v_add_nc_u32_e32 v8, s82, v8
	s_mov_b32 s66, 0
	s_delay_alu instid0(VALU_DEP_2)
	v_cmp_le_u64_e32 vcc_lo, s[10:11], v[4:5]
	s_or_not1_b32 s65, vcc_lo, exec_lo
	s_branch .LBB140_237
.LBB140_242:                            ;   in Loop: Header=BB140_20 Depth=1
                                        ; implicit-def: $sgpr14_sgpr15
	s_branch .LBB140_188
.LBB140_243:                            ;   in Loop: Header=BB140_20 Depth=1
                                        ; implicit-def: $sgpr6_sgpr7
	s_branch .LBB140_204
.LBB140_244:                            ;   in Loop: Header=BB140_20 Depth=1
	s_or_b32 exec_lo, exec_lo, s12
	v_lshrrev_b32_e32 v44, 16, v9
	s_wait_alu 0xfffe
	s_and_b32 s12, s64, exec_lo
.LBB140_245:                            ;   in Loop: Header=BB140_20 Depth=1
	s_or_b32 exec_lo, exec_lo, s44
.LBB140_246:                            ;   in Loop: Header=BB140_20 Depth=1
	s_wait_alu 0xfffe
	s_and_b32 vcc_lo, exec_lo, s13
	s_wait_alu 0xfffe
	s_cbranch_vccz .LBB140_260
; %bb.247:                              ;   in Loop: Header=BB140_20 Depth=1
	s_mov_b32 s6, s45
	s_mov_b32 s7, s53
	s_wait_alu 0xfffe
	s_cmp_lg_u64 s[6:7], 0
	s_cbranch_scc0 .LBB140_281
; %bb.248:                              ;   in Loop: Header=BB140_20 Depth=1
	s_cvt_f32_u32 s6, s42
	s_sub_nc_u64 s[10:11], 0, s[42:43]
	s_wait_alu 0xfffe
	s_delay_alu instid0(SALU_CYCLE_1) | instskip(SKIP_1) | instid1(SALU_CYCLE_2)
	s_fmamk_f32 s6, s83, 0x0, s6
	s_wait_alu 0xfffe
	v_s_rcp_f32 s6, s6
	s_delay_alu instid0(TRANS32_DEP_1) | instskip(SKIP_1) | instid1(SALU_CYCLE_2)
	s_mul_f32 s6, s6, 0x5f7ffffc
	s_wait_alu 0xfffe
	s_mul_f32 s7, s6, 0x2f800000
	s_wait_alu 0xfffe
	s_delay_alu instid0(SALU_CYCLE_2) | instskip(SKIP_1) | instid1(SALU_CYCLE_2)
	s_trunc_f32 s7, s7
	s_wait_alu 0xfffe
	s_fmamk_f32 s6, s7, 0xcf800000, s6
	s_cvt_u32_f32 s7, s7
	s_wait_alu 0xfffe
	s_delay_alu instid0(SALU_CYCLE_1) | instskip(SKIP_1) | instid1(SALU_CYCLE_2)
	s_cvt_u32_f32 s6, s6
	s_wait_alu 0xfffe
	s_mul_u64 s[62:63], s[10:11], s[6:7]
	s_wait_alu 0xfffe
	s_mul_hi_u32 s65, s6, s63
	s_mul_i32 s64, s6, s63
	s_mul_hi_u32 s44, s6, s62
	s_mul_i32 s66, s7, s62
	s_wait_alu 0xfffe
	s_add_nc_u64 s[64:65], s[44:45], s[64:65]
	s_mul_hi_u32 s13, s7, s62
	s_mul_hi_u32 s67, s7, s63
	s_wait_alu 0xfffe
	s_add_co_u32 s44, s64, s66
	s_add_co_ci_u32 s44, s65, s13
	s_mul_i32 s62, s7, s63
	s_add_co_ci_u32 s63, s67, 0
	s_wait_alu 0xfffe
	s_add_nc_u64 s[62:63], s[44:45], s[62:63]
	s_wait_alu 0xfffe
	s_add_co_u32 s6, s6, s62
	s_cselect_b32 s13, -1, 0
	s_wait_alu 0xfffe
	s_cmp_lg_u32 s13, 0
	s_add_co_ci_u32 s7, s7, s63
	s_wait_alu 0xfffe
	s_mul_u64 s[10:11], s[10:11], s[6:7]
	s_wait_alu 0xfffe
	s_mul_hi_u32 s63, s6, s11
	s_mul_i32 s62, s6, s11
	s_mul_hi_u32 s44, s6, s10
	s_mul_i32 s64, s7, s10
	s_wait_alu 0xfffe
	s_add_nc_u64 s[62:63], s[44:45], s[62:63]
	s_mul_hi_u32 s13, s7, s10
	s_mul_hi_u32 s65, s7, s11
	s_mul_i32 s10, s7, s11
	s_wait_alu 0xfffe
	s_add_co_u32 s11, s62, s64
	s_add_co_ci_u32 s44, s63, s13
	s_add_co_ci_u32 s11, s65, 0
	s_wait_alu 0xfffe
	s_add_nc_u64 s[10:11], s[44:45], s[10:11]
	s_wait_alu 0xfffe
	s_add_co_u32 s6, s6, s10
	s_cselect_b32 s10, -1, 0
	s_wait_alu 0xfffe
	s_mul_hi_u32 s44, s52, s6
	s_cmp_lg_u32 s10, 0
	s_mul_hi_u32 s13, s53, s6
	s_add_co_ci_u32 s10, s7, s11
	s_mul_i32 s11, s53, s6
	s_wait_alu 0xfffe
	s_mul_hi_u32 s7, s52, s10
	s_mul_i32 s6, s52, s10
	s_mul_hi_u32 s62, s53, s10
	s_wait_alu 0xfffe
	s_add_nc_u64 s[6:7], s[44:45], s[6:7]
	s_mul_i32 s10, s53, s10
	s_wait_alu 0xfffe
	s_add_co_u32 s6, s6, s11
	s_add_co_ci_u32 s44, s7, s13
	s_add_co_ci_u32 s11, s62, 0
	s_wait_alu 0xfffe
	s_add_nc_u64 s[6:7], s[44:45], s[10:11]
	s_wait_alu 0xfffe
	s_mul_u64 s[6:7], s[42:43], s[6:7]
	s_wait_alu 0xfffe
	s_sub_co_u32 s6, s52, s6
	s_cselect_b32 s10, -1, 0
	s_wait_alu 0xfffe
	s_cmp_lg_u32 s10, 0
	s_sub_co_ci_u32 s7, s53, s7
	s_sub_co_u32 s10, s6, s42
	s_cselect_b32 s11, -1, 0
	s_wait_alu 0xfffe
	s_cmp_lg_u32 s11, 0
	s_sub_co_ci_u32 s11, s7, 0
	;; [unrolled: 5-line block ×3, first 2 shown]
	s_cmp_ge_u32 s10, s42
	s_cselect_b32 s62, -1, 0
	s_cmp_eq_u32 s11, 0
	s_wait_alu 0xfffe
	s_cselect_b32 s62, s62, -1
	s_wait_alu 0xfffe
	s_cmp_lg_u32 s62, 0
	s_cselect_b32 s11, s44, s11
	s_cselect_b32 s10, s13, s10
	s_cmp_ge_u32 s6, s42
	s_cselect_b32 s13, -1, 0
	s_cmp_eq_u32 s7, 0
	s_wait_alu 0xfffe
	s_cselect_b32 s13, s13, -1
	s_wait_alu 0xfffe
	s_cmp_lg_u32 s13, 0
	s_cselect_b32 s7, s11, s7
	s_cselect_b32 s6, s10, s6
	s_cbranch_execnz .LBB140_250
.LBB140_249:                            ;   in Loop: Header=BB140_20 Depth=1
	v_cvt_f32_u32_e32 v4, s42
	s_sub_co_i32 s7, 0, s42
	s_delay_alu instid0(VALU_DEP_1) | instskip(NEXT) | instid1(TRANS32_DEP_1)
	v_rcp_iflag_f32_e32 v4, v4
	v_mul_f32_e32 v4, 0x4f7ffffe, v4
	s_delay_alu instid0(VALU_DEP_1) | instskip(NEXT) | instid1(VALU_DEP_1)
	v_cvt_u32_f32_e32 v4, v4
	v_readfirstlane_b32 s6, v4
	s_wait_alu 0xfffe
	s_mul_i32 s7, s7, s6
	s_wait_alu 0xfffe
	s_mul_hi_u32 s7, s6, s7
	s_wait_alu 0xfffe
	s_add_co_i32 s6, s6, s7
	s_wait_alu 0xfffe
	s_mul_hi_u32 s6, s52, s6
	s_wait_alu 0xfffe
	s_mul_i32 s6, s6, s42
	s_wait_alu 0xfffe
	s_sub_co_i32 s6, s52, s6
	s_wait_alu 0xfffe
	s_sub_co_i32 s7, s6, s42
	s_cmp_ge_u32 s6, s42
	s_wait_alu 0xfffe
	s_cselect_b32 s6, s7, s6
	s_wait_alu 0xfffe
	s_sub_co_i32 s7, s6, s42
	s_cmp_ge_u32 s6, s42
	s_wait_alu 0xfffe
	s_cselect_b32 s44, s7, s6
	s_wait_alu 0xfffe
	s_mov_b64 s[6:7], s[44:45]
.LBB140_250:                            ;   in Loop: Header=BB140_20 Depth=1
	s_wait_alu 0xfffe
	s_sub_nc_u64 s[10:11], s[52:53], s[6:7]
	s_mov_b32 s7, exec_lo
                                        ; implicit-def: $vgpr44
	s_wait_alu 0xfffe
	v_cmpx_gt_u64_e64 s[10:11], v[0:1]
	s_cbranch_execz .LBB140_259
; %bb.251:                              ;   in Loop: Header=BB140_20 Depth=1
	v_dual_mov_b32 v4, v12 :: v_dual_mov_b32 v5, v13
	v_dual_mov_b32 v9, v1 :: v_dual_mov_b32 v8, v0
	s_mov_b32 s13, 0
                                        ; implicit-def: $sgpr44
	s_branch .LBB140_254
.LBB140_252:                            ;   in Loop: Header=BB140_254 Depth=2
	s_wait_alu 0xfffe
	s_or_b32 exec_lo, exec_lo, s6
	s_wait_loadcnt_dscnt 0x0
	s_barrier_signal -1
	s_barrier_wait -1
	global_inv scope:SCOPE_SE
	ds_load_b32 v10, v3 offset:3072
	s_mov_b32 s6, -1
	s_mov_b32 s62, -1
	s_wait_loadcnt_dscnt 0x0
	s_barrier_signal -1
	s_barrier_wait -1
	global_inv scope:SCOPE_SE
	v_and_b32_e32 v11, 0x7fff, v10
	s_delay_alu instid0(VALU_DEP_1)
	v_cmp_eq_u32_e32 vcc_lo, 0, v11
	s_cbranch_vccnz .LBB140_257
.LBB140_253:                            ;   in Loop: Header=BB140_254 Depth=2
	s_wait_alu 0xfffe
	s_and_b32 s6, exec_lo, s6
	s_wait_alu 0xfffe
	s_or_b32 s13, s6, s13
	s_and_not1_b32 s6, s44, exec_lo
	s_and_b32 s44, s62, exec_lo
	s_wait_alu 0xfffe
	s_or_b32 s44, s6, s44
	s_and_not1_b32 exec_lo, exec_lo, s13
	s_cbranch_execz .LBB140_258
.LBB140_254:                            ;   Parent Loop BB140_20 Depth=1
                                        ; =>  This Inner Loop Header: Depth=2
	s_mov_b32 s6, exec_lo
	s_delay_alu instid0(VALU_DEP_1)
	v_cmpx_gt_u64_e64 s[28:29], v[8:9]
	s_cbranch_execz .LBB140_252
; %bb.255:                              ;   in Loop: Header=BB140_254 Depth=2
	global_load_u16 v10, v[4:5], off
	s_wait_loadcnt 0x0
	v_cmp_lt_i16_e32 vcc_lo, -1, v10
	v_and_b32_e32 v11, 0xffff, v10
	v_lshlrev_b32_e32 v27, 16, v10
	s_wait_alu 0xfffd
	v_cndmask_b32_e32 v26, 0xffff, v42, vcc_lo
	s_delay_alu instid0(VALU_DEP_2) | instskip(NEXT) | instid1(VALU_DEP_2)
	v_cmp_o_f32_e32 vcc_lo, v27, v27
	v_xor_b32_e32 v11, v26, v11
	s_wait_alu 0xfffd
	s_delay_alu instid0(VALU_DEP_1) | instskip(NEXT) | instid1(VALU_DEP_1)
	v_cndmask_b32_e32 v11, 0xffff, v11, vcc_lo
	v_and_b32_e32 v11, v11, v43
	s_delay_alu instid0(VALU_DEP_1)
	v_cmp_eq_u32_e32 vcc_lo, v11, v20
	s_and_b32 exec_lo, exec_lo, vcc_lo
	s_cbranch_execz .LBB140_252
; %bb.256:                              ;   in Loop: Header=BB140_254 Depth=2
	v_perm_b32 v10, v10, s86, 0x5040100
	ds_store_b32 v3, v10 offset:3072
	s_branch .LBB140_252
.LBB140_257:                            ;   in Loop: Header=BB140_254 Depth=2
	v_add_co_u32 v8, vcc_lo, v8, s42
	s_wait_alu 0xfffd
	v_add_co_ci_u32_e64 v9, null, 0, v9, vcc_lo
	v_add_co_u32 v4, s6, v4, s46
	s_wait_alu 0xf1fe
	v_add_co_ci_u32_e64 v5, null, s47, v5, s6
	s_delay_alu instid0(VALU_DEP_3)
	v_cmp_le_u64_e32 vcc_lo, s[10:11], v[8:9]
	s_mov_b32 s62, 0
	s_or_not1_b32 s6, vcc_lo, exec_lo
	s_branch .LBB140_253
.LBB140_258:                            ;   in Loop: Header=BB140_20 Depth=1
	s_or_b32 exec_lo, exec_lo, s13
	v_lshrrev_b32_e32 v44, 16, v10
	s_and_not1_b32 s6, s12, exec_lo
	s_wait_alu 0xfffe
	s_and_b32 s10, s44, exec_lo
	s_wait_alu 0xfffe
	s_or_b32 s12, s6, s10
.LBB140_259:                            ;   in Loop: Header=BB140_20 Depth=1
	s_or_b32 exec_lo, exec_lo, s7
	s_mov_b32 s62, 0
	s_mov_b32 s63, -1
.LBB140_260:                            ;   in Loop: Header=BB140_20 Depth=1
	s_wait_alu 0xfffe
	s_or_not1_b32 s7, s12, exec_lo
.LBB140_261:                            ;   in Loop: Header=BB140_20 Depth=1
	s_or_b32 exec_lo, exec_lo, s61
	s_mov_b32 s10, 0
	s_wait_alu 0xfffe
	s_and_saveexec_b32 s6, s7
	s_cbranch_execz .LBB140_272
; %bb.262:                              ;   in Loop: Header=BB140_20 Depth=1
	v_mov_b32_e32 v4, 1
	v_dual_mov_b32 v5, 0 :: v_dual_mov_b32 v2, 1
	s_xor_b32 s10, s20, -1
	s_wait_alu 0xfffe
	s_and_saveexec_b32 s7, s10
	s_cbranch_execz .LBB140_271
; %bb.263:                              ;   in Loop: Header=BB140_20 Depth=1
	s_mov_b32 s10, exec_lo
	v_cmpx_ge_u64_e64 s[8:9], v[6:7]
	s_wait_alu 0xfffe
	s_xor_b32 s10, exec_lo, s10
	s_cbranch_execz .LBB140_268
; %bb.264:                              ;   in Loop: Header=BB140_20 Depth=1
	ds_load_b64 v[4:5], v3 offset:5120
	v_or_b32_e32 v20, s16, v20
	v_or_b32_e32 v43, s16, v43
	s_wait_dscnt 0x0
	v_cmp_ne_u64_e32 vcc_lo, 0, v[4:5]
	s_cbranch_vccnz .LBB140_268
; %bb.265:                              ;   in Loop: Header=BB140_20 Depth=1
	s_and_saveexec_b32 s11, s3
; %bb.266:                              ;   in Loop: Header=BB140_20 Depth=1
	v_dual_mov_b32 v4, s8 :: v_dual_mov_b32 v5, s9
	ds_store_b64 v3, v[4:5] offset:5128
; %bb.267:                              ;   in Loop: Header=BB140_20 Depth=1
	s_wait_alu 0xfffe
	s_or_b32 exec_lo, exec_lo, s11
	s_wait_loadcnt_dscnt 0x0
	s_barrier_signal -1
	s_barrier_wait -1
	global_inv scope:SCOPE_SE
.LBB140_268:                            ;   in Loop: Header=BB140_20 Depth=1
	s_wait_alu 0xfffe
	s_and_not1_saveexec_b32 s10, s10
; %bb.269:                              ;   in Loop: Header=BB140_20 Depth=1
	v_sub_co_u32 v6, vcc_lo, v6, s8
	s_wait_alu 0xfffd
	v_subrev_co_ci_u32_e64 v7, null, s9, v7, vcc_lo
; %bb.270:                              ;   in Loop: Header=BB140_20 Depth=1
	s_wait_alu 0xfffe
	s_or_b32 exec_lo, exec_lo, s10
	v_mov_b32_e32 v4, v6
	s_delay_alu instid0(VALU_DEP_2)
	v_dual_mov_b32 v2, 8 :: v_dual_mov_b32 v5, v7
.LBB140_271:                            ;   in Loop: Header=BB140_20 Depth=1
	s_wait_alu 0xfffe
	s_or_b32 exec_lo, exec_lo, s7
	s_delay_alu instid0(VALU_DEP_1)
	v_dual_mov_b32 v7, v5 :: v_dual_mov_b32 v6, v4
	s_mov_b32 s10, exec_lo
.LBB140_272:                            ;   in Loop: Header=BB140_20 Depth=1
	s_wait_alu 0xfffe
	s_or_b32 exec_lo, exec_lo, s6
	s_delay_alu instid0(SALU_CYCLE_1)
	s_or_not1_b32 s6, s10, exec_lo
.LBB140_273:                            ;   in Loop: Header=BB140_20 Depth=1
	s_wait_alu 0xfffe
	s_or_b32 exec_lo, exec_lo, s15
	v_dual_mov_b32 v4, v6 :: v_dual_mov_b32 v5, v7
	s_and_not1_b32 s7, s60, exec_lo
	s_and_b32 s8, s63, exec_lo
	s_and_not1_b32 s9, s25, exec_lo
	s_and_b32 s10, s62, exec_lo
	s_wait_alu 0xfffe
	s_or_b32 s60, s7, s8
	s_or_b32 s25, s9, s10
	s_and_b32 s7, s6, exec_lo
.LBB140_274:                            ;   in Loop: Header=BB140_20 Depth=1
	s_wait_alu 0xfffe
	s_or_b32 exec_lo, exec_lo, s14
	s_delay_alu instid0(SALU_CYCLE_1)
	s_or_not1_b32 s6, s7, exec_lo
.LBB140_275:                            ;   in Loop: Header=BB140_20 Depth=1
	s_wait_alu 0xfffe
	s_or_b32 exec_lo, exec_lo, s24
	v_dual_mov_b32 v9, v5 :: v_dual_mov_b32 v8, v4
	s_and_not1_b32 s7, s22, exec_lo
	s_and_b32 s8, s60, exec_lo
	s_and_not1_b32 s9, s21, exec_lo
	s_and_b32 s10, s25, exec_lo
	s_wait_alu 0xfffe
	s_or_b32 s22, s7, s8
	s_or_b32 s21, s9, s10
	s_and_b32 s7, s6, exec_lo
.LBB140_276:                            ;   in Loop: Header=BB140_20 Depth=1
	s_wait_alu 0xfffe
	s_or_b32 exec_lo, exec_lo, s23
	s_delay_alu instid0(SALU_CYCLE_1)
	s_or_not1_b32 s6, s7, exec_lo
.LBB140_277:                            ;   in Loop: Header=BB140_20 Depth=1
	s_or_b32 exec_lo, exec_lo, s19
	s_mov_b32 s7, 0
	s_wait_alu 0xfffe
	s_and_saveexec_b32 s8, s6
	s_wait_alu 0xfffe
	s_xor_b32 s6, exec_lo, s8
	s_cbranch_execz .LBB140_18
; %bb.278:                              ;   in Loop: Header=BB140_20 Depth=1
	v_and_b32_e32 v2, 7, v2
	s_mov_b32 s8, -1
	s_mov_b32 s7, -1
	s_mov_b32 s9, exec_lo
	s_delay_alu instid0(VALU_DEP_1)
	v_cmpx_eq_u32_e32 0, v2
	s_cbranch_execz .LBB140_17
; %bb.279:                              ;   in Loop: Header=BB140_20 Depth=1
	s_xor_b32 s87, s87, 1
	s_add_co_i32 s10, s84, -2
	s_cmp_eq_u32 s84, 0
	s_wait_alu 0xfffe
	s_mov_b32 s84, s10
	s_cselect_b32 s8, -1, 0
	s_xor_b32 s7, exec_lo, -1
	s_wait_alu 0xfffe
	s_or_not1_b32 s8, s8, exec_lo
	s_branch .LBB140_17
.LBB140_280:                            ;   in Loop: Header=BB140_20 Depth=1
                                        ; implicit-def: $sgpr12_sgpr13
	s_branch .LBB140_233
.LBB140_281:                            ;   in Loop: Header=BB140_20 Depth=1
                                        ; implicit-def: $sgpr6_sgpr7
	s_branch .LBB140_249
.LBB140_282:
	s_or_b32 exec_lo, exec_lo, s85
	s_xor_b32 s3, s93, -1
	s_xor_b32 s1, s91, -1
	;; [unrolled: 1-line block ×3, first 2 shown]
	s_mov_b32 s0, 0
	s_and_saveexec_b32 s5, s1
	s_wait_alu 0xfffe
	s_xor_b32 s1, exec_lo, s5
	s_cbranch_execnz .LBB140_287
; %bb.283:
	s_and_not1_saveexec_b32 s1, s1
	s_cbranch_execnz .LBB140_300
.LBB140_284:
	s_wait_alu 0xfffe
	s_or_b32 exec_lo, exec_lo, s1
	s_and_saveexec_b32 s1, s0
.LBB140_285:
	; divergent unreachable
.LBB140_286:
	s_endpgm
.LBB140_287:
	s_and_saveexec_b32 s0, s3
	s_delay_alu instid0(SALU_CYCLE_1)
	s_xor_b32 s3, exec_lo, s0
	s_cbranch_execz .LBB140_298
; %bb.288:
	s_and_saveexec_b32 s0, s4
	s_delay_alu instid0(SALU_CYCLE_1)
	s_xor_b32 s0, exec_lo, s0
; %bb.289:
	v_and_b32_e32 v2, 0x8000, v20
	v_mov_b32_e32 v3, 0xffff
	s_delay_alu instid0(VALU_DEP_2) | instskip(SKIP_1) | instid1(VALU_DEP_2)
	v_cmp_eq_u32_e32 vcc_lo, 0, v2
	s_wait_alu 0xfffd
	v_cndmask_b32_e32 v2, 0x8000, v3, vcc_lo
	s_delay_alu instid0(VALU_DEP_1)
	v_xor_b32_e32 v44, v2, v20
; %bb.290:
	s_or_b32 exec_lo, exec_lo, s0
	s_mul_u64 s[4:5], s[40:41], s[26:27]
	v_mov_b32_e32 v2, 0
	s_wait_alu 0xfffe
	s_lshl_b64 s[4:5], s[4:5], 1
	s_wait_alu 0xfffe
	s_add_nc_u64 s[4:5], s[38:39], s[4:5]
	global_store_b16 v2, v44, s[4:5]
	s_and_saveexec_b32 s4, s2
	s_cbranch_execz .LBB140_297
; %bb.291:
	v_lshlrev_b32_e32 v4, 16, v44
	s_mov_b32 s2, 0
                                        ; implicit-def: $sgpr5
                                        ; implicit-def: $sgpr8
                                        ; implicit-def: $sgpr7
	s_delay_alu instid0(VALU_DEP_1)
	v_cmp_u_f32_e32 vcc_lo, v4, v4
	s_xor_b32 s6, vcc_lo, -1
	s_branch .LBB140_293
.LBB140_292:                            ;   in Loop: Header=BB140_293 Depth=1
	s_wait_alu 0xfffe
	s_or_b32 exec_lo, exec_lo, s9
	s_delay_alu instid0(SALU_CYCLE_1)
	s_and_b32 s0, exec_lo, s8
	s_wait_alu 0xfffe
	s_or_b32 s2, s0, s2
	s_and_not1_b32 s0, s5, exec_lo
	s_and_b32 s5, s7, exec_lo
	s_wait_alu 0xfffe
	s_or_b32 s5, s0, s5
	s_and_not1_b32 exec_lo, exec_lo, s2
	s_cbranch_execz .LBB140_295
.LBB140_293:                            ; =>This Inner Loop Header: Depth=1
	global_load_u16 v2, v[12:13], off
	s_or_b32 s7, s7, exec_lo
	s_or_b32 s8, s8, exec_lo
	s_wait_loadcnt 0x0
	v_lshlrev_b32_e32 v2, 16, v2
	s_delay_alu instid0(VALU_DEP_1)
	v_cmp_o_f32_e32 vcc_lo, v2, v2
	v_cmp_neq_f32_e64 s0, v2, v4
	v_dual_mov_b32 v3, v1 :: v_dual_mov_b32 v2, v0
                                        ; implicit-def: $vgpr0_vgpr1
	s_wait_alu 0xfffe
	s_or_b32 s9, s6, vcc_lo
	s_wait_alu 0xfffe
	s_and_b32 s0, s0, s9
	s_wait_alu 0xfffe
	s_and_saveexec_b32 s9, s0
	s_cbranch_execz .LBB140_292
; %bb.294:                              ;   in Loop: Header=BB140_293 Depth=1
	v_add_co_u32 v0, vcc_lo, v2, s42
	s_wait_alu 0xfffd
	v_add_co_ci_u32_e64 v1, null, 0, v3, vcc_lo
	v_add_co_u32 v12, s0, v12, s46
	s_wait_alu 0xf1ff
	v_add_co_ci_u32_e64 v13, null, s47, v13, s0
	s_delay_alu instid0(VALU_DEP_3)
	v_cmp_le_u64_e32 vcc_lo, s[28:29], v[0:1]
	s_and_not1_b32 s0, s8, exec_lo
	s_and_not1_b32 s7, s7, exec_lo
	s_and_b32 s8, vcc_lo, exec_lo
	s_wait_alu 0xfffe
	s_or_b32 s8, s0, s8
	s_branch .LBB140_292
.LBB140_295:
	s_or_b32 exec_lo, exec_lo, s2
	s_wait_alu 0xfffe
	s_and_saveexec_b32 s0, s5
	s_wait_alu 0xfffe
	s_xor_b32 s0, exec_lo, s0
	s_cbranch_execz .LBB140_297
; %bb.296:
	s_mul_u64 s[6:7], s[34:35], s[26:27]
	v_mov_b32_e32 v0, 0
	s_wait_alu 0xfffe
	s_lshl_b64 s[6:7], s[6:7], 3
	s_wait_alu 0xfffe
	s_add_nc_u64 s[6:7], s[30:31], s[6:7]
	global_store_b64 v0, v[2:3], s[6:7]
.LBB140_297:
	s_wait_alu 0xfffe
	s_or_b32 exec_lo, exec_lo, s4
.LBB140_298:
	s_wait_alu 0xfffe
	s_or_saveexec_b32 s0, s3
	s_mov_b32 s2, 0
	s_wait_alu 0xfffe
	s_xor_b32 exec_lo, exec_lo, s0
	s_cbranch_execnz .LBB140_301
.LBB140_299:
	s_or_b32 exec_lo, exec_lo, s0
	s_wait_alu 0xfffe
	s_and_b32 s0, s2, exec_lo
	s_and_not1_saveexec_b32 s1, s1
	s_cbranch_execz .LBB140_284
.LBB140_300:
	s_wait_alu 0xfffe
	s_or_b32 s0, s0, exec_lo
	s_trap 2
	s_or_b32 exec_lo, exec_lo, s1
	s_wait_alu 0xfffe
	s_and_saveexec_b32 s1, s0
	s_cbranch_execnz .LBB140_285
	s_branch .LBB140_286
.LBB140_301:
	s_mov_b32 s2, exec_lo
	s_trap 2
	s_branch .LBB140_299
	.section	.rodata,"a",@progbits
	.p2align	6, 0x0
	.amdhsa_kernel _ZN2at6native12_GLOBAL__N_112gatherMedianIN3c108BFloat16EmLi1EEEvNS_4cuda6detail10TensorInfoIT_T0_EENS7_IlS9_EENS7_IKS8_S9_EES9_S9_S9_b
		.amdhsa_group_segment_fixed_size 5152
		.amdhsa_private_segment_fixed_size 0
		.amdhsa_kernarg_size 1536
		.amdhsa_user_sgpr_count 2
		.amdhsa_user_sgpr_dispatch_ptr 0
		.amdhsa_user_sgpr_queue_ptr 0
		.amdhsa_user_sgpr_kernarg_segment_ptr 1
		.amdhsa_user_sgpr_dispatch_id 0
		.amdhsa_user_sgpr_private_segment_size 0
		.amdhsa_wavefront_size32 1
		.amdhsa_uses_dynamic_stack 0
		.amdhsa_enable_private_segment 0
		.amdhsa_system_sgpr_workgroup_id_x 1
		.amdhsa_system_sgpr_workgroup_id_y 1
		.amdhsa_system_sgpr_workgroup_id_z 1
		.amdhsa_system_sgpr_workgroup_info 0
		.amdhsa_system_vgpr_workitem_id 0
		.amdhsa_next_free_vgpr 55
		.amdhsa_next_free_sgpr 94
		.amdhsa_reserve_vcc 1
		.amdhsa_float_round_mode_32 0
		.amdhsa_float_round_mode_16_64 0
		.amdhsa_float_denorm_mode_32 3
		.amdhsa_float_denorm_mode_16_64 3
		.amdhsa_fp16_overflow 0
		.amdhsa_workgroup_processor_mode 1
		.amdhsa_memory_ordered 1
		.amdhsa_forward_progress 1
		.amdhsa_inst_pref_size 153
		.amdhsa_round_robin_scheduling 0
		.amdhsa_exception_fp_ieee_invalid_op 0
		.amdhsa_exception_fp_denorm_src 0
		.amdhsa_exception_fp_ieee_div_zero 0
		.amdhsa_exception_fp_ieee_overflow 0
		.amdhsa_exception_fp_ieee_underflow 0
		.amdhsa_exception_fp_ieee_inexact 0
		.amdhsa_exception_int_div_zero 0
	.end_amdhsa_kernel
	.section	.text._ZN2at6native12_GLOBAL__N_112gatherMedianIN3c108BFloat16EmLi1EEEvNS_4cuda6detail10TensorInfoIT_T0_EENS7_IlS9_EENS7_IKS8_S9_EES9_S9_S9_b,"axG",@progbits,_ZN2at6native12_GLOBAL__N_112gatherMedianIN3c108BFloat16EmLi1EEEvNS_4cuda6detail10TensorInfoIT_T0_EENS7_IlS9_EENS7_IKS8_S9_EES9_S9_S9_b,comdat
.Lfunc_end140:
	.size	_ZN2at6native12_GLOBAL__N_112gatherMedianIN3c108BFloat16EmLi1EEEvNS_4cuda6detail10TensorInfoIT_T0_EENS7_IlS9_EENS7_IKS8_S9_EES9_S9_S9_b, .Lfunc_end140-_ZN2at6native12_GLOBAL__N_112gatherMedianIN3c108BFloat16EmLi1EEEvNS_4cuda6detail10TensorInfoIT_T0_EENS7_IlS9_EENS7_IKS8_S9_EES9_S9_S9_b
                                        ; -- End function
	.set _ZN2at6native12_GLOBAL__N_112gatherMedianIN3c108BFloat16EmLi1EEEvNS_4cuda6detail10TensorInfoIT_T0_EENS7_IlS9_EENS7_IKS8_S9_EES9_S9_S9_b.num_vgpr, 55
	.set _ZN2at6native12_GLOBAL__N_112gatherMedianIN3c108BFloat16EmLi1EEEvNS_4cuda6detail10TensorInfoIT_T0_EENS7_IlS9_EENS7_IKS8_S9_EES9_S9_S9_b.num_agpr, 0
	.set _ZN2at6native12_GLOBAL__N_112gatherMedianIN3c108BFloat16EmLi1EEEvNS_4cuda6detail10TensorInfoIT_T0_EENS7_IlS9_EENS7_IKS8_S9_EES9_S9_S9_b.numbered_sgpr, 94
	.set _ZN2at6native12_GLOBAL__N_112gatherMedianIN3c108BFloat16EmLi1EEEvNS_4cuda6detail10TensorInfoIT_T0_EENS7_IlS9_EENS7_IKS8_S9_EES9_S9_S9_b.num_named_barrier, 0
	.set _ZN2at6native12_GLOBAL__N_112gatherMedianIN3c108BFloat16EmLi1EEEvNS_4cuda6detail10TensorInfoIT_T0_EENS7_IlS9_EENS7_IKS8_S9_EES9_S9_S9_b.private_seg_size, 0
	.set _ZN2at6native12_GLOBAL__N_112gatherMedianIN3c108BFloat16EmLi1EEEvNS_4cuda6detail10TensorInfoIT_T0_EENS7_IlS9_EENS7_IKS8_S9_EES9_S9_S9_b.uses_vcc, 1
	.set _ZN2at6native12_GLOBAL__N_112gatherMedianIN3c108BFloat16EmLi1EEEvNS_4cuda6detail10TensorInfoIT_T0_EENS7_IlS9_EENS7_IKS8_S9_EES9_S9_S9_b.uses_flat_scratch, 0
	.set _ZN2at6native12_GLOBAL__N_112gatherMedianIN3c108BFloat16EmLi1EEEvNS_4cuda6detail10TensorInfoIT_T0_EENS7_IlS9_EENS7_IKS8_S9_EES9_S9_S9_b.has_dyn_sized_stack, 0
	.set _ZN2at6native12_GLOBAL__N_112gatherMedianIN3c108BFloat16EmLi1EEEvNS_4cuda6detail10TensorInfoIT_T0_EENS7_IlS9_EENS7_IKS8_S9_EES9_S9_S9_b.has_recursion, 0
	.set _ZN2at6native12_GLOBAL__N_112gatherMedianIN3c108BFloat16EmLi1EEEvNS_4cuda6detail10TensorInfoIT_T0_EENS7_IlS9_EENS7_IKS8_S9_EES9_S9_S9_b.has_indirect_call, 0
	.section	.AMDGPU.csdata,"",@progbits
; Kernel info:
; codeLenInByte = 19508
; TotalNumSgprs: 96
; NumVgprs: 55
; ScratchSize: 0
; MemoryBound: 0
; FloatMode: 240
; IeeeMode: 1
; LDSByteSize: 5152 bytes/workgroup (compile time only)
; SGPRBlocks: 0
; VGPRBlocks: 6
; NumSGPRsForWavesPerEU: 96
; NumVGPRsForWavesPerEU: 55
; Occupancy: 16
; WaveLimiterHint : 1
; COMPUTE_PGM_RSRC2:SCRATCH_EN: 0
; COMPUTE_PGM_RSRC2:USER_SGPR: 2
; COMPUTE_PGM_RSRC2:TRAP_HANDLER: 0
; COMPUTE_PGM_RSRC2:TGID_X_EN: 1
; COMPUTE_PGM_RSRC2:TGID_Y_EN: 1
; COMPUTE_PGM_RSRC2:TGID_Z_EN: 1
; COMPUTE_PGM_RSRC2:TIDIG_COMP_CNT: 0
	.section	.text._ZN2at6native12_GLOBAL__N_112gatherMedianIN3c108BFloat16EmLi2EEEvNS_4cuda6detail10TensorInfoIT_T0_EENS7_IlS9_EENS7_IKS8_S9_EES9_S9_S9_b,"axG",@progbits,_ZN2at6native12_GLOBAL__N_112gatherMedianIN3c108BFloat16EmLi2EEEvNS_4cuda6detail10TensorInfoIT_T0_EENS7_IlS9_EENS7_IKS8_S9_EES9_S9_S9_b,comdat
	.globl	_ZN2at6native12_GLOBAL__N_112gatherMedianIN3c108BFloat16EmLi2EEEvNS_4cuda6detail10TensorInfoIT_T0_EENS7_IlS9_EENS7_IKS8_S9_EES9_S9_S9_b ; -- Begin function _ZN2at6native12_GLOBAL__N_112gatherMedianIN3c108BFloat16EmLi2EEEvNS_4cuda6detail10TensorInfoIT_T0_EENS7_IlS9_EENS7_IKS8_S9_EES9_S9_S9_b
	.p2align	8
	.type	_ZN2at6native12_GLOBAL__N_112gatherMedianIN3c108BFloat16EmLi2EEEvNS_4cuda6detail10TensorInfoIT_T0_EENS7_IlS9_EENS7_IKS8_S9_EES9_S9_S9_b,@function
_ZN2at6native12_GLOBAL__N_112gatherMedianIN3c108BFloat16EmLi2EEEvNS_4cuda6detail10TensorInfoIT_T0_EENS7_IlS9_EENS7_IKS8_S9_EES9_S9_S9_b: ; @_ZN2at6native12_GLOBAL__N_112gatherMedianIN3c108BFloat16EmLi2EEEvNS_4cuda6detail10TensorInfoIT_T0_EENS7_IlS9_EENS7_IKS8_S9_EES9_S9_S9_b
; %bb.0:
	s_clause 0x1
	s_load_b64 s[8:9], s[0:1], 0x500
	s_load_b128 s[20:23], s[0:1], 0x4e0
	s_lshr_b32 s2, ttmp7, 16
	s_and_b32 s3, ttmp7, 0xffff
	s_mov_b32 s35, 0
	s_wait_kmcnt 0x0
	s_mul_i32 s2, s9, s2
	s_delay_alu instid0(SALU_CYCLE_1) | instskip(NEXT) | instid1(SALU_CYCLE_1)
	s_add_co_i32 s2, s2, s3
	s_mul_i32 s2, s2, s8
	s_delay_alu instid0(SALU_CYCLE_1) | instskip(NEXT) | instid1(SALU_CYCLE_1)
	s_add_co_i32 s34, s2, ttmp9
	v_cmp_le_u64_e64 s2, s[22:23], s[34:35]
	s_and_b32 vcc_lo, exec_lo, s2
	s_cbranch_vccnz .LBB141_292
; %bb.1:
	s_clause 0x2
	s_load_b64 s[40:41], s[0:1], 0x10
	s_load_b64 s[36:37], s[0:1], 0x4f0
	;; [unrolled: 1-line block ×3, first 2 shown]
	s_mov_b64 s[38:39], 0
	s_mov_b64 s[42:43], 0
	s_wait_kmcnt 0x0
	v_cmp_lt_u64_e64 s2, s[34:35], s[40:41]
	s_and_b32 vcc_lo, exec_lo, s2
	s_cbranch_vccnz .LBB141_3
; %bb.2:
	v_cvt_f32_u32_e32 v1, s40
	s_sub_co_i32 s3, 0, s40
	s_mov_b32 s43, 0
	s_delay_alu instid0(VALU_DEP_1) | instskip(NEXT) | instid1(TRANS32_DEP_1)
	v_rcp_iflag_f32_e32 v1, v1
	v_mul_f32_e32 v1, 0x4f7ffffe, v1
	s_delay_alu instid0(VALU_DEP_1) | instskip(NEXT) | instid1(VALU_DEP_1)
	v_cvt_u32_f32_e32 v1, v1
	v_readfirstlane_b32 s2, v1
	s_mul_i32 s3, s3, s2
	s_delay_alu instid0(SALU_CYCLE_1) | instskip(NEXT) | instid1(SALU_CYCLE_1)
	s_mul_hi_u32 s3, s2, s3
	s_add_co_i32 s2, s2, s3
	s_delay_alu instid0(SALU_CYCLE_1) | instskip(NEXT) | instid1(SALU_CYCLE_1)
	s_mul_hi_u32 s2, s34, s2
	s_mul_i32 s3, s2, s40
	s_add_co_i32 s4, s2, 1
	s_sub_co_i32 s3, s34, s3
	s_delay_alu instid0(SALU_CYCLE_1)
	s_sub_co_i32 s5, s3, s40
	s_cmp_ge_u32 s3, s40
	s_cselect_b32 s2, s4, s2
	s_cselect_b32 s3, s5, s3
	s_add_co_i32 s4, s2, 1
	s_cmp_ge_u32 s3, s40
	s_cselect_b32 s42, s4, s2
.LBB141_3:
	s_load_b64 s[2:3], s[0:1], 0x350
	v_cmp_lt_u64_e64 s4, s[34:35], s[22:23]
	s_and_b32 vcc_lo, exec_lo, s4
	s_cbranch_vccnz .LBB141_5
; %bb.4:
	v_cvt_f32_u32_e32 v1, s22
	s_sub_co_i32 s5, 0, s22
	s_mov_b32 s39, 0
	s_delay_alu instid0(VALU_DEP_1) | instskip(NEXT) | instid1(TRANS32_DEP_1)
	v_rcp_iflag_f32_e32 v1, v1
	v_mul_f32_e32 v1, 0x4f7ffffe, v1
	s_delay_alu instid0(VALU_DEP_1) | instskip(NEXT) | instid1(VALU_DEP_1)
	v_cvt_u32_f32_e32 v1, v1
	v_readfirstlane_b32 s4, v1
	s_mul_i32 s5, s5, s4
	s_delay_alu instid0(SALU_CYCLE_1) | instskip(NEXT) | instid1(SALU_CYCLE_1)
	s_mul_hi_u32 s5, s4, s5
	s_add_co_i32 s4, s4, s5
	s_delay_alu instid0(SALU_CYCLE_1) | instskip(NEXT) | instid1(SALU_CYCLE_1)
	s_mul_hi_u32 s4, s34, s4
	s_mul_i32 s5, s4, s22
	s_add_co_i32 s6, s4, 1
	s_sub_co_i32 s5, s34, s5
	s_delay_alu instid0(SALU_CYCLE_1)
	s_sub_co_i32 s7, s5, s22
	s_cmp_ge_u32 s5, s22
	s_cselect_b32 s4, s6, s4
	s_cselect_b32 s5, s7, s5
	s_add_co_i32 s6, s4, 1
	s_cmp_ge_u32 s5, s22
	s_cselect_b32 s38, s6, s4
.LBB141_5:
	s_clause 0x1
	s_load_b128 s[4:7], s[0:1], 0x410
	s_load_b64 s[10:11], s[0:1], 0x340
	s_wait_kmcnt 0x0
	v_cmp_lt_u64_e64 s9, s[34:35], s[2:3]
	s_mov_b64 s[12:13], 0
	s_and_b32 vcc_lo, exec_lo, s9
	s_cbranch_vccnz .LBB141_7
; %bb.6:
	v_cvt_f32_u32_e32 v1, s2
	s_sub_co_i32 s12, 0, s2
	s_delay_alu instid0(VALU_DEP_1) | instskip(NEXT) | instid1(TRANS32_DEP_1)
	v_rcp_iflag_f32_e32 v1, v1
	v_mul_f32_e32 v1, 0x4f7ffffe, v1
	s_delay_alu instid0(VALU_DEP_1) | instskip(NEXT) | instid1(VALU_DEP_1)
	v_cvt_u32_f32_e32 v1, v1
	v_readfirstlane_b32 s9, v1
	s_mul_i32 s12, s12, s9
	s_delay_alu instid0(SALU_CYCLE_1) | instskip(NEXT) | instid1(SALU_CYCLE_1)
	s_mul_hi_u32 s12, s9, s12
	s_add_co_i32 s9, s9, s12
	s_delay_alu instid0(SALU_CYCLE_1) | instskip(NEXT) | instid1(SALU_CYCLE_1)
	s_mul_hi_u32 s9, s34, s9
	s_mul_i32 s12, s9, s2
	s_add_co_i32 s13, s9, 1
	s_sub_co_i32 s12, s34, s12
	s_delay_alu instid0(SALU_CYCLE_1)
	s_sub_co_i32 s14, s12, s2
	s_cmp_ge_u32 s12, s2
	s_cselect_b32 s9, s13, s9
	s_cselect_b32 s12, s14, s12
	s_add_co_i32 s14, s9, 1
	s_cmp_ge_u32 s12, s2
	s_mov_b32 s13, 0
	s_cselect_b32 s12, s14, s9
.LBB141_7:
	v_dual_mov_b32 v1, 0 :: v_dual_mov_b32 v2, 0
	s_mul_u64 s[2:3], s[12:13], s[2:3]
	s_mul_u64 s[4:5], s[12:13], s[4:5]
	s_wait_alu 0xfffe
	s_sub_nc_u64 s[2:3], s[34:35], s[2:3]
	s_lshl_b64 s[4:5], s[4:5], 1
	s_wait_alu 0xfffe
	s_mul_u64 s[6:7], s[2:3], s[6:7]
	v_cmp_gt_u64_e64 s2, s[20:21], v[0:1]
	v_mov_b32_e32 v3, 0
	s_add_nc_u64 s[4:5], s[10:11], s[4:5]
	s_lshl_b64 s[10:11], s[6:7], 1
	s_add_nc_u64 s[6:7], s[0:1], 0x500
	s_add_nc_u64 s[44:45], s[4:5], s[10:11]
	s_and_saveexec_b32 s4, s2
	s_cbranch_execz .LBB141_11
; %bb.8:
	s_load_b32 s3, s[6:7], 0xc
	v_dual_mov_b32 v2, 0 :: v_dual_mov_b32 v5, v1
	v_dual_mov_b32 v3, 0 :: v_dual_mov_b32 v4, v0
	s_mov_b32 s5, 0
	s_wait_kmcnt 0x0
	s_and_b32 s9, s3, 0xffff
.LBB141_9:                              ; =>This Inner Loop Header: Depth=1
	v_mul_lo_u32 v8, v5, s36
	v_mul_lo_u32 v9, v4, s37
	v_mad_co_u64_u32 v[6:7], null, v4, s36, 0
	s_delay_alu instid0(VALU_DEP_1) | instskip(NEXT) | instid1(VALU_DEP_1)
	v_add3_u32 v7, v7, v9, v8
	v_lshlrev_b64_e32 v[6:7], 1, v[6:7]
	s_delay_alu instid0(VALU_DEP_1) | instskip(SKIP_1) | instid1(VALU_DEP_2)
	v_add_co_u32 v6, vcc_lo, s44, v6
	s_wait_alu 0xfffd
	v_add_co_ci_u32_e64 v7, null, s45, v7, vcc_lo
	v_add_co_u32 v4, vcc_lo, v4, s9
	s_wait_alu 0xfffd
	v_add_co_ci_u32_e64 v5, null, 0, v5, vcc_lo
	global_load_u16 v6, v[6:7], off
	s_wait_loadcnt 0x0
	v_lshlrev_b32_e32 v6, 16, v6
	s_delay_alu instid0(VALU_DEP_1) | instskip(SKIP_3) | instid1(VALU_DEP_2)
	v_cmp_u_f32_e32 vcc_lo, v6, v6
	s_wait_alu 0xfffd
	v_cndmask_b32_e64 v6, 0, 1, vcc_lo
	v_cmp_le_u64_e32 vcc_lo, s[20:21], v[4:5]
	v_add_co_u32 v2, s3, v2, v6
	s_wait_alu 0xf1ff
	v_add_co_ci_u32_e64 v3, null, 0, v3, s3
	s_or_b32 s5, vcc_lo, s5
	s_delay_alu instid0(SALU_CYCLE_1)
	s_and_not1_b32 exec_lo, exec_lo, s5
	s_cbranch_execnz .LBB141_9
; %bb.10:
	s_or_b32 exec_lo, exec_lo, s5
.LBB141_11:
	s_delay_alu instid0(SALU_CYCLE_1)
	s_or_b32 exec_lo, exec_lo, s4
	s_clause 0x3
	s_load_b128 s[24:27], s[0:1], 0x270
	s_load_b64 s[46:47], s[0:1], 0x1a0
	s_load_b128 s[28:31], s[0:1], 0xd0
	s_load_b64 s[48:49], s[0:1], 0x0
	v_cmp_eq_u32_e64 s3, 0, v0
	s_and_saveexec_b32 s4, s3
; %bb.12:
	v_mov_b32_e32 v4, 0
	s_delay_alu instid0(VALU_DEP_1)
	v_mov_b32_e32 v5, v4
	ds_store_b64 v4, v[4:5] offset:5136
; %bb.13:
	s_or_b32 exec_lo, exec_lo, s4
	s_mov_b64 s[4:5], 0
	s_mov_b32 s9, exec_lo
	s_wait_dscnt 0x0
	s_barrier_signal -1
	s_barrier_wait -1
	global_inv scope:SCOPE_SE
	v_cmpx_ne_u64_e32 0, v[2:3]
	s_cbranch_execz .LBB141_18
; %bb.14:
	s_mov_b32 s10, exec_lo
.LBB141_15:                             ; =>This Inner Loop Header: Depth=1
	s_delay_alu instid0(SALU_CYCLE_1)
	s_ctz_i32_b32 s11, s10
	s_wait_alu 0xfffe
	v_readlane_b32 s13, v3, s11
	v_readlane_b32 s12, v2, s11
	s_lshl_b32 s11, 1, s11
	s_wait_alu 0xfffe
	s_and_not1_b32 s10, s10, s11
	s_wait_alu 0xfffe
	s_cmp_lg_u32 s10, 0
	s_add_nc_u64 s[4:5], s[4:5], s[12:13]
	s_cbranch_scc1 .LBB141_15
; %bb.16:
	v_mbcnt_lo_u32_b32 v2, exec_lo, 0
	s_mov_b32 s10, exec_lo
	s_delay_alu instid0(VALU_DEP_1)
	v_cmpx_eq_u32_e32 0, v2
	s_wait_alu 0xfffe
	s_xor_b32 s10, exec_lo, s10
; %bb.17:
	v_mov_b32_e32 v2, s4
	v_dual_mov_b32 v4, 0 :: v_dual_mov_b32 v3, s5
	ds_add_u64 v4, v[2:3] offset:5136
.LBB141_18:
	s_wait_alu 0xfffe
	s_or_b32 exec_lo, exec_lo, s9
	v_dual_mov_b32 v2, 0 :: v_dual_mov_b32 v19, s20
	s_wait_loadcnt_dscnt 0x0
	s_barrier_signal -1
	s_barrier_wait -1
	global_inv scope:SCOPE_SE
	ds_load_b64 v[2:3], v2 offset:5136
	s_load_b32 s0, s[0:1], 0x4f8
	v_mov_b32_e32 v20, s21
	s_wait_dscnt 0x0
	v_cmp_gt_i64_e32 vcc_lo, 1, v[2:3]
	s_wait_kmcnt 0x0
	s_bitcmp1_b32 s0, 0
	s_cselect_b32 s0, -1, 0
	s_delay_alu instid0(SALU_CYCLE_1) | instskip(NEXT) | instid1(SALU_CYCLE_1)
	s_or_b32 s0, s0, vcc_lo
	s_and_not1_b32 vcc_lo, exec_lo, s0
	s_wait_alu 0xfffe
	s_cbranch_vccnz .LBB141_20
; %bb.19:
	v_not_b32_e32 v2, v2
	v_not_b32_e32 v3, v3
	s_delay_alu instid0(VALU_DEP_2) | instskip(SKIP_1) | instid1(VALU_DEP_2)
	v_add_co_u32 v2, vcc_lo, s20, v2
	s_wait_alu 0xfffd
	v_add_co_ci_u32_e64 v3, null, s21, v3, vcc_lo
	s_delay_alu instid0(VALU_DEP_1) | instskip(NEXT) | instid1(VALU_DEP_1)
	v_lshrrev_b64 v[2:3], 1, v[2:3]
	v_add_co_u32 v19, vcc_lo, v2, 1
	s_wait_alu 0xfffd
	s_delay_alu instid0(VALU_DEP_2)
	v_add_co_ci_u32_e64 v20, null, 0, v3, vcc_lo
.LBB141_20:
	s_and_saveexec_b32 s0, s3
	s_cbranch_execz .LBB141_22
; %bb.21:
	v_dual_mov_b32 v2, 0 :: v_dual_mov_b32 v5, s21
	s_delay_alu instid0(VALU_DEP_1)
	v_dual_mov_b32 v4, s20 :: v_dual_mov_b32 v3, v2
	ds_store_b32 v2, v2 offset:5144
	ds_store_b128 v2, v[2:5] offset:5120
.LBB141_22:
	s_or_b32 exec_lo, exec_lo, s0
	v_mad_co_u64_u32 v[4:5], null, s36, v0, 0
	v_mbcnt_lo_u32_b32 v25, -1, 0
	s_wait_loadcnt_dscnt 0x0
	s_barrier_signal -1
	s_barrier_wait -1
	global_inv scope:SCOPE_SE
	s_load_b32 s5, s[6:7], 0xc
	v_mov_b32_e32 v2, v5
	v_cmp_gt_u32_e32 vcc_lo, 32, v0
	v_cmp_gt_i32_e64 s4, 4, v25
	s_mov_b32 s53, 0
	v_cmp_lt_u64_e64 s33, 0x600, s[20:21]
	v_mad_co_u64_u32 v[5:6], null, s37, v0, v[2:3]
	v_dual_mov_b32 v3, 0 :: v_dual_add_nc_u32 v2, 2, v0
	v_mov_b32_e32 v33, 0x8000
	s_and_b32 s72, vcc_lo, s4
	v_lshlrev_b64_e64 v[6:7], v25, -1
	s_delay_alu instid0(VALU_DEP_3)
	v_dual_mov_b32 v13, v3 :: v_dual_lshlrev_b32 v26, 1, v0
	v_lshlrev_b64_e32 v[4:5], 1, v[4:5]
	s_movk_i32 s4, 0x3e0
	s_mov_b32 s51, s53
	s_wait_alu 0xfffe
	v_and_or_b32 v29, v0, s4, 0xc00
	v_cmp_gt_u32_e64 s0, 2, v0
	s_wait_kmcnt 0x0
	s_and_b32 s50, s5, 0xffff
	v_add_co_u32 v14, vcc_lo, s44, v4
	s_wait_alu 0xfffd
	v_add_co_ci_u32_e64 v15, null, s45, v5, vcc_lo
	v_cmp_gt_u64_e32 vcc_lo, s[20:21], v[2:3]
	v_not_b32_e32 v4, v0
	s_bfe_u32 s5, s5, 0xb0005
	s_cmp_gt_u32 s50, 31
	v_cmp_eq_u32_e64 s1, 0, v25
	s_cselect_b32 s73, -1, 0
	s_wait_alu 0xfffd
	v_cndmask_b32_e64 v2, v2, s20, vcc_lo
	v_cndmask_b32_e64 v5, 0, s21, vcc_lo
	s_cmp_lt_u32 ttmp9, s8
	v_dual_mov_b32 v30, 0 :: v_dual_add_nc_u32 v27, 0xc00, v26
	s_delay_alu instid0(VALU_DEP_3)
	v_add_co_u32 v4, vcc_lo, v2, v4
	s_wait_alu 0xfffd
	v_add_co_ci_u32_e64 v5, null, -1, v5, vcc_lo
	s_cselect_b32 s52, 12, 18
	s_wait_alu 0xfffe
	s_add_co_i32 s8, s5, -1
	v_dual_mov_b32 v17, v5 :: v_dual_lshlrev_b32 v12, 2, v0
	v_dual_mov_b32 v35, 0 :: v_dual_and_b32 v16, -2, v4
	s_wait_alu 0xfffe
	s_and_b32 s8, s8, 0xffff
	s_bfe_u32 s75, s50, 0x30005
	s_wait_alu 0xfffe
	s_cmp_gt_u32 s8, 6
	v_cmp_lt_u64_e64 s4, 1, v[4:5]
	s_cselect_b32 s77, -1, 0
	s_and_b32 s78, s5, 0x7f8
	v_cmp_ne_u64_e64 s5, v[4:5], v[16:17]
	v_not_b32_e32 v28, v6
	v_add_co_u32 v18, vcc_lo, v16, v0
	v_dual_mov_b32 v34, 0 :: v_dual_lshlrev_b32 v31, 3, v0
	v_lshl_or_b32 v32, v25, 3, 0xc00
	s_add_nc_u64 s[54:55], s[50:51], -1
	s_cmp_lg_u32 s75, 0
	s_add_nc_u64 s[56:57], s[54:55], s[20:21]
	s_mov_b32 s74, s36
	s_mov_b32 s76, s37
	s_cselect_b32 s79, -1, 0
	s_lshl_b32 s80, s50, 1
	s_mov_b32 s82, 14
	s_add_nc_u64 s[58:59], s[6:7], s[52:53]
	s_mov_b32 s81, 0x4f800000
	s_movk_i32 s84, 0x3f80
	s_mov_b32 s83, 0
	s_mov_b32 s85, 0
	s_wait_alu 0xfffd
	v_add_co_ci_u32_e64 v2, null, 0, v5, vcc_lo
                                        ; implicit-def: $sgpr89
                                        ; implicit-def: $sgpr91
                                        ; implicit-def: $sgpr86
                                        ; implicit-def: $sgpr88
                                        ; implicit-def: $sgpr90
                                        ; implicit-def: $sgpr87
	s_branch .LBB141_26
.LBB141_23:                             ;   in Loop: Header=BB141_26 Depth=1
	s_wait_alu 0xfffe
	s_or_b32 exec_lo, exec_lo, s9
	s_delay_alu instid0(SALU_CYCLE_1)
	s_and_b32 s7, s7, exec_lo
	s_and_not1_b32 s62, s62, exec_lo
	s_and_not1_b32 s61, s61, exec_lo
	s_or_not1_b32 s18, s8, exec_lo
.LBB141_24:                             ;   in Loop: Header=BB141_26 Depth=1
	s_wait_alu 0xfffe
	s_or_b32 exec_lo, exec_lo, s6
	s_delay_alu instid0(SALU_CYCLE_1)
	s_and_not1_b32 s6, s87, exec_lo
	s_and_b32 s7, s7, exec_lo
	s_and_not1_b32 s8, s88, exec_lo
	s_wait_alu 0xfffe
	s_or_b32 s87, s6, s7
	s_and_not1_b32 s6, s90, exec_lo
	s_and_b32 s7, s62, exec_lo
	s_and_b32 s9, s61, exec_lo
	s_wait_alu 0xfffe
	s_or_b32 s90, s6, s7
	s_or_b32 s88, s8, s9
	s_or_not1_b32 s18, s18, exec_lo
.LBB141_25:                             ;   in Loop: Header=BB141_26 Depth=1
	s_wait_alu 0xfffe
	s_or_b32 exec_lo, exec_lo, s17
	s_delay_alu instid0(SALU_CYCLE_1)
	s_and_b32 s6, exec_lo, s18
	v_dual_mov_b32 v20, v9 :: v_dual_mov_b32 v19, v8
	s_wait_alu 0xfffe
	s_or_b32 s83, s6, s83
	s_and_not1_b32 s6, s86, exec_lo
	s_and_b32 s7, s87, exec_lo
	s_and_not1_b32 s8, s91, exec_lo
	s_wait_alu 0xfffe
	s_or_b32 s86, s6, s7
	s_and_b32 s6, s90, exec_lo
	s_and_not1_b32 s7, s89, exec_lo
	s_and_b32 s9, s88, exec_lo
	s_wait_alu 0xfffe
	s_or_b32 s91, s8, s6
	s_or_b32 s89, s7, s9
	s_and_not1_b32 exec_lo, exec_lo, s83
	s_cbranch_execz .LBB141_288
.LBB141_26:                             ; =>This Loop Header: Depth=1
                                        ;     Child Loop BB141_31 Depth 2
                                        ;     Child Loop BB141_45 Depth 2
                                        ;     Child Loop BB141_49 Depth 2
                                        ;     Child Loop BB141_84 Depth 2
                                        ;     Child Loop BB141_88 Depth 2
                                        ;     Child Loop BB141_73 Depth 2
                                        ;     Child Loop BB141_78 Depth 2
                                        ;     Child Loop BB141_66 Depth 2
                                        ;     Child Loop BB141_94 Depth 2
                                        ;     Child Loop BB141_107 Depth 2
                                        ;     Child Loop BB141_121 Depth 2
                                        ;     Child Loop BB141_150 Depth 2
                                        ;     Child Loop BB141_169 Depth 2
                                        ;     Child Loop BB141_199 Depth 2
                                        ;     Child Loop BB141_215 Depth 2
                                        ;     Child Loop BB141_244 Depth 2
                                        ;     Child Loop BB141_260 Depth 2
	ds_load_b128 v[4:7], v3 offset:5120
	s_wait_dscnt 0x0
	v_readfirstlane_b32 s61, v5
	v_readfirstlane_b32 s60, v4
	s_cmp_lg_u64 s[60:61], 0
	s_cbranch_scc1 .LBB141_58
; %bb.27:                               ;   in Loop: Header=BB141_26 Depth=1
	s_and_b32 vcc_lo, exec_lo, s33
	s_wait_alu 0xfffe
	s_cbranch_vccz .LBB141_39
; %bb.28:                               ;   in Loop: Header=BB141_26 Depth=1
	v_cmp_gt_u64_e32 vcc_lo, 0x601, v[6:7]
	s_mov_b32 s8, 0
	s_mov_b32 s6, 0
	s_cbranch_vccz .LBB141_40
; %bb.29:                               ;   in Loop: Header=BB141_26 Depth=1
	global_load_u16 v2, v3, s[58:59]
	global_load_u16 v6, v[14:15], off
	s_mov_b32 s9, 0
	v_dual_mov_b32 v5, v1 :: v_dual_mov_b32 v4, v0
	s_wait_loadcnt 0x1
	v_and_b32_e32 v2, 0xffff, v2
	s_branch .LBB141_31
.LBB141_30:                             ;   in Loop: Header=BB141_31 Depth=2
	s_wait_alu 0xfffe
	s_or_b32 exec_lo, exec_lo, s7
	v_mov_b32_e32 v6, v7
	s_and_not1_b32 exec_lo, exec_lo, s9
	s_cbranch_execz .LBB141_155
.LBB141_31:                             ;   Parent Loop BB141_26 Depth=1
                                        ; =>  This Inner Loop Header: Depth=2
	s_delay_alu instid0(VALU_DEP_1)
	v_add_co_u32 v4, vcc_lo, v4, v2
	s_wait_alu 0xfffd
	v_add_co_ci_u32_e64 v5, null, 0, v5, vcc_lo
	s_wait_dscnt 0x0
	v_dual_mov_b32 v8, 0 :: v_dual_mov_b32 v7, 0
	s_mov_b32 s7, exec_lo
	s_delay_alu instid0(VALU_DEP_2)
	v_cmp_le_u64_e32 vcc_lo, s[20:21], v[4:5]
	v_cmpx_gt_u64_e64 s[20:21], v[4:5]
	s_cbranch_execz .LBB141_33
; %bb.32:                               ;   in Loop: Header=BB141_31 Depth=2
	v_mul_lo_u32 v7, v5, s36
	v_mul_lo_u32 v11, v4, s37
	v_mad_co_u64_u32 v[9:10], null, v4, s36, 0
	s_delay_alu instid0(VALU_DEP_1) | instskip(NEXT) | instid1(VALU_DEP_1)
	v_add3_u32 v10, v10, v11, v7
	v_lshlrev_b64_e32 v[9:10], 1, v[9:10]
	s_delay_alu instid0(VALU_DEP_1) | instskip(SKIP_1) | instid1(VALU_DEP_2)
	v_add_co_u32 v9, s6, s44, v9
	s_wait_alu 0xf1fe
	v_add_co_ci_u32_e64 v10, null, s45, v10, s6
	global_load_u16 v7, v[9:10], off
.LBB141_33:                             ;   in Loop: Header=BB141_31 Depth=2
	s_wait_alu 0xfffe
	s_or_b32 exec_lo, exec_lo, s7
	s_wait_loadcnt 0x0
	v_cmp_lt_i16_e64 s6, -1, v6
	v_and_b32_e32 v9, 0xffff, v6
	v_lshlrev_b32_e32 v11, 16, v6
	s_wait_alu 0xf1ff
	s_delay_alu instid0(VALU_DEP_3) | instskip(NEXT) | instid1(VALU_DEP_2)
	v_cndmask_b32_e64 v10, 0xffff, v33, s6
	v_cmp_o_f32_e64 s6, v11, v11
	s_delay_alu instid0(VALU_DEP_2) | instskip(SKIP_1) | instid1(VALU_DEP_1)
	v_xor_b32_e32 v9, v10, v9
	s_wait_alu 0xf1ff
	v_cndmask_b32_e64 v9, 0xffff, v9, s6
	s_delay_alu instid0(VALU_DEP_1) | instskip(NEXT) | instid1(VALU_DEP_1)
	v_and_b32_e32 v9, v9, v34
	v_cmp_eq_u32_e64 s6, v9, v30
	s_cmp_lg_u32 s6, 0
	s_cselect_b32 s7, -1, 0
	s_wait_alu 0xfffe
	s_and_b32 s7, s1, s7
	s_wait_alu 0xfffe
	s_and_saveexec_b32 s10, s7
	s_cbranch_execz .LBB141_37
; %bb.34:                               ;   in Loop: Header=BB141_31 Depth=2
	s_mov_b32 s13, exec_lo
	s_bcnt1_i32_b32 s11, s6
	s_wait_alu 0xfffe
	v_mbcnt_lo_u32_b32 v8, s13, 0
	s_mov_b32 s12, exec_lo
                                        ; implicit-def: $vgpr9
	s_delay_alu instid0(VALU_DEP_1)
	v_cmpx_eq_u32_e32 0, v8
; %bb.35:                               ;   in Loop: Header=BB141_31 Depth=2
	s_bcnt1_i32_b32 s7, s13
	s_wait_alu 0xfffe
	s_mul_i32 s7, s11, s7
	s_wait_alu 0xfffe
	v_mov_b32_e32 v9, s7
	ds_add_rtn_u32 v9, v3, v9 offset:5144
; %bb.36:                               ;   in Loop: Header=BB141_31 Depth=2
	s_or_b32 exec_lo, exec_lo, s12
	s_wait_dscnt 0x0
	v_readfirstlane_b32 s7, v9
	s_wait_alu 0xf1ff
	s_delay_alu instid0(VALU_DEP_1)
	v_mad_u32_u24 v8, s11, v8, s7
.LBB141_37:                             ;   in Loop: Header=BB141_31 Depth=2
	s_wait_alu 0xfffe
	s_or_b32 exec_lo, exec_lo, s10
	ds_bpermute_b32 v8, v3, v8
	s_and_b32 s7, exec_lo, vcc_lo
	s_wait_alu 0xfffe
	s_or_b32 s9, s7, s9
	s_and_saveexec_b32 s7, s6
	s_cbranch_execz .LBB141_30
; %bb.38:                               ;   in Loop: Header=BB141_31 Depth=2
	v_and_b32_e32 v9, s6, v28
	s_delay_alu instid0(VALU_DEP_1) | instskip(NEXT) | instid1(VALU_DEP_1)
	v_bcnt_u32_b32 v9, v9, 0
	v_lshlrev_b32_e32 v9, 1, v9
	s_wait_dscnt 0x0
	s_delay_alu instid0(VALU_DEP_1)
	v_lshl_add_u32 v8, v8, 1, v9
	ds_store_b16 v8, v6
	s_branch .LBB141_30
.LBB141_39:                             ;   in Loop: Header=BB141_26 Depth=1
	s_mov_b32 s8, -1
	s_mov_b32 s6, 0
.LBB141_40:                             ;   in Loop: Header=BB141_26 Depth=1
	s_wait_alu 0xfffe
	s_and_b32 vcc_lo, exec_lo, s8
	s_wait_alu 0xfffe
	s_cbranch_vccz .LBB141_56
.LBB141_41:                             ;   in Loop: Header=BB141_26 Depth=1
	s_and_saveexec_b32 s7, s2
	s_cbranch_execz .LBB141_53
; %bb.42:                               ;   in Loop: Header=BB141_26 Depth=1
	global_load_u16 v4, v3, s[58:59]
	global_load_u16 v10, v[14:15], off
	v_mov_b32_e32 v8, v0
	s_mov_b32 s10, exec_lo
	s_wait_loadcnt 0x1
	v_and_b32_e32 v2, 0xffff, v4
	v_readfirstlane_b32 s6, v4
	s_delay_alu instid0(VALU_DEP_2) | instskip(NEXT) | instid1(VALU_DEP_1)
	v_add_nc_u32_e32 v2, v2, v0
	v_cmpx_gt_u64_e64 s[20:21], v[2:3]
	s_cbranch_execz .LBB141_52
; %bb.43:                               ;   in Loop: Header=BB141_26 Depth=1
	s_and_b32 s52, s6, 0xffff
	v_dual_mov_b32 v5, v1 :: v_dual_mov_b32 v4, v0
	s_wait_alu 0xfffe
	s_cmp_eq_u32 s52, 1
	v_dual_mov_b32 v7, v3 :: v_dual_mov_b32 v6, v2
	s_cselect_b32 s6, -1, 0
                                        ; implicit-def: $vgpr8_vgpr9
	s_wait_alu 0xfffe
	s_and_b32 s9, s4, s6
	s_mov_b32 s6, -1
	s_wait_alu 0xfffe
	s_and_saveexec_b32 s8, s9
	s_cbranch_execz .LBB141_47
; %bb.44:                               ;   in Loop: Header=BB141_26 Depth=1
	v_add_co_u32 v4, s6, v2, 1
	s_wait_alu 0xf1ff
	v_add_co_ci_u32_e64 v5, null, 0, 0, s6
	s_wait_loadcnt 0x0
	v_dual_mov_b32 v8, v16 :: v_dual_lshlrev_b32 v21, 16, v10
	s_mov_b32 s9, 0
	s_delay_alu instid0(VALU_DEP_2)
	v_mov_b32_e32 v7, v5
	v_dual_mov_b32 v9, v17 :: v_dual_mov_b32 v6, v4
	v_mov_b32_e32 v5, v3
	v_dual_mov_b32 v11, v26 :: v_dual_mov_b32 v4, v2
.LBB141_45:                             ;   Parent Loop BB141_26 Depth=1
                                        ; =>  This Inner Loop Header: Depth=2
	s_delay_alu instid0(VALU_DEP_2) | instskip(NEXT) | instid1(VALU_DEP_2)
	v_mul_lo_u32 v10, v5, s36
	v_mul_lo_u32 v24, v4, s37
	v_mad_co_u64_u32 v[22:23], null, v4, s36, 0
	v_mul_lo_u32 v38, v7, s74
	v_mul_lo_u32 v39, v6, s76
	v_mad_co_u64_u32 v[36:37], null, v6, s74, 0
	s_delay_alu instid0(VALU_DEP_4) | instskip(NEXT) | instid1(VALU_DEP_2)
	v_add3_u32 v23, v23, v24, v10
	v_add3_u32 v37, v37, v39, v38
	s_delay_alu instid0(VALU_DEP_2) | instskip(NEXT) | instid1(VALU_DEP_2)
	v_lshlrev_b64_e32 v[22:23], 1, v[22:23]
	v_lshlrev_b64_e32 v[36:37], 1, v[36:37]
	s_delay_alu instid0(VALU_DEP_2) | instskip(SKIP_1) | instid1(VALU_DEP_3)
	v_add_co_u32 v22, vcc_lo, s44, v22
	s_wait_alu 0xfffd
	v_add_co_ci_u32_e64 v23, null, s45, v23, vcc_lo
	s_delay_alu instid0(VALU_DEP_3)
	v_add_co_u32 v36, vcc_lo, s44, v36
	s_wait_alu 0xfffd
	v_add_co_ci_u32_e64 v37, null, s45, v37, vcc_lo
	s_clause 0x1
	global_load_u16 v22, v[22:23], off
	global_load_u16 v10, v[36:37], off
	v_add_co_u32 v8, vcc_lo, v8, -2
	s_wait_alu 0xfffd
	v_add_co_ci_u32_e64 v9, null, -1, v9, vcc_lo
	v_add_co_u32 v6, vcc_lo, v6, 2
	s_wait_alu 0xfffd
	v_add_co_ci_u32_e64 v7, null, 0, v7, vcc_lo
	s_delay_alu instid0(VALU_DEP_3) | instskip(SKIP_4) | instid1(VALU_DEP_3)
	v_cmp_eq_u64_e64 s6, 0, v[8:9]
	v_add_co_u32 v4, vcc_lo, v4, 2
	s_wait_alu 0xfffd
	v_add_co_ci_u32_e64 v5, null, 0, v5, vcc_lo
	s_wait_alu 0xfffe
	s_or_b32 s9, s6, s9
	s_wait_loadcnt 0x1
	v_alignbit_b32 v21, v22, v21, 16
	s_wait_loadcnt 0x0
	v_perm_b32 v22, v10, v22, 0x5040100
	ds_store_b32 v11, v21
	v_add_nc_u32_e32 v11, 4, v11
	v_mov_b32_e32 v21, v22
	s_wait_alu 0xfffe
	s_and_not1_b32 exec_lo, exec_lo, s9
	s_cbranch_execnz .LBB141_45
; %bb.46:                               ;   in Loop: Header=BB141_26 Depth=1
	s_or_b32 exec_lo, exec_lo, s9
	v_add_co_u32 v6, vcc_lo, v2, v16
	s_wait_alu 0xfffd
	v_add_co_ci_u32_e64 v7, null, 0, v17, vcc_lo
	v_dual_mov_b32 v4, v18 :: v_dual_mov_b32 v5, v19
	s_delay_alu instid0(VALU_DEP_3)
	v_add_co_u32 v8, vcc_lo, v6, -1
	s_or_not1_b32 s6, s5, exec_lo
	s_wait_alu 0xfffd
	v_add_co_ci_u32_e64 v2, null, -1, v7, vcc_lo
.LBB141_47:                             ;   in Loop: Header=BB141_26 Depth=1
	s_wait_alu 0xfffe
	s_or_b32 exec_lo, exec_lo, s8
	s_and_saveexec_b32 s11, s6
	s_cbranch_execz .LBB141_51
; %bb.48:                               ;   in Loop: Header=BB141_26 Depth=1
	s_sub_nc_u64 s[8:9], 0, s[52:53]
	s_mov_b32 s12, 0
.LBB141_49:                             ;   Parent Loop BB141_26 Depth=1
                                        ; =>  This Inner Loop Header: Depth=2
	v_dual_mov_b32 v9, v7 :: v_dual_mov_b32 v8, v6
	v_lshlrev_b32_e32 v11, 1, v4
	s_delay_alu instid0(VALU_DEP_2) | instskip(NEXT) | instid1(VALU_DEP_3)
	v_mul_lo_u32 v2, v9, s36
	v_mul_lo_u32 v7, v8, s37
	v_mad_co_u64_u32 v[5:6], null, v8, s36, 0
	s_delay_alu instid0(VALU_DEP_1) | instskip(SKIP_2) | instid1(VALU_DEP_2)
	v_add3_u32 v6, v6, v7, v2
	s_wait_loadcnt 0x0
	v_mov_b32_e32 v2, v10
	v_lshlrev_b64_e32 v[5:6], 1, v[5:6]
	ds_store_b16 v11, v2
	v_add_co_u32 v5, vcc_lo, s44, v5
	s_wait_alu 0xfffd
	v_add_co_ci_u32_e64 v6, null, s45, v6, vcc_lo
	global_load_u16 v10, v[5:6], off
	v_add_co_u32 v6, vcc_lo, v8, s52
	s_wait_alu 0xfffd
	v_add_co_ci_u32_e64 v7, null, 0, v9, vcc_lo
	v_dual_mov_b32 v4, v8 :: v_dual_mov_b32 v5, v9
	s_wait_alu 0xfffe
	v_add_co_u32 v8, s6, s8, v6
	s_delay_alu instid0(VALU_DEP_3)
	v_cmp_le_u64_e32 vcc_lo, s[20:21], v[6:7]
	s_wait_alu 0xf1ff
	v_add_co_ci_u32_e64 v5, null, s9, v7, s6
	s_or_b32 s12, vcc_lo, s12
	s_wait_alu 0xfffe
	s_and_not1_b32 exec_lo, exec_lo, s12
	s_cbranch_execnz .LBB141_49
; %bb.50:                               ;   in Loop: Header=BB141_26 Depth=1
	s_or_b32 exec_lo, exec_lo, s12
.LBB141_51:                             ;   in Loop: Header=BB141_26 Depth=1
	s_wait_alu 0xfffe
	s_or_b32 exec_lo, exec_lo, s11
.LBB141_52:                             ;   in Loop: Header=BB141_26 Depth=1
	s_wait_alu 0xfffe
	s_or_b32 exec_lo, exec_lo, s10
	v_lshlrev_b32_e32 v2, 1, v8
	s_wait_loadcnt 0x0
	ds_store_b16 v2, v10
.LBB141_53:                             ;   in Loop: Header=BB141_26 Depth=1
	s_wait_alu 0xfffe
	s_or_b32 exec_lo, exec_lo, s7
	s_wait_loadcnt_dscnt 0x0
	s_barrier_signal -1
	s_barrier_wait -1
	global_inv scope:SCOPE_SE
	s_and_saveexec_b32 s6, s3
; %bb.54:                               ;   in Loop: Header=BB141_26 Depth=1
	v_dual_mov_b32 v4, s20 :: v_dual_mov_b32 v5, s21
	ds_store_b64 v3, v[4:5] offset:5120
; %bb.55:                               ;   in Loop: Header=BB141_26 Depth=1
	s_wait_alu 0xfffe
	s_or_b32 exec_lo, exec_lo, s6
	s_mov_b32 s6, -1
	s_wait_loadcnt_dscnt 0x0
	s_barrier_signal -1
	s_barrier_wait -1
.LBB141_56:                             ;   in Loop: Header=BB141_26 Depth=1
	s_wait_alu 0xfffe
	s_and_b32 vcc_lo, exec_lo, s6
	s_mov_b64 s[60:61], 0
	s_wait_alu 0xfffe
	s_cbranch_vccz .LBB141_58
; %bb.57:                               ;   in Loop: Header=BB141_26 Depth=1
	s_wait_loadcnt 0x0
	global_inv scope:SCOPE_SE
	ds_load_b64 v[4:5], v3 offset:5120
	s_wait_dscnt 0x0
	v_readfirstlane_b32 s60, v4
.LBB141_58:                             ;   in Loop: Header=BB141_26 Depth=1
	s_delay_alu instid0(VALU_DEP_1)
	s_cmp_lt_i32 s60, 1
	s_mov_b32 s6, -1
                                        ; implicit-def: $vgpr4_vgpr5
                                        ; implicit-def: $vgpr8_vgpr9
	s_cbranch_scc1 .LBB141_68
; %bb.59:                               ;   in Loop: Header=BB141_26 Depth=1
	s_wait_alu 0xfffe
	s_and_b32 vcc_lo, exec_lo, s6
	s_wait_alu 0xfffe
	s_cbranch_vccnz .LBB141_82
.LBB141_60:                             ;   in Loop: Header=BB141_26 Depth=1
	s_lshl_b32 s6, s85, 7
	s_and_saveexec_b32 s7, s1
	s_cbranch_execz .LBB141_62
.LBB141_61:                             ;   in Loop: Header=BB141_26 Depth=1
	s_wait_alu 0xfffe
	v_lshl_add_u32 v2, s6, 3, v29
	ds_store_b128 v2, v[4:7]
	ds_store_b128 v2, v[8:11] offset:16
.LBB141_62:                             ;   in Loop: Header=BB141_26 Depth=1
	s_wait_alu 0xfffe
	s_or_b32 exec_lo, exec_lo, s7
	s_wait_loadcnt_dscnt 0x0
	s_barrier_signal -1
	s_barrier_wait -1
	global_inv scope:SCOPE_SE
	s_and_saveexec_b32 s7, s72
	s_cbranch_execz .LBB141_96
; %bb.63:                               ;   in Loop: Header=BB141_26 Depth=1
	v_mov_b32_e32 v4, 0
	v_mov_b32_e32 v5, 0
	s_and_not1_b32 vcc_lo, exec_lo, s73
	s_wait_alu 0xfffe
	s_cbranch_vccnz .LBB141_95
; %bb.64:                               ;   in Loop: Header=BB141_26 Depth=1
	v_mov_b32_e32 v4, 0
	v_mov_b32_e32 v5, 0
	s_and_not1_b32 vcc_lo, exec_lo, s77
	s_wait_alu 0xfffe
	s_cbranch_vccnz .LBB141_92
; %bb.65:                               ;   in Loop: Header=BB141_26 Depth=1
	v_lshl_add_u32 v2, s85, 10, v32
	s_mov_b32 s8, 0
.LBB141_66:                             ;   Parent Loop BB141_26 Depth=1
                                        ; =>  This Inner Loop Header: Depth=2
	ds_load_2addr_b64 v[6:9], v2 offset1:4
	ds_load_2addr_b64 v[21:24], v2 offset0:8 offset1:12
	ds_load_2addr_b64 v[36:39], v2 offset0:16 offset1:20
	s_wait_alu 0xfffe
	s_add_co_i32 s8, s8, 8
	s_wait_alu 0xfffe
	s_cmp_eq_u32 s78, s8
	s_wait_dscnt 0x2
	v_add_co_u32 v4, vcc_lo, v6, v4
	s_wait_alu 0xfffd
	v_add_co_ci_u32_e64 v5, null, v7, v5, vcc_lo
	s_delay_alu instid0(VALU_DEP_2) | instskip(SKIP_1) | instid1(VALU_DEP_2)
	v_add_co_u32 v8, vcc_lo, v8, v4
	s_wait_alu 0xfffd
	v_add_co_ci_u32_e64 v9, null, v9, v5, vcc_lo
	ds_load_2addr_b64 v[4:7], v2 offset0:24 offset1:28
	s_wait_dscnt 0x2
	v_add_co_u32 v8, vcc_lo, v21, v8
	s_wait_alu 0xfffd
	v_add_co_ci_u32_e64 v9, null, v22, v9, vcc_lo
	v_add_nc_u32_e32 v2, 0x100, v2
	s_delay_alu instid0(VALU_DEP_3) | instskip(SKIP_1) | instid1(VALU_DEP_3)
	v_add_co_u32 v8, vcc_lo, v23, v8
	s_wait_alu 0xfffd
	v_add_co_ci_u32_e64 v9, null, v24, v9, vcc_lo
	s_wait_dscnt 0x1
	s_delay_alu instid0(VALU_DEP_2) | instskip(SKIP_1) | instid1(VALU_DEP_2)
	v_add_co_u32 v8, vcc_lo, v36, v8
	s_wait_alu 0xfffd
	v_add_co_ci_u32_e64 v9, null, v37, v9, vcc_lo
	s_delay_alu instid0(VALU_DEP_2) | instskip(SKIP_1) | instid1(VALU_DEP_2)
	v_add_co_u32 v8, vcc_lo, v38, v8
	s_wait_alu 0xfffd
	v_add_co_ci_u32_e64 v9, null, v39, v9, vcc_lo
	s_wait_dscnt 0x0
	s_delay_alu instid0(VALU_DEP_2) | instskip(SKIP_1) | instid1(VALU_DEP_2)
	v_add_co_u32 v4, vcc_lo, v4, v8
	s_wait_alu 0xfffd
	v_add_co_ci_u32_e64 v5, null, v5, v9, vcc_lo
	s_delay_alu instid0(VALU_DEP_2) | instskip(SKIP_1) | instid1(VALU_DEP_2)
	v_add_co_u32 v4, vcc_lo, v6, v4
	s_wait_alu 0xfffd
	v_add_co_ci_u32_e64 v5, null, v7, v5, vcc_lo
	s_cbranch_scc0 .LBB141_66
; %bb.67:                               ;   in Loop: Header=BB141_26 Depth=1
	s_mov_b32 s8, s78
	s_and_not1_b32 vcc_lo, exec_lo, s79
	s_wait_alu 0xfffe
	s_cbranch_vccz .LBB141_93
	s_branch .LBB141_95
.LBB141_68:                             ;   in Loop: Header=BB141_26 Depth=1
	global_load_u16 v2, v3, s[58:59]
	s_mov_b32 s7, s21
	s_wait_loadcnt 0x0
	v_readfirstlane_b32 s6, v2
	s_wait_alu 0xfffe
	s_and_b32 s8, 0xffff, s6
	s_mov_b32 s6, s53
	s_wait_alu 0xfffe
	s_lshl_b32 s18, s8, 2
	s_cmp_lg_u64 s[6:7], 0
	s_cbranch_scc0 .LBB141_91
; %bb.69:                               ;   in Loop: Header=BB141_26 Depth=1
	s_wait_alu 0xfffe
	s_cvt_f32_u32 s6, s18
	s_mov_b32 s19, s53
	s_wait_alu 0xfffe
	s_sub_nc_u64 s[8:9], 0, s[18:19]
	s_fmamk_f32 s6, s81, 0x0, s6
	s_wait_alu 0xfffe
	s_delay_alu instid0(SALU_CYCLE_2) | instskip(NEXT) | instid1(TRANS32_DEP_1)
	v_s_rcp_f32 s6, s6
	s_mul_f32 s6, s6, 0x5f7ffffc
	s_wait_alu 0xfffe
	s_delay_alu instid0(SALU_CYCLE_2) | instskip(SKIP_1) | instid1(SALU_CYCLE_2)
	s_mul_f32 s7, s6, 0x2f800000
	s_wait_alu 0xfffe
	s_trunc_f32 s7, s7
	s_wait_alu 0xfffe
	s_delay_alu instid0(SALU_CYCLE_2) | instskip(SKIP_2) | instid1(SALU_CYCLE_1)
	s_fmamk_f32 s6, s7, 0xcf800000, s6
	s_cvt_u32_f32 s7, s7
	s_wait_alu 0xfffe
	s_cvt_u32_f32 s6, s6
	s_wait_alu 0xfffe
	s_delay_alu instid0(SALU_CYCLE_2)
	s_mul_u64 s[10:11], s[8:9], s[6:7]
	s_wait_alu 0xfffe
	s_mul_hi_u32 s13, s6, s11
	s_mul_i32 s12, s6, s11
	s_mul_hi_u32 s52, s6, s10
	s_mul_i32 s15, s7, s10
	s_wait_alu 0xfffe
	s_add_nc_u64 s[12:13], s[52:53], s[12:13]
	s_mul_hi_u32 s14, s7, s10
	s_mul_hi_u32 s16, s7, s11
	s_mul_i32 s10, s7, s11
	s_wait_alu 0xfffe
	s_add_co_u32 s11, s12, s15
	s_add_co_ci_u32 s52, s13, s14
	s_add_co_ci_u32 s11, s16, 0
	s_wait_alu 0xfffe
	s_add_nc_u64 s[10:11], s[52:53], s[10:11]
	s_wait_alu 0xfffe
	s_add_co_u32 s6, s6, s10
	s_cselect_b32 s10, -1, 0
	s_wait_alu 0xfffe
	s_cmp_lg_u32 s10, 0
	s_add_co_ci_u32 s7, s7, s11
	s_wait_alu 0xfffe
	s_mul_u64 s[8:9], s[8:9], s[6:7]
	s_wait_alu 0xfffe
	s_mul_hi_u32 s11, s6, s9
	s_mul_i32 s10, s6, s9
	s_mul_hi_u32 s52, s6, s8
	s_mul_i32 s13, s7, s8
	s_wait_alu 0xfffe
	s_add_nc_u64 s[10:11], s[52:53], s[10:11]
	s_mul_hi_u32 s12, s7, s8
	s_mul_hi_u32 s14, s7, s9
	s_mul_i32 s8, s7, s9
	s_wait_alu 0xfffe
	s_add_co_u32 s9, s10, s13
	s_add_co_ci_u32 s52, s11, s12
	s_add_co_ci_u32 s9, s14, 0
	s_wait_alu 0xfffe
	s_add_nc_u64 s[8:9], s[52:53], s[8:9]
	s_wait_alu 0xfffe
	s_add_co_u32 s6, s6, s8
	s_cselect_b32 s8, -1, 0
	s_wait_alu 0xfffe
	s_mul_hi_u32 s52, s20, s6
	s_cmp_lg_u32 s8, 0
	s_mul_hi_u32 s10, s21, s6
	s_add_co_ci_u32 s8, s7, s9
	s_mul_i32 s9, s21, s6
	s_wait_alu 0xfffe
	s_mul_hi_u32 s7, s20, s8
	s_mul_i32 s6, s20, s8
	s_mul_hi_u32 s11, s21, s8
	s_wait_alu 0xfffe
	s_add_nc_u64 s[6:7], s[52:53], s[6:7]
	s_mul_i32 s8, s21, s8
	s_wait_alu 0xfffe
	s_add_co_u32 s6, s6, s9
	s_add_co_ci_u32 s52, s7, s10
	s_add_co_ci_u32 s9, s11, 0
	s_wait_alu 0xfffe
	s_add_nc_u64 s[6:7], s[52:53], s[8:9]
	s_wait_alu 0xfffe
	s_mul_u64 s[6:7], s[18:19], s[6:7]
	s_wait_alu 0xfffe
	s_sub_co_u32 s6, s20, s6
	s_cselect_b32 s8, -1, 0
	s_wait_alu 0xfffe
	s_cmp_lg_u32 s8, 0
	s_sub_co_ci_u32 s7, s21, s7
	s_sub_co_u32 s8, s6, s18
	s_cselect_b32 s9, -1, 0
	s_wait_alu 0xfffe
	s_cmp_lg_u32 s9, 0
	s_sub_co_ci_u32 s9, s7, 0
	;; [unrolled: 5-line block ×3, first 2 shown]
	s_cmp_ge_u32 s8, s18
	s_cselect_b32 s12, -1, 0
	s_cmp_eq_u32 s9, 0
	s_wait_alu 0xfffe
	s_cselect_b32 s12, s12, -1
	s_wait_alu 0xfffe
	s_cmp_lg_u32 s12, 0
	s_cselect_b32 s9, s11, s9
	s_cselect_b32 s8, s10, s8
	s_cmp_ge_u32 s6, s18
	s_cselect_b32 s10, -1, 0
	s_cmp_eq_u32 s7, 0
	s_wait_alu 0xfffe
	s_cselect_b32 s10, s10, -1
	s_wait_alu 0xfffe
	s_cmp_lg_u32 s10, 0
	s_cselect_b32 s7, s9, s7
	s_cselect_b32 s6, s8, s6
	s_cbranch_execnz .LBB141_71
.LBB141_70:                             ;   in Loop: Header=BB141_26 Depth=1
	s_wait_alu 0xfffe
	v_cvt_f32_u32_e32 v4, s18
	s_sub_co_i32 s7, 0, s18
	s_delay_alu instid0(VALU_DEP_1) | instskip(NEXT) | instid1(TRANS32_DEP_1)
	v_rcp_iflag_f32_e32 v4, v4
	v_mul_f32_e32 v4, 0x4f7ffffe, v4
	s_delay_alu instid0(VALU_DEP_1) | instskip(NEXT) | instid1(VALU_DEP_1)
	v_cvt_u32_f32_e32 v4, v4
	v_readfirstlane_b32 s6, v4
	s_wait_alu 0xfffe
	s_mul_i32 s7, s7, s6
	s_wait_alu 0xfffe
	s_mul_hi_u32 s7, s6, s7
	s_wait_alu 0xfffe
	s_add_co_i32 s6, s6, s7
	s_wait_alu 0xfffe
	s_mul_hi_u32 s6, s20, s6
	s_wait_alu 0xfffe
	s_mul_i32 s6, s6, s18
	s_wait_alu 0xfffe
	s_sub_co_i32 s6, s20, s6
	s_wait_alu 0xfffe
	s_sub_co_i32 s7, s6, s18
	s_cmp_ge_u32 s6, s18
	s_wait_alu 0xfffe
	s_cselect_b32 s6, s7, s6
	s_wait_alu 0xfffe
	s_sub_co_i32 s7, s6, s18
	s_cmp_ge_u32 s6, s18
	s_wait_alu 0xfffe
	s_cselect_b32 s52, s7, s6
	s_wait_alu 0xfffe
	s_mov_b64 s[6:7], s[52:53]
.LBB141_71:                             ;   in Loop: Header=BB141_26 Depth=1
	v_mov_b32_e32 v4, 0
	v_dual_mov_b32 v8, 0 :: v_dual_mov_b32 v5, 0
	v_dual_mov_b32 v6, 0 :: v_dual_mov_b32 v9, 0
	;; [unrolled: 1-line block ×3, first 2 shown]
	v_mov_b32_e32 v11, 0
	s_wait_alu 0xfffe
	s_sub_nc_u64 s[62:63], s[20:21], s[6:7]
	s_mov_b32 s17, exec_lo
	s_wait_alu 0xfffe
	v_cmpx_gt_u64_e64 s[62:63], v[12:13]
	s_cbranch_execz .LBB141_75
; %bb.72:                               ;   in Loop: Header=BB141_26 Depth=1
	v_dual_mov_b32 v22, v13 :: v_dual_mov_b32 v21, v12
	s_mov_b64 s[64:65], 0
	s_mov_b32 s19, 0
	s_mov_b64 s[66:67], 0
	s_mov_b64 s[68:69], 0
	;; [unrolled: 1-line block ×3, first 2 shown]
.LBB141_73:                             ;   Parent Loop BB141_26 Depth=1
                                        ; =>  This Inner Loop Header: Depth=2
	v_mul_lo_u32 v6, v22, s36
	v_mul_lo_u32 v7, v21, s37
	v_mad_co_u64_u32 v[4:5], null, v21, s36, 0
	s_lshl_b64 s[6:7], s[36:37], 1
	v_add3_u32 v5, v5, v7, v6
	s_delay_alu instid0(VALU_DEP_1) | instskip(NEXT) | instid1(VALU_DEP_1)
	v_lshlrev_b64_e32 v[4:5], 1, v[4:5]
	v_add_co_u32 v4, vcc_lo, s44, v4
	s_wait_alu 0xfffd
	s_delay_alu instid0(VALU_DEP_2) | instskip(SKIP_1) | instid1(VALU_DEP_2)
	v_add_co_ci_u32_e64 v5, null, s45, v5, vcc_lo
	s_wait_alu 0xfffe
	v_add_co_u32 v6, vcc_lo, v4, s6
	s_wait_alu 0xfffd
	s_delay_alu instid0(VALU_DEP_2)
	v_add_co_ci_u32_e64 v7, null, s7, v5, vcc_lo
	s_clause 0x1
	global_load_u16 v8, v[4:5], off
	global_load_u16 v9, v[6:7], off
	v_add_co_u32 v4, vcc_lo, v6, s6
	s_wait_alu 0xfffd
	v_add_co_ci_u32_e64 v5, null, s7, v7, vcc_lo
	global_load_u16 v6, v[4:5], off
	v_add_co_u32 v4, vcc_lo, v4, s6
	s_wait_alu 0xfffd
	v_add_co_ci_u32_e64 v5, null, s7, v5, vcc_lo
	v_add_co_u32 v21, vcc_lo, v21, s18
	s_wait_alu 0xfffd
	v_add_co_ci_u32_e64 v22, null, 0, v22, vcc_lo
	global_load_u16 v4, v[4:5], off
	v_cmp_le_u64_e32 vcc_lo, s[62:63], v[21:22]
	s_wait_loadcnt 0x3
	v_cmp_lt_i16_e64 s6, -1, v8
	v_and_b32_e32 v5, 0xffff, v8
	v_lshlrev_b32_e32 v8, 16, v8
	s_wait_loadcnt 0x2
	v_and_b32_e32 v10, 0xffff, v9
	s_wait_alu 0xf1ff
	v_cndmask_b32_e64 v7, 0xffff, v33, s6
	v_cmp_lt_i16_e64 s6, -1, v9
	s_wait_loadcnt 0x1
	v_cmp_lt_i16_e64 s7, -1, v6
	s_delay_alu instid0(VALU_DEP_3)
	v_xor_b32_e32 v5, v7, v5
	s_wait_alu 0xf1ff
	v_cndmask_b32_e64 v11, 0xffff, v33, s6
	v_cmp_o_f32_e64 s6, v8, v8
	v_lshlrev_b32_e32 v7, 16, v9
	v_and_b32_e32 v9, 0xffff, v6
	v_lshlrev_b32_e32 v6, 16, v6
	v_xor_b32_e32 v8, v11, v10
	s_wait_alu 0xf1ff
	v_cndmask_b32_e64 v5, 0xffff, v5, s6
	v_cmp_o_f32_e64 s6, v7, v7
	v_cndmask_b32_e64 v10, 0xffff, v33, s7
	s_delay_alu instid0(VALU_DEP_3) | instskip(SKIP_1) | instid1(VALU_DEP_3)
	v_and_b32_e32 v11, v5, v34
	s_wait_alu 0xf1ff
	v_cndmask_b32_e64 v7, 0xffff, v8, s6
	s_wait_loadcnt 0x0
	v_cmp_lt_i16_e64 s6, -1, v4
	v_xor_b32_e32 v8, v10, v9
	v_and_b32_e32 v9, 0xffff, v4
	v_lshlrev_b32_e32 v4, 16, v4
	v_bfe_u32 v5, v5, s82, 2
	s_wait_alu 0xf1ff
	v_cndmask_b32_e64 v10, 0xffff, v33, s6
	v_cmp_o_f32_e64 s6, v6, v6
	v_cmp_o_f32_e64 s11, v4, v4
	v_cmp_eq_u32_e64 s7, 0, v5
	v_cmp_eq_u32_e64 s8, 1, v5
	s_wait_alu 0xf1ff
	v_cndmask_b32_e64 v6, 0xffff, v8, s6
	v_xor_b32_e32 v8, v10, v9
	v_cmp_eq_u32_e64 s6, v11, v30
	v_and_b32_e32 v9, v7, v34
	v_bfe_u32 v7, v7, s82, 2
	v_cmp_eq_u32_e64 s9, 2, v5
	v_cmp_eq_u32_e64 s10, 3, v5
	v_cndmask_b32_e64 v4, 0xffff, v8, s11
	v_cmp_eq_u32_e64 s11, v9, v30
	v_and_b32_e32 v5, v6, v34
	v_bfe_u32 v6, v6, s82, 2
	v_cmp_eq_u32_e64 s12, 0, v7
	s_and_b32 s7, s6, s7
	s_and_b32 s8, s6, s8
	;; [unrolled: 1-line block ×3, first 2 shown]
	s_wait_alu 0xfffe
	v_cndmask_b32_e64 v8, 0, 1, s7
	v_cmp_eq_u32_e64 s7, 1, v7
	v_cndmask_b32_e64 v9, 0, 1, s8
	v_cmp_eq_u32_e64 s8, 2, v7
	;; [unrolled: 2-line block ×3, first 2 shown]
	s_and_b32 s6, s6, s10
	v_cmp_eq_u32_e64 s10, 0, v6
	s_wait_alu 0xfffe
	v_cndmask_b32_e64 v7, 0, 1, s6
	v_cmp_eq_u32_e64 s6, v5, v30
	v_and_b32_e32 v5, v4, v34
	v_bfe_u32 v4, v4, s82, 2
	s_and_b32 s12, s11, s12
	v_cmp_ne_u32_e64 s13, 0, v8
	s_wait_alu 0xfffe
	v_cndmask_b32_e64 v8, 0, 1, s12
	v_cmp_eq_u32_e64 s12, 1, v6
	s_and_b32 s7, s11, s7
	s_and_b32 s8, s11, s8
	;; [unrolled: 1-line block ×3, first 2 shown]
	v_cmp_ne_u32_e64 s14, 0, v9
	s_wait_alu 0xfffe
	v_cndmask_b32_e64 v9, 0, 1, s7
	v_cmp_eq_u32_e64 s7, 2, v6
	v_cmp_ne_u32_e64 s15, 0, v10
	v_cndmask_b32_e64 v10, 0, 1, s8
	v_cmp_eq_u32_e64 s8, 3, v6
	v_cndmask_b32_e64 v6, 0, 1, s9
	v_cmp_eq_u32_e64 s9, v5, v30
	v_cmp_eq_u32_e64 s11, 0, v4
	s_and_b32 s10, s6, s10
	v_cmp_ne_u32_e64 s16, 0, v7
	s_wait_alu 0xfffe
	v_cndmask_b32_e64 v5, 0, 1, s10
	v_cmp_eq_u32_e64 s10, 1, v4
	s_and_b32 s12, s6, s12
	s_and_b32 s7, s6, s7
	s_wait_alu 0xfffe
	v_cndmask_b32_e64 v7, 0, 1, s12
	v_cmp_eq_u32_e64 s12, 2, v4
	s_and_b32 s6, s6, s8
	s_and_b32 s8, s9, s11
	s_bcnt1_i32_b32 s52, s13
	v_cmp_ne_u32_e64 s13, 0, v8
	v_cndmask_b32_e64 v8, 0, 1, s7
	v_cmp_eq_u32_e64 s7, 3, v4
	s_bcnt1_i32_b32 s93, s16
	v_cmp_ne_u32_e64 s16, 0, v6
	s_wait_alu 0xfffe
	v_cndmask_b32_e64 v4, 0, 1, s6
	v_cmp_ne_u32_e64 s6, 0, v5
	v_cndmask_b32_e64 v5, 0, 1, s8
	s_and_b32 s10, s9, s10
	s_and_b32 s11, s9, s12
	s_wait_alu 0xfffe
	v_cndmask_b32_e64 v6, 0, 1, s10
	s_bcnt1_i32_b32 s61, s14
	v_cmp_ne_u32_e64 s14, 0, v9
	v_cmp_ne_u32_e64 s8, 0, v7
	v_cndmask_b32_e64 v7, 0, 1, s11
	s_and_b32 s7, s9, s7
	s_bcnt1_i32_b32 s92, s15
	v_cmp_ne_u32_e64 s15, 0, v10
	s_bcnt1_i32_b32 s12, s16
	s_bcnt1_i32_b32 s16, s6
	v_cmp_ne_u32_e64 s6, 0, v5
	s_bcnt1_i32_b32 s13, s13
	v_cmp_ne_u32_e64 s11, 0, v4
	s_wait_alu 0xfffe
	v_cndmask_b32_e64 v4, 0, 1, s7
	v_cmp_ne_u32_e64 s10, 0, v8
	v_cmp_ne_u32_e64 s7, 0, v6
	s_bcnt1_i32_b32 s14, s14
	s_add_co_i32 s13, s13, s52
	s_bcnt1_i32_b32 s52, s8
	v_cmp_ne_u32_e64 s8, 0, v7
	s_bcnt1_i32_b32 s15, s15
	s_wait_alu 0xfffe
	s_add_co_i32 s14, s14, s61
	s_add_co_i32 s13, s13, s16
	s_bcnt1_i32_b32 s6, s6
	v_cmp_ne_u32_e64 s9, 0, v4
	s_add_co_i32 s15, s15, s92
	s_bcnt1_i32_b32 s10, s10
	s_wait_alu 0xfffe
	s_add_co_i32 s14, s14, s52
	s_bcnt1_i32_b32 s7, s7
	s_add_co_i32 s52, s13, s6
	s_add_co_i32 s12, s12, s93
	s_bcnt1_i32_b32 s11, s11
	s_add_co_i32 s10, s15, s10
	s_bcnt1_i32_b32 s8, s8
	s_wait_alu 0xfffe
	s_add_nc_u64 s[70:71], s[70:71], s[52:53]
	s_add_co_i32 s52, s14, s7
	s_add_co_i32 s11, s12, s11
	s_bcnt1_i32_b32 s9, s9
	s_wait_alu 0xfffe
	s_add_nc_u64 s[68:69], s[68:69], s[52:53]
	s_add_co_i32 s52, s10, s8
	v_mov_b32_e32 v4, s70
	s_wait_alu 0xfffe
	s_add_nc_u64 s[66:67], s[66:67], s[52:53]
	s_add_co_i32 s52, s11, s9
	v_mov_b32_e32 v6, s68
	s_wait_alu 0xfffe
	s_add_nc_u64 s[64:65], s[64:65], s[52:53]
	v_mov_b32_e32 v8, s66
	s_wait_alu 0xfffe
	v_dual_mov_b32 v10, s64 :: v_dual_mov_b32 v5, s71
	v_mov_b32_e32 v7, s69
	v_mov_b32_e32 v9, s67
	;; [unrolled: 1-line block ×3, first 2 shown]
	s_or_b32 s19, vcc_lo, s19
	s_wait_alu 0xfffe
	s_and_not1_b32 exec_lo, exec_lo, s19
	s_cbranch_execnz .LBB141_73
; %bb.74:                               ;   in Loop: Header=BB141_26 Depth=1
	s_or_b32 exec_lo, exec_lo, s19
.LBB141_75:                             ;   in Loop: Header=BB141_26 Depth=1
	s_delay_alu instid0(SALU_CYCLE_1)
	s_or_b32 exec_lo, exec_lo, s17
	v_add_co_u32 v21, s6, s62, v0
	v_and_b32_e32 v2, 0xffff, v2
	s_wait_alu 0xf1ff
	v_add_co_ci_u32_e64 v22, null, s63, 0, s6
	s_mov_b32 s10, exec_lo
	v_cmpx_gt_u64_e64 s[20:21], v[21:22]
	s_cbranch_execz .LBB141_81
; %bb.76:                               ;   in Loop: Header=BB141_26 Depth=1
	v_mul_lo_u32 v36, v22, s36
	v_mul_lo_u32 v37, v21, s37
	v_mad_co_u64_u32 v[23:24], null, v21, s36, 0
	s_mov_b32 s11, 0
	v_add3_u32 v24, v24, v37, v36
	s_delay_alu instid0(VALU_DEP_1) | instskip(NEXT) | instid1(VALU_DEP_1)
	v_lshlrev_b64_e32 v[23:24], 1, v[23:24]
	v_add_co_u32 v23, vcc_lo, s44, v23
	s_wait_alu 0xfffd
	s_delay_alu instid0(VALU_DEP_2)
	v_add_co_ci_u32_e64 v24, null, s45, v24, vcc_lo
	global_load_u16 v24, v[23:24], off
	s_branch .LBB141_78
.LBB141_77:                             ;   in Loop: Header=BB141_78 Depth=2
	s_wait_alu 0xfffe
	s_or_b32 exec_lo, exec_lo, s7
	s_wait_loadcnt 0x0
	v_cmp_lt_i16_e64 s6, -1, v24
	v_and_b32_e32 v36, 0xffff, v24
	v_lshlrev_b32_e32 v24, 16, v24
	s_and_b32 s8, exec_lo, vcc_lo
	s_wait_alu 0xfffe
	s_or_b32 s11, s8, s11
	v_cndmask_b32_e64 v37, 0xffff, v33, s6
	v_cmp_o_f32_e64 s6, v24, v24
	s_delay_alu instid0(VALU_DEP_2) | instskip(SKIP_1) | instid1(VALU_DEP_1)
	v_xor_b32_e32 v36, v37, v36
	s_wait_alu 0xf1ff
	v_cndmask_b32_e64 v24, 0xffff, v36, s6
	s_delay_alu instid0(VALU_DEP_1) | instskip(SKIP_1) | instid1(VALU_DEP_2)
	v_and_b32_e32 v36, v24, v34
	v_bfe_u32 v24, v24, s82, 2
	v_cmp_eq_u32_e64 s6, v36, v30
	s_delay_alu instid0(VALU_DEP_2)
	v_cmp_eq_u32_e64 s7, 0, v24
	v_cmp_eq_u32_e32 vcc_lo, 1, v24
	v_cmp_eq_u32_e64 s8, 2, v24
	s_and_b32 s7, s6, s7
	s_wait_alu 0xfffe
	v_cndmask_b32_e64 v36, 0, 1, s7
	s_and_b32 s7, s6, vcc_lo
	v_cmp_eq_u32_e32 vcc_lo, 3, v24
	s_wait_alu 0xfffe
	v_cndmask_b32_e64 v37, 0, 1, s7
	s_and_b32 s7, s6, s8
	s_wait_alu 0xfffe
	v_cndmask_b32_e64 v38, 0, 1, s7
	v_cmp_ne_u32_e64 s7, 0, v36
	v_cmp_ne_u32_e64 s8, 0, v37
	s_and_b32 s6, s6, vcc_lo
	s_wait_alu 0xfffe
	v_cndmask_b32_e64 v24, 0, 1, s6
	s_bcnt1_i32_b32 s6, s7
	v_cmp_ne_u32_e64 s9, 0, v38
	s_bcnt1_i32_b32 s7, s8
	s_wait_alu 0xfffe
	v_add_co_u32 v4, vcc_lo, v4, s6
	s_wait_alu 0xfffd
	v_add_co_ci_u32_e64 v5, null, 0, v5, vcc_lo
	v_add_co_u32 v6, vcc_lo, v6, s7
	s_wait_alu 0xfffd
	v_add_co_ci_u32_e64 v7, null, 0, v7, vcc_lo
	v_cmp_ne_u32_e32 vcc_lo, 0, v24
	s_bcnt1_i32_b32 s8, s9
	v_mov_b32_e32 v24, v23
	s_wait_alu 0xfffe
	v_add_co_u32 v8, s6, v8, s8
	s_wait_alu 0xf1ff
	v_add_co_ci_u32_e64 v9, null, 0, v9, s6
	s_bcnt1_i32_b32 s6, vcc_lo
	s_wait_alu 0xfffe
	v_add_co_u32 v10, vcc_lo, v10, s6
	s_wait_alu 0xfffd
	v_add_co_ci_u32_e64 v11, null, 0, v11, vcc_lo
	s_and_not1_b32 exec_lo, exec_lo, s11
	s_cbranch_execz .LBB141_80
.LBB141_78:                             ;   Parent Loop BB141_26 Depth=1
                                        ; =>  This Inner Loop Header: Depth=2
	v_add_co_u32 v21, vcc_lo, v21, v2
	s_wait_alu 0xfffd
	v_add_co_ci_u32_e64 v22, null, 0, v22, vcc_lo
	v_mov_b32_e32 v23, 0
	s_mov_b32 s7, exec_lo
	s_delay_alu instid0(VALU_DEP_2)
	v_cmp_le_u64_e32 vcc_lo, s[20:21], v[21:22]
	v_cmpx_gt_u64_e64 s[20:21], v[21:22]
	s_cbranch_execz .LBB141_77
; %bb.79:                               ;   in Loop: Header=BB141_78 Depth=2
	v_mul_lo_u32 v23, v22, s36
	v_mul_lo_u32 v38, v21, s37
	v_mad_co_u64_u32 v[36:37], null, v21, s36, 0
	s_delay_alu instid0(VALU_DEP_1) | instskip(NEXT) | instid1(VALU_DEP_1)
	v_add3_u32 v37, v37, v38, v23
	v_lshlrev_b64_e32 v[36:37], 1, v[36:37]
	s_delay_alu instid0(VALU_DEP_1) | instskip(SKIP_1) | instid1(VALU_DEP_2)
	v_add_co_u32 v36, s6, s44, v36
	s_wait_alu 0xf1ff
	v_add_co_ci_u32_e64 v37, null, s45, v37, s6
	global_load_u16 v23, v[36:37], off
	s_branch .LBB141_77
.LBB141_80:                             ;   in Loop: Header=BB141_26 Depth=1
	s_or_b32 exec_lo, exec_lo, s11
.LBB141_81:                             ;   in Loop: Header=BB141_26 Depth=1
	s_wait_alu 0xfffe
	s_or_b32 exec_lo, exec_lo, s10
	s_branch .LBB141_60
.LBB141_82:                             ;   in Loop: Header=BB141_26 Depth=1
	global_load_u16 v2, v3, s[58:59]
	v_mov_b32_e32 v6, 0
	v_mov_b32_e32 v8, 0
	v_dual_mov_b32 v10, 0 :: v_dual_mov_b32 v9, 0
	v_mov_b32_e32 v11, 0
	s_mov_b32 s92, exec_lo
	v_mov_b32_e32 v7, 0
	s_wait_loadcnt 0x0
	v_readfirstlane_b32 s6, v2
	v_and_b32_e32 v2, 0xffff, v2
	s_and_b32 s61, 0xffff, s6
	s_wait_alu 0xfffe
	s_lshl_b32 s71, s61, 2
	s_wait_alu 0xfffe
	s_cvt_f32_u32 s6, s71
	s_sub_co_i32 s7, 0, s71
	s_wait_alu 0xfffe
	s_delay_alu instid0(SALU_CYCLE_1) | instskip(NEXT) | instid1(TRANS32_DEP_1)
	v_rcp_iflag_f32_e32 v4, s6
	v_readfirstlane_b32 s6, v4
	s_mul_f32 s6, s6, 0x4f7ffffe
	s_wait_alu 0xfffe
	s_delay_alu instid0(SALU_CYCLE_2) | instskip(SKIP_1) | instid1(SALU_CYCLE_2)
	s_cvt_u32_f32 s6, s6
	s_wait_alu 0xfffe
	s_mul_i32 s7, s7, s6
	s_wait_alu 0xfffe
	s_mul_hi_u32 s7, s6, s7
	s_wait_alu 0xfffe
	s_add_co_i32 s6, s6, s7
	s_wait_alu 0xfffe
	s_mul_hi_u32 s6, s60, s6
	s_wait_alu 0xfffe
	s_mul_i32 s7, s6, s71
	s_add_co_i32 s8, s6, 1
	s_wait_alu 0xfffe
	s_sub_co_i32 s7, s60, s7
	s_wait_alu 0xfffe
	s_sub_co_i32 s9, s7, s71
	s_cmp_ge_u32 s7, s71
	s_cselect_b32 s6, s8, s6
	s_wait_alu 0xfffe
	s_cselect_b32 s7, s9, s7
	s_add_co_i32 s8, s6, 1
	s_wait_alu 0xfffe
	s_cmp_ge_u32 s7, s71
	s_cselect_b32 s70, s8, s6
	s_wait_alu 0xfffe
	v_mul_hi_u32 v5, s70, v2
	v_mul_lo_u32 v4, s70, v2
	s_delay_alu instid0(VALU_DEP_1) | instskip(SKIP_2) | instid1(VALU_DEP_3)
	v_lshlrev_b64_e32 v[21:22], 2, v[4:5]
	v_mov_b32_e32 v4, 0
	v_mov_b32_e32 v5, 0
	v_cmpx_gt_u64_e64 v[21:22], v[12:13]
	s_cbranch_execz .LBB141_86
; %bb.83:                               ;   in Loop: Header=BB141_26 Depth=1
	v_mov_b32_e32 v24, v13
	v_dual_mov_b32 v36, v31 :: v_dual_mov_b32 v23, v12
	s_lshl_b32 s93, s61, 3
	s_mov_b64 s[62:63], 0
	s_mov_b32 s94, 0
	s_mov_b64 s[64:65], 0
	s_mov_b64 s[66:67], 0
	;; [unrolled: 1-line block ×3, first 2 shown]
.LBB141_84:                             ;   Parent Loop BB141_26 Depth=1
                                        ; =>  This Inner Loop Header: Depth=2
	ds_load_b64 v[4:5], v36
	v_add_co_u32 v23, vcc_lo, v23, s71
	s_wait_alu 0xfffd
	v_add_co_ci_u32_e64 v24, null, 0, v24, vcc_lo
	s_delay_alu instid0(VALU_DEP_1)
	v_cmp_ge_u64_e32 vcc_lo, v[23:24], v[21:22]
	s_wait_dscnt 0x0
	v_cmp_lt_i16_e64 s6, -1, v4
	v_lshrrev_b32_e32 v7, 16, v5
	v_lshrrev_b32_e32 v6, 16, v4
	v_and_b32_e32 v8, 0xffff, v4
	v_lshlrev_b32_e32 v10, 16, v4
	s_wait_alu 0xf1ff
	v_cndmask_b32_e64 v9, 0xffff, v33, s6
	v_cmp_lt_i16_e64 s6, -1, v5
	v_and_b32_e32 v11, 0xffff, v5
	v_cmp_lt_i16_e64 s7, -1, v7
	v_lshlrev_b32_e32 v38, 16, v5
	v_xor_b32_e32 v8, v9, v8
	s_wait_alu 0xf1ff
	v_cndmask_b32_e64 v37, 0xffff, v33, s6
	v_cmp_lt_i16_e64 s6, -1, v6
	v_and_b32_e32 v4, 0xffff0000, v4
	v_and_b32_e32 v5, 0xffff0000, v5
	s_delay_alu instid0(VALU_DEP_4)
	v_xor_b32_e32 v11, v37, v11
	v_cndmask_b32_e64 v37, 0xffff, v33, s7
	v_cmp_o_f32_e64 s7, v10, v10
	s_wait_alu 0xf1ff
	v_cndmask_b32_e64 v9, 0xffff, v33, s6
	v_cmp_o_f32_e64 s6, v38, v38
	v_xor_b32_e32 v7, v37, v7
	v_cndmask_b32_e64 v8, 0xffff, v8, s7
	s_delay_alu instid0(VALU_DEP_4)
	v_xor_b32_e32 v6, v9, v6
	s_wait_alu 0xf1ff
	v_cndmask_b32_e64 v9, 0xffff, v11, s6
	v_cmp_o_f32_e64 s6, v5, v5
	v_cmp_o_f32_e64 s7, v4, v4
	v_and_b32_e32 v5, v8, v34
	v_bfe_u32 v8, v8, s82, 2
	s_wait_alu 0xf1ff
	s_delay_alu instid0(VALU_DEP_3)
	v_cndmask_b32_e64 v4, 0xffff, v6, s7
	v_cndmask_b32_e64 v6, 0xffff, v7, s6
	v_and_b32_e32 v7, v9, v34
	v_bfe_u32 v9, v9, s82, 2
	v_cmp_eq_u32_e64 s6, v5, v30
	v_cmp_eq_u32_e64 s8, 0, v8
	v_and_b32_e32 v5, v4, v34
	v_cmp_eq_u32_e64 s7, v7, v30
	v_bfe_u32 v4, v4, s82, 2
	v_cmp_eq_u32_e64 s9, 0, v9
	v_cmp_eq_u32_e64 s10, 1, v8
	;; [unrolled: 1-line block ×3, first 2 shown]
	v_and_b32_e32 v7, v6, v34
	v_bfe_u32 v6, v6, s82, 2
	v_cmp_eq_u32_e64 s11, 1, v9
	v_cmp_eq_u32_e64 s13, 2, v9
	;; [unrolled: 1-line block ×3, first 2 shown]
	s_and_b32 s8, s6, s8
	v_cmp_eq_u32_e64 s15, 3, v9
	v_cmp_eq_u32_e64 s16, v5, v30
	;; [unrolled: 1-line block ×3, first 2 shown]
	s_wait_alu 0xfffe
	v_cndmask_b32_e64 v5, 0, 1, s8
	s_and_b32 s8, s7, s9
	s_and_b32 s10, s6, s10
	;; [unrolled: 1-line block ×3, first 2 shown]
	v_cmp_eq_u32_e64 s17, v7, v30
	v_cmp_eq_u32_e64 s19, 0, v6
	s_wait_alu 0xfffe
	v_cndmask_b32_e64 v7, 0, 1, s8
	v_cmp_eq_u32_e64 s8, 1, v4
	v_cndmask_b32_e64 v8, 0, 1, s10
	s_and_b32 s10, s7, s11
	v_cndmask_b32_e64 v10, 0, 1, s12
	s_and_b32 s12, s7, s13
	s_and_b32 s6, s6, s14
	v_cmp_eq_u32_e64 s9, 1, v6
	s_wait_alu 0xfffe
	v_cndmask_b32_e64 v9, 0, 1, s10
	v_cmp_eq_u32_e64 s10, 2, v4
	v_cmp_eq_u32_e64 s11, 2, v6
	v_cndmask_b32_e64 v11, 0, 1, s12
	v_cmp_eq_u32_e64 s12, 3, v4
	v_cndmask_b32_e64 v4, 0, 1, s6
	s_and_b32 s6, s7, s15
	s_and_b32 s7, s16, s18
	v_cmp_eq_u32_e64 s13, 3, v6
	s_wait_alu 0xfffe
	v_cndmask_b32_e64 v6, 0, 1, s6
	v_cmp_ne_u32_e64 s6, 0, v5
	v_cndmask_b32_e64 v5, 0, 1, s7
	s_and_b32 s14, s17, s19
	s_and_b32 s8, s16, s8
	v_cmp_ne_u32_e64 s7, 0, v7
	s_wait_alu 0xfffe
	v_cndmask_b32_e64 v7, 0, 1, s14
	v_cmp_ne_u32_e64 s14, 0, v8
	v_cndmask_b32_e64 v8, 0, 1, s8
	s_and_b32 s9, s17, s9
	s_and_b32 s10, s16, s10
	;; [unrolled: 1-line block ×4, first 2 shown]
	v_cmp_ne_u32_e64 s8, 0, v9
	s_wait_alu 0xfffe
	v_cndmask_b32_e64 v9, 0, 1, s9
	v_cmp_ne_u32_e64 s9, 0, v10
	v_cndmask_b32_e64 v10, 0, 1, s10
	v_cmp_ne_u32_e64 s10, 0, v11
	v_cndmask_b32_e64 v11, 0, 1, s11
	v_cmp_ne_u32_e64 s11, 0, v4
	v_cndmask_b32_e64 v4, 0, 1, s12
	s_and_b32 s13, s17, s13
	s_bcnt1_i32_b32 s15, s6
	v_cmp_ne_u32_e64 s6, 0, v5
	v_cmp_ne_u32_e64 s12, 0, v6
	s_wait_alu 0xfffe
	v_cndmask_b32_e64 v6, 0, 1, s13
	v_cmp_ne_u32_e64 s13, 0, v8
	s_bcnt1_i32_b32 s16, s7
	v_cmp_ne_u32_e64 s7, 0, v7
	s_bcnt1_i32_b32 s18, s9
	;; [unrolled: 2-line block ×4, first 2 shown]
	s_bcnt1_i32_b32 s17, s8
	v_cmp_ne_u32_e64 s8, 0, v9
	s_bcnt1_i32_b32 s14, s14
	s_bcnt1_i32_b32 s13, s13
	s_wait_alu 0xfffe
	s_add_co_i32 s6, s6, s15
	s_bcnt1_i32_b32 s19, s10
	v_cmp_ne_u32_e64 s10, 0, v11
	s_bcnt1_i32_b32 s7, s7
	s_bcnt1_i32_b32 s9, s9
	;; [unrolled: 1-line block ×3, first 2 shown]
	s_add_co_i32 s13, s13, s14
	s_wait_alu 0xfffe
	s_add_co_i32 s6, s6, s16
	s_bcnt1_i32_b32 s95, s12
	v_cmp_ne_u32_e64 s12, 0, v6
	s_bcnt1_i32_b32 s8, s8
	s_add_co_i32 s9, s9, s18
	s_add_co_i32 s11, s11, s52
	;; [unrolled: 1-line block ×3, first 2 shown]
	s_wait_alu 0xfffe
	s_add_co_i32 s52, s6, s7
	s_bcnt1_i32_b32 s10, s10
	s_add_co_i32 s9, s9, s19
	s_wait_alu 0xfffe
	s_add_nc_u64 s[68:69], s[68:69], s[52:53]
	s_add_co_i32 s52, s13, s8
	s_bcnt1_i32_b32 s12, s12
	s_add_co_i32 s11, s11, s95
	s_wait_alu 0xfffe
	s_add_nc_u64 s[66:67], s[66:67], s[52:53]
	s_add_co_i32 s52, s9, s10
	v_mov_b32_e32 v4, s68
	s_wait_alu 0xfffe
	s_add_nc_u64 s[64:65], s[64:65], s[52:53]
	s_add_co_i32 s52, s11, s12
	v_mov_b32_e32 v6, s66
	s_wait_alu 0xfffe
	s_add_nc_u64 s[62:63], s[62:63], s[52:53]
	v_mov_b32_e32 v8, s64
	s_wait_alu 0xfffe
	v_mov_b32_e32 v10, s62
	v_dual_mov_b32 v5, s69 :: v_dual_add_nc_u32 v36, s93, v36
	v_mov_b32_e32 v7, s67
	v_mov_b32_e32 v9, s65
	v_mov_b32_e32 v11, s63
	s_or_b32 s94, vcc_lo, s94
	s_delay_alu instid0(SALU_CYCLE_1)
	s_and_not1_b32 exec_lo, exec_lo, s94
	s_cbranch_execnz .LBB141_84
; %bb.85:                               ;   in Loop: Header=BB141_26 Depth=1
	s_or_b32 exec_lo, exec_lo, s94
.LBB141_86:                             ;   in Loop: Header=BB141_26 Depth=1
	s_delay_alu instid0(SALU_CYCLE_1)
	s_or_b32 exec_lo, exec_lo, s92
	v_add_co_u32 v21, vcc_lo, v21, v0
	s_wait_alu 0xfffd
	v_add_co_ci_u32_e64 v22, null, 0, v22, vcc_lo
	s_and_b32 s52, s60, 0x7fffffff
	s_mov_b32 s11, exec_lo
	s_wait_alu 0xfffe
	v_cmpx_gt_u64_e64 s[52:53], v[21:22]
	s_cbranch_execz .LBB141_90
; %bb.87:                               ;   in Loop: Header=BB141_26 Depth=1
	s_mul_i32 s70, s70, s61
	s_lshl_b32 s13, s61, 1
	s_wait_alu 0xfffe
	v_lshl_add_u32 v23, s70, 3, v26
	s_mov_b32 s12, 0
.LBB141_88:                             ;   Parent Loop BB141_26 Depth=1
                                        ; =>  This Inner Loop Header: Depth=2
	ds_load_u16 v24, v23
	v_add_co_u32 v21, vcc_lo, v21, v2
	s_wait_alu 0xfffd
	v_add_co_ci_u32_e64 v22, null, 0, v22, vcc_lo
	v_add_nc_u32_e32 v23, s13, v23
	s_delay_alu instid0(VALU_DEP_2)
	v_cmp_le_u64_e32 vcc_lo, s[52:53], v[21:22]
	s_wait_dscnt 0x0
	v_cmp_lt_i16_e64 s6, -1, v24
	v_and_b32_e32 v36, 0xffff, v24
	v_lshlrev_b32_e32 v24, 16, v24
	s_wait_alu 0xf1ff
	s_delay_alu instid0(VALU_DEP_3) | instskip(NEXT) | instid1(VALU_DEP_2)
	v_cndmask_b32_e64 v37, 0xffff, v33, s6
	v_cmp_o_f32_e64 s6, v24, v24
	s_delay_alu instid0(VALU_DEP_2) | instskip(SKIP_1) | instid1(VALU_DEP_1)
	v_xor_b32_e32 v36, v37, v36
	s_wait_alu 0xf1ff
	v_cndmask_b32_e64 v24, 0xffff, v36, s6
	s_delay_alu instid0(VALU_DEP_1) | instskip(SKIP_1) | instid1(VALU_DEP_2)
	v_and_b32_e32 v36, v24, v34
	v_bfe_u32 v24, v24, s82, 2
	v_cmp_eq_u32_e64 s6, v36, v30
	s_delay_alu instid0(VALU_DEP_2)
	v_cmp_eq_u32_e64 s7, 0, v24
	v_cmp_eq_u32_e64 s8, 1, v24
	;; [unrolled: 1-line block ×4, first 2 shown]
	s_and_b32 s7, s6, s7
	s_wait_alu 0xfffe
	v_cndmask_b32_e64 v24, 0, 1, s7
	s_and_b32 s7, s6, s8
	s_wait_alu 0xfffe
	v_cndmask_b32_e64 v36, 0, 1, s7
	s_and_b32 s7, s6, s9
	s_and_b32 s6, s6, s10
	s_wait_alu 0xfffe
	v_cndmask_b32_e64 v37, 0, 1, s7
	v_cndmask_b32_e64 v38, 0, 1, s6
	v_cmp_ne_u32_e64 s6, 0, v24
	v_cmp_ne_u32_e64 s7, 0, v36
	s_delay_alu instid0(VALU_DEP_4) | instskip(NEXT) | instid1(VALU_DEP_4)
	v_cmp_ne_u32_e64 s8, 0, v37
	v_cmp_ne_u32_e64 s9, 0, v38
	s_bcnt1_i32_b32 s6, s6
	s_bcnt1_i32_b32 s7, s7
	s_wait_alu 0xfffe
	v_add_co_u32 v4, s6, v4, s6
	s_bcnt1_i32_b32 s8, s8
	v_add_co_ci_u32_e64 v5, null, 0, v5, s6
	v_add_co_u32 v6, s6, v6, s7
	s_bcnt1_i32_b32 s9, s9
	v_add_co_ci_u32_e64 v7, null, 0, v7, s6
	s_wait_alu 0xfffe
	v_add_co_u32 v8, s6, v8, s8
	s_wait_alu 0xf1ff
	v_add_co_ci_u32_e64 v9, null, 0, v9, s6
	v_add_co_u32 v10, s6, v10, s9
	s_wait_alu 0xf1ff
	v_add_co_ci_u32_e64 v11, null, 0, v11, s6
	s_or_b32 s12, vcc_lo, s12
	s_wait_alu 0xfffe
	s_and_not1_b32 exec_lo, exec_lo, s12
	s_cbranch_execnz .LBB141_88
; %bb.89:                               ;   in Loop: Header=BB141_26 Depth=1
	s_or_b32 exec_lo, exec_lo, s12
.LBB141_90:                             ;   in Loop: Header=BB141_26 Depth=1
	s_delay_alu instid0(SALU_CYCLE_1)
	s_or_b32 exec_lo, exec_lo, s11
	s_lshl_b32 s6, s85, 7
	s_and_saveexec_b32 s7, s1
	s_cbranch_execnz .LBB141_61
	s_branch .LBB141_62
.LBB141_91:                             ;   in Loop: Header=BB141_26 Depth=1
                                        ; implicit-def: $sgpr6_sgpr7
	s_branch .LBB141_70
.LBB141_92:                             ;   in Loop: Header=BB141_26 Depth=1
	s_mov_b32 s8, 0
	s_and_not1_b32 vcc_lo, exec_lo, s79
	s_wait_alu 0xfffe
	s_cbranch_vccnz .LBB141_95
.LBB141_93:                             ;   in Loop: Header=BB141_26 Depth=1
	s_lshl_b32 s9, s85, 10
	s_lshl_b32 s8, s8, 5
	s_wait_alu 0xfffe
	v_add3_u32 v2, s9, s8, v32
	s_mov_b32 s8, s75
.LBB141_94:                             ;   Parent Loop BB141_26 Depth=1
                                        ; =>  This Inner Loop Header: Depth=2
	ds_load_b64 v[6:7], v2
	v_add_nc_u32_e32 v2, 32, v2
	s_wait_alu 0xfffe
	s_add_co_i32 s8, s8, -1
	s_wait_alu 0xfffe
	s_cmp_lg_u32 s8, 0
	s_wait_dscnt 0x0
	v_add_co_u32 v4, vcc_lo, v6, v4
	s_wait_alu 0xfffd
	v_add_co_ci_u32_e64 v5, null, v7, v5, vcc_lo
	s_cbranch_scc1 .LBB141_94
.LBB141_95:                             ;   in Loop: Header=BB141_26 Depth=1
	v_add_lshl_u32 v2, s6, v25, 3
	ds_store_b64 v2, v[4:5] offset:3072
.LBB141_96:                             ;   in Loop: Header=BB141_26 Depth=1
	s_wait_alu 0xfffe
	s_or_b32 exec_lo, exec_lo, s7
	s_lshl_b32 s6, s6, 3
	s_wait_loadcnt_dscnt 0x0
	s_wait_alu 0xfffe
	v_mov_b32_e32 v2, s6
	s_barrier_signal -1
	s_barrier_wait -1
	global_inv scope:SCOPE_SE
	v_cmp_eq_u64_e32 vcc_lo, 1, v[19:20]
	ds_load_b128 v[4:7], v2 offset:3072
	ds_load_b128 v[8:11], v2 offset:3088
	s_lshl_b32 s16, 3, s82
	s_mov_b32 s18, -1
	s_wait_alu 0xfffe
	s_not_b32 s60, s16
                                        ; implicit-def: $sgpr62
                                        ; implicit-def: $sgpr61
	s_wait_dscnt 0x1
	v_cmp_eq_u64_e64 s6, 1, v[4:5]
	s_wait_dscnt 0x0
	v_readfirstlane_b32 s10, v8
	v_readfirstlane_b32 s11, v9
	;; [unrolled: 1-line block ×4, first 2 shown]
	s_and_b32 s19, s6, vcc_lo
	s_mov_b32 s6, -1
	s_wait_alu 0xfffe
	s_and_saveexec_b32 s17, s19
	s_cbranch_execz .LBB141_128
; %bb.97:                               ;   in Loop: Header=BB141_26 Depth=1
	ds_load_b64 v[8:9], v3 offset:5120
	s_wait_loadcnt_dscnt 0x0
	s_barrier_signal -1
	s_barrier_wait -1
	global_inv scope:SCOPE_SE
	v_readfirstlane_b32 s6, v8
	v_readfirstlane_b32 s7, v9
	s_and_saveexec_b32 s12, s0
; %bb.98:                               ;   in Loop: Header=BB141_26 Depth=1
	ds_store_b16 v27, v3
; %bb.99:                               ;   in Loop: Header=BB141_26 Depth=1
	s_wait_alu 0xfffe
	s_or_b32 exec_lo, exec_lo, s12
	v_and_b32_e32 v30, s60, v30
	v_or_b32_e32 v34, s16, v34
	s_mov_b32 s61, -1
	s_mov_b32 s62, 0
	s_cmp_eq_u64 s[6:7], 0
	s_mov_b32 s14, 0
	s_mov_b32 s15, -1
	s_wait_loadcnt_dscnt 0x0
	s_barrier_signal -1
	s_barrier_wait -1
	global_inv scope:SCOPE_SE
                                        ; implicit-def: $vgpr35
	s_cbranch_scc1 .LBB141_113
; %bb.100:                              ;   in Loop: Header=BB141_26 Depth=1
	s_add_nc_u64 s[12:13], s[6:7], s[54:55]
	s_mov_b32 s14, s53
	s_wait_alu 0xfffe
	s_mov_b32 s15, s13
	s_wait_alu 0xfffe
	s_cmp_lg_u64 s[14:15], 0
	s_cbranch_scc0 .LBB141_154
; %bb.101:                              ;   in Loop: Header=BB141_26 Depth=1
	s_cvt_f32_u32 s14, s50
	s_sub_nc_u64 s[64:65], 0, s[50:51]
	s_wait_alu 0xfffe
	s_delay_alu instid0(SALU_CYCLE_1) | instskip(SKIP_1) | instid1(SALU_CYCLE_2)
	s_fmamk_f32 s14, s81, 0x0, s14
	s_wait_alu 0xfffe
	v_s_rcp_f32 s14, s14
	s_delay_alu instid0(TRANS32_DEP_1) | instskip(SKIP_1) | instid1(SALU_CYCLE_2)
	s_mul_f32 s14, s14, 0x5f7ffffc
	s_wait_alu 0xfffe
	s_mul_f32 s15, s14, 0x2f800000
	s_wait_alu 0xfffe
	s_delay_alu instid0(SALU_CYCLE_2) | instskip(SKIP_1) | instid1(SALU_CYCLE_2)
	s_trunc_f32 s15, s15
	s_wait_alu 0xfffe
	s_fmamk_f32 s14, s15, 0xcf800000, s14
	s_cvt_u32_f32 s15, s15
	s_wait_alu 0xfffe
	s_delay_alu instid0(SALU_CYCLE_1) | instskip(SKIP_1) | instid1(SALU_CYCLE_2)
	s_cvt_u32_f32 s14, s14
	s_wait_alu 0xfffe
	s_mul_u64 s[66:67], s[64:65], s[14:15]
	s_wait_alu 0xfffe
	s_mul_hi_u32 s69, s14, s67
	s_mul_i32 s68, s14, s67
	s_mul_hi_u32 s52, s14, s66
	s_mul_i32 s70, s15, s66
	s_wait_alu 0xfffe
	s_add_nc_u64 s[68:69], s[52:53], s[68:69]
	s_mul_hi_u32 s63, s15, s66
	s_mul_hi_u32 s71, s15, s67
	s_wait_alu 0xfffe
	s_add_co_u32 s52, s68, s70
	s_add_co_ci_u32 s52, s69, s63
	s_mul_i32 s66, s15, s67
	s_add_co_ci_u32 s67, s71, 0
	s_wait_alu 0xfffe
	s_add_nc_u64 s[66:67], s[52:53], s[66:67]
	s_wait_alu 0xfffe
	s_add_co_u32 s14, s14, s66
	s_cselect_b32 s52, -1, 0
	s_wait_alu 0xfffe
	s_cmp_lg_u32 s52, 0
	s_add_co_ci_u32 s15, s15, s67
	s_wait_alu 0xfffe
	s_mul_u64 s[64:65], s[64:65], s[14:15]
	s_wait_alu 0xfffe
	s_mul_hi_u32 s67, s14, s65
	s_mul_i32 s66, s14, s65
	s_mul_hi_u32 s52, s14, s64
	s_mul_i32 s68, s15, s64
	s_wait_alu 0xfffe
	s_add_nc_u64 s[66:67], s[52:53], s[66:67]
	s_mul_hi_u32 s63, s15, s64
	s_mul_hi_u32 s69, s15, s65
	s_wait_alu 0xfffe
	s_add_co_u32 s52, s66, s68
	s_add_co_ci_u32 s52, s67, s63
	s_mul_i32 s64, s15, s65
	s_add_co_ci_u32 s65, s69, 0
	s_wait_alu 0xfffe
	s_add_nc_u64 s[64:65], s[52:53], s[64:65]
	s_wait_alu 0xfffe
	s_add_co_u32 s14, s14, s64
	s_cselect_b32 s63, -1, 0
	s_wait_alu 0xfffe
	s_mul_hi_u32 s52, s12, s14
	s_cmp_lg_u32 s63, 0
	s_mul_hi_u32 s63, s13, s14
	s_add_co_ci_u32 s64, s15, s65
	s_mul_i32 s65, s13, s14
	s_wait_alu 0xfffe
	s_mul_hi_u32 s15, s12, s64
	s_mul_i32 s14, s12, s64
	s_mul_hi_u32 s66, s13, s64
	s_wait_alu 0xfffe
	s_add_nc_u64 s[14:15], s[52:53], s[14:15]
	s_mul_i32 s64, s13, s64
	s_wait_alu 0xfffe
	s_add_co_u32 s14, s14, s65
	s_add_co_ci_u32 s52, s15, s63
	s_add_co_ci_u32 s65, s66, 0
	s_wait_alu 0xfffe
	s_add_nc_u64 s[14:15], s[52:53], s[64:65]
	s_wait_alu 0xfffe
	s_mul_u64 s[14:15], s[50:51], s[14:15]
	s_wait_alu 0xfffe
	s_sub_co_u32 s14, s12, s14
	s_cselect_b32 s52, -1, 0
	s_wait_alu 0xfffe
	s_cmp_lg_u32 s52, 0
	s_sub_co_ci_u32 s15, s13, s15
	s_sub_co_u32 s52, s14, s50
	s_cselect_b32 s63, -1, 0
	s_wait_alu 0xfffe
	s_cmp_lg_u32 s63, 0
	s_sub_co_ci_u32 s63, s15, 0
	;; [unrolled: 5-line block ×3, first 2 shown]
	s_cmp_ge_u32 s52, s50
	s_cselect_b32 s66, -1, 0
	s_cmp_eq_u32 s63, 0
	s_wait_alu 0xfffe
	s_cselect_b32 s66, s66, -1
	s_wait_alu 0xfffe
	s_cmp_lg_u32 s66, 0
	s_cselect_b32 s63, s65, s63
	s_cselect_b32 s52, s64, s52
	s_cmp_ge_u32 s14, s50
	s_cselect_b32 s64, -1, 0
	s_cmp_eq_u32 s15, 0
	s_wait_alu 0xfffe
	s_cselect_b32 s64, s64, -1
	s_wait_alu 0xfffe
	s_cmp_lg_u32 s64, 0
	s_cselect_b32 s15, s63, s15
	s_cselect_b32 s14, s52, s14
	s_cbranch_execnz .LBB141_103
.LBB141_102:                            ;   in Loop: Header=BB141_26 Depth=1
	v_cvt_f32_u32_e32 v2, s50
	s_sub_co_i32 s15, 0, s50
	s_delay_alu instid0(VALU_DEP_1) | instskip(NEXT) | instid1(TRANS32_DEP_1)
	v_rcp_iflag_f32_e32 v2, v2
	v_mul_f32_e32 v2, 0x4f7ffffe, v2
	s_delay_alu instid0(VALU_DEP_1) | instskip(NEXT) | instid1(VALU_DEP_1)
	v_cvt_u32_f32_e32 v2, v2
	v_readfirstlane_b32 s14, v2
	s_wait_alu 0xfffe
	s_mul_i32 s15, s15, s14
	s_wait_alu 0xfffe
	s_mul_hi_u32 s15, s14, s15
	s_wait_alu 0xfffe
	s_add_co_i32 s14, s14, s15
	s_wait_alu 0xfffe
	s_mul_hi_u32 s14, s12, s14
	s_wait_alu 0xfffe
	s_mul_i32 s14, s14, s50
	s_wait_alu 0xfffe
	s_sub_co_i32 s14, s12, s14
	s_wait_alu 0xfffe
	s_sub_co_i32 s15, s14, s50
	s_cmp_ge_u32 s14, s50
	s_wait_alu 0xfffe
	s_cselect_b32 s14, s15, s14
	s_wait_alu 0xfffe
	s_sub_co_i32 s15, s14, s50
	s_cmp_ge_u32 s14, s50
	s_wait_alu 0xfffe
	s_cselect_b32 s52, s15, s14
	s_wait_alu 0xfffe
	s_mov_b64 s[14:15], s[52:53]
.LBB141_103:                            ;   in Loop: Header=BB141_26 Depth=1
	s_wait_alu 0xfffe
	s_sub_nc_u64 s[12:13], s[12:13], s[14:15]
	s_mov_b32 s15, 0
	s_mov_b32 s14, 0
	s_mov_b32 s52, exec_lo
                                        ; implicit-def: $vgpr35
	s_wait_alu 0xfffe
	v_cmpx_gt_u64_e64 s[12:13], v[0:1]
	s_cbranch_execz .LBB141_112
; %bb.104:                              ;   in Loop: Header=BB141_26 Depth=1
	v_dual_mov_b32 v2, v26 :: v_dual_mov_b32 v9, v1
	v_mov_b32_e32 v8, v0
                                        ; implicit-def: $sgpr63
	s_branch .LBB141_107
.LBB141_105:                            ;   in Loop: Header=BB141_107 Depth=2
	s_wait_alu 0xfffe
	s_or_b32 exec_lo, exec_lo, s64
	s_wait_loadcnt_dscnt 0x0
	s_barrier_signal -1
	s_barrier_wait -1
	global_inv scope:SCOPE_SE
	ds_load_b32 v10, v3 offset:3072
	s_mov_b32 s64, -1
	s_mov_b32 s65, -1
	s_wait_loadcnt_dscnt 0x0
	s_barrier_signal -1
	s_barrier_wait -1
	global_inv scope:SCOPE_SE
	v_and_b32_e32 v11, 0x7fff, v10
	s_delay_alu instid0(VALU_DEP_1)
	v_cmp_ne_u32_e32 vcc_lo, 0, v11
	s_cbranch_vccz .LBB141_110
.LBB141_106:                            ;   in Loop: Header=BB141_107 Depth=2
	s_wait_alu 0xfffe
	s_and_b32 s64, exec_lo, s64
	s_wait_alu 0xfffe
	s_or_b32 s14, s64, s14
	s_and_not1_b32 s63, s63, exec_lo
	s_and_b32 s64, s65, exec_lo
	s_wait_alu 0xfffe
	s_or_b32 s63, s63, s64
	s_and_not1_b32 exec_lo, exec_lo, s14
	s_cbranch_execz .LBB141_111
.LBB141_107:                            ;   Parent Loop BB141_26 Depth=1
                                        ; =>  This Inner Loop Header: Depth=2
	s_mov_b32 s64, exec_lo
	s_delay_alu instid0(VALU_DEP_1)
	v_cmpx_gt_u64_e64 s[6:7], v[8:9]
	s_cbranch_execz .LBB141_105
; %bb.108:                              ;   in Loop: Header=BB141_107 Depth=2
	ds_load_u16 v10, v2
	s_wait_dscnt 0x0
	v_cmp_lt_i16_e32 vcc_lo, -1, v10
	v_and_b32_e32 v11, 0xffff, v10
	s_wait_alu 0xfffd
	v_dual_cndmask_b32 v21, 0xffff, v33 :: v_dual_lshlrev_b32 v22, 16, v10
	s_delay_alu instid0(VALU_DEP_1) | instskip(NEXT) | instid1(VALU_DEP_2)
	v_cmp_o_f32_e32 vcc_lo, v22, v22
	v_xor_b32_e32 v11, v21, v11
	s_wait_alu 0xfffd
	s_delay_alu instid0(VALU_DEP_1) | instskip(NEXT) | instid1(VALU_DEP_1)
	v_cndmask_b32_e32 v11, 0xffff, v11, vcc_lo
	v_and_b32_e32 v11, v11, v34
	s_delay_alu instid0(VALU_DEP_1)
	v_cmp_eq_u32_e32 vcc_lo, v11, v30
	s_and_b32 exec_lo, exec_lo, vcc_lo
	s_cbranch_execz .LBB141_105
; %bb.109:                              ;   in Loop: Header=BB141_107 Depth=2
	v_perm_b32 v10, v10, s84, 0x5040100
	ds_store_b32 v3, v10 offset:3072
	s_branch .LBB141_105
.LBB141_110:                            ;   in Loop: Header=BB141_107 Depth=2
	v_add_co_u32 v8, vcc_lo, v8, s50
	s_wait_alu 0xfffd
	v_add_co_ci_u32_e64 v9, null, 0, v9, vcc_lo
	v_add_nc_u32_e32 v2, s80, v2
	s_mov_b32 s65, 0
	s_delay_alu instid0(VALU_DEP_2)
	v_cmp_le_u64_e32 vcc_lo, s[12:13], v[8:9]
	s_or_not1_b32 s64, vcc_lo, exec_lo
	s_branch .LBB141_106
.LBB141_111:                            ;   in Loop: Header=BB141_26 Depth=1
	s_or_b32 exec_lo, exec_lo, s14
	v_lshrrev_b32_e32 v35, 16, v10
	s_wait_alu 0xfffe
	s_and_b32 s14, s63, exec_lo
.LBB141_112:                            ;   in Loop: Header=BB141_26 Depth=1
	s_or_b32 exec_lo, exec_lo, s52
.LBB141_113:                            ;   in Loop: Header=BB141_26 Depth=1
	s_wait_alu 0xfffe
	s_and_b32 vcc_lo, exec_lo, s15
	s_wait_alu 0xfffe
	s_cbranch_vccz .LBB141_127
; %bb.114:                              ;   in Loop: Header=BB141_26 Depth=1
	s_mov_b32 s6, s53
	s_mov_b32 s7, s57
	s_wait_alu 0xfffe
	s_cmp_lg_u64 s[6:7], 0
	s_cbranch_scc0 .LBB141_158
; %bb.115:                              ;   in Loop: Header=BB141_26 Depth=1
	s_cvt_f32_u32 s6, s50
	s_sub_nc_u64 s[12:13], 0, s[50:51]
	s_wait_alu 0xfffe
	s_delay_alu instid0(SALU_CYCLE_1) | instskip(SKIP_1) | instid1(SALU_CYCLE_2)
	s_fmamk_f32 s6, s81, 0x0, s6
	s_wait_alu 0xfffe
	v_s_rcp_f32 s6, s6
	s_delay_alu instid0(TRANS32_DEP_1) | instskip(SKIP_1) | instid1(SALU_CYCLE_2)
	s_mul_f32 s6, s6, 0x5f7ffffc
	s_wait_alu 0xfffe
	s_mul_f32 s7, s6, 0x2f800000
	s_wait_alu 0xfffe
	s_delay_alu instid0(SALU_CYCLE_2) | instskip(SKIP_1) | instid1(SALU_CYCLE_2)
	s_trunc_f32 s7, s7
	s_wait_alu 0xfffe
	s_fmamk_f32 s6, s7, 0xcf800000, s6
	s_cvt_u32_f32 s7, s7
	s_wait_alu 0xfffe
	s_delay_alu instid0(SALU_CYCLE_1) | instskip(SKIP_1) | instid1(SALU_CYCLE_2)
	s_cvt_u32_f32 s6, s6
	s_wait_alu 0xfffe
	s_mul_u64 s[62:63], s[12:13], s[6:7]
	s_wait_alu 0xfffe
	s_mul_hi_u32 s65, s6, s63
	s_mul_i32 s64, s6, s63
	s_mul_hi_u32 s52, s6, s62
	s_mul_i32 s61, s7, s62
	s_wait_alu 0xfffe
	s_add_nc_u64 s[64:65], s[52:53], s[64:65]
	s_mul_hi_u32 s15, s7, s62
	s_mul_hi_u32 s66, s7, s63
	s_wait_alu 0xfffe
	s_add_co_u32 s52, s64, s61
	s_add_co_ci_u32 s52, s65, s15
	s_mul_i32 s62, s7, s63
	s_add_co_ci_u32 s63, s66, 0
	s_wait_alu 0xfffe
	s_add_nc_u64 s[62:63], s[52:53], s[62:63]
	s_wait_alu 0xfffe
	s_add_co_u32 s6, s6, s62
	s_cselect_b32 s15, -1, 0
	s_wait_alu 0xfffe
	s_cmp_lg_u32 s15, 0
	s_add_co_ci_u32 s7, s7, s63
	s_wait_alu 0xfffe
	s_mul_u64 s[12:13], s[12:13], s[6:7]
	s_wait_alu 0xfffe
	s_mul_hi_u32 s63, s6, s13
	s_mul_i32 s62, s6, s13
	s_mul_hi_u32 s52, s6, s12
	s_mul_i32 s61, s7, s12
	s_wait_alu 0xfffe
	s_add_nc_u64 s[62:63], s[52:53], s[62:63]
	s_mul_hi_u32 s15, s7, s12
	s_mul_hi_u32 s64, s7, s13
	s_mul_i32 s12, s7, s13
	s_wait_alu 0xfffe
	s_add_co_u32 s13, s62, s61
	s_add_co_ci_u32 s52, s63, s15
	s_add_co_ci_u32 s13, s64, 0
	s_wait_alu 0xfffe
	s_add_nc_u64 s[12:13], s[52:53], s[12:13]
	s_wait_alu 0xfffe
	s_add_co_u32 s6, s6, s12
	s_cselect_b32 s12, -1, 0
	s_wait_alu 0xfffe
	s_mul_hi_u32 s52, s56, s6
	s_cmp_lg_u32 s12, 0
	s_mul_hi_u32 s15, s57, s6
	s_add_co_ci_u32 s12, s7, s13
	s_mul_i32 s13, s57, s6
	s_wait_alu 0xfffe
	s_mul_hi_u32 s7, s56, s12
	s_mul_i32 s6, s56, s12
	s_mul_hi_u32 s61, s57, s12
	s_wait_alu 0xfffe
	s_add_nc_u64 s[6:7], s[52:53], s[6:7]
	s_mul_i32 s12, s57, s12
	s_wait_alu 0xfffe
	s_add_co_u32 s6, s6, s13
	s_add_co_ci_u32 s52, s7, s15
	s_add_co_ci_u32 s13, s61, 0
	s_wait_alu 0xfffe
	s_add_nc_u64 s[6:7], s[52:53], s[12:13]
	s_wait_alu 0xfffe
	s_mul_u64 s[6:7], s[50:51], s[6:7]
	s_wait_alu 0xfffe
	s_sub_co_u32 s6, s56, s6
	s_cselect_b32 s12, -1, 0
	s_wait_alu 0xfffe
	s_cmp_lg_u32 s12, 0
	s_sub_co_ci_u32 s7, s57, s7
	s_sub_co_u32 s12, s6, s50
	s_cselect_b32 s13, -1, 0
	s_wait_alu 0xfffe
	s_cmp_lg_u32 s13, 0
	s_sub_co_ci_u32 s13, s7, 0
	;; [unrolled: 5-line block ×3, first 2 shown]
	s_cmp_ge_u32 s12, s50
	s_cselect_b32 s61, -1, 0
	s_cmp_eq_u32 s13, 0
	s_wait_alu 0xfffe
	s_cselect_b32 s61, s61, -1
	s_wait_alu 0xfffe
	s_cmp_lg_u32 s61, 0
	s_cselect_b32 s13, s52, s13
	s_cselect_b32 s12, s15, s12
	s_cmp_ge_u32 s6, s50
	s_cselect_b32 s15, -1, 0
	s_cmp_eq_u32 s7, 0
	s_wait_alu 0xfffe
	s_cselect_b32 s15, s15, -1
	s_wait_alu 0xfffe
	s_cmp_lg_u32 s15, 0
	s_cselect_b32 s7, s13, s7
	s_cselect_b32 s6, s12, s6
	s_cbranch_execnz .LBB141_117
.LBB141_116:                            ;   in Loop: Header=BB141_26 Depth=1
	v_cvt_f32_u32_e32 v2, s50
	s_sub_co_i32 s7, 0, s50
	s_delay_alu instid0(VALU_DEP_1) | instskip(NEXT) | instid1(TRANS32_DEP_1)
	v_rcp_iflag_f32_e32 v2, v2
	v_mul_f32_e32 v2, 0x4f7ffffe, v2
	s_delay_alu instid0(VALU_DEP_1) | instskip(NEXT) | instid1(VALU_DEP_1)
	v_cvt_u32_f32_e32 v2, v2
	v_readfirstlane_b32 s6, v2
	s_wait_alu 0xfffe
	s_mul_i32 s7, s7, s6
	s_wait_alu 0xfffe
	s_mul_hi_u32 s7, s6, s7
	s_wait_alu 0xfffe
	s_add_co_i32 s6, s6, s7
	s_wait_alu 0xfffe
	s_mul_hi_u32 s6, s56, s6
	s_wait_alu 0xfffe
	s_mul_i32 s6, s6, s50
	s_wait_alu 0xfffe
	s_sub_co_i32 s6, s56, s6
	s_wait_alu 0xfffe
	s_sub_co_i32 s7, s6, s50
	s_cmp_ge_u32 s6, s50
	s_wait_alu 0xfffe
	s_cselect_b32 s6, s7, s6
	s_wait_alu 0xfffe
	s_sub_co_i32 s7, s6, s50
	s_cmp_ge_u32 s6, s50
	s_wait_alu 0xfffe
	s_cselect_b32 s52, s7, s6
	s_wait_alu 0xfffe
	s_mov_b64 s[6:7], s[52:53]
.LBB141_117:                            ;   in Loop: Header=BB141_26 Depth=1
	s_wait_alu 0xfffe
	s_sub_nc_u64 s[6:7], s[56:57], s[6:7]
	s_mov_b32 s12, exec_lo
                                        ; implicit-def: $vgpr35
	s_wait_alu 0xfffe
	v_cmpx_gt_u64_e64 s[6:7], v[0:1]
	s_cbranch_execz .LBB141_126
; %bb.118:                              ;   in Loop: Header=BB141_26 Depth=1
	v_dual_mov_b32 v9, v1 :: v_dual_mov_b32 v8, v0
	s_mov_b32 s13, 0
                                        ; implicit-def: $sgpr15
	s_branch .LBB141_121
.LBB141_119:                            ;   in Loop: Header=BB141_121 Depth=2
	s_wait_alu 0xfffe
	s_or_b32 exec_lo, exec_lo, s52
	s_wait_loadcnt_dscnt 0x0
	s_barrier_signal -1
	s_barrier_wait -1
	global_inv scope:SCOPE_SE
	ds_load_b32 v2, v3 offset:3072
	s_mov_b32 s61, -1
	s_mov_b32 s52, -1
	s_wait_loadcnt_dscnt 0x0
	s_barrier_signal -1
	s_barrier_wait -1
	global_inv scope:SCOPE_SE
	v_and_b32_e32 v10, 0x7fff, v2
	s_delay_alu instid0(VALU_DEP_1)
	v_cmp_ne_u32_e32 vcc_lo, 0, v10
	s_cbranch_vccz .LBB141_124
.LBB141_120:                            ;   in Loop: Header=BB141_121 Depth=2
	s_wait_alu 0xfffe
	s_and_b32 s61, exec_lo, s61
	s_wait_alu 0xfffe
	s_or_b32 s13, s61, s13
	s_and_not1_b32 s15, s15, exec_lo
	s_and_b32 s52, s52, exec_lo
	s_wait_alu 0xfffe
	s_or_b32 s15, s15, s52
	s_and_not1_b32 exec_lo, exec_lo, s13
	s_cbranch_execz .LBB141_125
.LBB141_121:                            ;   Parent Loop BB141_26 Depth=1
                                        ; =>  This Inner Loop Header: Depth=2
	s_mov_b32 s52, exec_lo
	s_delay_alu instid0(VALU_DEP_1)
	v_cmpx_gt_u64_e64 s[20:21], v[8:9]
	s_cbranch_execz .LBB141_119
; %bb.122:                              ;   in Loop: Header=BB141_121 Depth=2
	v_mul_lo_u32 v2, v9, s36
	v_mul_lo_u32 v21, v8, s37
	v_mad_co_u64_u32 v[10:11], null, v8, s36, 0
	s_delay_alu instid0(VALU_DEP_1) | instskip(NEXT) | instid1(VALU_DEP_1)
	v_add3_u32 v11, v11, v21, v2
	v_lshlrev_b64_e32 v[10:11], 1, v[10:11]
	s_delay_alu instid0(VALU_DEP_1) | instskip(SKIP_1) | instid1(VALU_DEP_2)
	v_add_co_u32 v10, vcc_lo, s44, v10
	s_wait_alu 0xfffd
	v_add_co_ci_u32_e64 v11, null, s45, v11, vcc_lo
	global_load_u16 v2, v[10:11], off
	s_wait_loadcnt 0x0
	v_cmp_lt_i16_e32 vcc_lo, -1, v2
	v_and_b32_e32 v10, 0xffff, v2
	v_lshlrev_b32_e32 v21, 16, v2
	s_wait_alu 0xfffd
	v_cndmask_b32_e32 v11, 0xffff, v33, vcc_lo
	s_delay_alu instid0(VALU_DEP_2) | instskip(NEXT) | instid1(VALU_DEP_2)
	v_cmp_o_f32_e32 vcc_lo, v21, v21
	v_xor_b32_e32 v10, v11, v10
	s_wait_alu 0xfffd
	s_delay_alu instid0(VALU_DEP_1) | instskip(NEXT) | instid1(VALU_DEP_1)
	v_cndmask_b32_e32 v10, 0xffff, v10, vcc_lo
	v_and_b32_e32 v10, v10, v34
	s_delay_alu instid0(VALU_DEP_1)
	v_cmp_eq_u32_e32 vcc_lo, v10, v30
	s_and_b32 exec_lo, exec_lo, vcc_lo
	s_cbranch_execz .LBB141_119
; %bb.123:                              ;   in Loop: Header=BB141_121 Depth=2
	v_perm_b32 v2, v2, s84, 0x5040100
	ds_store_b32 v3, v2 offset:3072
	s_branch .LBB141_119
.LBB141_124:                            ;   in Loop: Header=BB141_121 Depth=2
	v_add_co_u32 v8, vcc_lo, v8, s50
	s_wait_alu 0xfffd
	v_add_co_ci_u32_e64 v9, null, 0, v9, vcc_lo
	s_mov_b32 s52, 0
	v_cmp_le_u64_e32 vcc_lo, s[6:7], v[8:9]
	s_or_not1_b32 s61, vcc_lo, exec_lo
	s_branch .LBB141_120
.LBB141_125:                            ;   in Loop: Header=BB141_26 Depth=1
	s_or_b32 exec_lo, exec_lo, s13
	v_lshrrev_b32_e32 v35, 16, v2
	s_and_not1_b32 s6, s14, exec_lo
	s_wait_alu 0xfffe
	s_and_b32 s7, s15, exec_lo
	s_wait_alu 0xfffe
	s_or_b32 s14, s6, s7
.LBB141_126:                            ;   in Loop: Header=BB141_26 Depth=1
	s_or_b32 exec_lo, exec_lo, s12
	s_mov_b32 s61, 0
	s_mov_b32 s62, -1
.LBB141_127:                            ;   in Loop: Header=BB141_26 Depth=1
	s_wait_alu 0xfffe
	s_or_not1_b32 s6, s14, exec_lo
.LBB141_128:                            ;   in Loop: Header=BB141_26 Depth=1
	s_wait_alu 0xfffe
	s_or_b32 exec_lo, exec_lo, s17
	s_delay_alu instid0(SALU_CYCLE_1)
	s_and_not1_b32 s7, s90, exec_lo
	s_and_b32 s12, s62, exec_lo
	s_and_not1_b32 s13, s88, exec_lo
	s_and_b32 s14, s61, exec_lo
	s_and_not1_b32 s87, s87, exec_lo
	s_wait_alu 0xfffe
	s_or_b32 s90, s7, s12
	s_or_b32 s88, s13, s14
                                        ; implicit-def: $vgpr8_vgpr9
	s_and_saveexec_b32 s17, s6
	s_cbranch_execz .LBB141_25
; %bb.129:                              ;   in Loop: Header=BB141_26 Depth=1
	v_mov_b32_e32 v8, 1
	v_dual_mov_b32 v9, 0 :: v_dual_mov_b32 v2, 1
	s_xor_b32 s12, s19, -1
	s_mov_b32 s7, 0
	s_wait_alu 0xfffe
	s_and_saveexec_b32 s6, s12
	s_cbranch_execz .LBB141_138
; %bb.130:                              ;   in Loop: Header=BB141_26 Depth=1
	s_mov_b32 s7, exec_lo
	v_cmpx_le_u64_e64 v[19:20], v[4:5]
	s_wait_alu 0xfffe
	s_xor_b32 s7, exec_lo, s7
	s_cbranch_execz .LBB141_135
; %bb.131:                              ;   in Loop: Header=BB141_26 Depth=1
	ds_load_b64 v[8:9], v3 offset:5120
	v_and_b32_e32 v30, s60, v30
	v_or_b32_e32 v34, s16, v34
	s_wait_dscnt 0x0
	v_cmp_ne_u64_e32 vcc_lo, 0, v[8:9]
	s_cbranch_vccnz .LBB141_135
; %bb.132:                              ;   in Loop: Header=BB141_26 Depth=1
	s_and_saveexec_b32 s12, s3
; %bb.133:                              ;   in Loop: Header=BB141_26 Depth=1
	ds_store_b64 v3, v[4:5] offset:5128
; %bb.134:                              ;   in Loop: Header=BB141_26 Depth=1
	s_wait_alu 0xfffe
	s_or_b32 exec_lo, exec_lo, s12
	s_wait_loadcnt_dscnt 0x0
	s_barrier_signal -1
	s_barrier_wait -1
	global_inv scope:SCOPE_SE
.LBB141_135:                            ;   in Loop: Header=BB141_26 Depth=1
	s_wait_alu 0xfffe
	s_or_saveexec_b32 s7, s7
	v_mov_b32_e32 v2, 8
	s_mov_b32 s12, 0
	s_wait_alu 0xfffe
	s_xor_b32 exec_lo, exec_lo, s7
; %bb.136:                              ;   in Loop: Header=BB141_26 Depth=1
	v_sub_co_u32 v19, vcc_lo, v19, v4
	s_wait_alu 0xfffd
	v_sub_co_ci_u32_e64 v20, null, v20, v5, vcc_lo
	v_mov_b32_e32 v2, 0
	s_mov_b32 s12, exec_lo
; %bb.137:                              ;   in Loop: Header=BB141_26 Depth=1
	s_or_b32 exec_lo, exec_lo, s7
	s_delay_alu instid0(VALU_DEP_2)
	v_dual_mov_b32 v8, v19 :: v_dual_mov_b32 v9, v20
	s_wait_alu 0xfffe
	s_and_b32 s7, s12, exec_lo
.LBB141_138:                            ;   in Loop: Header=BB141_26 Depth=1
	s_wait_alu 0xfffe
	s_or_b32 exec_lo, exec_lo, s6
	s_mov_b32 s18, -1
	s_mov_b32 s6, -1
                                        ; implicit-def: $sgpr61
                                        ; implicit-def: $sgpr62
	s_and_saveexec_b32 s12, s7
	s_wait_alu 0xfffe
	s_xor_b32 s19, exec_lo, s12
	s_cbranch_execz .LBB141_283
; %bb.139:                              ;   in Loop: Header=BB141_26 Depth=1
	v_cmp_eq_u64_e32 vcc_lo, 1, v[6:7]
	v_cmp_eq_u64_e64 s6, 1, v[8:9]
                                        ; implicit-def: $sgpr62
                                        ; implicit-def: $sgpr61
	s_and_b32 s64, vcc_lo, s6
	s_mov_b32 s6, -1
	s_wait_alu 0xfffe
	s_and_saveexec_b32 s63, s64
	s_cbranch_execz .LBB141_176
; %bb.140:                              ;   in Loop: Header=BB141_26 Depth=1
	ds_load_b64 v[4:5], v3 offset:5120
	s_wait_loadcnt_dscnt 0x0
	s_barrier_signal -1
	s_barrier_wait -1
	global_inv scope:SCOPE_SE
	v_readfirstlane_b32 s6, v4
	v_readfirstlane_b32 s7, v5
	s_and_saveexec_b32 s12, s0
; %bb.141:                              ;   in Loop: Header=BB141_26 Depth=1
	ds_store_b16 v27, v3
; %bb.142:                              ;   in Loop: Header=BB141_26 Depth=1
	s_wait_alu 0xfffe
	s_or_b32 exec_lo, exec_lo, s12
	s_lshl_b32 s12, 1, s82
	v_or_b32_e32 v34, s16, v34
	s_wait_alu 0xfffe
	v_and_or_b32 v30, v30, s60, s12
	s_mov_b32 s61, -1
	s_mov_b32 s62, 0
	s_cmp_eq_u64 s[6:7], 0
	s_mov_b32 s14, 0
	s_mov_b32 s15, -1
	s_wait_loadcnt_dscnt 0x0
	s_barrier_signal -1
	s_barrier_wait -1
	global_inv scope:SCOPE_SE
                                        ; implicit-def: $vgpr35
	s_cbranch_scc1 .LBB141_161
; %bb.143:                              ;   in Loop: Header=BB141_26 Depth=1
	s_add_nc_u64 s[12:13], s[6:7], s[54:55]
	s_mov_b32 s14, s53
	s_wait_alu 0xfffe
	s_mov_b32 s15, s13
	s_wait_alu 0xfffe
	s_cmp_lg_u64 s[14:15], 0
	s_cbranch_scc0 .LBB141_203
; %bb.144:                              ;   in Loop: Header=BB141_26 Depth=1
	s_cvt_f32_u32 s14, s50
	s_sub_nc_u64 s[66:67], 0, s[50:51]
	s_wait_alu 0xfffe
	s_delay_alu instid0(SALU_CYCLE_1) | instskip(SKIP_1) | instid1(SALU_CYCLE_2)
	s_fmamk_f32 s14, s81, 0x0, s14
	s_wait_alu 0xfffe
	v_s_rcp_f32 s14, s14
	s_delay_alu instid0(TRANS32_DEP_1) | instskip(SKIP_1) | instid1(SALU_CYCLE_2)
	s_mul_f32 s14, s14, 0x5f7ffffc
	s_wait_alu 0xfffe
	s_mul_f32 s15, s14, 0x2f800000
	s_wait_alu 0xfffe
	s_delay_alu instid0(SALU_CYCLE_2) | instskip(SKIP_1) | instid1(SALU_CYCLE_2)
	s_trunc_f32 s15, s15
	s_wait_alu 0xfffe
	s_fmamk_f32 s14, s15, 0xcf800000, s14
	s_cvt_u32_f32 s15, s15
	s_wait_alu 0xfffe
	s_delay_alu instid0(SALU_CYCLE_1) | instskip(SKIP_1) | instid1(SALU_CYCLE_2)
	s_cvt_u32_f32 s14, s14
	s_wait_alu 0xfffe
	s_mul_u64 s[68:69], s[66:67], s[14:15]
	s_wait_alu 0xfffe
	s_mul_hi_u32 s71, s14, s69
	s_mul_i32 s70, s14, s69
	s_mul_hi_u32 s52, s14, s68
	s_mul_i32 s92, s15, s68
	s_wait_alu 0xfffe
	s_add_nc_u64 s[70:71], s[52:53], s[70:71]
	s_mul_hi_u32 s65, s15, s68
	s_mul_hi_u32 s93, s15, s69
	s_wait_alu 0xfffe
	s_add_co_u32 s52, s70, s92
	s_add_co_ci_u32 s52, s71, s65
	s_mul_i32 s68, s15, s69
	s_add_co_ci_u32 s69, s93, 0
	s_wait_alu 0xfffe
	s_add_nc_u64 s[68:69], s[52:53], s[68:69]
	s_wait_alu 0xfffe
	s_add_co_u32 s14, s14, s68
	s_cselect_b32 s52, -1, 0
	s_wait_alu 0xfffe
	s_cmp_lg_u32 s52, 0
	s_add_co_ci_u32 s15, s15, s69
	s_wait_alu 0xfffe
	s_mul_u64 s[66:67], s[66:67], s[14:15]
	s_wait_alu 0xfffe
	s_mul_hi_u32 s69, s14, s67
	s_mul_i32 s68, s14, s67
	s_mul_hi_u32 s52, s14, s66
	s_mul_i32 s70, s15, s66
	s_wait_alu 0xfffe
	s_add_nc_u64 s[68:69], s[52:53], s[68:69]
	s_mul_hi_u32 s65, s15, s66
	s_mul_hi_u32 s71, s15, s67
	s_wait_alu 0xfffe
	s_add_co_u32 s52, s68, s70
	s_add_co_ci_u32 s52, s69, s65
	s_mul_i32 s66, s15, s67
	s_add_co_ci_u32 s67, s71, 0
	s_wait_alu 0xfffe
	s_add_nc_u64 s[66:67], s[52:53], s[66:67]
	s_wait_alu 0xfffe
	s_add_co_u32 s14, s14, s66
	s_cselect_b32 s65, -1, 0
	s_wait_alu 0xfffe
	s_mul_hi_u32 s52, s12, s14
	s_cmp_lg_u32 s65, 0
	s_mul_hi_u32 s65, s13, s14
	s_add_co_ci_u32 s66, s15, s67
	s_mul_i32 s67, s13, s14
	s_wait_alu 0xfffe
	s_mul_hi_u32 s15, s12, s66
	s_mul_i32 s14, s12, s66
	s_mul_hi_u32 s68, s13, s66
	s_wait_alu 0xfffe
	s_add_nc_u64 s[14:15], s[52:53], s[14:15]
	s_mul_i32 s66, s13, s66
	s_wait_alu 0xfffe
	s_add_co_u32 s14, s14, s67
	s_add_co_ci_u32 s52, s15, s65
	s_add_co_ci_u32 s67, s68, 0
	s_wait_alu 0xfffe
	s_add_nc_u64 s[14:15], s[52:53], s[66:67]
	s_wait_alu 0xfffe
	s_mul_u64 s[14:15], s[50:51], s[14:15]
	s_wait_alu 0xfffe
	s_sub_co_u32 s14, s12, s14
	s_cselect_b32 s52, -1, 0
	s_wait_alu 0xfffe
	s_cmp_lg_u32 s52, 0
	s_sub_co_ci_u32 s15, s13, s15
	s_sub_co_u32 s52, s14, s50
	s_cselect_b32 s65, -1, 0
	s_wait_alu 0xfffe
	s_cmp_lg_u32 s65, 0
	s_sub_co_ci_u32 s65, s15, 0
	;; [unrolled: 5-line block ×3, first 2 shown]
	s_cmp_ge_u32 s52, s50
	s_cselect_b32 s68, -1, 0
	s_cmp_eq_u32 s65, 0
	s_wait_alu 0xfffe
	s_cselect_b32 s68, s68, -1
	s_wait_alu 0xfffe
	s_cmp_lg_u32 s68, 0
	s_cselect_b32 s65, s67, s65
	s_cselect_b32 s52, s66, s52
	s_cmp_ge_u32 s14, s50
	s_cselect_b32 s66, -1, 0
	s_cmp_eq_u32 s15, 0
	s_wait_alu 0xfffe
	s_cselect_b32 s66, s66, -1
	s_wait_alu 0xfffe
	s_cmp_lg_u32 s66, 0
	s_cselect_b32 s15, s65, s15
	s_cselect_b32 s14, s52, s14
	s_cbranch_execnz .LBB141_146
.LBB141_145:                            ;   in Loop: Header=BB141_26 Depth=1
	v_cvt_f32_u32_e32 v4, s50
	s_sub_co_i32 s15, 0, s50
	s_delay_alu instid0(VALU_DEP_1) | instskip(NEXT) | instid1(TRANS32_DEP_1)
	v_rcp_iflag_f32_e32 v4, v4
	v_mul_f32_e32 v4, 0x4f7ffffe, v4
	s_delay_alu instid0(VALU_DEP_1) | instskip(NEXT) | instid1(VALU_DEP_1)
	v_cvt_u32_f32_e32 v4, v4
	v_readfirstlane_b32 s14, v4
	s_wait_alu 0xfffe
	s_mul_i32 s15, s15, s14
	s_wait_alu 0xfffe
	s_mul_hi_u32 s15, s14, s15
	s_wait_alu 0xfffe
	s_add_co_i32 s14, s14, s15
	s_wait_alu 0xfffe
	s_mul_hi_u32 s14, s12, s14
	s_wait_alu 0xfffe
	s_mul_i32 s14, s14, s50
	s_wait_alu 0xfffe
	s_sub_co_i32 s14, s12, s14
	s_wait_alu 0xfffe
	s_sub_co_i32 s15, s14, s50
	s_cmp_ge_u32 s14, s50
	s_wait_alu 0xfffe
	s_cselect_b32 s14, s15, s14
	s_wait_alu 0xfffe
	s_sub_co_i32 s15, s14, s50
	s_cmp_ge_u32 s14, s50
	s_wait_alu 0xfffe
	s_cselect_b32 s52, s15, s14
	s_wait_alu 0xfffe
	s_mov_b64 s[14:15], s[52:53]
.LBB141_146:                            ;   in Loop: Header=BB141_26 Depth=1
	s_wait_alu 0xfffe
	s_sub_nc_u64 s[12:13], s[12:13], s[14:15]
	s_mov_b32 s15, 0
	s_mov_b32 s14, 0
	s_mov_b32 s52, exec_lo
                                        ; implicit-def: $vgpr35
	s_wait_alu 0xfffe
	v_cmpx_gt_u64_e64 s[12:13], v[0:1]
	s_cbranch_execz .LBB141_160
; %bb.147:                              ;   in Loop: Header=BB141_26 Depth=1
	v_dual_mov_b32 v10, v26 :: v_dual_mov_b32 v5, v1
	v_mov_b32_e32 v4, v0
                                        ; implicit-def: $sgpr65
	s_branch .LBB141_150
.LBB141_148:                            ;   in Loop: Header=BB141_150 Depth=2
	s_wait_alu 0xfffe
	s_or_b32 exec_lo, exec_lo, s66
	s_wait_loadcnt_dscnt 0x0
	s_barrier_signal -1
	s_barrier_wait -1
	global_inv scope:SCOPE_SE
	ds_load_b32 v11, v3 offset:3072
	s_mov_b32 s66, -1
	s_mov_b32 s67, -1
	s_wait_loadcnt_dscnt 0x0
	s_barrier_signal -1
	s_barrier_wait -1
	global_inv scope:SCOPE_SE
	v_and_b32_e32 v19, 0x7fff, v11
	s_delay_alu instid0(VALU_DEP_1)
	v_cmp_ne_u32_e32 vcc_lo, 0, v19
	s_cbranch_vccz .LBB141_153
.LBB141_149:                            ;   in Loop: Header=BB141_150 Depth=2
	s_wait_alu 0xfffe
	s_and_b32 s66, exec_lo, s66
	s_wait_alu 0xfffe
	s_or_b32 s14, s66, s14
	s_and_not1_b32 s65, s65, exec_lo
	s_and_b32 s66, s67, exec_lo
	s_wait_alu 0xfffe
	s_or_b32 s65, s65, s66
	s_and_not1_b32 exec_lo, exec_lo, s14
	s_cbranch_execz .LBB141_159
.LBB141_150:                            ;   Parent Loop BB141_26 Depth=1
                                        ; =>  This Inner Loop Header: Depth=2
	s_mov_b32 s66, exec_lo
	s_delay_alu instid0(VALU_DEP_1)
	v_cmpx_gt_u64_e64 s[6:7], v[4:5]
	s_cbranch_execz .LBB141_148
; %bb.151:                              ;   in Loop: Header=BB141_150 Depth=2
	ds_load_u16 v11, v10
	s_wait_dscnt 0x0
	v_cmp_lt_i16_e32 vcc_lo, -1, v11
	v_and_b32_e32 v19, 0xffff, v11
	s_wait_alu 0xfffd
	v_dual_cndmask_b32 v20, 0xffff, v33 :: v_dual_lshlrev_b32 v21, 16, v11
	s_delay_alu instid0(VALU_DEP_1) | instskip(NEXT) | instid1(VALU_DEP_2)
	v_cmp_o_f32_e32 vcc_lo, v21, v21
	v_xor_b32_e32 v19, v20, v19
	s_wait_alu 0xfffd
	s_delay_alu instid0(VALU_DEP_1) | instskip(NEXT) | instid1(VALU_DEP_1)
	v_cndmask_b32_e32 v19, 0xffff, v19, vcc_lo
	v_and_b32_e32 v19, v19, v34
	s_delay_alu instid0(VALU_DEP_1)
	v_cmp_eq_u32_e32 vcc_lo, v19, v30
	s_and_b32 exec_lo, exec_lo, vcc_lo
	s_cbranch_execz .LBB141_148
; %bb.152:                              ;   in Loop: Header=BB141_150 Depth=2
	v_perm_b32 v11, v11, s84, 0x5040100
	ds_store_b32 v3, v11 offset:3072
	s_branch .LBB141_148
.LBB141_153:                            ;   in Loop: Header=BB141_150 Depth=2
	v_add_co_u32 v4, vcc_lo, v4, s50
	s_wait_alu 0xfffd
	v_add_co_ci_u32_e64 v5, null, 0, v5, vcc_lo
	v_add_nc_u32_e32 v10, s80, v10
	s_mov_b32 s67, 0
	s_delay_alu instid0(VALU_DEP_2)
	v_cmp_le_u64_e32 vcc_lo, s[12:13], v[4:5]
	s_or_not1_b32 s66, vcc_lo, exec_lo
	s_branch .LBB141_149
.LBB141_154:                            ;   in Loop: Header=BB141_26 Depth=1
                                        ; implicit-def: $sgpr14_sgpr15
	s_branch .LBB141_102
.LBB141_155:                            ;   in Loop: Header=BB141_26 Depth=1
	s_or_b32 exec_lo, exec_lo, s9
	s_wait_dscnt 0x0
	s_barrier_signal -1
	s_barrier_wait -1
	global_inv scope:SCOPE_SE
	s_and_saveexec_b32 s6, s3
	s_cbranch_execz .LBB141_157
; %bb.156:                              ;   in Loop: Header=BB141_26 Depth=1
	ds_load_b32 v4, v3 offset:5144
	s_wait_dscnt 0x0
	v_ashrrev_i32_e32 v5, 31, v4
	ds_store_b64 v3, v[4:5] offset:5120
.LBB141_157:                            ;   in Loop: Header=BB141_26 Depth=1
	s_wait_alu 0xfffe
	s_or_b32 exec_lo, exec_lo, s6
	s_wait_loadcnt_dscnt 0x0
	s_barrier_signal -1
	s_mov_b32 s6, -1
	s_barrier_wait -1
	s_and_b32 vcc_lo, exec_lo, s8
	s_wait_alu 0xfffe
	s_cbranch_vccnz .LBB141_41
	s_branch .LBB141_56
.LBB141_158:                            ;   in Loop: Header=BB141_26 Depth=1
                                        ; implicit-def: $sgpr6_sgpr7
	s_branch .LBB141_116
.LBB141_159:                            ;   in Loop: Header=BB141_26 Depth=1
	s_or_b32 exec_lo, exec_lo, s14
	v_lshrrev_b32_e32 v35, 16, v11
	s_wait_alu 0xfffe
	s_and_b32 s14, s65, exec_lo
.LBB141_160:                            ;   in Loop: Header=BB141_26 Depth=1
	s_or_b32 exec_lo, exec_lo, s52
.LBB141_161:                            ;   in Loop: Header=BB141_26 Depth=1
	s_wait_alu 0xfffe
	s_and_b32 vcc_lo, exec_lo, s15
	s_wait_alu 0xfffe
	s_cbranch_vccz .LBB141_175
; %bb.162:                              ;   in Loop: Header=BB141_26 Depth=1
	s_mov_b32 s6, s53
	s_mov_b32 s7, s57
	s_wait_alu 0xfffe
	s_cmp_lg_u64 s[6:7], 0
	s_cbranch_scc0 .LBB141_204
; %bb.163:                              ;   in Loop: Header=BB141_26 Depth=1
	s_cvt_f32_u32 s6, s50
	s_sub_nc_u64 s[12:13], 0, s[50:51]
	s_wait_alu 0xfffe
	s_delay_alu instid0(SALU_CYCLE_1) | instskip(SKIP_1) | instid1(SALU_CYCLE_2)
	s_fmamk_f32 s6, s81, 0x0, s6
	s_wait_alu 0xfffe
	v_s_rcp_f32 s6, s6
	s_delay_alu instid0(TRANS32_DEP_1) | instskip(SKIP_1) | instid1(SALU_CYCLE_2)
	s_mul_f32 s6, s6, 0x5f7ffffc
	s_wait_alu 0xfffe
	s_mul_f32 s7, s6, 0x2f800000
	s_wait_alu 0xfffe
	s_delay_alu instid0(SALU_CYCLE_2) | instskip(SKIP_1) | instid1(SALU_CYCLE_2)
	s_trunc_f32 s7, s7
	s_wait_alu 0xfffe
	s_fmamk_f32 s6, s7, 0xcf800000, s6
	s_cvt_u32_f32 s7, s7
	s_wait_alu 0xfffe
	s_delay_alu instid0(SALU_CYCLE_1) | instskip(SKIP_1) | instid1(SALU_CYCLE_2)
	s_cvt_u32_f32 s6, s6
	s_wait_alu 0xfffe
	s_mul_u64 s[66:67], s[12:13], s[6:7]
	s_wait_alu 0xfffe
	s_mul_hi_u32 s69, s6, s67
	s_mul_i32 s68, s6, s67
	s_mul_hi_u32 s52, s6, s66
	s_mul_i32 s61, s7, s66
	s_wait_alu 0xfffe
	s_add_nc_u64 s[68:69], s[52:53], s[68:69]
	s_mul_hi_u32 s15, s7, s66
	s_mul_hi_u32 s62, s7, s67
	s_wait_alu 0xfffe
	s_add_co_u32 s52, s68, s61
	s_add_co_ci_u32 s52, s69, s15
	s_mul_i32 s66, s7, s67
	s_add_co_ci_u32 s67, s62, 0
	s_wait_alu 0xfffe
	s_add_nc_u64 s[66:67], s[52:53], s[66:67]
	s_wait_alu 0xfffe
	s_add_co_u32 s6, s6, s66
	s_cselect_b32 s15, -1, 0
	s_wait_alu 0xfffe
	s_cmp_lg_u32 s15, 0
	s_add_co_ci_u32 s7, s7, s67
	s_wait_alu 0xfffe
	s_mul_u64 s[12:13], s[12:13], s[6:7]
	s_wait_alu 0xfffe
	s_mul_hi_u32 s67, s6, s13
	s_mul_i32 s66, s6, s13
	s_mul_hi_u32 s52, s6, s12
	s_mul_i32 s61, s7, s12
	s_wait_alu 0xfffe
	s_add_nc_u64 s[66:67], s[52:53], s[66:67]
	s_mul_hi_u32 s15, s7, s12
	s_mul_hi_u32 s62, s7, s13
	s_mul_i32 s12, s7, s13
	s_wait_alu 0xfffe
	s_add_co_u32 s13, s66, s61
	s_add_co_ci_u32 s52, s67, s15
	s_add_co_ci_u32 s13, s62, 0
	s_wait_alu 0xfffe
	s_add_nc_u64 s[12:13], s[52:53], s[12:13]
	s_wait_alu 0xfffe
	s_add_co_u32 s6, s6, s12
	s_cselect_b32 s12, -1, 0
	s_wait_alu 0xfffe
	s_mul_hi_u32 s52, s56, s6
	s_cmp_lg_u32 s12, 0
	s_mul_hi_u32 s15, s57, s6
	s_add_co_ci_u32 s12, s7, s13
	s_mul_i32 s13, s57, s6
	s_wait_alu 0xfffe
	s_mul_hi_u32 s7, s56, s12
	s_mul_i32 s6, s56, s12
	s_mul_hi_u32 s61, s57, s12
	s_wait_alu 0xfffe
	s_add_nc_u64 s[6:7], s[52:53], s[6:7]
	s_mul_i32 s12, s57, s12
	s_wait_alu 0xfffe
	s_add_co_u32 s6, s6, s13
	s_add_co_ci_u32 s52, s7, s15
	s_add_co_ci_u32 s13, s61, 0
	s_wait_alu 0xfffe
	s_add_nc_u64 s[6:7], s[52:53], s[12:13]
	s_wait_alu 0xfffe
	s_mul_u64 s[6:7], s[50:51], s[6:7]
	s_wait_alu 0xfffe
	s_sub_co_u32 s6, s56, s6
	s_cselect_b32 s12, -1, 0
	s_wait_alu 0xfffe
	s_cmp_lg_u32 s12, 0
	s_sub_co_ci_u32 s7, s57, s7
	s_sub_co_u32 s12, s6, s50
	s_cselect_b32 s13, -1, 0
	s_wait_alu 0xfffe
	s_cmp_lg_u32 s13, 0
	s_sub_co_ci_u32 s13, s7, 0
	;; [unrolled: 5-line block ×3, first 2 shown]
	s_cmp_ge_u32 s12, s50
	s_cselect_b32 s61, -1, 0
	s_cmp_eq_u32 s13, 0
	s_wait_alu 0xfffe
	s_cselect_b32 s61, s61, -1
	s_wait_alu 0xfffe
	s_cmp_lg_u32 s61, 0
	s_cselect_b32 s13, s52, s13
	s_cselect_b32 s12, s15, s12
	s_cmp_ge_u32 s6, s50
	s_cselect_b32 s15, -1, 0
	s_cmp_eq_u32 s7, 0
	s_wait_alu 0xfffe
	s_cselect_b32 s15, s15, -1
	s_wait_alu 0xfffe
	s_cmp_lg_u32 s15, 0
	s_cselect_b32 s7, s13, s7
	s_cselect_b32 s6, s12, s6
	s_cbranch_execnz .LBB141_165
.LBB141_164:                            ;   in Loop: Header=BB141_26 Depth=1
	v_cvt_f32_u32_e32 v4, s50
	s_sub_co_i32 s7, 0, s50
	s_delay_alu instid0(VALU_DEP_1) | instskip(NEXT) | instid1(TRANS32_DEP_1)
	v_rcp_iflag_f32_e32 v4, v4
	v_mul_f32_e32 v4, 0x4f7ffffe, v4
	s_delay_alu instid0(VALU_DEP_1) | instskip(NEXT) | instid1(VALU_DEP_1)
	v_cvt_u32_f32_e32 v4, v4
	v_readfirstlane_b32 s6, v4
	s_wait_alu 0xfffe
	s_mul_i32 s7, s7, s6
	s_wait_alu 0xfffe
	s_mul_hi_u32 s7, s6, s7
	s_wait_alu 0xfffe
	s_add_co_i32 s6, s6, s7
	s_wait_alu 0xfffe
	s_mul_hi_u32 s6, s56, s6
	s_wait_alu 0xfffe
	s_mul_i32 s6, s6, s50
	s_wait_alu 0xfffe
	s_sub_co_i32 s6, s56, s6
	s_wait_alu 0xfffe
	s_sub_co_i32 s7, s6, s50
	s_cmp_ge_u32 s6, s50
	s_wait_alu 0xfffe
	s_cselect_b32 s6, s7, s6
	s_wait_alu 0xfffe
	s_sub_co_i32 s7, s6, s50
	s_cmp_ge_u32 s6, s50
	s_wait_alu 0xfffe
	s_cselect_b32 s52, s7, s6
	s_wait_alu 0xfffe
	s_mov_b64 s[6:7], s[52:53]
.LBB141_165:                            ;   in Loop: Header=BB141_26 Depth=1
	s_wait_alu 0xfffe
	s_sub_nc_u64 s[6:7], s[56:57], s[6:7]
	s_mov_b32 s12, exec_lo
                                        ; implicit-def: $vgpr35
	s_wait_alu 0xfffe
	v_cmpx_gt_u64_e64 s[6:7], v[0:1]
	s_cbranch_execz .LBB141_174
; %bb.166:                              ;   in Loop: Header=BB141_26 Depth=1
	v_dual_mov_b32 v5, v1 :: v_dual_mov_b32 v4, v0
	s_mov_b32 s13, 0
                                        ; implicit-def: $sgpr15
	s_branch .LBB141_169
.LBB141_167:                            ;   in Loop: Header=BB141_169 Depth=2
	s_wait_alu 0xfffe
	s_or_b32 exec_lo, exec_lo, s52
	s_wait_loadcnt_dscnt 0x0
	s_barrier_signal -1
	s_barrier_wait -1
	global_inv scope:SCOPE_SE
	ds_load_b32 v10, v3 offset:3072
	s_mov_b32 s61, -1
	s_mov_b32 s52, -1
	s_wait_loadcnt_dscnt 0x0
	s_barrier_signal -1
	s_barrier_wait -1
	global_inv scope:SCOPE_SE
	v_and_b32_e32 v11, 0x7fff, v10
	s_delay_alu instid0(VALU_DEP_1)
	v_cmp_eq_u32_e32 vcc_lo, 0, v11
	s_cbranch_vccnz .LBB141_172
.LBB141_168:                            ;   in Loop: Header=BB141_169 Depth=2
	s_wait_alu 0xfffe
	s_and_b32 s61, exec_lo, s61
	s_wait_alu 0xfffe
	s_or_b32 s13, s61, s13
	s_and_not1_b32 s15, s15, exec_lo
	s_and_b32 s52, s52, exec_lo
	s_wait_alu 0xfffe
	s_or_b32 s15, s15, s52
	s_and_not1_b32 exec_lo, exec_lo, s13
	s_cbranch_execz .LBB141_173
.LBB141_169:                            ;   Parent Loop BB141_26 Depth=1
                                        ; =>  This Inner Loop Header: Depth=2
	s_mov_b32 s52, exec_lo
	s_delay_alu instid0(VALU_DEP_1)
	v_cmpx_gt_u64_e64 s[20:21], v[4:5]
	s_cbranch_execz .LBB141_167
; %bb.170:                              ;   in Loop: Header=BB141_169 Depth=2
	v_mul_lo_u32 v19, v5, s36
	v_mul_lo_u32 v20, v4, s37
	v_mad_co_u64_u32 v[10:11], null, v4, s36, 0
	s_delay_alu instid0(VALU_DEP_1) | instskip(NEXT) | instid1(VALU_DEP_1)
	v_add3_u32 v11, v11, v20, v19
	v_lshlrev_b64_e32 v[10:11], 1, v[10:11]
	s_delay_alu instid0(VALU_DEP_1) | instskip(SKIP_1) | instid1(VALU_DEP_2)
	v_add_co_u32 v10, vcc_lo, s44, v10
	s_wait_alu 0xfffd
	v_add_co_ci_u32_e64 v11, null, s45, v11, vcc_lo
	global_load_u16 v10, v[10:11], off
	s_wait_loadcnt 0x0
	v_cmp_lt_i16_e32 vcc_lo, -1, v10
	v_and_b32_e32 v11, 0xffff, v10
	s_wait_alu 0xfffd
	v_dual_cndmask_b32 v19, 0xffff, v33 :: v_dual_lshlrev_b32 v20, 16, v10
	s_delay_alu instid0(VALU_DEP_1) | instskip(NEXT) | instid1(VALU_DEP_2)
	v_cmp_o_f32_e32 vcc_lo, v20, v20
	v_xor_b32_e32 v11, v19, v11
	s_wait_alu 0xfffd
	s_delay_alu instid0(VALU_DEP_1) | instskip(NEXT) | instid1(VALU_DEP_1)
	v_cndmask_b32_e32 v11, 0xffff, v11, vcc_lo
	v_and_b32_e32 v11, v11, v34
	s_delay_alu instid0(VALU_DEP_1)
	v_cmp_eq_u32_e32 vcc_lo, v11, v30
	s_and_b32 exec_lo, exec_lo, vcc_lo
	s_cbranch_execz .LBB141_167
; %bb.171:                              ;   in Loop: Header=BB141_169 Depth=2
	v_perm_b32 v10, v10, s84, 0x5040100
	ds_store_b32 v3, v10 offset:3072
	s_branch .LBB141_167
.LBB141_172:                            ;   in Loop: Header=BB141_169 Depth=2
	v_add_co_u32 v4, vcc_lo, v4, s50
	s_wait_alu 0xfffd
	v_add_co_ci_u32_e64 v5, null, 0, v5, vcc_lo
	s_mov_b32 s52, 0
	v_cmp_le_u64_e32 vcc_lo, s[6:7], v[4:5]
	s_or_not1_b32 s61, vcc_lo, exec_lo
	s_branch .LBB141_168
.LBB141_173:                            ;   in Loop: Header=BB141_26 Depth=1
	s_or_b32 exec_lo, exec_lo, s13
	v_lshrrev_b32_e32 v35, 16, v10
	s_and_not1_b32 s6, s14, exec_lo
	s_wait_alu 0xfffe
	s_and_b32 s7, s15, exec_lo
	s_wait_alu 0xfffe
	s_or_b32 s14, s6, s7
.LBB141_174:                            ;   in Loop: Header=BB141_26 Depth=1
	s_or_b32 exec_lo, exec_lo, s12
	s_mov_b32 s61, 0
	s_mov_b32 s62, -1
.LBB141_175:                            ;   in Loop: Header=BB141_26 Depth=1
	s_wait_alu 0xfffe
	s_or_not1_b32 s6, s14, exec_lo
.LBB141_176:                            ;   in Loop: Header=BB141_26 Depth=1
	s_wait_alu 0xfffe
	s_or_b32 exec_lo, exec_lo, s63
	s_mov_b32 s7, 0
	s_and_saveexec_b32 s63, s6
	s_cbranch_execz .LBB141_282
; %bb.177:                              ;   in Loop: Header=BB141_26 Depth=1
	v_mov_b32_e32 v4, 1
	v_dual_mov_b32 v5, 0 :: v_dual_mov_b32 v2, 1
	s_xor_b32 s12, s64, -1
	s_wait_alu 0xfffe
	s_and_saveexec_b32 s6, s12
	s_cbranch_execz .LBB141_187
; %bb.178:                              ;   in Loop: Header=BB141_26 Depth=1
	s_mov_b32 s7, exec_lo
	v_cmpx_le_u64_e64 v[8:9], v[6:7]
	s_wait_alu 0xfffe
	s_xor_b32 s7, exec_lo, s7
	s_cbranch_execz .LBB141_184
; %bb.179:                              ;   in Loop: Header=BB141_26 Depth=1
	ds_load_b64 v[4:5], v3 offset:5120
	s_lshl_b32 s12, 1, s82
	v_or_b32_e32 v34, s16, v34
	s_wait_alu 0xfffe
	v_and_or_b32 v30, v30, s60, s12
	s_wait_dscnt 0x0
	v_cmp_ne_u64_e32 vcc_lo, 0, v[4:5]
	s_cbranch_vccnz .LBB141_183
; %bb.180:                              ;   in Loop: Header=BB141_26 Depth=1
	s_and_saveexec_b32 s12, s3
; %bb.181:                              ;   in Loop: Header=BB141_26 Depth=1
	ds_store_b64 v3, v[6:7] offset:5128
; %bb.182:                              ;   in Loop: Header=BB141_26 Depth=1
	s_wait_alu 0xfffe
	s_or_b32 exec_lo, exec_lo, s12
	s_wait_loadcnt_dscnt 0x0
	s_barrier_signal -1
	s_barrier_wait -1
	global_inv scope:SCOPE_SE
.LBB141_183:                            ;   in Loop: Header=BB141_26 Depth=1
                                        ; implicit-def: $vgpr4_vgpr5_vgpr6_vgpr7
.LBB141_184:                            ;   in Loop: Header=BB141_26 Depth=1
	s_wait_alu 0xfffe
	s_or_saveexec_b32 s7, s7
	v_mov_b32_e32 v2, 8
	s_mov_b32 s12, 0
	s_wait_alu 0xfffe
	s_xor_b32 exec_lo, exec_lo, s7
; %bb.185:                              ;   in Loop: Header=BB141_26 Depth=1
	v_sub_co_u32 v8, vcc_lo, v8, v6
	s_wait_alu 0xfffd
	v_sub_co_ci_u32_e64 v9, null, v9, v7, vcc_lo
	v_mov_b32_e32 v2, 0
	s_mov_b32 s12, exec_lo
; %bb.186:                              ;   in Loop: Header=BB141_26 Depth=1
	s_or_b32 exec_lo, exec_lo, s7
	s_delay_alu instid0(VALU_DEP_2)
	v_dual_mov_b32 v4, v8 :: v_dual_mov_b32 v5, v9
	s_wait_alu 0xfffe
	s_and_b32 s7, s12, exec_lo
.LBB141_187:                            ;   in Loop: Header=BB141_26 Depth=1
	s_wait_alu 0xfffe
	s_or_b32 exec_lo, exec_lo, s6
	s_mov_b32 s6, -1
                                        ; implicit-def: $sgpr65
                                        ; implicit-def: $sgpr66
	s_and_saveexec_b32 s64, s7
	s_cbranch_execz .LBB141_281
; %bb.188:                              ;   in Loop: Header=BB141_26 Depth=1
	v_cmp_eq_u64_e32 vcc_lo, 1, v[4:5]
	s_cmp_eq_u64 s[10:11], 1
                                        ; implicit-def: $sgpr66
                                        ; implicit-def: $sgpr65
	s_cselect_b32 s6, -1, 0
	s_wait_alu 0xfffe
	s_and_b32 s67, s6, vcc_lo
	s_mov_b32 s6, -1
	s_wait_alu 0xfffe
	s_and_saveexec_b32 s68, s67
	s_cbranch_execz .LBB141_222
; %bb.189:                              ;   in Loop: Header=BB141_26 Depth=1
	ds_load_b64 v[6:7], v3 offset:5120
	s_wait_loadcnt_dscnt 0x0
	s_barrier_signal -1
	s_barrier_wait -1
	global_inv scope:SCOPE_SE
	v_readfirstlane_b32 s6, v6
	v_readfirstlane_b32 s7, v7
	s_and_saveexec_b32 s12, s0
; %bb.190:                              ;   in Loop: Header=BB141_26 Depth=1
	ds_store_b16 v27, v3
; %bb.191:                              ;   in Loop: Header=BB141_26 Depth=1
	s_wait_alu 0xfffe
	s_or_b32 exec_lo, exec_lo, s12
	s_lshl_b32 s12, 2, s82
	v_or_b32_e32 v34, s16, v34
	s_wait_alu 0xfffe
	v_and_or_b32 v30, v30, s60, s12
	s_mov_b32 s65, -1
	s_mov_b32 s66, 0
	s_cmp_eq_u64 s[6:7], 0
	s_mov_b32 s14, 0
	s_mov_b32 s15, -1
	s_wait_loadcnt_dscnt 0x0
	s_barrier_signal -1
	s_barrier_wait -1
	global_inv scope:SCOPE_SE
                                        ; implicit-def: $vgpr35
	s_cbranch_scc1 .LBB141_207
; %bb.192:                              ;   in Loop: Header=BB141_26 Depth=1
	s_add_nc_u64 s[12:13], s[6:7], s[54:55]
	s_mov_b32 s14, s53
	s_wait_alu 0xfffe
	s_mov_b32 s15, s13
	s_wait_alu 0xfffe
	s_cmp_lg_u64 s[14:15], 0
	s_cbranch_scc0 .LBB141_248
; %bb.193:                              ;   in Loop: Header=BB141_26 Depth=1
	s_cvt_f32_u32 s14, s50
	s_sub_nc_u64 s[70:71], 0, s[50:51]
	s_wait_alu 0xfffe
	s_delay_alu instid0(SALU_CYCLE_1) | instskip(SKIP_1) | instid1(SALU_CYCLE_2)
	s_fmamk_f32 s14, s81, 0x0, s14
	s_wait_alu 0xfffe
	v_s_rcp_f32 s14, s14
	s_delay_alu instid0(TRANS32_DEP_1) | instskip(SKIP_1) | instid1(SALU_CYCLE_2)
	s_mul_f32 s14, s14, 0x5f7ffffc
	s_wait_alu 0xfffe
	s_mul_f32 s15, s14, 0x2f800000
	s_wait_alu 0xfffe
	s_delay_alu instid0(SALU_CYCLE_2) | instskip(SKIP_1) | instid1(SALU_CYCLE_2)
	s_trunc_f32 s15, s15
	s_wait_alu 0xfffe
	s_fmamk_f32 s14, s15, 0xcf800000, s14
	s_cvt_u32_f32 s15, s15
	s_wait_alu 0xfffe
	s_delay_alu instid0(SALU_CYCLE_1) | instskip(SKIP_1) | instid1(SALU_CYCLE_2)
	s_cvt_u32_f32 s14, s14
	s_wait_alu 0xfffe
	s_mul_u64 s[92:93], s[70:71], s[14:15]
	s_wait_alu 0xfffe
	s_mul_hi_u32 s95, s14, s93
	s_mul_i32 s94, s14, s93
	s_mul_hi_u32 s52, s14, s92
	s_mul_i32 s96, s15, s92
	s_wait_alu 0xfffe
	s_add_nc_u64 s[94:95], s[52:53], s[94:95]
	s_mul_hi_u32 s69, s15, s92
	s_mul_hi_u32 s97, s15, s93
	s_add_co_u32 s52, s94, s96
	s_wait_alu 0xfffe
	s_add_co_ci_u32 s52, s95, s69
	s_mul_i32 s92, s15, s93
	s_add_co_ci_u32 s93, s97, 0
	s_wait_alu 0xfffe
	s_add_nc_u64 s[92:93], s[52:53], s[92:93]
	s_wait_alu 0xfffe
	s_add_co_u32 s14, s14, s92
	s_cselect_b32 s52, -1, 0
	s_wait_alu 0xfffe
	s_cmp_lg_u32 s52, 0
	s_add_co_ci_u32 s15, s15, s93
	s_wait_alu 0xfffe
	s_mul_u64 s[70:71], s[70:71], s[14:15]
	s_wait_alu 0xfffe
	s_mul_hi_u32 s93, s14, s71
	s_mul_i32 s92, s14, s71
	s_mul_hi_u32 s52, s14, s70
	s_mul_i32 s94, s15, s70
	s_wait_alu 0xfffe
	s_add_nc_u64 s[92:93], s[52:53], s[92:93]
	s_mul_hi_u32 s69, s15, s70
	s_mul_hi_u32 s95, s15, s71
	s_wait_alu 0xfffe
	s_add_co_u32 s52, s92, s94
	s_add_co_ci_u32 s52, s93, s69
	s_mul_i32 s70, s15, s71
	s_add_co_ci_u32 s71, s95, 0
	s_wait_alu 0xfffe
	s_add_nc_u64 s[70:71], s[52:53], s[70:71]
	s_wait_alu 0xfffe
	s_add_co_u32 s14, s14, s70
	s_cselect_b32 s69, -1, 0
	s_wait_alu 0xfffe
	s_mul_hi_u32 s52, s12, s14
	s_cmp_lg_u32 s69, 0
	s_mul_hi_u32 s69, s13, s14
	s_add_co_ci_u32 s70, s15, s71
	s_mul_i32 s71, s13, s14
	s_wait_alu 0xfffe
	s_mul_hi_u32 s15, s12, s70
	s_mul_i32 s14, s12, s70
	s_mul_hi_u32 s92, s13, s70
	s_wait_alu 0xfffe
	s_add_nc_u64 s[14:15], s[52:53], s[14:15]
	s_mul_i32 s70, s13, s70
	s_wait_alu 0xfffe
	s_add_co_u32 s14, s14, s71
	s_add_co_ci_u32 s52, s15, s69
	s_add_co_ci_u32 s71, s92, 0
	s_wait_alu 0xfffe
	s_add_nc_u64 s[14:15], s[52:53], s[70:71]
	s_wait_alu 0xfffe
	s_mul_u64 s[14:15], s[50:51], s[14:15]
	s_wait_alu 0xfffe
	s_sub_co_u32 s14, s12, s14
	s_cselect_b32 s52, -1, 0
	s_wait_alu 0xfffe
	s_cmp_lg_u32 s52, 0
	s_sub_co_ci_u32 s15, s13, s15
	s_sub_co_u32 s52, s14, s50
	s_cselect_b32 s69, -1, 0
	s_wait_alu 0xfffe
	s_cmp_lg_u32 s69, 0
	s_sub_co_ci_u32 s69, s15, 0
	;; [unrolled: 5-line block ×3, first 2 shown]
	s_cmp_ge_u32 s52, s50
	s_cselect_b32 s92, -1, 0
	s_cmp_eq_u32 s69, 0
	s_wait_alu 0xfffe
	s_cselect_b32 s92, s92, -1
	s_wait_alu 0xfffe
	s_cmp_lg_u32 s92, 0
	s_cselect_b32 s69, s71, s69
	s_cselect_b32 s52, s70, s52
	s_cmp_ge_u32 s14, s50
	s_cselect_b32 s70, -1, 0
	s_cmp_eq_u32 s15, 0
	s_wait_alu 0xfffe
	s_cselect_b32 s70, s70, -1
	s_wait_alu 0xfffe
	s_cmp_lg_u32 s70, 0
	s_cselect_b32 s15, s69, s15
	s_cselect_b32 s14, s52, s14
	s_cbranch_execnz .LBB141_195
.LBB141_194:                            ;   in Loop: Header=BB141_26 Depth=1
	v_cvt_f32_u32_e32 v6, s50
	s_sub_co_i32 s15, 0, s50
	s_delay_alu instid0(VALU_DEP_1) | instskip(NEXT) | instid1(TRANS32_DEP_1)
	v_rcp_iflag_f32_e32 v6, v6
	v_mul_f32_e32 v6, 0x4f7ffffe, v6
	s_delay_alu instid0(VALU_DEP_1) | instskip(NEXT) | instid1(VALU_DEP_1)
	v_cvt_u32_f32_e32 v6, v6
	v_readfirstlane_b32 s14, v6
	s_wait_alu 0xfffe
	s_mul_i32 s15, s15, s14
	s_wait_alu 0xfffe
	s_mul_hi_u32 s15, s14, s15
	s_wait_alu 0xfffe
	s_add_co_i32 s14, s14, s15
	s_wait_alu 0xfffe
	s_mul_hi_u32 s14, s12, s14
	s_wait_alu 0xfffe
	s_mul_i32 s14, s14, s50
	s_wait_alu 0xfffe
	s_sub_co_i32 s14, s12, s14
	s_wait_alu 0xfffe
	s_sub_co_i32 s15, s14, s50
	s_cmp_ge_u32 s14, s50
	s_wait_alu 0xfffe
	s_cselect_b32 s14, s15, s14
	s_wait_alu 0xfffe
	s_sub_co_i32 s15, s14, s50
	s_cmp_ge_u32 s14, s50
	s_wait_alu 0xfffe
	s_cselect_b32 s52, s15, s14
	s_wait_alu 0xfffe
	s_mov_b64 s[14:15], s[52:53]
.LBB141_195:                            ;   in Loop: Header=BB141_26 Depth=1
	s_wait_alu 0xfffe
	s_sub_nc_u64 s[12:13], s[12:13], s[14:15]
	s_mov_b32 s15, 0
	s_mov_b32 s14, 0
	s_mov_b32 s52, exec_lo
                                        ; implicit-def: $vgpr35
	s_wait_alu 0xfffe
	v_cmpx_gt_u64_e64 s[12:13], v[0:1]
	s_cbranch_execz .LBB141_206
; %bb.196:                              ;   in Loop: Header=BB141_26 Depth=1
	v_dual_mov_b32 v8, v26 :: v_dual_mov_b32 v7, v1
	v_mov_b32_e32 v6, v0
                                        ; implicit-def: $sgpr69
	s_branch .LBB141_199
.LBB141_197:                            ;   in Loop: Header=BB141_199 Depth=2
	s_wait_alu 0xfffe
	s_or_b32 exec_lo, exec_lo, s70
	s_wait_loadcnt_dscnt 0x0
	s_barrier_signal -1
	s_barrier_wait -1
	global_inv scope:SCOPE_SE
	ds_load_b32 v9, v3 offset:3072
	s_mov_b32 s70, -1
	s_mov_b32 s71, -1
	s_wait_loadcnt_dscnt 0x0
	s_barrier_signal -1
	s_barrier_wait -1
	global_inv scope:SCOPE_SE
	v_and_b32_e32 v10, 0x7fff, v9
	s_delay_alu instid0(VALU_DEP_1)
	v_cmp_ne_u32_e32 vcc_lo, 0, v10
	s_cbranch_vccz .LBB141_202
.LBB141_198:                            ;   in Loop: Header=BB141_199 Depth=2
	s_wait_alu 0xfffe
	s_and_b32 s70, exec_lo, s70
	s_wait_alu 0xfffe
	s_or_b32 s14, s70, s14
	s_and_not1_b32 s69, s69, exec_lo
	s_and_b32 s70, s71, exec_lo
	s_wait_alu 0xfffe
	s_or_b32 s69, s69, s70
	s_and_not1_b32 exec_lo, exec_lo, s14
	s_cbranch_execz .LBB141_205
.LBB141_199:                            ;   Parent Loop BB141_26 Depth=1
                                        ; =>  This Inner Loop Header: Depth=2
	s_mov_b32 s70, exec_lo
	s_delay_alu instid0(VALU_DEP_1)
	v_cmpx_gt_u64_e64 s[6:7], v[6:7]
	s_cbranch_execz .LBB141_197
; %bb.200:                              ;   in Loop: Header=BB141_199 Depth=2
	ds_load_u16 v9, v8
	s_wait_dscnt 0x0
	v_cmp_lt_i16_e32 vcc_lo, -1, v9
	v_and_b32_e32 v10, 0xffff, v9
	s_wait_alu 0xfffd
	v_cndmask_b32_e32 v11, 0xffff, v33, vcc_lo
	s_delay_alu instid0(VALU_DEP_1) | instskip(SKIP_1) | instid1(VALU_DEP_1)
	v_xor_b32_e32 v10, v11, v10
	v_lshlrev_b32_e32 v19, 16, v9
	v_cmp_o_f32_e32 vcc_lo, v19, v19
	s_wait_alu 0xfffd
	s_delay_alu instid0(VALU_DEP_3) | instskip(NEXT) | instid1(VALU_DEP_1)
	v_cndmask_b32_e32 v10, 0xffff, v10, vcc_lo
	v_and_b32_e32 v10, v10, v34
	s_delay_alu instid0(VALU_DEP_1)
	v_cmp_eq_u32_e32 vcc_lo, v10, v30
	s_and_b32 exec_lo, exec_lo, vcc_lo
	s_cbranch_execz .LBB141_197
; %bb.201:                              ;   in Loop: Header=BB141_199 Depth=2
	v_perm_b32 v9, v9, s84, 0x5040100
	ds_store_b32 v3, v9 offset:3072
	s_branch .LBB141_197
.LBB141_202:                            ;   in Loop: Header=BB141_199 Depth=2
	v_add_co_u32 v6, vcc_lo, v6, s50
	s_wait_alu 0xfffd
	v_add_co_ci_u32_e64 v7, null, 0, v7, vcc_lo
	v_add_nc_u32_e32 v8, s80, v8
	s_mov_b32 s71, 0
	s_delay_alu instid0(VALU_DEP_2)
	v_cmp_le_u64_e32 vcc_lo, s[12:13], v[6:7]
	s_or_not1_b32 s70, vcc_lo, exec_lo
	s_branch .LBB141_198
.LBB141_203:                            ;   in Loop: Header=BB141_26 Depth=1
                                        ; implicit-def: $sgpr14_sgpr15
	s_branch .LBB141_145
.LBB141_204:                            ;   in Loop: Header=BB141_26 Depth=1
                                        ; implicit-def: $sgpr6_sgpr7
	s_branch .LBB141_164
.LBB141_205:                            ;   in Loop: Header=BB141_26 Depth=1
	s_or_b32 exec_lo, exec_lo, s14
	v_lshrrev_b32_e32 v35, 16, v9
	s_wait_alu 0xfffe
	s_and_b32 s14, s69, exec_lo
.LBB141_206:                            ;   in Loop: Header=BB141_26 Depth=1
	s_or_b32 exec_lo, exec_lo, s52
.LBB141_207:                            ;   in Loop: Header=BB141_26 Depth=1
	s_wait_alu 0xfffe
	s_and_b32 vcc_lo, exec_lo, s15
	s_wait_alu 0xfffe
	s_cbranch_vccz .LBB141_221
; %bb.208:                              ;   in Loop: Header=BB141_26 Depth=1
	s_mov_b32 s6, s53
	s_mov_b32 s7, s57
	s_wait_alu 0xfffe
	s_cmp_lg_u64 s[6:7], 0
	s_cbranch_scc0 .LBB141_249
; %bb.209:                              ;   in Loop: Header=BB141_26 Depth=1
	s_cvt_f32_u32 s6, s50
	s_sub_nc_u64 s[12:13], 0, s[50:51]
	s_wait_alu 0xfffe
	s_delay_alu instid0(SALU_CYCLE_1) | instskip(SKIP_1) | instid1(SALU_CYCLE_2)
	s_fmamk_f32 s6, s81, 0x0, s6
	s_wait_alu 0xfffe
	v_s_rcp_f32 s6, s6
	s_delay_alu instid0(TRANS32_DEP_1) | instskip(SKIP_1) | instid1(SALU_CYCLE_2)
	s_mul_f32 s6, s6, 0x5f7ffffc
	s_wait_alu 0xfffe
	s_mul_f32 s7, s6, 0x2f800000
	s_wait_alu 0xfffe
	s_delay_alu instid0(SALU_CYCLE_2) | instskip(SKIP_1) | instid1(SALU_CYCLE_2)
	s_trunc_f32 s7, s7
	s_wait_alu 0xfffe
	s_fmamk_f32 s6, s7, 0xcf800000, s6
	s_cvt_u32_f32 s7, s7
	s_wait_alu 0xfffe
	s_delay_alu instid0(SALU_CYCLE_1) | instskip(SKIP_1) | instid1(SALU_CYCLE_2)
	s_cvt_u32_f32 s6, s6
	s_wait_alu 0xfffe
	s_mul_u64 s[70:71], s[12:13], s[6:7]
	s_wait_alu 0xfffe
	s_mul_hi_u32 s93, s6, s71
	s_mul_i32 s92, s6, s71
	s_mul_hi_u32 s52, s6, s70
	s_mul_i32 s65, s7, s70
	s_wait_alu 0xfffe
	s_add_nc_u64 s[92:93], s[52:53], s[92:93]
	s_mul_hi_u32 s15, s7, s70
	s_mul_hi_u32 s66, s7, s71
	s_wait_alu 0xfffe
	s_add_co_u32 s52, s92, s65
	s_add_co_ci_u32 s52, s93, s15
	s_mul_i32 s70, s7, s71
	s_add_co_ci_u32 s71, s66, 0
	s_wait_alu 0xfffe
	s_add_nc_u64 s[70:71], s[52:53], s[70:71]
	s_wait_alu 0xfffe
	s_add_co_u32 s6, s6, s70
	s_cselect_b32 s15, -1, 0
	s_wait_alu 0xfffe
	s_cmp_lg_u32 s15, 0
	s_add_co_ci_u32 s7, s7, s71
	s_wait_alu 0xfffe
	s_mul_u64 s[12:13], s[12:13], s[6:7]
	s_wait_alu 0xfffe
	s_mul_hi_u32 s71, s6, s13
	s_mul_i32 s70, s6, s13
	s_mul_hi_u32 s52, s6, s12
	s_mul_i32 s65, s7, s12
	s_wait_alu 0xfffe
	s_add_nc_u64 s[70:71], s[52:53], s[70:71]
	s_mul_hi_u32 s15, s7, s12
	s_mul_hi_u32 s66, s7, s13
	s_mul_i32 s12, s7, s13
	s_wait_alu 0xfffe
	s_add_co_u32 s13, s70, s65
	s_add_co_ci_u32 s52, s71, s15
	s_add_co_ci_u32 s13, s66, 0
	s_wait_alu 0xfffe
	s_add_nc_u64 s[12:13], s[52:53], s[12:13]
	s_wait_alu 0xfffe
	s_add_co_u32 s6, s6, s12
	s_cselect_b32 s12, -1, 0
	s_wait_alu 0xfffe
	s_mul_hi_u32 s52, s56, s6
	s_cmp_lg_u32 s12, 0
	s_mul_hi_u32 s15, s57, s6
	s_add_co_ci_u32 s12, s7, s13
	s_mul_i32 s13, s57, s6
	s_wait_alu 0xfffe
	s_mul_hi_u32 s7, s56, s12
	s_mul_i32 s6, s56, s12
	s_mul_hi_u32 s65, s57, s12
	s_wait_alu 0xfffe
	s_add_nc_u64 s[6:7], s[52:53], s[6:7]
	s_mul_i32 s12, s57, s12
	s_wait_alu 0xfffe
	s_add_co_u32 s6, s6, s13
	s_add_co_ci_u32 s52, s7, s15
	s_add_co_ci_u32 s13, s65, 0
	s_wait_alu 0xfffe
	s_add_nc_u64 s[6:7], s[52:53], s[12:13]
	s_wait_alu 0xfffe
	s_mul_u64 s[6:7], s[50:51], s[6:7]
	s_wait_alu 0xfffe
	s_sub_co_u32 s6, s56, s6
	s_cselect_b32 s12, -1, 0
	s_wait_alu 0xfffe
	s_cmp_lg_u32 s12, 0
	s_sub_co_ci_u32 s7, s57, s7
	s_sub_co_u32 s12, s6, s50
	s_cselect_b32 s13, -1, 0
	s_wait_alu 0xfffe
	s_cmp_lg_u32 s13, 0
	s_sub_co_ci_u32 s13, s7, 0
	;; [unrolled: 5-line block ×3, first 2 shown]
	s_cmp_ge_u32 s12, s50
	s_cselect_b32 s65, -1, 0
	s_cmp_eq_u32 s13, 0
	s_wait_alu 0xfffe
	s_cselect_b32 s65, s65, -1
	s_wait_alu 0xfffe
	s_cmp_lg_u32 s65, 0
	s_cselect_b32 s13, s52, s13
	s_cselect_b32 s12, s15, s12
	s_cmp_ge_u32 s6, s50
	s_cselect_b32 s15, -1, 0
	s_cmp_eq_u32 s7, 0
	s_wait_alu 0xfffe
	s_cselect_b32 s15, s15, -1
	s_wait_alu 0xfffe
	s_cmp_lg_u32 s15, 0
	s_cselect_b32 s7, s13, s7
	s_cselect_b32 s6, s12, s6
	s_cbranch_execnz .LBB141_211
.LBB141_210:                            ;   in Loop: Header=BB141_26 Depth=1
	v_cvt_f32_u32_e32 v6, s50
	s_sub_co_i32 s7, 0, s50
	s_delay_alu instid0(VALU_DEP_1) | instskip(NEXT) | instid1(TRANS32_DEP_1)
	v_rcp_iflag_f32_e32 v6, v6
	v_mul_f32_e32 v6, 0x4f7ffffe, v6
	s_delay_alu instid0(VALU_DEP_1) | instskip(NEXT) | instid1(VALU_DEP_1)
	v_cvt_u32_f32_e32 v6, v6
	v_readfirstlane_b32 s6, v6
	s_wait_alu 0xfffe
	s_mul_i32 s7, s7, s6
	s_wait_alu 0xfffe
	s_mul_hi_u32 s7, s6, s7
	s_wait_alu 0xfffe
	s_add_co_i32 s6, s6, s7
	s_wait_alu 0xfffe
	s_mul_hi_u32 s6, s56, s6
	s_wait_alu 0xfffe
	s_mul_i32 s6, s6, s50
	s_wait_alu 0xfffe
	s_sub_co_i32 s6, s56, s6
	s_wait_alu 0xfffe
	s_sub_co_i32 s7, s6, s50
	s_cmp_ge_u32 s6, s50
	s_wait_alu 0xfffe
	s_cselect_b32 s6, s7, s6
	s_wait_alu 0xfffe
	s_sub_co_i32 s7, s6, s50
	s_cmp_ge_u32 s6, s50
	s_wait_alu 0xfffe
	s_cselect_b32 s52, s7, s6
	s_wait_alu 0xfffe
	s_mov_b64 s[6:7], s[52:53]
.LBB141_211:                            ;   in Loop: Header=BB141_26 Depth=1
	s_wait_alu 0xfffe
	s_sub_nc_u64 s[6:7], s[56:57], s[6:7]
	s_mov_b32 s12, exec_lo
                                        ; implicit-def: $vgpr35
	s_wait_alu 0xfffe
	v_cmpx_gt_u64_e64 s[6:7], v[0:1]
	s_cbranch_execz .LBB141_220
; %bb.212:                              ;   in Loop: Header=BB141_26 Depth=1
	v_dual_mov_b32 v7, v1 :: v_dual_mov_b32 v6, v0
	s_mov_b32 s13, 0
                                        ; implicit-def: $sgpr15
	s_branch .LBB141_215
.LBB141_213:                            ;   in Loop: Header=BB141_215 Depth=2
	s_wait_alu 0xfffe
	s_or_b32 exec_lo, exec_lo, s52
	s_wait_loadcnt_dscnt 0x0
	s_barrier_signal -1
	s_barrier_wait -1
	global_inv scope:SCOPE_SE
	ds_load_b32 v8, v3 offset:3072
	s_mov_b32 s65, -1
	s_mov_b32 s52, -1
	s_wait_loadcnt_dscnt 0x0
	s_barrier_signal -1
	s_barrier_wait -1
	global_inv scope:SCOPE_SE
	v_and_b32_e32 v9, 0x7fff, v8
	s_delay_alu instid0(VALU_DEP_1)
	v_cmp_eq_u32_e32 vcc_lo, 0, v9
	s_cbranch_vccnz .LBB141_218
.LBB141_214:                            ;   in Loop: Header=BB141_215 Depth=2
	s_wait_alu 0xfffe
	s_and_b32 s65, exec_lo, s65
	s_wait_alu 0xfffe
	s_or_b32 s13, s65, s13
	s_and_not1_b32 s15, s15, exec_lo
	s_and_b32 s52, s52, exec_lo
	s_wait_alu 0xfffe
	s_or_b32 s15, s15, s52
	s_and_not1_b32 exec_lo, exec_lo, s13
	s_cbranch_execz .LBB141_219
.LBB141_215:                            ;   Parent Loop BB141_26 Depth=1
                                        ; =>  This Inner Loop Header: Depth=2
	s_mov_b32 s52, exec_lo
	s_delay_alu instid0(VALU_DEP_1)
	v_cmpx_gt_u64_e64 s[20:21], v[6:7]
	s_cbranch_execz .LBB141_213
; %bb.216:                              ;   in Loop: Header=BB141_215 Depth=2
	v_mul_lo_u32 v10, v7, s36
	v_mul_lo_u32 v11, v6, s37
	v_mad_co_u64_u32 v[8:9], null, v6, s36, 0
	s_delay_alu instid0(VALU_DEP_1) | instskip(NEXT) | instid1(VALU_DEP_1)
	v_add3_u32 v9, v9, v11, v10
	v_lshlrev_b64_e32 v[8:9], 1, v[8:9]
	s_delay_alu instid0(VALU_DEP_1) | instskip(SKIP_1) | instid1(VALU_DEP_2)
	v_add_co_u32 v8, vcc_lo, s44, v8
	s_wait_alu 0xfffd
	v_add_co_ci_u32_e64 v9, null, s45, v9, vcc_lo
	global_load_u16 v8, v[8:9], off
	s_wait_loadcnt 0x0
	v_cmp_lt_i16_e32 vcc_lo, -1, v8
	v_and_b32_e32 v9, 0xffff, v8
	s_wait_alu 0xfffd
	v_dual_cndmask_b32 v10, 0xffff, v33 :: v_dual_lshlrev_b32 v11, 16, v8
	s_delay_alu instid0(VALU_DEP_1) | instskip(NEXT) | instid1(VALU_DEP_2)
	v_cmp_o_f32_e32 vcc_lo, v11, v11
	v_xor_b32_e32 v9, v10, v9
	s_wait_alu 0xfffd
	s_delay_alu instid0(VALU_DEP_1) | instskip(NEXT) | instid1(VALU_DEP_1)
	v_cndmask_b32_e32 v9, 0xffff, v9, vcc_lo
	v_and_b32_e32 v9, v9, v34
	s_delay_alu instid0(VALU_DEP_1)
	v_cmp_eq_u32_e32 vcc_lo, v9, v30
	s_and_b32 exec_lo, exec_lo, vcc_lo
	s_cbranch_execz .LBB141_213
; %bb.217:                              ;   in Loop: Header=BB141_215 Depth=2
	v_perm_b32 v8, v8, s84, 0x5040100
	ds_store_b32 v3, v8 offset:3072
	s_branch .LBB141_213
.LBB141_218:                            ;   in Loop: Header=BB141_215 Depth=2
	v_add_co_u32 v6, vcc_lo, v6, s50
	s_wait_alu 0xfffd
	v_add_co_ci_u32_e64 v7, null, 0, v7, vcc_lo
	s_mov_b32 s52, 0
	v_cmp_le_u64_e32 vcc_lo, s[6:7], v[6:7]
	s_or_not1_b32 s65, vcc_lo, exec_lo
	s_branch .LBB141_214
.LBB141_219:                            ;   in Loop: Header=BB141_26 Depth=1
	s_or_b32 exec_lo, exec_lo, s13
	v_lshrrev_b32_e32 v35, 16, v8
	s_and_not1_b32 s6, s14, exec_lo
	s_wait_alu 0xfffe
	s_and_b32 s7, s15, exec_lo
	s_wait_alu 0xfffe
	s_or_b32 s14, s6, s7
.LBB141_220:                            ;   in Loop: Header=BB141_26 Depth=1
	s_or_b32 exec_lo, exec_lo, s12
	s_mov_b32 s65, 0
	s_mov_b32 s66, -1
.LBB141_221:                            ;   in Loop: Header=BB141_26 Depth=1
	s_wait_alu 0xfffe
	s_or_not1_b32 s6, s14, exec_lo
.LBB141_222:                            ;   in Loop: Header=BB141_26 Depth=1
	s_wait_alu 0xfffe
	s_or_b32 exec_lo, exec_lo, s68
	s_mov_b32 s7, 0
	s_and_saveexec_b32 s14, s6
	s_cbranch_execz .LBB141_280
; %bb.223:                              ;   in Loop: Header=BB141_26 Depth=1
	v_mov_b32_e32 v6, 1
	v_dual_mov_b32 v7, 0 :: v_dual_mov_b32 v2, 1
	s_xor_b32 s12, s67, -1
	s_wait_alu 0xfffe
	s_and_saveexec_b32 s6, s12
	s_cbranch_execz .LBB141_232
; %bb.224:                              ;   in Loop: Header=BB141_26 Depth=1
	s_mov_b32 s7, exec_lo
	v_cmpx_ge_u64_e64 s[10:11], v[4:5]
	s_wait_alu 0xfffe
	s_xor_b32 s7, exec_lo, s7
	s_cbranch_execz .LBB141_229
; %bb.225:                              ;   in Loop: Header=BB141_26 Depth=1
	ds_load_b64 v[6:7], v3 offset:5120
	s_lshl_b32 s12, 2, s82
	v_or_b32_e32 v34, s16, v34
	s_wait_alu 0xfffe
	v_and_or_b32 v30, v30, s60, s12
	s_wait_dscnt 0x0
	v_cmp_ne_u64_e32 vcc_lo, 0, v[6:7]
	s_cbranch_vccnz .LBB141_229
; %bb.226:                              ;   in Loop: Header=BB141_26 Depth=1
	s_and_saveexec_b32 s12, s3
; %bb.227:                              ;   in Loop: Header=BB141_26 Depth=1
	v_dual_mov_b32 v6, s10 :: v_dual_mov_b32 v7, s11
	ds_store_b64 v3, v[6:7] offset:5128
; %bb.228:                              ;   in Loop: Header=BB141_26 Depth=1
	s_wait_alu 0xfffe
	s_or_b32 exec_lo, exec_lo, s12
	s_wait_loadcnt_dscnt 0x0
	s_barrier_signal -1
	s_barrier_wait -1
	global_inv scope:SCOPE_SE
.LBB141_229:                            ;   in Loop: Header=BB141_26 Depth=1
	s_wait_alu 0xfffe
	s_or_saveexec_b32 s7, s7
	v_mov_b32_e32 v2, 8
	s_mov_b32 s12, 0
	s_wait_alu 0xfffe
	s_xor_b32 exec_lo, exec_lo, s7
; %bb.230:                              ;   in Loop: Header=BB141_26 Depth=1
	v_sub_co_u32 v4, vcc_lo, v4, s10
	s_wait_alu 0xfffd
	v_subrev_co_ci_u32_e64 v5, null, s11, v5, vcc_lo
	v_mov_b32_e32 v2, 0
	s_mov_b32 s12, exec_lo
; %bb.231:                              ;   in Loop: Header=BB141_26 Depth=1
	s_or_b32 exec_lo, exec_lo, s7
	s_delay_alu instid0(VALU_DEP_2)
	v_dual_mov_b32 v7, v5 :: v_dual_mov_b32 v6, v4
	s_wait_alu 0xfffe
	s_and_b32 s7, s12, exec_lo
.LBB141_232:                            ;   in Loop: Header=BB141_26 Depth=1
	s_wait_alu 0xfffe
	s_or_b32 exec_lo, exec_lo, s6
	s_mov_b32 s6, -1
                                        ; implicit-def: $sgpr69
                                        ; implicit-def: $sgpr68
	s_and_saveexec_b32 s15, s7
	s_cbranch_execz .LBB141_279
; %bb.233:                              ;   in Loop: Header=BB141_26 Depth=1
	v_cmp_eq_u64_e32 vcc_lo, 1, v[6:7]
	s_cmp_eq_u64 s[8:9], 1
	s_mov_b32 s7, -1
	s_cselect_b32 s6, -1, 0
                                        ; implicit-def: $sgpr69
                                        ; implicit-def: $sgpr68
	s_wait_alu 0xfffe
	s_and_b32 s60, s6, vcc_lo
	s_wait_alu 0xfffe
	s_and_saveexec_b32 s67, s60
	s_cbranch_execz .LBB141_267
; %bb.234:                              ;   in Loop: Header=BB141_26 Depth=1
	ds_load_b64 v[4:5], v3 offset:5120
	s_wait_loadcnt_dscnt 0x0
	s_barrier_signal -1
	s_barrier_wait -1
	global_inv scope:SCOPE_SE
	v_readfirstlane_b32 s6, v4
	v_readfirstlane_b32 s7, v5
	s_and_saveexec_b32 s10, s0
; %bb.235:                              ;   in Loop: Header=BB141_26 Depth=1
	ds_store_b16 v27, v3
; %bb.236:                              ;   in Loop: Header=BB141_26 Depth=1
	s_wait_alu 0xfffe
	s_or_b32 exec_lo, exec_lo, s10
	v_or_b32_e32 v30, s16, v30
	v_or_b32_e32 v34, s16, v34
	s_mov_b32 s68, -1
	s_mov_b32 s69, 0
	s_cmp_eq_u64 s[6:7], 0
	s_mov_b32 s12, 0
	s_mov_b32 s13, -1
	s_wait_loadcnt_dscnt 0x0
	s_barrier_signal -1
	s_barrier_wait -1
	global_inv scope:SCOPE_SE
                                        ; implicit-def: $vgpr35
	s_cbranch_scc1 .LBB141_252
; %bb.237:                              ;   in Loop: Header=BB141_26 Depth=1
	s_add_nc_u64 s[10:11], s[6:7], s[54:55]
	s_mov_b32 s12, s53
	s_wait_alu 0xfffe
	s_mov_b32 s13, s11
	s_wait_alu 0xfffe
	s_cmp_lg_u64 s[12:13], 0
	s_cbranch_scc0 .LBB141_286
; %bb.238:                              ;   in Loop: Header=BB141_26 Depth=1
	s_cvt_f32_u32 s12, s50
	s_sub_nc_u64 s[70:71], 0, s[50:51]
	s_wait_alu 0xfffe
	s_delay_alu instid0(SALU_CYCLE_1) | instskip(SKIP_1) | instid1(SALU_CYCLE_2)
	s_fmamk_f32 s12, s81, 0x0, s12
	s_wait_alu 0xfffe
	v_s_rcp_f32 s12, s12
	s_delay_alu instid0(TRANS32_DEP_1) | instskip(SKIP_1) | instid1(SALU_CYCLE_2)
	s_mul_f32 s12, s12, 0x5f7ffffc
	s_wait_alu 0xfffe
	s_mul_f32 s13, s12, 0x2f800000
	s_wait_alu 0xfffe
	s_delay_alu instid0(SALU_CYCLE_2) | instskip(SKIP_1) | instid1(SALU_CYCLE_2)
	s_trunc_f32 s13, s13
	s_wait_alu 0xfffe
	s_fmamk_f32 s12, s13, 0xcf800000, s12
	s_cvt_u32_f32 s13, s13
	s_wait_alu 0xfffe
	s_delay_alu instid0(SALU_CYCLE_1) | instskip(SKIP_1) | instid1(SALU_CYCLE_2)
	s_cvt_u32_f32 s12, s12
	s_wait_alu 0xfffe
	s_mul_u64 s[92:93], s[70:71], s[12:13]
	s_wait_alu 0xfffe
	s_mul_hi_u32 s95, s12, s93
	s_mul_i32 s94, s12, s93
	s_mul_hi_u32 s52, s12, s92
	s_mul_i32 s97, s13, s92
	s_wait_alu 0xfffe
	s_add_nc_u64 s[94:95], s[52:53], s[94:95]
	s_mul_hi_u32 s96, s13, s92
	s_mul_hi_u32 s98, s13, s93
	s_add_co_u32 s52, s94, s97
	s_add_co_ci_u32 s52, s95, s96
	s_mul_i32 s92, s13, s93
	s_add_co_ci_u32 s93, s98, 0
	s_wait_alu 0xfffe
	s_add_nc_u64 s[92:93], s[52:53], s[92:93]
	s_wait_alu 0xfffe
	s_add_co_u32 s12, s12, s92
	s_cselect_b32 s52, -1, 0
	s_wait_alu 0xfffe
	s_cmp_lg_u32 s52, 0
	s_add_co_ci_u32 s13, s13, s93
	s_wait_alu 0xfffe
	s_mul_u64 s[70:71], s[70:71], s[12:13]
	s_wait_alu 0xfffe
	s_mul_hi_u32 s93, s12, s71
	s_mul_i32 s92, s12, s71
	s_mul_hi_u32 s52, s12, s70
	s_mul_i32 s95, s13, s70
	s_wait_alu 0xfffe
	s_add_nc_u64 s[92:93], s[52:53], s[92:93]
	s_mul_hi_u32 s94, s13, s70
	s_mul_hi_u32 s96, s13, s71
	s_wait_alu 0xfffe
	s_add_co_u32 s52, s92, s95
	s_add_co_ci_u32 s52, s93, s94
	s_mul_i32 s70, s13, s71
	s_add_co_ci_u32 s71, s96, 0
	s_wait_alu 0xfffe
	s_add_nc_u64 s[70:71], s[52:53], s[70:71]
	s_wait_alu 0xfffe
	s_add_co_u32 s12, s12, s70
	s_cselect_b32 s70, -1, 0
	s_wait_alu 0xfffe
	s_mul_hi_u32 s52, s10, s12
	s_cmp_lg_u32 s70, 0
	s_mul_hi_u32 s92, s11, s12
	s_add_co_ci_u32 s70, s13, s71
	s_mul_i32 s71, s11, s12
	s_wait_alu 0xfffe
	s_mul_hi_u32 s13, s10, s70
	s_mul_i32 s12, s10, s70
	s_mul_hi_u32 s93, s11, s70
	s_wait_alu 0xfffe
	s_add_nc_u64 s[12:13], s[52:53], s[12:13]
	s_mul_i32 s70, s11, s70
	s_wait_alu 0xfffe
	s_add_co_u32 s12, s12, s71
	s_add_co_ci_u32 s52, s13, s92
	s_add_co_ci_u32 s71, s93, 0
	s_wait_alu 0xfffe
	s_add_nc_u64 s[12:13], s[52:53], s[70:71]
	s_wait_alu 0xfffe
	s_mul_u64 s[12:13], s[50:51], s[12:13]
	s_wait_alu 0xfffe
	s_sub_co_u32 s12, s10, s12
	s_cselect_b32 s52, -1, 0
	s_wait_alu 0xfffe
	s_cmp_lg_u32 s52, 0
	s_sub_co_ci_u32 s13, s11, s13
	s_sub_co_u32 s52, s12, s50
	s_cselect_b32 s70, -1, 0
	s_wait_alu 0xfffe
	s_cmp_lg_u32 s70, 0
	s_sub_co_ci_u32 s70, s13, 0
	s_sub_co_u32 s71, s52, s50
	s_cselect_b32 s92, -1, 0
	s_wait_alu 0xfffe
	s_cmp_lg_u32 s92, 0
	s_sub_co_ci_u32 s92, s70, 0
	s_cmp_ge_u32 s52, s50
	s_cselect_b32 s93, -1, 0
	s_cmp_eq_u32 s70, 0
	s_wait_alu 0xfffe
	s_cselect_b32 s93, s93, -1
	s_wait_alu 0xfffe
	s_cmp_lg_u32 s93, 0
	s_cselect_b32 s70, s92, s70
	s_cselect_b32 s52, s71, s52
	s_cmp_ge_u32 s12, s50
	s_cselect_b32 s71, -1, 0
	s_cmp_eq_u32 s13, 0
	s_wait_alu 0xfffe
	s_cselect_b32 s71, s71, -1
	s_wait_alu 0xfffe
	s_cmp_lg_u32 s71, 0
	s_cselect_b32 s13, s70, s13
	s_cselect_b32 s12, s52, s12
	s_cbranch_execnz .LBB141_240
.LBB141_239:                            ;   in Loop: Header=BB141_26 Depth=1
	v_cvt_f32_u32_e32 v4, s50
	s_sub_co_i32 s13, 0, s50
	s_delay_alu instid0(VALU_DEP_1) | instskip(NEXT) | instid1(TRANS32_DEP_1)
	v_rcp_iflag_f32_e32 v4, v4
	v_mul_f32_e32 v4, 0x4f7ffffe, v4
	s_delay_alu instid0(VALU_DEP_1) | instskip(NEXT) | instid1(VALU_DEP_1)
	v_cvt_u32_f32_e32 v4, v4
	v_readfirstlane_b32 s12, v4
	s_wait_alu 0xfffe
	s_mul_i32 s13, s13, s12
	s_wait_alu 0xfffe
	s_mul_hi_u32 s13, s12, s13
	s_wait_alu 0xfffe
	s_add_co_i32 s12, s12, s13
	s_wait_alu 0xfffe
	s_mul_hi_u32 s12, s10, s12
	s_wait_alu 0xfffe
	s_mul_i32 s12, s12, s50
	s_wait_alu 0xfffe
	s_sub_co_i32 s12, s10, s12
	s_wait_alu 0xfffe
	s_sub_co_i32 s13, s12, s50
	s_cmp_ge_u32 s12, s50
	s_wait_alu 0xfffe
	s_cselect_b32 s12, s13, s12
	s_wait_alu 0xfffe
	s_sub_co_i32 s13, s12, s50
	s_cmp_ge_u32 s12, s50
	s_wait_alu 0xfffe
	s_cselect_b32 s52, s13, s12
	s_wait_alu 0xfffe
	s_mov_b64 s[12:13], s[52:53]
.LBB141_240:                            ;   in Loop: Header=BB141_26 Depth=1
	s_wait_alu 0xfffe
	s_sub_nc_u64 s[10:11], s[10:11], s[12:13]
	s_mov_b32 s13, 0
	s_mov_b32 s12, 0
	s_mov_b32 s52, exec_lo
                                        ; implicit-def: $vgpr35
	s_wait_alu 0xfffe
	v_cmpx_gt_u64_e64 s[10:11], v[0:1]
	s_cbranch_execz .LBB141_251
; %bb.241:                              ;   in Loop: Header=BB141_26 Depth=1
	v_dual_mov_b32 v8, v26 :: v_dual_mov_b32 v5, v1
	v_mov_b32_e32 v4, v0
                                        ; implicit-def: $sgpr70
	s_branch .LBB141_244
.LBB141_242:                            ;   in Loop: Header=BB141_244 Depth=2
	s_wait_alu 0xfffe
	s_or_b32 exec_lo, exec_lo, s71
	s_wait_loadcnt_dscnt 0x0
	s_barrier_signal -1
	s_barrier_wait -1
	global_inv scope:SCOPE_SE
	ds_load_b32 v9, v3 offset:3072
	s_mov_b32 s71, -1
	s_mov_b32 s92, -1
	s_wait_loadcnt_dscnt 0x0
	s_barrier_signal -1
	s_barrier_wait -1
	global_inv scope:SCOPE_SE
	v_and_b32_e32 v10, 0x7fff, v9
	s_delay_alu instid0(VALU_DEP_1)
	v_cmp_ne_u32_e32 vcc_lo, 0, v10
	s_cbranch_vccz .LBB141_247
.LBB141_243:                            ;   in Loop: Header=BB141_244 Depth=2
	s_wait_alu 0xfffe
	s_and_b32 s71, exec_lo, s71
	s_wait_alu 0xfffe
	s_or_b32 s12, s71, s12
	s_and_not1_b32 s70, s70, exec_lo
	s_and_b32 s71, s92, exec_lo
	s_wait_alu 0xfffe
	s_or_b32 s70, s70, s71
	s_and_not1_b32 exec_lo, exec_lo, s12
	s_cbranch_execz .LBB141_250
.LBB141_244:                            ;   Parent Loop BB141_26 Depth=1
                                        ; =>  This Inner Loop Header: Depth=2
	s_mov_b32 s71, exec_lo
	s_delay_alu instid0(VALU_DEP_1)
	v_cmpx_gt_u64_e64 s[6:7], v[4:5]
	s_cbranch_execz .LBB141_242
; %bb.245:                              ;   in Loop: Header=BB141_244 Depth=2
	ds_load_u16 v9, v8
	s_wait_dscnt 0x0
	v_cmp_lt_i16_e32 vcc_lo, -1, v9
	v_and_b32_e32 v10, 0xffff, v9
	s_wait_alu 0xfffd
	v_cndmask_b32_e32 v11, 0xffff, v33, vcc_lo
	s_delay_alu instid0(VALU_DEP_1) | instskip(SKIP_1) | instid1(VALU_DEP_1)
	v_xor_b32_e32 v10, v11, v10
	v_lshlrev_b32_e32 v19, 16, v9
	v_cmp_o_f32_e32 vcc_lo, v19, v19
	s_wait_alu 0xfffd
	s_delay_alu instid0(VALU_DEP_3) | instskip(NEXT) | instid1(VALU_DEP_1)
	v_cndmask_b32_e32 v10, 0xffff, v10, vcc_lo
	v_and_b32_e32 v10, v10, v34
	s_delay_alu instid0(VALU_DEP_1)
	v_cmp_eq_u32_e32 vcc_lo, v10, v30
	s_and_b32 exec_lo, exec_lo, vcc_lo
	s_cbranch_execz .LBB141_242
; %bb.246:                              ;   in Loop: Header=BB141_244 Depth=2
	v_perm_b32 v9, v9, s84, 0x5040100
	ds_store_b32 v3, v9 offset:3072
	s_branch .LBB141_242
.LBB141_247:                            ;   in Loop: Header=BB141_244 Depth=2
	v_add_co_u32 v4, vcc_lo, v4, s50
	s_wait_alu 0xfffd
	v_add_co_ci_u32_e64 v5, null, 0, v5, vcc_lo
	v_add_nc_u32_e32 v8, s80, v8
	s_mov_b32 s92, 0
	s_delay_alu instid0(VALU_DEP_2)
	v_cmp_le_u64_e32 vcc_lo, s[10:11], v[4:5]
	s_or_not1_b32 s71, vcc_lo, exec_lo
	s_branch .LBB141_243
.LBB141_248:                            ;   in Loop: Header=BB141_26 Depth=1
                                        ; implicit-def: $sgpr14_sgpr15
	s_branch .LBB141_194
.LBB141_249:                            ;   in Loop: Header=BB141_26 Depth=1
                                        ; implicit-def: $sgpr6_sgpr7
	s_branch .LBB141_210
.LBB141_250:                            ;   in Loop: Header=BB141_26 Depth=1
	s_or_b32 exec_lo, exec_lo, s12
	v_lshrrev_b32_e32 v35, 16, v9
	s_wait_alu 0xfffe
	s_and_b32 s12, s70, exec_lo
.LBB141_251:                            ;   in Loop: Header=BB141_26 Depth=1
	s_or_b32 exec_lo, exec_lo, s52
.LBB141_252:                            ;   in Loop: Header=BB141_26 Depth=1
	s_wait_alu 0xfffe
	s_and_b32 vcc_lo, exec_lo, s13
	s_wait_alu 0xfffe
	s_cbranch_vccz .LBB141_266
; %bb.253:                              ;   in Loop: Header=BB141_26 Depth=1
	s_mov_b32 s6, s53
	s_mov_b32 s7, s57
	s_wait_alu 0xfffe
	s_cmp_lg_u64 s[6:7], 0
	s_cbranch_scc0 .LBB141_287
; %bb.254:                              ;   in Loop: Header=BB141_26 Depth=1
	s_cvt_f32_u32 s6, s50
	s_sub_nc_u64 s[10:11], 0, s[50:51]
	s_wait_alu 0xfffe
	s_delay_alu instid0(SALU_CYCLE_1) | instskip(SKIP_1) | instid1(SALU_CYCLE_2)
	s_fmamk_f32 s6, s81, 0x0, s6
	s_wait_alu 0xfffe
	v_s_rcp_f32 s6, s6
	s_delay_alu instid0(TRANS32_DEP_1) | instskip(SKIP_1) | instid1(SALU_CYCLE_2)
	s_mul_f32 s6, s6, 0x5f7ffffc
	s_wait_alu 0xfffe
	s_mul_f32 s7, s6, 0x2f800000
	s_wait_alu 0xfffe
	s_delay_alu instid0(SALU_CYCLE_2) | instskip(SKIP_1) | instid1(SALU_CYCLE_2)
	s_trunc_f32 s7, s7
	s_wait_alu 0xfffe
	s_fmamk_f32 s6, s7, 0xcf800000, s6
	s_cvt_u32_f32 s7, s7
	s_wait_alu 0xfffe
	s_delay_alu instid0(SALU_CYCLE_1) | instskip(SKIP_1) | instid1(SALU_CYCLE_2)
	s_cvt_u32_f32 s6, s6
	s_wait_alu 0xfffe
	s_mul_u64 s[68:69], s[10:11], s[6:7]
	s_wait_alu 0xfffe
	s_mul_hi_u32 s71, s6, s69
	s_mul_i32 s70, s6, s69
	s_mul_hi_u32 s52, s6, s68
	s_mul_i32 s92, s7, s68
	s_wait_alu 0xfffe
	s_add_nc_u64 s[70:71], s[52:53], s[70:71]
	s_mul_hi_u32 s13, s7, s68
	s_mul_hi_u32 s93, s7, s69
	s_wait_alu 0xfffe
	s_add_co_u32 s52, s70, s92
	s_add_co_ci_u32 s52, s71, s13
	s_mul_i32 s68, s7, s69
	s_add_co_ci_u32 s69, s93, 0
	s_wait_alu 0xfffe
	s_add_nc_u64 s[68:69], s[52:53], s[68:69]
	s_wait_alu 0xfffe
	s_add_co_u32 s6, s6, s68
	s_cselect_b32 s13, -1, 0
	s_wait_alu 0xfffe
	s_cmp_lg_u32 s13, 0
	s_add_co_ci_u32 s7, s7, s69
	s_wait_alu 0xfffe
	s_mul_u64 s[10:11], s[10:11], s[6:7]
	s_wait_alu 0xfffe
	s_mul_hi_u32 s69, s6, s11
	s_mul_i32 s68, s6, s11
	s_mul_hi_u32 s52, s6, s10
	s_mul_i32 s70, s7, s10
	s_wait_alu 0xfffe
	s_add_nc_u64 s[68:69], s[52:53], s[68:69]
	s_mul_hi_u32 s13, s7, s10
	s_mul_hi_u32 s71, s7, s11
	s_mul_i32 s10, s7, s11
	s_wait_alu 0xfffe
	s_add_co_u32 s11, s68, s70
	s_add_co_ci_u32 s52, s69, s13
	s_add_co_ci_u32 s11, s71, 0
	s_wait_alu 0xfffe
	s_add_nc_u64 s[10:11], s[52:53], s[10:11]
	s_wait_alu 0xfffe
	s_add_co_u32 s6, s6, s10
	s_cselect_b32 s10, -1, 0
	s_wait_alu 0xfffe
	s_mul_hi_u32 s52, s56, s6
	s_cmp_lg_u32 s10, 0
	s_mul_hi_u32 s13, s57, s6
	s_add_co_ci_u32 s10, s7, s11
	s_mul_i32 s11, s57, s6
	s_wait_alu 0xfffe
	s_mul_hi_u32 s7, s56, s10
	s_mul_i32 s6, s56, s10
	s_mul_hi_u32 s68, s57, s10
	s_wait_alu 0xfffe
	s_add_nc_u64 s[6:7], s[52:53], s[6:7]
	s_mul_i32 s10, s57, s10
	s_wait_alu 0xfffe
	s_add_co_u32 s6, s6, s11
	s_add_co_ci_u32 s52, s7, s13
	s_add_co_ci_u32 s11, s68, 0
	s_wait_alu 0xfffe
	s_add_nc_u64 s[6:7], s[52:53], s[10:11]
	s_wait_alu 0xfffe
	s_mul_u64 s[6:7], s[50:51], s[6:7]
	s_wait_alu 0xfffe
	s_sub_co_u32 s6, s56, s6
	s_cselect_b32 s10, -1, 0
	s_wait_alu 0xfffe
	s_cmp_lg_u32 s10, 0
	s_sub_co_ci_u32 s7, s57, s7
	s_sub_co_u32 s10, s6, s50
	s_cselect_b32 s11, -1, 0
	s_wait_alu 0xfffe
	s_cmp_lg_u32 s11, 0
	s_sub_co_ci_u32 s11, s7, 0
	;; [unrolled: 5-line block ×3, first 2 shown]
	s_cmp_ge_u32 s10, s50
	s_cselect_b32 s68, -1, 0
	s_cmp_eq_u32 s11, 0
	s_wait_alu 0xfffe
	s_cselect_b32 s68, s68, -1
	s_wait_alu 0xfffe
	s_cmp_lg_u32 s68, 0
	s_cselect_b32 s11, s52, s11
	s_cselect_b32 s10, s13, s10
	s_cmp_ge_u32 s6, s50
	s_cselect_b32 s13, -1, 0
	s_cmp_eq_u32 s7, 0
	s_wait_alu 0xfffe
	s_cselect_b32 s13, s13, -1
	s_wait_alu 0xfffe
	s_cmp_lg_u32 s13, 0
	s_cselect_b32 s7, s11, s7
	s_cselect_b32 s6, s10, s6
	s_cbranch_execnz .LBB141_256
.LBB141_255:                            ;   in Loop: Header=BB141_26 Depth=1
	v_cvt_f32_u32_e32 v4, s50
	s_sub_co_i32 s7, 0, s50
	s_delay_alu instid0(VALU_DEP_1) | instskip(NEXT) | instid1(TRANS32_DEP_1)
	v_rcp_iflag_f32_e32 v4, v4
	v_mul_f32_e32 v4, 0x4f7ffffe, v4
	s_delay_alu instid0(VALU_DEP_1) | instskip(NEXT) | instid1(VALU_DEP_1)
	v_cvt_u32_f32_e32 v4, v4
	v_readfirstlane_b32 s6, v4
	s_wait_alu 0xfffe
	s_mul_i32 s7, s7, s6
	s_wait_alu 0xfffe
	s_mul_hi_u32 s7, s6, s7
	s_wait_alu 0xfffe
	s_add_co_i32 s6, s6, s7
	s_wait_alu 0xfffe
	s_mul_hi_u32 s6, s56, s6
	s_wait_alu 0xfffe
	s_mul_i32 s6, s6, s50
	s_wait_alu 0xfffe
	s_sub_co_i32 s6, s56, s6
	s_wait_alu 0xfffe
	s_sub_co_i32 s7, s6, s50
	s_cmp_ge_u32 s6, s50
	s_wait_alu 0xfffe
	s_cselect_b32 s6, s7, s6
	s_wait_alu 0xfffe
	s_sub_co_i32 s7, s6, s50
	s_cmp_ge_u32 s6, s50
	s_wait_alu 0xfffe
	s_cselect_b32 s52, s7, s6
	s_wait_alu 0xfffe
	s_mov_b64 s[6:7], s[52:53]
.LBB141_256:                            ;   in Loop: Header=BB141_26 Depth=1
	s_wait_alu 0xfffe
	s_sub_nc_u64 s[6:7], s[56:57], s[6:7]
	s_mov_b32 s10, exec_lo
                                        ; implicit-def: $vgpr35
	s_wait_alu 0xfffe
	v_cmpx_gt_u64_e64 s[6:7], v[0:1]
	s_cbranch_execz .LBB141_265
; %bb.257:                              ;   in Loop: Header=BB141_26 Depth=1
	v_dual_mov_b32 v5, v1 :: v_dual_mov_b32 v4, v0
	s_mov_b32 s11, 0
                                        ; implicit-def: $sgpr13
	s_branch .LBB141_260
.LBB141_258:                            ;   in Loop: Header=BB141_260 Depth=2
	s_wait_alu 0xfffe
	s_or_b32 exec_lo, exec_lo, s52
	s_wait_loadcnt_dscnt 0x0
	s_barrier_signal -1
	s_barrier_wait -1
	global_inv scope:SCOPE_SE
	ds_load_b32 v8, v3 offset:3072
	s_mov_b32 s68, -1
	s_mov_b32 s52, -1
	s_wait_loadcnt_dscnt 0x0
	s_barrier_signal -1
	s_barrier_wait -1
	global_inv scope:SCOPE_SE
	v_and_b32_e32 v9, 0x7fff, v8
	s_delay_alu instid0(VALU_DEP_1)
	v_cmp_eq_u32_e32 vcc_lo, 0, v9
	s_cbranch_vccnz .LBB141_263
.LBB141_259:                            ;   in Loop: Header=BB141_260 Depth=2
	s_wait_alu 0xfffe
	s_and_b32 s68, exec_lo, s68
	s_wait_alu 0xfffe
	s_or_b32 s11, s68, s11
	s_and_not1_b32 s13, s13, exec_lo
	s_and_b32 s52, s52, exec_lo
	s_wait_alu 0xfffe
	s_or_b32 s13, s13, s52
	s_and_not1_b32 exec_lo, exec_lo, s11
	s_cbranch_execz .LBB141_264
.LBB141_260:                            ;   Parent Loop BB141_26 Depth=1
                                        ; =>  This Inner Loop Header: Depth=2
	s_mov_b32 s52, exec_lo
	s_delay_alu instid0(VALU_DEP_1)
	v_cmpx_gt_u64_e64 s[20:21], v[4:5]
	s_cbranch_execz .LBB141_258
; %bb.261:                              ;   in Loop: Header=BB141_260 Depth=2
	v_mul_lo_u32 v10, v5, s36
	v_mul_lo_u32 v11, v4, s37
	v_mad_co_u64_u32 v[8:9], null, v4, s36, 0
	s_delay_alu instid0(VALU_DEP_1) | instskip(NEXT) | instid1(VALU_DEP_1)
	v_add3_u32 v9, v9, v11, v10
	v_lshlrev_b64_e32 v[8:9], 1, v[8:9]
	s_delay_alu instid0(VALU_DEP_1) | instskip(SKIP_1) | instid1(VALU_DEP_2)
	v_add_co_u32 v8, vcc_lo, s44, v8
	s_wait_alu 0xfffd
	v_add_co_ci_u32_e64 v9, null, s45, v9, vcc_lo
	global_load_u16 v8, v[8:9], off
	s_wait_loadcnt 0x0
	v_cmp_lt_i16_e32 vcc_lo, -1, v8
	v_and_b32_e32 v9, 0xffff, v8
	s_wait_alu 0xfffd
	v_dual_cndmask_b32 v10, 0xffff, v33 :: v_dual_lshlrev_b32 v11, 16, v8
	s_delay_alu instid0(VALU_DEP_1) | instskip(NEXT) | instid1(VALU_DEP_2)
	v_cmp_o_f32_e32 vcc_lo, v11, v11
	v_xor_b32_e32 v9, v10, v9
	s_wait_alu 0xfffd
	s_delay_alu instid0(VALU_DEP_1) | instskip(NEXT) | instid1(VALU_DEP_1)
	v_cndmask_b32_e32 v9, 0xffff, v9, vcc_lo
	v_and_b32_e32 v9, v9, v34
	s_delay_alu instid0(VALU_DEP_1)
	v_cmp_eq_u32_e32 vcc_lo, v9, v30
	s_and_b32 exec_lo, exec_lo, vcc_lo
	s_cbranch_execz .LBB141_258
; %bb.262:                              ;   in Loop: Header=BB141_260 Depth=2
	v_perm_b32 v8, v8, s84, 0x5040100
	ds_store_b32 v3, v8 offset:3072
	s_branch .LBB141_258
.LBB141_263:                            ;   in Loop: Header=BB141_260 Depth=2
	v_add_co_u32 v4, vcc_lo, v4, s50
	s_wait_alu 0xfffd
	v_add_co_ci_u32_e64 v5, null, 0, v5, vcc_lo
	s_mov_b32 s52, 0
	v_cmp_le_u64_e32 vcc_lo, s[6:7], v[4:5]
	s_or_not1_b32 s68, vcc_lo, exec_lo
	s_branch .LBB141_259
.LBB141_264:                            ;   in Loop: Header=BB141_26 Depth=1
	s_or_b32 exec_lo, exec_lo, s11
	v_lshrrev_b32_e32 v35, 16, v8
	s_and_not1_b32 s6, s12, exec_lo
	s_wait_alu 0xfffe
	s_and_b32 s7, s13, exec_lo
	s_wait_alu 0xfffe
	s_or_b32 s12, s6, s7
.LBB141_265:                            ;   in Loop: Header=BB141_26 Depth=1
	s_or_b32 exec_lo, exec_lo, s10
	s_mov_b32 s68, 0
	s_mov_b32 s69, -1
.LBB141_266:                            ;   in Loop: Header=BB141_26 Depth=1
	s_wait_alu 0xfffe
	s_or_not1_b32 s7, s12, exec_lo
.LBB141_267:                            ;   in Loop: Header=BB141_26 Depth=1
	s_wait_alu 0xfffe
	s_or_b32 exec_lo, exec_lo, s67
	s_mov_b32 s10, 0
	s_and_saveexec_b32 s6, s7
	s_cbranch_execz .LBB141_278
; %bb.268:                              ;   in Loop: Header=BB141_26 Depth=1
	v_mov_b32_e32 v4, 1
	v_dual_mov_b32 v5, 0 :: v_dual_mov_b32 v2, 1
	s_xor_b32 s10, s60, -1
	s_wait_alu 0xfffe
	s_and_saveexec_b32 s7, s10
	s_cbranch_execz .LBB141_277
; %bb.269:                              ;   in Loop: Header=BB141_26 Depth=1
	s_mov_b32 s10, exec_lo
	v_cmpx_ge_u64_e64 s[8:9], v[6:7]
	s_wait_alu 0xfffe
	s_xor_b32 s10, exec_lo, s10
	s_cbranch_execz .LBB141_274
; %bb.270:                              ;   in Loop: Header=BB141_26 Depth=1
	ds_load_b64 v[4:5], v3 offset:5120
	v_or_b32_e32 v30, s16, v30
	v_or_b32_e32 v34, s16, v34
	s_wait_dscnt 0x0
	v_cmp_ne_u64_e32 vcc_lo, 0, v[4:5]
	s_cbranch_vccnz .LBB141_274
; %bb.271:                              ;   in Loop: Header=BB141_26 Depth=1
	s_and_saveexec_b32 s11, s3
; %bb.272:                              ;   in Loop: Header=BB141_26 Depth=1
	v_dual_mov_b32 v4, s8 :: v_dual_mov_b32 v5, s9
	ds_store_b64 v3, v[4:5] offset:5128
; %bb.273:                              ;   in Loop: Header=BB141_26 Depth=1
	s_wait_alu 0xfffe
	s_or_b32 exec_lo, exec_lo, s11
	s_wait_loadcnt_dscnt 0x0
	s_barrier_signal -1
	s_barrier_wait -1
	global_inv scope:SCOPE_SE
.LBB141_274:                            ;   in Loop: Header=BB141_26 Depth=1
	s_wait_alu 0xfffe
	s_and_not1_saveexec_b32 s10, s10
; %bb.275:                              ;   in Loop: Header=BB141_26 Depth=1
	v_sub_co_u32 v6, vcc_lo, v6, s8
	s_wait_alu 0xfffd
	v_subrev_co_ci_u32_e64 v7, null, s9, v7, vcc_lo
; %bb.276:                              ;   in Loop: Header=BB141_26 Depth=1
	s_wait_alu 0xfffe
	s_or_b32 exec_lo, exec_lo, s10
	v_mov_b32_e32 v4, v6
	s_delay_alu instid0(VALU_DEP_2)
	v_dual_mov_b32 v2, 8 :: v_dual_mov_b32 v5, v7
.LBB141_277:                            ;   in Loop: Header=BB141_26 Depth=1
	s_wait_alu 0xfffe
	s_or_b32 exec_lo, exec_lo, s7
	s_delay_alu instid0(VALU_DEP_1)
	v_dual_mov_b32 v7, v5 :: v_dual_mov_b32 v6, v4
	s_mov_b32 s10, exec_lo
.LBB141_278:                            ;   in Loop: Header=BB141_26 Depth=1
	s_wait_alu 0xfffe
	s_or_b32 exec_lo, exec_lo, s6
	s_delay_alu instid0(SALU_CYCLE_1)
	s_or_not1_b32 s6, s10, exec_lo
.LBB141_279:                            ;   in Loop: Header=BB141_26 Depth=1
	s_wait_alu 0xfffe
	s_or_b32 exec_lo, exec_lo, s15
	v_dual_mov_b32 v4, v6 :: v_dual_mov_b32 v5, v7
	s_and_not1_b32 s7, s66, exec_lo
	s_and_b32 s8, s69, exec_lo
	s_and_not1_b32 s9, s65, exec_lo
	s_and_b32 s10, s68, exec_lo
	s_wait_alu 0xfffe
	s_or_b32 s66, s7, s8
	s_or_b32 s65, s9, s10
	s_and_b32 s7, s6, exec_lo
.LBB141_280:                            ;   in Loop: Header=BB141_26 Depth=1
	s_wait_alu 0xfffe
	s_or_b32 exec_lo, exec_lo, s14
	s_delay_alu instid0(SALU_CYCLE_1)
	s_or_not1_b32 s6, s7, exec_lo
.LBB141_281:                            ;   in Loop: Header=BB141_26 Depth=1
	s_wait_alu 0xfffe
	s_or_b32 exec_lo, exec_lo, s64
	v_dual_mov_b32 v9, v5 :: v_dual_mov_b32 v8, v4
	s_and_not1_b32 s7, s62, exec_lo
	s_and_b32 s8, s66, exec_lo
	s_and_not1_b32 s9, s61, exec_lo
	s_and_b32 s10, s65, exec_lo
	s_wait_alu 0xfffe
	s_or_b32 s62, s7, s8
	s_or_b32 s61, s9, s10
	s_and_b32 s7, s6, exec_lo
.LBB141_282:                            ;   in Loop: Header=BB141_26 Depth=1
	s_wait_alu 0xfffe
	s_or_b32 exec_lo, exec_lo, s63
	s_delay_alu instid0(SALU_CYCLE_1)
	s_or_not1_b32 s6, s7, exec_lo
.LBB141_283:                            ;   in Loop: Header=BB141_26 Depth=1
	s_wait_alu 0xfffe
	s_or_b32 exec_lo, exec_lo, s19
	s_mov_b32 s7, 0
	s_and_saveexec_b32 s8, s6
	s_wait_alu 0xfffe
	s_xor_b32 s6, exec_lo, s8
	s_cbranch_execz .LBB141_24
; %bb.284:                              ;   in Loop: Header=BB141_26 Depth=1
	v_and_b32_e32 v2, 7, v2
	s_mov_b32 s8, -1
	s_mov_b32 s7, -1
	s_mov_b32 s9, exec_lo
	s_delay_alu instid0(VALU_DEP_1)
	v_cmpx_eq_u32_e32 0, v2
	s_cbranch_execz .LBB141_23
; %bb.285:                              ;   in Loop: Header=BB141_26 Depth=1
	s_xor_b32 s85, s85, 1
	s_add_co_i32 s10, s82, -2
	s_cmp_eq_u32 s82, 0
	s_wait_alu 0xfffe
	s_mov_b32 s82, s10
	s_cselect_b32 s8, -1, 0
	s_xor_b32 s7, exec_lo, -1
	s_wait_alu 0xfffe
	s_or_not1_b32 s8, s8, exec_lo
	s_branch .LBB141_23
.LBB141_286:                            ;   in Loop: Header=BB141_26 Depth=1
                                        ; implicit-def: $sgpr12_sgpr13
	s_branch .LBB141_239
.LBB141_287:                            ;   in Loop: Header=BB141_26 Depth=1
                                        ; implicit-def: $sgpr6_sgpr7
	s_branch .LBB141_255
.LBB141_288:
	s_or_b32 exec_lo, exec_lo, s83
	s_xor_b32 s3, s91, -1
	s_xor_b32 s1, s89, -1
	;; [unrolled: 1-line block ×3, first 2 shown]
	s_mov_b32 s0, 0
	s_and_saveexec_b32 s5, s1
	s_wait_alu 0xfffe
	s_xor_b32 s1, exec_lo, s5
	s_cbranch_execnz .LBB141_293
; %bb.289:
	s_and_not1_saveexec_b32 s1, s1
	s_cbranch_execnz .LBB141_306
.LBB141_290:
	s_or_b32 exec_lo, exec_lo, s1
	s_and_saveexec_b32 s1, s0
.LBB141_291:
	; divergent unreachable
.LBB141_292:
	s_endpgm
.LBB141_293:
	s_and_saveexec_b32 s0, s3
	s_delay_alu instid0(SALU_CYCLE_1)
	s_xor_b32 s3, exec_lo, s0
	s_cbranch_execz .LBB141_304
; %bb.294:
	s_and_saveexec_b32 s0, s4
	s_delay_alu instid0(SALU_CYCLE_1)
	s_xor_b32 s0, exec_lo, s0
; %bb.295:
	v_and_b32_e32 v2, 0x8000, v30
	v_mov_b32_e32 v3, 0xffff
	s_delay_alu instid0(VALU_DEP_2) | instskip(SKIP_1) | instid1(VALU_DEP_2)
	v_cmp_eq_u32_e32 vcc_lo, 0, v2
	s_wait_alu 0xfffd
	v_cndmask_b32_e32 v2, 0x8000, v3, vcc_lo
	s_delay_alu instid0(VALU_DEP_1)
	v_xor_b32_e32 v35, v2, v30
; %bb.296:
	s_or_b32 exec_lo, exec_lo, s0
	s_mul_u64 s[4:5], s[42:43], s[40:41]
	s_mul_u64 s[6:7], s[42:43], s[28:29]
	s_wait_alu 0xfffe
	s_sub_nc_u64 s[4:5], s[34:35], s[4:5]
	s_lshl_b64 s[6:7], s[6:7], 1
	s_wait_alu 0xfffe
	s_mul_u64 s[4:5], s[4:5], s[30:31]
	v_mov_b32_e32 v2, 0
	s_add_nc_u64 s[6:7], s[48:49], s[6:7]
	s_wait_alu 0xfffe
	s_lshl_b64 s[4:5], s[4:5], 1
	s_wait_alu 0xfffe
	s_add_nc_u64 s[4:5], s[6:7], s[4:5]
	global_store_b16 v2, v35, s[4:5]
	s_and_saveexec_b32 s4, s2
	s_cbranch_execz .LBB141_303
; %bb.297:
	v_lshlrev_b32_e32 v4, 16, v35
	s_mov_b32 s2, 0
                                        ; implicit-def: $sgpr5
                                        ; implicit-def: $sgpr8
                                        ; implicit-def: $sgpr7
	s_delay_alu instid0(VALU_DEP_1)
	v_cmp_u_f32_e32 vcc_lo, v4, v4
	s_xor_b32 s6, vcc_lo, -1
	s_branch .LBB141_299
.LBB141_298:                            ;   in Loop: Header=BB141_299 Depth=1
	s_or_b32 exec_lo, exec_lo, s0
	s_wait_alu 0xfffe
	s_and_b32 s0, exec_lo, s8
	s_delay_alu instid0(SALU_CYCLE_1)
	s_or_b32 s2, s0, s2
	s_and_not1_b32 s0, s5, exec_lo
	s_and_b32 s5, s7, exec_lo
	s_wait_alu 0xfffe
	s_or_b32 s5, s0, s5
	s_and_not1_b32 exec_lo, exec_lo, s2
	s_cbranch_execz .LBB141_301
.LBB141_299:                            ; =>This Inner Loop Header: Depth=1
	v_dual_mov_b32 v3, v1 :: v_dual_mov_b32 v2, v0
	s_or_b32 s7, s7, exec_lo
	s_or_b32 s8, s8, exec_lo
	s_delay_alu instid0(VALU_DEP_1) | instskip(NEXT) | instid1(VALU_DEP_2)
	v_mul_lo_u32 v5, v3, s36
	v_mul_lo_u32 v6, v2, s37
	v_mad_co_u64_u32 v[0:1], null, v2, s36, 0
	s_delay_alu instid0(VALU_DEP_1) | instskip(NEXT) | instid1(VALU_DEP_1)
	v_add3_u32 v1, v1, v6, v5
	v_lshlrev_b64_e32 v[0:1], 1, v[0:1]
	s_delay_alu instid0(VALU_DEP_1) | instskip(SKIP_1) | instid1(VALU_DEP_2)
	v_add_co_u32 v0, vcc_lo, s44, v0
	s_wait_alu 0xfffd
	v_add_co_ci_u32_e64 v1, null, s45, v1, vcc_lo
	global_load_u16 v0, v[0:1], off
	s_wait_loadcnt 0x0
	v_lshlrev_b32_e32 v0, 16, v0
	s_delay_alu instid0(VALU_DEP_1)
	v_cmp_o_f32_e32 vcc_lo, v0, v0
	v_cmp_neq_f32_e64 s0, v0, v4
                                        ; implicit-def: $vgpr0_vgpr1
	s_wait_alu 0xfffe
	s_or_b32 s9, s6, vcc_lo
	s_wait_alu 0xfffe
	s_and_b32 s9, s0, s9
	s_wait_alu 0xfffe
	s_and_saveexec_b32 s0, s9
	s_cbranch_execz .LBB141_298
; %bb.300:                              ;   in Loop: Header=BB141_299 Depth=1
	v_add_co_u32 v0, vcc_lo, v2, s50
	s_wait_alu 0xfffd
	v_add_co_ci_u32_e64 v1, null, 0, v3, vcc_lo
	s_and_not1_b32 s8, s8, exec_lo
	s_and_not1_b32 s7, s7, exec_lo
	v_cmp_le_u64_e32 vcc_lo, s[20:21], v[0:1]
	s_and_b32 s9, vcc_lo, exec_lo
	s_wait_alu 0xfffe
	s_or_b32 s8, s8, s9
	s_branch .LBB141_298
.LBB141_301:
	s_or_b32 exec_lo, exec_lo, s2
	s_wait_alu 0xfffe
	s_and_saveexec_b32 s0, s5
	s_delay_alu instid0(SALU_CYCLE_1)
	s_xor_b32 s0, exec_lo, s0
	s_cbranch_execz .LBB141_303
; %bb.302:
	s_mul_u64 s[6:7], s[38:39], s[22:23]
	s_mul_u64 s[8:9], s[38:39], s[24:25]
	s_wait_alu 0xfffe
	s_sub_nc_u64 s[6:7], s[34:35], s[6:7]
	s_lshl_b64 s[8:9], s[8:9], 3
	s_wait_alu 0xfffe
	s_mul_u64 s[6:7], s[6:7], s[26:27]
	v_mov_b32_e32 v0, 0
	s_add_nc_u64 s[8:9], s[46:47], s[8:9]
	s_wait_alu 0xfffe
	s_lshl_b64 s[6:7], s[6:7], 3
	s_wait_alu 0xfffe
	s_add_nc_u64 s[6:7], s[8:9], s[6:7]
	global_store_b64 v0, v[2:3], s[6:7]
.LBB141_303:
	s_wait_alu 0xfffe
	s_or_b32 exec_lo, exec_lo, s4
.LBB141_304:
	s_wait_alu 0xfffe
	s_or_saveexec_b32 s0, s3
	s_mov_b32 s2, 0
	s_xor_b32 exec_lo, exec_lo, s0
	s_cbranch_execnz .LBB141_307
.LBB141_305:
	s_or_b32 exec_lo, exec_lo, s0
	s_wait_alu 0xfffe
	s_and_b32 s0, s2, exec_lo
	s_and_not1_saveexec_b32 s1, s1
	s_cbranch_execz .LBB141_290
.LBB141_306:
	s_or_b32 s0, s0, exec_lo
	s_trap 2
	s_or_b32 exec_lo, exec_lo, s1
	s_and_saveexec_b32 s1, s0
	s_cbranch_execnz .LBB141_291
	s_branch .LBB141_292
.LBB141_307:
	s_mov_b32 s2, exec_lo
	s_trap 2
	s_branch .LBB141_305
	.section	.rodata,"a",@progbits
	.p2align	6, 0x0
	.amdhsa_kernel _ZN2at6native12_GLOBAL__N_112gatherMedianIN3c108BFloat16EmLi2EEEvNS_4cuda6detail10TensorInfoIT_T0_EENS7_IlS9_EENS7_IKS8_S9_EES9_S9_S9_b
		.amdhsa_group_segment_fixed_size 5152
		.amdhsa_private_segment_fixed_size 0
		.amdhsa_kernarg_size 1536
		.amdhsa_user_sgpr_count 2
		.amdhsa_user_sgpr_dispatch_ptr 0
		.amdhsa_user_sgpr_queue_ptr 0
		.amdhsa_user_sgpr_kernarg_segment_ptr 1
		.amdhsa_user_sgpr_dispatch_id 0
		.amdhsa_user_sgpr_private_segment_size 0
		.amdhsa_wavefront_size32 1
		.amdhsa_uses_dynamic_stack 0
		.amdhsa_enable_private_segment 0
		.amdhsa_system_sgpr_workgroup_id_x 1
		.amdhsa_system_sgpr_workgroup_id_y 1
		.amdhsa_system_sgpr_workgroup_id_z 1
		.amdhsa_system_sgpr_workgroup_info 0
		.amdhsa_system_vgpr_workitem_id 0
		.amdhsa_next_free_vgpr 40
		.amdhsa_next_free_sgpr 99
		.amdhsa_reserve_vcc 1
		.amdhsa_float_round_mode_32 0
		.amdhsa_float_round_mode_16_64 0
		.amdhsa_float_denorm_mode_32 3
		.amdhsa_float_denorm_mode_16_64 3
		.amdhsa_fp16_overflow 0
		.amdhsa_workgroup_processor_mode 1
		.amdhsa_memory_ordered 1
		.amdhsa_forward_progress 1
		.amdhsa_inst_pref_size 157
		.amdhsa_round_robin_scheduling 0
		.amdhsa_exception_fp_ieee_invalid_op 0
		.amdhsa_exception_fp_denorm_src 0
		.amdhsa_exception_fp_ieee_div_zero 0
		.amdhsa_exception_fp_ieee_overflow 0
		.amdhsa_exception_fp_ieee_underflow 0
		.amdhsa_exception_fp_ieee_inexact 0
		.amdhsa_exception_int_div_zero 0
	.end_amdhsa_kernel
	.section	.text._ZN2at6native12_GLOBAL__N_112gatherMedianIN3c108BFloat16EmLi2EEEvNS_4cuda6detail10TensorInfoIT_T0_EENS7_IlS9_EENS7_IKS8_S9_EES9_S9_S9_b,"axG",@progbits,_ZN2at6native12_GLOBAL__N_112gatherMedianIN3c108BFloat16EmLi2EEEvNS_4cuda6detail10TensorInfoIT_T0_EENS7_IlS9_EENS7_IKS8_S9_EES9_S9_S9_b,comdat
.Lfunc_end141:
	.size	_ZN2at6native12_GLOBAL__N_112gatherMedianIN3c108BFloat16EmLi2EEEvNS_4cuda6detail10TensorInfoIT_T0_EENS7_IlS9_EENS7_IKS8_S9_EES9_S9_S9_b, .Lfunc_end141-_ZN2at6native12_GLOBAL__N_112gatherMedianIN3c108BFloat16EmLi2EEEvNS_4cuda6detail10TensorInfoIT_T0_EENS7_IlS9_EENS7_IKS8_S9_EES9_S9_S9_b
                                        ; -- End function
	.set _ZN2at6native12_GLOBAL__N_112gatherMedianIN3c108BFloat16EmLi2EEEvNS_4cuda6detail10TensorInfoIT_T0_EENS7_IlS9_EENS7_IKS8_S9_EES9_S9_S9_b.num_vgpr, 40
	.set _ZN2at6native12_GLOBAL__N_112gatherMedianIN3c108BFloat16EmLi2EEEvNS_4cuda6detail10TensorInfoIT_T0_EENS7_IlS9_EENS7_IKS8_S9_EES9_S9_S9_b.num_agpr, 0
	.set _ZN2at6native12_GLOBAL__N_112gatherMedianIN3c108BFloat16EmLi2EEEvNS_4cuda6detail10TensorInfoIT_T0_EENS7_IlS9_EENS7_IKS8_S9_EES9_S9_S9_b.numbered_sgpr, 99
	.set _ZN2at6native12_GLOBAL__N_112gatherMedianIN3c108BFloat16EmLi2EEEvNS_4cuda6detail10TensorInfoIT_T0_EENS7_IlS9_EENS7_IKS8_S9_EES9_S9_S9_b.num_named_barrier, 0
	.set _ZN2at6native12_GLOBAL__N_112gatherMedianIN3c108BFloat16EmLi2EEEvNS_4cuda6detail10TensorInfoIT_T0_EENS7_IlS9_EENS7_IKS8_S9_EES9_S9_S9_b.private_seg_size, 0
	.set _ZN2at6native12_GLOBAL__N_112gatherMedianIN3c108BFloat16EmLi2EEEvNS_4cuda6detail10TensorInfoIT_T0_EENS7_IlS9_EENS7_IKS8_S9_EES9_S9_S9_b.uses_vcc, 1
	.set _ZN2at6native12_GLOBAL__N_112gatherMedianIN3c108BFloat16EmLi2EEEvNS_4cuda6detail10TensorInfoIT_T0_EENS7_IlS9_EENS7_IKS8_S9_EES9_S9_S9_b.uses_flat_scratch, 0
	.set _ZN2at6native12_GLOBAL__N_112gatherMedianIN3c108BFloat16EmLi2EEEvNS_4cuda6detail10TensorInfoIT_T0_EENS7_IlS9_EENS7_IKS8_S9_EES9_S9_S9_b.has_dyn_sized_stack, 0
	.set _ZN2at6native12_GLOBAL__N_112gatherMedianIN3c108BFloat16EmLi2EEEvNS_4cuda6detail10TensorInfoIT_T0_EENS7_IlS9_EENS7_IKS8_S9_EES9_S9_S9_b.has_recursion, 0
	.set _ZN2at6native12_GLOBAL__N_112gatherMedianIN3c108BFloat16EmLi2EEEvNS_4cuda6detail10TensorInfoIT_T0_EENS7_IlS9_EENS7_IKS8_S9_EES9_S9_S9_b.has_indirect_call, 0
	.section	.AMDGPU.csdata,"",@progbits
; Kernel info:
; codeLenInByte = 19980
; TotalNumSgprs: 101
; NumVgprs: 40
; ScratchSize: 0
; MemoryBound: 0
; FloatMode: 240
; IeeeMode: 1
; LDSByteSize: 5152 bytes/workgroup (compile time only)
; SGPRBlocks: 0
; VGPRBlocks: 4
; NumSGPRsForWavesPerEU: 101
; NumVGPRsForWavesPerEU: 40
; Occupancy: 16
; WaveLimiterHint : 1
; COMPUTE_PGM_RSRC2:SCRATCH_EN: 0
; COMPUTE_PGM_RSRC2:USER_SGPR: 2
; COMPUTE_PGM_RSRC2:TRAP_HANDLER: 0
; COMPUTE_PGM_RSRC2:TGID_X_EN: 1
; COMPUTE_PGM_RSRC2:TGID_Y_EN: 1
; COMPUTE_PGM_RSRC2:TGID_Z_EN: 1
; COMPUTE_PGM_RSRC2:TIDIG_COMP_CNT: 0
	.section	.text._ZN2at6native12_GLOBAL__N_112gatherMedianIN3c108BFloat16EmLi3EEEvNS_4cuda6detail10TensorInfoIT_T0_EENS7_IlS9_EENS7_IKS8_S9_EES9_S9_S9_b,"axG",@progbits,_ZN2at6native12_GLOBAL__N_112gatherMedianIN3c108BFloat16EmLi3EEEvNS_4cuda6detail10TensorInfoIT_T0_EENS7_IlS9_EENS7_IKS8_S9_EES9_S9_S9_b,comdat
	.globl	_ZN2at6native12_GLOBAL__N_112gatherMedianIN3c108BFloat16EmLi3EEEvNS_4cuda6detail10TensorInfoIT_T0_EENS7_IlS9_EENS7_IKS8_S9_EES9_S9_S9_b ; -- Begin function _ZN2at6native12_GLOBAL__N_112gatherMedianIN3c108BFloat16EmLi3EEEvNS_4cuda6detail10TensorInfoIT_T0_EENS7_IlS9_EENS7_IKS8_S9_EES9_S9_S9_b
	.p2align	8
	.type	_ZN2at6native12_GLOBAL__N_112gatherMedianIN3c108BFloat16EmLi3EEEvNS_4cuda6detail10TensorInfoIT_T0_EENS7_IlS9_EENS7_IKS8_S9_EES9_S9_S9_b,@function
_ZN2at6native12_GLOBAL__N_112gatherMedianIN3c108BFloat16EmLi3EEEvNS_4cuda6detail10TensorInfoIT_T0_EENS7_IlS9_EENS7_IKS8_S9_EES9_S9_S9_b: ; @_ZN2at6native12_GLOBAL__N_112gatherMedianIN3c108BFloat16EmLi3EEEvNS_4cuda6detail10TensorInfoIT_T0_EENS7_IlS9_EENS7_IKS8_S9_EES9_S9_S9_b
; %bb.0:
	s_clause 0x1
	s_load_b64 s[12:13], s[0:1], 0x500
	s_load_b128 s[20:23], s[0:1], 0x4e0
	s_lshr_b32 s2, ttmp7, 16
	s_and_b32 s3, ttmp7, 0xffff
	s_mov_b32 s35, 0
	s_wait_kmcnt 0x0
	s_mul_i32 s2, s13, s2
	s_delay_alu instid0(SALU_CYCLE_1) | instskip(NEXT) | instid1(SALU_CYCLE_1)
	s_add_co_i32 s2, s2, s3
	s_mul_i32 s2, s2, s12
	s_delay_alu instid0(SALU_CYCLE_1) | instskip(NEXT) | instid1(SALU_CYCLE_1)
	s_add_co_i32 s34, s2, ttmp9
	v_cmp_le_u64_e64 s2, s[22:23], s[34:35]
	s_and_b32 vcc_lo, exec_lo, s2
	s_cbranch_vccnz .LBB142_298
; %bb.1:
	s_load_b128 s[28:31], s[0:1], 0x10
	s_mov_b64 s[50:51], 0
	s_mov_b64 s[48:49], 0
	s_wait_kmcnt 0x0
	v_cmp_lt_u64_e64 s2, s[34:35], s[30:31]
	s_and_b32 vcc_lo, exec_lo, s2
	s_cbranch_vccnz .LBB142_3
; %bb.2:
	v_cvt_f32_u32_e32 v1, s30
	s_sub_co_i32 s3, 0, s30
	s_mov_b32 s49, 0
	s_delay_alu instid0(VALU_DEP_1) | instskip(NEXT) | instid1(TRANS32_DEP_1)
	v_rcp_iflag_f32_e32 v1, v1
	v_mul_f32_e32 v1, 0x4f7ffffe, v1
	s_delay_alu instid0(VALU_DEP_1) | instskip(NEXT) | instid1(VALU_DEP_1)
	v_cvt_u32_f32_e32 v1, v1
	v_readfirstlane_b32 s2, v1
	s_mul_i32 s3, s3, s2
	s_delay_alu instid0(SALU_CYCLE_1) | instskip(NEXT) | instid1(SALU_CYCLE_1)
	s_mul_hi_u32 s3, s2, s3
	s_add_co_i32 s2, s2, s3
	s_delay_alu instid0(SALU_CYCLE_1) | instskip(NEXT) | instid1(SALU_CYCLE_1)
	s_mul_hi_u32 s2, s34, s2
	s_mul_i32 s3, s2, s30
	s_add_co_i32 s4, s2, 1
	s_sub_co_i32 s3, s34, s3
	s_delay_alu instid0(SALU_CYCLE_1)
	s_sub_co_i32 s5, s3, s30
	s_cmp_ge_u32 s3, s30
	s_cselect_b32 s2, s4, s2
	s_cselect_b32 s3, s5, s3
	s_add_co_i32 s4, s2, 1
	s_cmp_ge_u32 s3, s30
	s_cselect_b32 s48, s4, s2
.LBB142_3:
	s_load_b128 s[24:27], s[0:1], 0x1b0
	v_cmp_lt_u64_e64 s2, s[48:49], s[28:29]
	s_and_b32 vcc_lo, exec_lo, s2
	s_cbranch_vccnz .LBB142_5
; %bb.4:
	v_cvt_f32_u32_e32 v1, s28
	s_sub_co_i32 s3, 0, s28
	s_mov_b32 s51, 0
	s_delay_alu instid0(VALU_DEP_1) | instskip(NEXT) | instid1(TRANS32_DEP_1)
	v_rcp_iflag_f32_e32 v1, v1
	v_mul_f32_e32 v1, 0x4f7ffffe, v1
	s_delay_alu instid0(VALU_DEP_1) | instskip(NEXT) | instid1(VALU_DEP_1)
	v_cvt_u32_f32_e32 v1, v1
	v_readfirstlane_b32 s2, v1
	s_mul_i32 s3, s3, s2
	s_delay_alu instid0(SALU_CYCLE_1) | instskip(NEXT) | instid1(SALU_CYCLE_1)
	s_mul_hi_u32 s3, s2, s3
	s_add_co_i32 s2, s2, s3
	s_delay_alu instid0(SALU_CYCLE_1) | instskip(NEXT) | instid1(SALU_CYCLE_1)
	s_mul_hi_u32 s2, s48, s2
	s_mul_i32 s3, s2, s28
	s_add_co_i32 s4, s2, 1
	s_sub_co_i32 s3, s48, s3
	s_delay_alu instid0(SALU_CYCLE_1)
	s_sub_co_i32 s5, s3, s28
	s_cmp_ge_u32 s3, s28
	s_cselect_b32 s2, s4, s2
	s_cselect_b32 s3, s5, s3
	s_add_co_i32 s4, s2, 1
	s_cmp_ge_u32 s3, s28
	s_cselect_b32 s50, s4, s2
.LBB142_5:
	s_wait_kmcnt 0x0
	v_cmp_lt_u64_e64 s2, s[34:35], s[26:27]
	s_mov_b64 s[44:45], 0
	s_mov_b64 s[22:23], 0
	s_and_b32 vcc_lo, exec_lo, s2
	s_cbranch_vccnz .LBB142_7
; %bb.6:
	v_cvt_f32_u32_e32 v1, s26
	s_sub_co_i32 s3, 0, s26
	s_mov_b32 s23, 0
	s_delay_alu instid0(VALU_DEP_1) | instskip(NEXT) | instid1(TRANS32_DEP_1)
	v_rcp_iflag_f32_e32 v1, v1
	v_mul_f32_e32 v1, 0x4f7ffffe, v1
	s_delay_alu instid0(VALU_DEP_1) | instskip(NEXT) | instid1(VALU_DEP_1)
	v_cvt_u32_f32_e32 v1, v1
	v_readfirstlane_b32 s2, v1
	s_mul_i32 s3, s3, s2
	s_delay_alu instid0(SALU_CYCLE_1) | instskip(NEXT) | instid1(SALU_CYCLE_1)
	s_mul_hi_u32 s3, s2, s3
	s_add_co_i32 s2, s2, s3
	s_delay_alu instid0(SALU_CYCLE_1) | instskip(NEXT) | instid1(SALU_CYCLE_1)
	s_mul_hi_u32 s2, s34, s2
	s_mul_i32 s3, s2, s26
	s_add_co_i32 s4, s2, 1
	s_sub_co_i32 s3, s34, s3
	s_delay_alu instid0(SALU_CYCLE_1)
	s_sub_co_i32 s5, s3, s26
	s_cmp_ge_u32 s3, s26
	s_cselect_b32 s2, s4, s2
	s_cselect_b32 s3, s5, s3
	s_add_co_i32 s4, s2, 1
	s_cmp_ge_u32 s3, s26
	s_cselect_b32 s22, s4, s2
.LBB142_7:
	s_clause 0x3
	s_load_b64 s[46:47], s[0:1], 0x4f0
	s_load_b64 s[2:3], s[0:1], 0x420
	s_load_b128 s[4:7], s[0:1], 0x410
	s_load_b128 s[8:11], s[0:1], 0x350
	v_cmp_lt_u64_e64 s13, s[22:23], s[24:25]
	s_and_b32 vcc_lo, exec_lo, s13
	s_cbranch_vccnz .LBB142_9
; %bb.8:
	v_cvt_f32_u32_e32 v1, s24
	s_sub_co_i32 s14, 0, s24
	s_mov_b32 s45, 0
	s_delay_alu instid0(VALU_DEP_1) | instskip(NEXT) | instid1(TRANS32_DEP_1)
	v_rcp_iflag_f32_e32 v1, v1
	v_mul_f32_e32 v1, 0x4f7ffffe, v1
	s_delay_alu instid0(VALU_DEP_1) | instskip(NEXT) | instid1(VALU_DEP_1)
	v_cvt_u32_f32_e32 v1, v1
	v_readfirstlane_b32 s13, v1
	s_mul_i32 s14, s14, s13
	s_delay_alu instid0(SALU_CYCLE_1) | instskip(NEXT) | instid1(SALU_CYCLE_1)
	s_mul_hi_u32 s14, s13, s14
	s_add_co_i32 s13, s13, s14
	s_delay_alu instid0(SALU_CYCLE_1) | instskip(NEXT) | instid1(SALU_CYCLE_1)
	s_mul_hi_u32 s13, s22, s13
	s_mul_i32 s14, s13, s24
	s_add_co_i32 s15, s13, 1
	s_sub_co_i32 s14, s22, s14
	s_delay_alu instid0(SALU_CYCLE_1)
	s_sub_co_i32 s16, s14, s24
	s_cmp_ge_u32 s14, s24
	s_cselect_b32 s13, s15, s13
	s_cselect_b32 s14, s16, s14
	s_add_co_i32 s15, s13, 1
	s_cmp_ge_u32 s14, s24
	s_cselect_b32 s44, s15, s13
.LBB142_9:
	s_wait_kmcnt 0x0
	v_cmp_lt_u64_e64 s13, s[34:35], s[10:11]
	s_mov_b64 s[14:15], 0
	s_mov_b64 s[16:17], 0
	s_and_b32 vcc_lo, exec_lo, s13
	s_cbranch_vccnz .LBB142_11
; %bb.10:
	v_cvt_f32_u32_e32 v1, s10
	s_sub_co_i32 s16, 0, s10
	s_delay_alu instid0(VALU_DEP_1) | instskip(NEXT) | instid1(TRANS32_DEP_1)
	v_rcp_iflag_f32_e32 v1, v1
	v_mul_f32_e32 v1, 0x4f7ffffe, v1
	s_delay_alu instid0(VALU_DEP_1) | instskip(NEXT) | instid1(VALU_DEP_1)
	v_cvt_u32_f32_e32 v1, v1
	v_readfirstlane_b32 s13, v1
	s_mul_i32 s16, s16, s13
	s_delay_alu instid0(SALU_CYCLE_1) | instskip(NEXT) | instid1(SALU_CYCLE_1)
	s_mul_hi_u32 s16, s13, s16
	s_add_co_i32 s13, s13, s16
	s_delay_alu instid0(SALU_CYCLE_1) | instskip(NEXT) | instid1(SALU_CYCLE_1)
	s_mul_hi_u32 s13, s34, s13
	s_mul_i32 s16, s13, s10
	s_add_co_i32 s17, s13, 1
	s_sub_co_i32 s16, s34, s16
	s_delay_alu instid0(SALU_CYCLE_1)
	s_sub_co_i32 s18, s16, s10
	s_cmp_ge_u32 s16, s10
	s_cselect_b32 s13, s17, s13
	s_cselect_b32 s16, s18, s16
	s_add_co_i32 s18, s13, 1
	s_cmp_ge_u32 s16, s10
	s_mov_b32 s17, 0
	s_cselect_b32 s16, s18, s13
.LBB142_11:
	s_clause 0x1
	s_load_b64 s[18:19], s[0:1], 0x280
	s_load_b128 s[36:39], s[0:1], 0x270
                                        ; implicit-def: $vgpr40 : SGPR spill to VGPR lane
	v_cmp_lt_u64_e64 s13, s[16:17], s[8:9]
	s_and_b32 vcc_lo, exec_lo, s13
	s_wait_kmcnt 0x0
	v_writelane_b32 v40, s18, 0
	v_writelane_b32 v40, s19, 1
	s_clause 0x2
	s_load_b64 s[56:57], s[0:1], 0xe0
	s_load_b128 s[40:43], s[0:1], 0xd0
	s_load_b64 s[18:19], s[0:1], 0x340
	v_writelane_b32 v40, s36, 2
	v_writelane_b32 v40, s37, 3
	;; [unrolled: 1-line block ×4, first 2 shown]
	s_cbranch_vccnz .LBB142_13
; %bb.12:
	v_cvt_f32_u32_e32 v1, s8
	s_sub_co_i32 s14, 0, s8
	s_delay_alu instid0(VALU_DEP_1) | instskip(NEXT) | instid1(TRANS32_DEP_1)
	v_rcp_iflag_f32_e32 v1, v1
	v_mul_f32_e32 v1, 0x4f7ffffe, v1
	s_delay_alu instid0(VALU_DEP_1) | instskip(NEXT) | instid1(VALU_DEP_1)
	v_cvt_u32_f32_e32 v1, v1
	v_readfirstlane_b32 s13, v1
	s_mul_i32 s14, s14, s13
	s_delay_alu instid0(SALU_CYCLE_1) | instskip(NEXT) | instid1(SALU_CYCLE_1)
	s_mul_hi_u32 s14, s13, s14
	s_add_co_i32 s13, s13, s14
	s_delay_alu instid0(SALU_CYCLE_1) | instskip(NEXT) | instid1(SALU_CYCLE_1)
	s_mul_hi_u32 s13, s16, s13
	s_mul_i32 s14, s13, s8
	s_add_co_i32 s15, s13, 1
	s_sub_co_i32 s14, s16, s14
	s_delay_alu instid0(SALU_CYCLE_1)
	s_sub_co_i32 s33, s14, s8
	s_cmp_ge_u32 s14, s8
	s_cselect_b32 s13, s15, s13
	s_cselect_b32 s14, s33, s14
	s_add_co_i32 s33, s13, 1
	s_cmp_ge_u32 s14, s8
	s_mov_b32 s15, 0
	s_cselect_b32 s14, s33, s13
.LBB142_13:
	s_mul_u64 s[10:11], s[16:17], s[10:11]
	s_mul_u64 s[8:9], s[14:15], s[8:9]
	s_wait_alu 0xfffe
	s_sub_nc_u64 s[10:11], s[34:35], s[10:11]
	v_dual_mov_b32 v1, 0 :: v_dual_mov_b32 v2, 0
	s_sub_nc_u64 s[8:9], s[16:17], s[8:9]
	s_wait_alu 0xfffe
	s_mul_u64 s[10:11], s[10:11], s[2:3]
	s_mul_u64 s[2:3], s[14:15], s[4:5]
	;; [unrolled: 1-line block ×3, first 2 shown]
	s_lshl_b64 s[2:3], s[2:3], 1
	s_lshl_b64 s[4:5], s[4:5], 1
	s_wait_kmcnt 0x0
	s_add_nc_u64 s[6:7], s[18:19], s[2:3]
	v_cmp_gt_u64_e64 s2, s[20:21], v[0:1]
	v_mov_b32_e32 v3, 0
	s_add_nc_u64 s[4:5], s[6:7], s[4:5]
	s_wait_alu 0xfffe
	s_lshl_b64 s[8:9], s[10:11], 1
	s_add_nc_u64 s[6:7], s[0:1], 0x500
	s_wait_alu 0xfffe
	s_add_nc_u64 s[54:55], s[4:5], s[8:9]
	s_and_saveexec_b32 s4, s2
	s_cbranch_execz .LBB142_17
; %bb.14:
	s_load_b32 s3, s[6:7], 0xc
	v_dual_mov_b32 v2, 0 :: v_dual_mov_b32 v5, v1
	v_dual_mov_b32 v3, 0 :: v_dual_mov_b32 v4, v0
	s_mov_b32 s5, 0
	s_wait_kmcnt 0x0
	s_and_b32 s8, s3, 0xffff
.LBB142_15:                             ; =>This Inner Loop Header: Depth=1
	v_mul_lo_u32 v8, v5, s46
	v_mul_lo_u32 v9, v4, s47
	v_mad_co_u64_u32 v[6:7], null, v4, s46, 0
	s_delay_alu instid0(VALU_DEP_1) | instskip(NEXT) | instid1(VALU_DEP_1)
	v_add3_u32 v7, v7, v9, v8
	v_lshlrev_b64_e32 v[6:7], 1, v[6:7]
	s_delay_alu instid0(VALU_DEP_1) | instskip(SKIP_1) | instid1(VALU_DEP_2)
	v_add_co_u32 v6, vcc_lo, s54, v6
	s_wait_alu 0xfffd
	v_add_co_ci_u32_e64 v7, null, s55, v7, vcc_lo
	s_wait_alu 0xfffe
	v_add_co_u32 v4, vcc_lo, v4, s8
	s_wait_alu 0xfffd
	v_add_co_ci_u32_e64 v5, null, 0, v5, vcc_lo
	global_load_u16 v6, v[6:7], off
	s_wait_loadcnt 0x0
	v_lshlrev_b32_e32 v6, 16, v6
	s_delay_alu instid0(VALU_DEP_1) | instskip(SKIP_3) | instid1(VALU_DEP_2)
	v_cmp_u_f32_e32 vcc_lo, v6, v6
	s_wait_alu 0xfffd
	v_cndmask_b32_e64 v6, 0, 1, vcc_lo
	v_cmp_le_u64_e32 vcc_lo, s[20:21], v[4:5]
	v_add_co_u32 v2, s3, v2, v6
	s_wait_alu 0xf1ff
	v_add_co_ci_u32_e64 v3, null, 0, v3, s3
	s_or_b32 s5, vcc_lo, s5
	s_delay_alu instid0(SALU_CYCLE_1)
	s_and_not1_b32 exec_lo, exec_lo, s5
	s_cbranch_execnz .LBB142_15
; %bb.16:
	s_or_b32 exec_lo, exec_lo, s5
.LBB142_17:
	s_delay_alu instid0(SALU_CYCLE_1)
	s_or_b32 exec_lo, exec_lo, s4
	s_clause 0x1
	s_load_b64 s[4:5], s[0:1], 0x1a0
	s_load_b64 s[60:61], s[0:1], 0x0
	v_cmp_eq_u32_e64 s3, 0, v0
	s_wait_kmcnt 0x0
	v_writelane_b32 v40, s4, 6
	v_writelane_b32 v40, s5, 7
	s_and_saveexec_b32 s4, s3
; %bb.18:
	v_mov_b32_e32 v4, 0
	s_delay_alu instid0(VALU_DEP_1)
	v_mov_b32_e32 v5, v4
	ds_store_b64 v4, v[4:5] offset:5136
; %bb.19:
	s_wait_alu 0xfffe
	s_or_b32 exec_lo, exec_lo, s4
	s_mov_b64 s[4:5], 0
	s_mov_b32 s8, exec_lo
	s_wait_dscnt 0x0
	s_barrier_signal -1
	s_barrier_wait -1
	global_inv scope:SCOPE_SE
	v_cmpx_ne_u64_e32 0, v[2:3]
	s_cbranch_execz .LBB142_24
; %bb.20:
	s_mov_b32 s9, exec_lo
.LBB142_21:                             ; =>This Inner Loop Header: Depth=1
	s_wait_alu 0xfffe
	s_ctz_i32_b32 s13, s9
	s_wait_alu 0xfffe
	v_readlane_b32 s11, v3, s13
	v_readlane_b32 s10, v2, s13
	s_lshl_b32 s13, 1, s13
	s_wait_alu 0xfffe
	s_and_not1_b32 s9, s9, s13
	s_wait_alu 0xfffe
	s_cmp_lg_u32 s9, 0
	s_add_nc_u64 s[4:5], s[4:5], s[10:11]
	s_cbranch_scc1 .LBB142_21
; %bb.22:
	v_mbcnt_lo_u32_b32 v2, exec_lo, 0
	s_mov_b32 s9, exec_lo
	s_delay_alu instid0(VALU_DEP_1)
	v_cmpx_eq_u32_e32 0, v2
	s_wait_alu 0xfffe
	s_xor_b32 s9, exec_lo, s9
; %bb.23:
	v_mov_b32_e32 v2, s4
	v_dual_mov_b32 v4, 0 :: v_dual_mov_b32 v3, s5
	ds_add_u64 v4, v[2:3] offset:5136
.LBB142_24:
	s_wait_alu 0xfffe
	s_or_b32 exec_lo, exec_lo, s8
	v_dual_mov_b32 v2, 0 :: v_dual_mov_b32 v19, s20
	s_wait_loadcnt_dscnt 0x0
	s_barrier_signal -1
	s_barrier_wait -1
	global_inv scope:SCOPE_SE
	ds_load_b64 v[2:3], v2 offset:5136
	s_load_b32 s0, s[0:1], 0x4f8
	v_mov_b32_e32 v20, s21
	s_wait_dscnt 0x0
	v_cmp_gt_i64_e32 vcc_lo, 1, v[2:3]
	s_wait_kmcnt 0x0
	s_bitcmp1_b32 s0, 0
	s_cselect_b32 s0, -1, 0
	s_delay_alu instid0(SALU_CYCLE_1) | instskip(NEXT) | instid1(SALU_CYCLE_1)
	s_or_b32 s0, s0, vcc_lo
	s_and_not1_b32 vcc_lo, exec_lo, s0
	s_wait_alu 0xfffe
	s_cbranch_vccnz .LBB142_26
; %bb.25:
	v_not_b32_e32 v2, v2
	v_not_b32_e32 v3, v3
	s_delay_alu instid0(VALU_DEP_2) | instskip(SKIP_1) | instid1(VALU_DEP_2)
	v_add_co_u32 v2, vcc_lo, s20, v2
	s_wait_alu 0xfffd
	v_add_co_ci_u32_e64 v3, null, s21, v3, vcc_lo
	s_delay_alu instid0(VALU_DEP_1) | instskip(NEXT) | instid1(VALU_DEP_1)
	v_lshrrev_b64 v[2:3], 1, v[2:3]
	v_add_co_u32 v19, vcc_lo, v2, 1
	s_wait_alu 0xfffd
	s_delay_alu instid0(VALU_DEP_2)
	v_add_co_ci_u32_e64 v20, null, 0, v3, vcc_lo
.LBB142_26:
	s_and_saveexec_b32 s0, s3
	s_cbranch_execz .LBB142_28
; %bb.27:
	v_dual_mov_b32 v2, 0 :: v_dual_mov_b32 v5, s21
	s_delay_alu instid0(VALU_DEP_1)
	v_dual_mov_b32 v4, s20 :: v_dual_mov_b32 v3, v2
	ds_store_b32 v2, v2 offset:5144
	ds_store_b128 v2, v[2:5] offset:5120
.LBB142_28:
	s_or_b32 exec_lo, exec_lo, s0
	v_mad_co_u64_u32 v[4:5], null, s46, v0, 0
	v_mbcnt_lo_u32_b32 v25, -1, 0
	s_wait_loadcnt_dscnt 0x0
	s_barrier_signal -1
	s_barrier_wait -1
	global_inv scope:SCOPE_SE
	s_load_b32 s5, s[6:7], 0xc
	v_mov_b32_e32 v2, v5
	v_cmp_gt_u32_e32 vcc_lo, 32, v0
	v_cmp_gt_i32_e64 s4, 4, v25
	s_mov_b32 s65, 0
	v_cmp_lt_u64_e64 s33, 0x600, s[20:21]
	v_mad_co_u64_u32 v[5:6], null, s47, v0, v[2:3]
	v_dual_mov_b32 v3, 0 :: v_dual_add_nc_u32 v2, 2, v0
	v_mov_b32_e32 v33, 0x8000
	s_and_b32 s84, vcc_lo, s4
	v_lshlrev_b64_e64 v[6:7], v25, -1
	s_delay_alu instid0(VALU_DEP_3)
	v_dual_mov_b32 v13, v3 :: v_dual_lshlrev_b32 v26, 1, v0
	v_lshlrev_b64_e32 v[4:5], 1, v[4:5]
	s_movk_i32 s4, 0x3e0
	s_mov_b32 s63, s65
	s_wait_alu 0xfffe
	v_and_or_b32 v29, v0, s4, 0xc00
	v_cmp_gt_u32_e64 s0, 2, v0
	s_wait_kmcnt 0x0
	s_and_b32 s62, s5, 0xffff
	v_add_co_u32 v14, vcc_lo, s54, v4
	s_wait_alu 0xfffd
	v_add_co_ci_u32_e64 v15, null, s55, v5, vcc_lo
	v_cmp_gt_u64_e32 vcc_lo, s[20:21], v[2:3]
	v_not_b32_e32 v4, v0
	s_bfe_u32 s5, s5, 0xb0005
	s_cmp_gt_u32 s62, 31
	v_cmp_eq_u32_e64 s1, 0, v25
	s_cselect_b32 s85, -1, 0
	s_wait_alu 0xfffd
	v_cndmask_b32_e64 v2, v2, s20, vcc_lo
	v_cndmask_b32_e64 v5, 0, s21, vcc_lo
	s_cmp_lt_u32 ttmp9, s12
	v_dual_mov_b32 v30, 0 :: v_dual_add_nc_u32 v27, 0xc00, v26
	s_delay_alu instid0(VALU_DEP_3)
	v_add_co_u32 v4, vcc_lo, v2, v4
	s_wait_alu 0xfffd
	v_add_co_ci_u32_e64 v5, null, -1, v5, vcc_lo
	s_cselect_b32 s64, 12, 18
	s_wait_alu 0xfffe
	s_add_co_i32 s8, s5, -1
	v_dual_mov_b32 v17, v5 :: v_dual_lshlrev_b32 v12, 2, v0
	v_dual_mov_b32 v35, 0 :: v_dual_and_b32 v16, -2, v4
	s_wait_alu 0xfffe
	s_and_b32 s8, s8, 0xffff
	s_bfe_u32 s87, s62, 0x30005
	s_wait_alu 0xfffe
	s_cmp_gt_u32 s8, 6
	v_cmp_lt_u64_e64 s4, 1, v[4:5]
	s_cselect_b32 s89, -1, 0
	s_and_b32 s90, s5, 0x7f8
	v_cmp_ne_u64_e64 s5, v[4:5], v[16:17]
	v_not_b32_e32 v28, v6
	v_add_co_u32 v18, vcc_lo, v16, v0
	v_dual_mov_b32 v34, 0 :: v_dual_lshlrev_b32 v31, 3, v0
	v_lshl_or_b32 v32, v25, 3, 0xc00
	s_add_nc_u64 s[66:67], s[62:63], -1
	s_cmp_lg_u32 s87, 0
	s_add_nc_u64 s[68:69], s[66:67], s[20:21]
	s_mov_b32 s86, s46
	s_mov_b32 s88, s47
	s_cselect_b32 s91, -1, 0
	s_lshl_b32 s92, s62, 1
	s_mov_b32 s94, 14
	s_add_nc_u64 s[70:71], s[6:7], s[64:65]
	s_mov_b32 s93, 0x4f800000
	s_movk_i32 s96, 0x3f80
	s_mov_b32 s95, 0
	s_mov_b32 s97, 0
	s_wait_alu 0xfffd
	v_add_co_ci_u32_e64 v2, null, 0, v5, vcc_lo
                                        ; implicit-def: $sgpr101
                                        ; implicit-def: $sgpr103
                                        ; implicit-def: $sgpr98
                                        ; implicit-def: $sgpr100
                                        ; implicit-def: $sgpr102
                                        ; implicit-def: $sgpr99
	s_branch .LBB142_32
.LBB142_29:                             ;   in Loop: Header=BB142_32 Depth=1
	s_wait_alu 0xfffe
	s_or_b32 exec_lo, exec_lo, s9
	s_delay_alu instid0(SALU_CYCLE_1)
	s_and_b32 s7, s7, exec_lo
	s_and_not1_b32 s74, s74, exec_lo
	s_and_not1_b32 s73, s73, exec_lo
	s_or_not1_b32 s18, s8, exec_lo
.LBB142_30:                             ;   in Loop: Header=BB142_32 Depth=1
	s_wait_alu 0xfffe
	s_or_b32 exec_lo, exec_lo, s6
	s_delay_alu instid0(SALU_CYCLE_1)
	s_and_not1_b32 s6, s99, exec_lo
	s_and_b32 s7, s7, exec_lo
	s_and_not1_b32 s8, s100, exec_lo
	s_wait_alu 0xfffe
	s_or_b32 s99, s6, s7
	s_and_not1_b32 s6, s102, exec_lo
	s_and_b32 s7, s74, exec_lo
	s_and_b32 s9, s73, exec_lo
	s_wait_alu 0xfffe
	s_or_b32 s102, s6, s7
	s_or_b32 s100, s8, s9
	s_or_not1_b32 s18, s18, exec_lo
.LBB142_31:                             ;   in Loop: Header=BB142_32 Depth=1
	s_wait_alu 0xfffe
	s_or_b32 exec_lo, exec_lo, s17
	s_delay_alu instid0(SALU_CYCLE_1)
	s_and_b32 s6, exec_lo, s18
	v_dual_mov_b32 v20, v9 :: v_dual_mov_b32 v19, v8
	s_wait_alu 0xfffe
	s_or_b32 s95, s6, s95
	s_and_not1_b32 s6, s98, exec_lo
	s_and_b32 s7, s99, exec_lo
	s_and_not1_b32 s8, s103, exec_lo
	s_wait_alu 0xfffe
	s_or_b32 s98, s6, s7
	s_and_b32 s6, s102, exec_lo
	s_and_not1_b32 s7, s101, exec_lo
	s_and_b32 s9, s100, exec_lo
	s_wait_alu 0xfffe
	s_or_b32 s103, s8, s6
	s_or_b32 s101, s7, s9
	s_and_not1_b32 exec_lo, exec_lo, s95
	s_cbranch_execz .LBB142_294
.LBB142_32:                             ; =>This Loop Header: Depth=1
                                        ;     Child Loop BB142_37 Depth 2
                                        ;     Child Loop BB142_51 Depth 2
	;; [unrolled: 1-line block ×17, first 2 shown]
	ds_load_b128 v[4:7], v3 offset:5120
	s_wait_dscnt 0x0
	v_readfirstlane_b32 s73, v5
	v_readfirstlane_b32 s72, v4
	s_cmp_lg_u64 s[72:73], 0
	s_cbranch_scc1 .LBB142_64
; %bb.33:                               ;   in Loop: Header=BB142_32 Depth=1
	s_and_b32 vcc_lo, exec_lo, s33
	s_wait_alu 0xfffe
	s_cbranch_vccz .LBB142_45
; %bb.34:                               ;   in Loop: Header=BB142_32 Depth=1
	v_cmp_gt_u64_e32 vcc_lo, 0x601, v[6:7]
	s_mov_b32 s8, 0
	s_mov_b32 s6, 0
	s_cbranch_vccz .LBB142_46
; %bb.35:                               ;   in Loop: Header=BB142_32 Depth=1
	global_load_u16 v2, v3, s[70:71]
	global_load_u16 v6, v[14:15], off
	s_mov_b32 s9, 0
	v_dual_mov_b32 v5, v1 :: v_dual_mov_b32 v4, v0
	s_wait_loadcnt 0x1
	v_and_b32_e32 v2, 0xffff, v2
	s_branch .LBB142_37
.LBB142_36:                             ;   in Loop: Header=BB142_37 Depth=2
	s_wait_alu 0xfffe
	s_or_b32 exec_lo, exec_lo, s7
	v_mov_b32_e32 v6, v7
	s_and_not1_b32 exec_lo, exec_lo, s9
	s_cbranch_execz .LBB142_161
.LBB142_37:                             ;   Parent Loop BB142_32 Depth=1
                                        ; =>  This Inner Loop Header: Depth=2
	s_delay_alu instid0(VALU_DEP_1)
	v_add_co_u32 v4, vcc_lo, v4, v2
	s_wait_alu 0xfffd
	v_add_co_ci_u32_e64 v5, null, 0, v5, vcc_lo
	s_wait_dscnt 0x0
	v_dual_mov_b32 v8, 0 :: v_dual_mov_b32 v7, 0
	s_mov_b32 s7, exec_lo
	s_delay_alu instid0(VALU_DEP_2)
	v_cmp_le_u64_e32 vcc_lo, s[20:21], v[4:5]
	v_cmpx_gt_u64_e64 s[20:21], v[4:5]
	s_cbranch_execz .LBB142_39
; %bb.38:                               ;   in Loop: Header=BB142_37 Depth=2
	v_mul_lo_u32 v7, v5, s46
	v_mul_lo_u32 v11, v4, s47
	v_mad_co_u64_u32 v[9:10], null, v4, s46, 0
	s_delay_alu instid0(VALU_DEP_1) | instskip(NEXT) | instid1(VALU_DEP_1)
	v_add3_u32 v10, v10, v11, v7
	v_lshlrev_b64_e32 v[9:10], 1, v[9:10]
	s_delay_alu instid0(VALU_DEP_1) | instskip(SKIP_1) | instid1(VALU_DEP_2)
	v_add_co_u32 v9, s6, s54, v9
	s_wait_alu 0xf1fe
	v_add_co_ci_u32_e64 v10, null, s55, v10, s6
	global_load_u16 v7, v[9:10], off
.LBB142_39:                             ;   in Loop: Header=BB142_37 Depth=2
	s_wait_alu 0xfffe
	s_or_b32 exec_lo, exec_lo, s7
	s_wait_loadcnt 0x0
	v_cmp_lt_i16_e64 s6, -1, v6
	v_and_b32_e32 v9, 0xffff, v6
	v_lshlrev_b32_e32 v11, 16, v6
	s_wait_alu 0xf1ff
	s_delay_alu instid0(VALU_DEP_3) | instskip(NEXT) | instid1(VALU_DEP_2)
	v_cndmask_b32_e64 v10, 0xffff, v33, s6
	v_cmp_o_f32_e64 s6, v11, v11
	s_delay_alu instid0(VALU_DEP_2) | instskip(SKIP_1) | instid1(VALU_DEP_1)
	v_xor_b32_e32 v9, v10, v9
	s_wait_alu 0xf1ff
	v_cndmask_b32_e64 v9, 0xffff, v9, s6
	s_delay_alu instid0(VALU_DEP_1) | instskip(NEXT) | instid1(VALU_DEP_1)
	v_and_b32_e32 v9, v9, v34
	v_cmp_eq_u32_e64 s6, v9, v30
	s_cmp_lg_u32 s6, 0
	s_cselect_b32 s7, -1, 0
	s_wait_alu 0xfffe
	s_and_b32 s7, s1, s7
	s_wait_alu 0xfffe
	s_and_saveexec_b32 s10, s7
	s_cbranch_execz .LBB142_43
; %bb.40:                               ;   in Loop: Header=BB142_37 Depth=2
	s_mov_b32 s13, exec_lo
	s_bcnt1_i32_b32 s11, s6
	s_wait_alu 0xfffe
	v_mbcnt_lo_u32_b32 v8, s13, 0
	s_mov_b32 s12, exec_lo
                                        ; implicit-def: $vgpr9
	s_delay_alu instid0(VALU_DEP_1)
	v_cmpx_eq_u32_e32 0, v8
; %bb.41:                               ;   in Loop: Header=BB142_37 Depth=2
	s_bcnt1_i32_b32 s7, s13
	s_wait_alu 0xfffe
	s_mul_i32 s7, s11, s7
	s_wait_alu 0xfffe
	v_mov_b32_e32 v9, s7
	ds_add_rtn_u32 v9, v3, v9 offset:5144
; %bb.42:                               ;   in Loop: Header=BB142_37 Depth=2
	s_or_b32 exec_lo, exec_lo, s12
	s_wait_dscnt 0x0
	v_readfirstlane_b32 s7, v9
	s_wait_alu 0xf1ff
	s_delay_alu instid0(VALU_DEP_1)
	v_mad_u32_u24 v8, s11, v8, s7
.LBB142_43:                             ;   in Loop: Header=BB142_37 Depth=2
	s_wait_alu 0xfffe
	s_or_b32 exec_lo, exec_lo, s10
	ds_bpermute_b32 v8, v3, v8
	s_and_b32 s7, exec_lo, vcc_lo
	s_wait_alu 0xfffe
	s_or_b32 s9, s7, s9
	s_and_saveexec_b32 s7, s6
	s_cbranch_execz .LBB142_36
; %bb.44:                               ;   in Loop: Header=BB142_37 Depth=2
	v_and_b32_e32 v9, s6, v28
	s_delay_alu instid0(VALU_DEP_1) | instskip(NEXT) | instid1(VALU_DEP_1)
	v_bcnt_u32_b32 v9, v9, 0
	v_lshlrev_b32_e32 v9, 1, v9
	s_wait_dscnt 0x0
	s_delay_alu instid0(VALU_DEP_1)
	v_lshl_add_u32 v8, v8, 1, v9
	ds_store_b16 v8, v6
	s_branch .LBB142_36
.LBB142_45:                             ;   in Loop: Header=BB142_32 Depth=1
	s_mov_b32 s8, -1
	s_mov_b32 s6, 0
.LBB142_46:                             ;   in Loop: Header=BB142_32 Depth=1
	s_wait_alu 0xfffe
	s_and_b32 vcc_lo, exec_lo, s8
	s_wait_alu 0xfffe
	s_cbranch_vccz .LBB142_62
.LBB142_47:                             ;   in Loop: Header=BB142_32 Depth=1
	s_and_saveexec_b32 s7, s2
	s_cbranch_execz .LBB142_59
; %bb.48:                               ;   in Loop: Header=BB142_32 Depth=1
	global_load_u16 v4, v3, s[70:71]
	global_load_u16 v10, v[14:15], off
	v_mov_b32_e32 v8, v0
	s_mov_b32 s10, exec_lo
	s_wait_loadcnt 0x1
	v_and_b32_e32 v2, 0xffff, v4
	v_readfirstlane_b32 s6, v4
	s_delay_alu instid0(VALU_DEP_2) | instskip(NEXT) | instid1(VALU_DEP_1)
	v_add_nc_u32_e32 v2, v2, v0
	v_cmpx_gt_u64_e64 s[20:21], v[2:3]
	s_cbranch_execz .LBB142_58
; %bb.49:                               ;   in Loop: Header=BB142_32 Depth=1
	s_and_b32 s64, s6, 0xffff
	v_dual_mov_b32 v5, v1 :: v_dual_mov_b32 v4, v0
	s_wait_alu 0xfffe
	s_cmp_eq_u32 s64, 1
	v_dual_mov_b32 v7, v3 :: v_dual_mov_b32 v6, v2
	s_cselect_b32 s6, -1, 0
                                        ; implicit-def: $vgpr8_vgpr9
	s_wait_alu 0xfffe
	s_and_b32 s9, s4, s6
	s_mov_b32 s6, -1
	s_wait_alu 0xfffe
	s_and_saveexec_b32 s8, s9
	s_cbranch_execz .LBB142_53
; %bb.50:                               ;   in Loop: Header=BB142_32 Depth=1
	v_add_co_u32 v4, s6, v2, 1
	s_wait_alu 0xf1ff
	v_add_co_ci_u32_e64 v5, null, 0, 0, s6
	s_wait_loadcnt 0x0
	v_dual_mov_b32 v8, v16 :: v_dual_lshlrev_b32 v21, 16, v10
	s_mov_b32 s9, 0
	s_delay_alu instid0(VALU_DEP_2)
	v_mov_b32_e32 v7, v5
	v_dual_mov_b32 v9, v17 :: v_dual_mov_b32 v6, v4
	v_mov_b32_e32 v5, v3
	v_dual_mov_b32 v11, v26 :: v_dual_mov_b32 v4, v2
.LBB142_51:                             ;   Parent Loop BB142_32 Depth=1
                                        ; =>  This Inner Loop Header: Depth=2
	s_delay_alu instid0(VALU_DEP_2) | instskip(NEXT) | instid1(VALU_DEP_2)
	v_mul_lo_u32 v10, v5, s46
	v_mul_lo_u32 v24, v4, s47
	v_mad_co_u64_u32 v[22:23], null, v4, s46, 0
	v_mul_lo_u32 v38, v7, s86
	v_mul_lo_u32 v39, v6, s88
	v_mad_co_u64_u32 v[36:37], null, v6, s86, 0
	s_delay_alu instid0(VALU_DEP_4) | instskip(NEXT) | instid1(VALU_DEP_2)
	v_add3_u32 v23, v23, v24, v10
	v_add3_u32 v37, v37, v39, v38
	s_delay_alu instid0(VALU_DEP_2) | instskip(NEXT) | instid1(VALU_DEP_2)
	v_lshlrev_b64_e32 v[22:23], 1, v[22:23]
	v_lshlrev_b64_e32 v[36:37], 1, v[36:37]
	s_delay_alu instid0(VALU_DEP_2) | instskip(SKIP_1) | instid1(VALU_DEP_3)
	v_add_co_u32 v22, vcc_lo, s54, v22
	s_wait_alu 0xfffd
	v_add_co_ci_u32_e64 v23, null, s55, v23, vcc_lo
	s_delay_alu instid0(VALU_DEP_3)
	v_add_co_u32 v36, vcc_lo, s54, v36
	s_wait_alu 0xfffd
	v_add_co_ci_u32_e64 v37, null, s55, v37, vcc_lo
	s_clause 0x1
	global_load_u16 v22, v[22:23], off
	global_load_u16 v10, v[36:37], off
	v_add_co_u32 v8, vcc_lo, v8, -2
	s_wait_alu 0xfffd
	v_add_co_ci_u32_e64 v9, null, -1, v9, vcc_lo
	v_add_co_u32 v6, vcc_lo, v6, 2
	s_wait_alu 0xfffd
	v_add_co_ci_u32_e64 v7, null, 0, v7, vcc_lo
	s_delay_alu instid0(VALU_DEP_3) | instskip(SKIP_4) | instid1(VALU_DEP_3)
	v_cmp_eq_u64_e64 s6, 0, v[8:9]
	v_add_co_u32 v4, vcc_lo, v4, 2
	s_wait_alu 0xfffd
	v_add_co_ci_u32_e64 v5, null, 0, v5, vcc_lo
	s_wait_alu 0xfffe
	s_or_b32 s9, s6, s9
	s_wait_loadcnt 0x1
	v_alignbit_b32 v21, v22, v21, 16
	s_wait_loadcnt 0x0
	v_perm_b32 v22, v10, v22, 0x5040100
	ds_store_b32 v11, v21
	v_add_nc_u32_e32 v11, 4, v11
	v_mov_b32_e32 v21, v22
	s_wait_alu 0xfffe
	s_and_not1_b32 exec_lo, exec_lo, s9
	s_cbranch_execnz .LBB142_51
; %bb.52:                               ;   in Loop: Header=BB142_32 Depth=1
	s_or_b32 exec_lo, exec_lo, s9
	v_add_co_u32 v6, vcc_lo, v2, v16
	s_wait_alu 0xfffd
	v_add_co_ci_u32_e64 v7, null, 0, v17, vcc_lo
	v_dual_mov_b32 v4, v18 :: v_dual_mov_b32 v5, v19
	s_delay_alu instid0(VALU_DEP_3)
	v_add_co_u32 v8, vcc_lo, v6, -1
	s_or_not1_b32 s6, s5, exec_lo
	s_wait_alu 0xfffd
	v_add_co_ci_u32_e64 v2, null, -1, v7, vcc_lo
.LBB142_53:                             ;   in Loop: Header=BB142_32 Depth=1
	s_wait_alu 0xfffe
	s_or_b32 exec_lo, exec_lo, s8
	s_and_saveexec_b32 s11, s6
	s_cbranch_execz .LBB142_57
; %bb.54:                               ;   in Loop: Header=BB142_32 Depth=1
	s_sub_nc_u64 s[8:9], 0, s[64:65]
	s_mov_b32 s12, 0
.LBB142_55:                             ;   Parent Loop BB142_32 Depth=1
                                        ; =>  This Inner Loop Header: Depth=2
	v_dual_mov_b32 v9, v7 :: v_dual_mov_b32 v8, v6
	v_lshlrev_b32_e32 v11, 1, v4
	s_delay_alu instid0(VALU_DEP_2) | instskip(NEXT) | instid1(VALU_DEP_3)
	v_mul_lo_u32 v2, v9, s46
	v_mul_lo_u32 v7, v8, s47
	v_mad_co_u64_u32 v[5:6], null, v8, s46, 0
	s_delay_alu instid0(VALU_DEP_1) | instskip(SKIP_2) | instid1(VALU_DEP_2)
	v_add3_u32 v6, v6, v7, v2
	s_wait_loadcnt 0x0
	v_mov_b32_e32 v2, v10
	v_lshlrev_b64_e32 v[5:6], 1, v[5:6]
	ds_store_b16 v11, v2
	v_add_co_u32 v5, vcc_lo, s54, v5
	s_wait_alu 0xfffd
	v_add_co_ci_u32_e64 v6, null, s55, v6, vcc_lo
	global_load_u16 v10, v[5:6], off
	v_add_co_u32 v6, vcc_lo, v8, s64
	s_wait_alu 0xfffd
	v_add_co_ci_u32_e64 v7, null, 0, v9, vcc_lo
	v_dual_mov_b32 v4, v8 :: v_dual_mov_b32 v5, v9
	s_wait_alu 0xfffe
	v_add_co_u32 v8, s6, s8, v6
	s_delay_alu instid0(VALU_DEP_3)
	v_cmp_le_u64_e32 vcc_lo, s[20:21], v[6:7]
	s_wait_alu 0xf1ff
	v_add_co_ci_u32_e64 v5, null, s9, v7, s6
	s_or_b32 s12, vcc_lo, s12
	s_wait_alu 0xfffe
	s_and_not1_b32 exec_lo, exec_lo, s12
	s_cbranch_execnz .LBB142_55
; %bb.56:                               ;   in Loop: Header=BB142_32 Depth=1
	s_or_b32 exec_lo, exec_lo, s12
.LBB142_57:                             ;   in Loop: Header=BB142_32 Depth=1
	s_wait_alu 0xfffe
	s_or_b32 exec_lo, exec_lo, s11
.LBB142_58:                             ;   in Loop: Header=BB142_32 Depth=1
	s_wait_alu 0xfffe
	s_or_b32 exec_lo, exec_lo, s10
	v_lshlrev_b32_e32 v2, 1, v8
	s_wait_loadcnt 0x0
	ds_store_b16 v2, v10
.LBB142_59:                             ;   in Loop: Header=BB142_32 Depth=1
	s_wait_alu 0xfffe
	s_or_b32 exec_lo, exec_lo, s7
	s_wait_loadcnt_dscnt 0x0
	s_barrier_signal -1
	s_barrier_wait -1
	global_inv scope:SCOPE_SE
	s_and_saveexec_b32 s6, s3
; %bb.60:                               ;   in Loop: Header=BB142_32 Depth=1
	v_dual_mov_b32 v4, s20 :: v_dual_mov_b32 v5, s21
	ds_store_b64 v3, v[4:5] offset:5120
; %bb.61:                               ;   in Loop: Header=BB142_32 Depth=1
	s_wait_alu 0xfffe
	s_or_b32 exec_lo, exec_lo, s6
	s_mov_b32 s6, -1
	s_wait_loadcnt_dscnt 0x0
	s_barrier_signal -1
	s_barrier_wait -1
.LBB142_62:                             ;   in Loop: Header=BB142_32 Depth=1
	s_wait_alu 0xfffe
	s_and_b32 vcc_lo, exec_lo, s6
	s_mov_b64 s[72:73], 0
	s_wait_alu 0xfffe
	s_cbranch_vccz .LBB142_64
; %bb.63:                               ;   in Loop: Header=BB142_32 Depth=1
	s_wait_loadcnt 0x0
	global_inv scope:SCOPE_SE
	ds_load_b64 v[4:5], v3 offset:5120
	s_wait_dscnt 0x0
	v_readfirstlane_b32 s72, v4
.LBB142_64:                             ;   in Loop: Header=BB142_32 Depth=1
	s_delay_alu instid0(VALU_DEP_1)
	s_cmp_lt_i32 s72, 1
	s_mov_b32 s6, -1
                                        ; implicit-def: $vgpr4_vgpr5
                                        ; implicit-def: $vgpr8_vgpr9
	s_cbranch_scc1 .LBB142_74
; %bb.65:                               ;   in Loop: Header=BB142_32 Depth=1
	s_wait_alu 0xfffe
	s_and_b32 vcc_lo, exec_lo, s6
	s_wait_alu 0xfffe
	s_cbranch_vccnz .LBB142_88
.LBB142_66:                             ;   in Loop: Header=BB142_32 Depth=1
	s_lshl_b32 s6, s97, 7
	s_and_saveexec_b32 s7, s1
	s_cbranch_execz .LBB142_68
.LBB142_67:                             ;   in Loop: Header=BB142_32 Depth=1
	s_wait_alu 0xfffe
	v_lshl_add_u32 v2, s6, 3, v29
	ds_store_b128 v2, v[4:7]
	ds_store_b128 v2, v[8:11] offset:16
.LBB142_68:                             ;   in Loop: Header=BB142_32 Depth=1
	s_wait_alu 0xfffe
	s_or_b32 exec_lo, exec_lo, s7
	s_wait_loadcnt_dscnt 0x0
	s_barrier_signal -1
	s_barrier_wait -1
	global_inv scope:SCOPE_SE
	s_and_saveexec_b32 s7, s84
	s_cbranch_execz .LBB142_102
; %bb.69:                               ;   in Loop: Header=BB142_32 Depth=1
	v_mov_b32_e32 v4, 0
	v_mov_b32_e32 v5, 0
	s_and_not1_b32 vcc_lo, exec_lo, s85
	s_wait_alu 0xfffe
	s_cbranch_vccnz .LBB142_101
; %bb.70:                               ;   in Loop: Header=BB142_32 Depth=1
	v_mov_b32_e32 v4, 0
	v_mov_b32_e32 v5, 0
	s_and_not1_b32 vcc_lo, exec_lo, s89
	s_wait_alu 0xfffe
	s_cbranch_vccnz .LBB142_98
; %bb.71:                               ;   in Loop: Header=BB142_32 Depth=1
	v_lshl_add_u32 v2, s97, 10, v32
	s_mov_b32 s8, 0
.LBB142_72:                             ;   Parent Loop BB142_32 Depth=1
                                        ; =>  This Inner Loop Header: Depth=2
	ds_load_2addr_b64 v[6:9], v2 offset1:4
	ds_load_2addr_b64 v[21:24], v2 offset0:8 offset1:12
	ds_load_2addr_b64 v[36:39], v2 offset0:16 offset1:20
	s_wait_alu 0xfffe
	s_add_co_i32 s8, s8, 8
	s_wait_alu 0xfffe
	s_cmp_eq_u32 s90, s8
	s_wait_dscnt 0x2
	v_add_co_u32 v4, vcc_lo, v6, v4
	s_wait_alu 0xfffd
	v_add_co_ci_u32_e64 v5, null, v7, v5, vcc_lo
	s_delay_alu instid0(VALU_DEP_2) | instskip(SKIP_1) | instid1(VALU_DEP_2)
	v_add_co_u32 v8, vcc_lo, v8, v4
	s_wait_alu 0xfffd
	v_add_co_ci_u32_e64 v9, null, v9, v5, vcc_lo
	ds_load_2addr_b64 v[4:7], v2 offset0:24 offset1:28
	s_wait_dscnt 0x2
	v_add_co_u32 v8, vcc_lo, v21, v8
	s_wait_alu 0xfffd
	v_add_co_ci_u32_e64 v9, null, v22, v9, vcc_lo
	v_add_nc_u32_e32 v2, 0x100, v2
	s_delay_alu instid0(VALU_DEP_3) | instskip(SKIP_1) | instid1(VALU_DEP_3)
	v_add_co_u32 v8, vcc_lo, v23, v8
	s_wait_alu 0xfffd
	v_add_co_ci_u32_e64 v9, null, v24, v9, vcc_lo
	s_wait_dscnt 0x1
	s_delay_alu instid0(VALU_DEP_2) | instskip(SKIP_1) | instid1(VALU_DEP_2)
	v_add_co_u32 v8, vcc_lo, v36, v8
	s_wait_alu 0xfffd
	v_add_co_ci_u32_e64 v9, null, v37, v9, vcc_lo
	s_delay_alu instid0(VALU_DEP_2) | instskip(SKIP_1) | instid1(VALU_DEP_2)
	v_add_co_u32 v8, vcc_lo, v38, v8
	s_wait_alu 0xfffd
	v_add_co_ci_u32_e64 v9, null, v39, v9, vcc_lo
	s_wait_dscnt 0x0
	s_delay_alu instid0(VALU_DEP_2) | instskip(SKIP_1) | instid1(VALU_DEP_2)
	v_add_co_u32 v4, vcc_lo, v4, v8
	s_wait_alu 0xfffd
	v_add_co_ci_u32_e64 v5, null, v5, v9, vcc_lo
	s_delay_alu instid0(VALU_DEP_2) | instskip(SKIP_1) | instid1(VALU_DEP_2)
	v_add_co_u32 v4, vcc_lo, v6, v4
	s_wait_alu 0xfffd
	v_add_co_ci_u32_e64 v5, null, v7, v5, vcc_lo
	s_cbranch_scc0 .LBB142_72
; %bb.73:                               ;   in Loop: Header=BB142_32 Depth=1
	s_mov_b32 s8, s90
	s_and_not1_b32 vcc_lo, exec_lo, s91
	s_wait_alu 0xfffe
	s_cbranch_vccz .LBB142_99
	s_branch .LBB142_101
.LBB142_74:                             ;   in Loop: Header=BB142_32 Depth=1
	global_load_u16 v2, v3, s[70:71]
	s_mov_b32 s7, s21
	s_wait_loadcnt 0x0
	v_readfirstlane_b32 s6, v2
	s_wait_alu 0xfffe
	s_and_b32 s8, 0xffff, s6
	s_mov_b32 s6, s65
	s_wait_alu 0xfffe
	s_lshl_b32 s18, s8, 2
	s_cmp_lg_u64 s[6:7], 0
	s_cbranch_scc0 .LBB142_97
; %bb.75:                               ;   in Loop: Header=BB142_32 Depth=1
	s_wait_alu 0xfffe
	s_cvt_f32_u32 s6, s18
	s_mov_b32 s19, s65
	s_wait_alu 0xfffe
	s_sub_nc_u64 s[8:9], 0, s[18:19]
	s_fmamk_f32 s6, s93, 0x0, s6
	s_wait_alu 0xfffe
	s_delay_alu instid0(SALU_CYCLE_2) | instskip(NEXT) | instid1(TRANS32_DEP_1)
	v_s_rcp_f32 s6, s6
	s_mul_f32 s6, s6, 0x5f7ffffc
	s_wait_alu 0xfffe
	s_delay_alu instid0(SALU_CYCLE_2) | instskip(SKIP_1) | instid1(SALU_CYCLE_2)
	s_mul_f32 s7, s6, 0x2f800000
	s_wait_alu 0xfffe
	s_trunc_f32 s7, s7
	s_wait_alu 0xfffe
	s_delay_alu instid0(SALU_CYCLE_2) | instskip(SKIP_2) | instid1(SALU_CYCLE_1)
	s_fmamk_f32 s6, s7, 0xcf800000, s6
	s_cvt_u32_f32 s7, s7
	s_wait_alu 0xfffe
	s_cvt_u32_f32 s6, s6
	s_wait_alu 0xfffe
	s_delay_alu instid0(SALU_CYCLE_2)
	s_mul_u64 s[10:11], s[8:9], s[6:7]
	s_wait_alu 0xfffe
	s_mul_hi_u32 s13, s6, s11
	s_mul_i32 s12, s6, s11
	s_mul_hi_u32 s64, s6, s10
	s_mul_i32 s15, s7, s10
	s_wait_alu 0xfffe
	s_add_nc_u64 s[12:13], s[64:65], s[12:13]
	s_mul_hi_u32 s14, s7, s10
	s_mul_hi_u32 s16, s7, s11
	s_mul_i32 s10, s7, s11
	s_wait_alu 0xfffe
	s_add_co_u32 s11, s12, s15
	s_add_co_ci_u32 s64, s13, s14
	s_add_co_ci_u32 s11, s16, 0
	s_wait_alu 0xfffe
	s_add_nc_u64 s[10:11], s[64:65], s[10:11]
	s_wait_alu 0xfffe
	s_add_co_u32 s6, s6, s10
	s_cselect_b32 s10, -1, 0
	s_wait_alu 0xfffe
	s_cmp_lg_u32 s10, 0
	s_add_co_ci_u32 s7, s7, s11
	s_wait_alu 0xfffe
	s_mul_u64 s[8:9], s[8:9], s[6:7]
	s_wait_alu 0xfffe
	s_mul_hi_u32 s11, s6, s9
	s_mul_i32 s10, s6, s9
	s_mul_hi_u32 s64, s6, s8
	s_mul_i32 s13, s7, s8
	s_wait_alu 0xfffe
	s_add_nc_u64 s[10:11], s[64:65], s[10:11]
	s_mul_hi_u32 s12, s7, s8
	s_mul_hi_u32 s14, s7, s9
	s_mul_i32 s8, s7, s9
	s_wait_alu 0xfffe
	s_add_co_u32 s9, s10, s13
	s_add_co_ci_u32 s64, s11, s12
	s_add_co_ci_u32 s9, s14, 0
	s_wait_alu 0xfffe
	s_add_nc_u64 s[8:9], s[64:65], s[8:9]
	s_wait_alu 0xfffe
	s_add_co_u32 s6, s6, s8
	s_cselect_b32 s8, -1, 0
	s_wait_alu 0xfffe
	s_mul_hi_u32 s64, s20, s6
	s_cmp_lg_u32 s8, 0
	s_mul_hi_u32 s10, s21, s6
	s_add_co_ci_u32 s8, s7, s9
	s_mul_i32 s9, s21, s6
	s_wait_alu 0xfffe
	s_mul_hi_u32 s7, s20, s8
	s_mul_i32 s6, s20, s8
	s_mul_hi_u32 s11, s21, s8
	s_wait_alu 0xfffe
	s_add_nc_u64 s[6:7], s[64:65], s[6:7]
	s_mul_i32 s8, s21, s8
	s_wait_alu 0xfffe
	s_add_co_u32 s6, s6, s9
	s_add_co_ci_u32 s64, s7, s10
	s_add_co_ci_u32 s9, s11, 0
	s_wait_alu 0xfffe
	s_add_nc_u64 s[6:7], s[64:65], s[8:9]
	s_wait_alu 0xfffe
	s_mul_u64 s[6:7], s[18:19], s[6:7]
	s_wait_alu 0xfffe
	s_sub_co_u32 s6, s20, s6
	s_cselect_b32 s8, -1, 0
	s_wait_alu 0xfffe
	s_cmp_lg_u32 s8, 0
	s_sub_co_ci_u32 s7, s21, s7
	s_sub_co_u32 s8, s6, s18
	s_cselect_b32 s9, -1, 0
	s_wait_alu 0xfffe
	s_cmp_lg_u32 s9, 0
	s_sub_co_ci_u32 s9, s7, 0
	;; [unrolled: 5-line block ×3, first 2 shown]
	s_cmp_ge_u32 s8, s18
	s_cselect_b32 s12, -1, 0
	s_cmp_eq_u32 s9, 0
	s_wait_alu 0xfffe
	s_cselect_b32 s12, s12, -1
	s_wait_alu 0xfffe
	s_cmp_lg_u32 s12, 0
	s_cselect_b32 s9, s11, s9
	s_cselect_b32 s8, s10, s8
	s_cmp_ge_u32 s6, s18
	s_cselect_b32 s10, -1, 0
	s_cmp_eq_u32 s7, 0
	s_wait_alu 0xfffe
	s_cselect_b32 s10, s10, -1
	s_wait_alu 0xfffe
	s_cmp_lg_u32 s10, 0
	s_cselect_b32 s7, s9, s7
	s_cselect_b32 s6, s8, s6
	s_cbranch_execnz .LBB142_77
.LBB142_76:                             ;   in Loop: Header=BB142_32 Depth=1
	s_wait_alu 0xfffe
	v_cvt_f32_u32_e32 v4, s18
	s_sub_co_i32 s7, 0, s18
	s_delay_alu instid0(VALU_DEP_1) | instskip(NEXT) | instid1(TRANS32_DEP_1)
	v_rcp_iflag_f32_e32 v4, v4
	v_mul_f32_e32 v4, 0x4f7ffffe, v4
	s_delay_alu instid0(VALU_DEP_1) | instskip(NEXT) | instid1(VALU_DEP_1)
	v_cvt_u32_f32_e32 v4, v4
	v_readfirstlane_b32 s6, v4
	s_wait_alu 0xfffe
	s_mul_i32 s7, s7, s6
	s_wait_alu 0xfffe
	s_mul_hi_u32 s7, s6, s7
	s_wait_alu 0xfffe
	s_add_co_i32 s6, s6, s7
	s_wait_alu 0xfffe
	s_mul_hi_u32 s6, s20, s6
	s_wait_alu 0xfffe
	s_mul_i32 s6, s6, s18
	s_wait_alu 0xfffe
	s_sub_co_i32 s6, s20, s6
	s_wait_alu 0xfffe
	s_sub_co_i32 s7, s6, s18
	s_cmp_ge_u32 s6, s18
	s_wait_alu 0xfffe
	s_cselect_b32 s6, s7, s6
	s_wait_alu 0xfffe
	s_sub_co_i32 s7, s6, s18
	s_cmp_ge_u32 s6, s18
	s_wait_alu 0xfffe
	s_cselect_b32 s64, s7, s6
	s_wait_alu 0xfffe
	s_mov_b64 s[6:7], s[64:65]
.LBB142_77:                             ;   in Loop: Header=BB142_32 Depth=1
	v_mov_b32_e32 v4, 0
	v_dual_mov_b32 v8, 0 :: v_dual_mov_b32 v5, 0
	v_dual_mov_b32 v6, 0 :: v_dual_mov_b32 v9, 0
	;; [unrolled: 1-line block ×3, first 2 shown]
	v_mov_b32_e32 v11, 0
	s_wait_alu 0xfffe
	s_sub_nc_u64 s[74:75], s[20:21], s[6:7]
	s_mov_b32 s17, exec_lo
	s_wait_alu 0xfffe
	v_cmpx_gt_u64_e64 s[74:75], v[12:13]
	s_cbranch_execz .LBB142_81
; %bb.78:                               ;   in Loop: Header=BB142_32 Depth=1
	v_dual_mov_b32 v22, v13 :: v_dual_mov_b32 v21, v12
	s_mov_b64 s[76:77], 0
	s_mov_b32 s19, 0
	s_mov_b64 s[78:79], 0
	s_mov_b64 s[80:81], 0
	;; [unrolled: 1-line block ×3, first 2 shown]
.LBB142_79:                             ;   Parent Loop BB142_32 Depth=1
                                        ; =>  This Inner Loop Header: Depth=2
	v_mul_lo_u32 v6, v22, s46
	v_mul_lo_u32 v7, v21, s47
	v_mad_co_u64_u32 v[4:5], null, v21, s46, 0
	s_lshl_b64 s[6:7], s[46:47], 1
	v_add3_u32 v5, v5, v7, v6
	s_delay_alu instid0(VALU_DEP_1) | instskip(NEXT) | instid1(VALU_DEP_1)
	v_lshlrev_b64_e32 v[4:5], 1, v[4:5]
	v_add_co_u32 v4, vcc_lo, s54, v4
	s_wait_alu 0xfffd
	s_delay_alu instid0(VALU_DEP_2) | instskip(SKIP_1) | instid1(VALU_DEP_2)
	v_add_co_ci_u32_e64 v5, null, s55, v5, vcc_lo
	s_wait_alu 0xfffe
	v_add_co_u32 v6, vcc_lo, v4, s6
	s_wait_alu 0xfffd
	s_delay_alu instid0(VALU_DEP_2)
	v_add_co_ci_u32_e64 v7, null, s7, v5, vcc_lo
	s_clause 0x1
	global_load_u16 v8, v[4:5], off
	global_load_u16 v9, v[6:7], off
	v_add_co_u32 v4, vcc_lo, v6, s6
	s_wait_alu 0xfffd
	v_add_co_ci_u32_e64 v5, null, s7, v7, vcc_lo
	s_delay_alu instid0(VALU_DEP_2)
	v_add_co_u32 v6, vcc_lo, v4, s6
	global_load_u16 v4, v[4:5], off
	s_wait_alu 0xfffd
	v_add_co_ci_u32_e64 v7, null, s7, v5, vcc_lo
	v_add_co_u32 v21, vcc_lo, v21, s18
	s_wait_alu 0xfffd
	v_add_co_ci_u32_e64 v22, null, 0, v22, vcc_lo
	global_load_u16 v5, v[6:7], off
	v_cmp_le_u64_e32 vcc_lo, s[74:75], v[21:22]
	s_wait_loadcnt 0x3
	v_cmp_lt_i16_e64 s6, -1, v8
	v_lshlrev_b32_e32 v6, 16, v8
	v_and_b32_e32 v7, 0xffff, v8
	s_wait_loadcnt 0x2
	v_cmp_lt_i16_e64 s7, -1, v9
	v_and_b32_e32 v10, 0xffff, v9
	s_wait_alu 0xf1ff
	v_cndmask_b32_e64 v8, 0xffff, v33, s6
	v_cmp_o_f32_e64 s6, v6, v6
	v_lshlrev_b32_e32 v6, 16, v9
	v_cndmask_b32_e64 v9, 0xffff, v33, s7
	s_delay_alu instid0(VALU_DEP_4)
	v_xor_b32_e32 v7, v8, v7
	s_wait_loadcnt 0x1
	v_cmp_lt_i16_e64 s7, -1, v4
	v_and_b32_e32 v8, 0xffff, v4
	v_lshlrev_b32_e32 v4, 16, v4
	v_cmp_o_f32_e64 s8, v6, v6
	v_xor_b32_e32 v6, v9, v10
	s_wait_alu 0xf1ff
	v_cndmask_b32_e64 v9, 0xffff, v33, s7
	v_cndmask_b32_e64 v7, 0xffff, v7, s6
	s_wait_loadcnt 0x0
	v_cmp_lt_i16_e64 s6, -1, v5
	v_and_b32_e32 v10, 0xffff, v5
	v_lshlrev_b32_e32 v5, 16, v5
	v_cmp_o_f32_e64 s7, v4, v4
	v_cndmask_b32_e64 v4, 0xffff, v6, s8
	v_xor_b32_e32 v6, v9, v8
	s_wait_alu 0xf1ff
	v_cndmask_b32_e64 v8, 0xffff, v33, s6
	v_and_b32_e32 v9, v7, v34
	v_bfe_u32 v7, v7, s94, 2
	v_cmp_o_f32_e64 s6, v5, v5
	v_cndmask_b32_e64 v5, 0xffff, v6, s7
	v_xor_b32_e32 v6, v8, v10
	v_cmp_eq_u32_e64 s7, v9, v30
	v_and_b32_e32 v8, v4, v34
	v_bfe_u32 v4, v4, s94, 2
	v_cmp_eq_u32_e64 s8, 0, v7
	v_cmp_eq_u32_e64 s9, 1, v7
	v_cmp_eq_u32_e64 s10, 2, v7
	v_cmp_eq_u32_e64 s11, 3, v7
	s_wait_alu 0xf1ff
	v_cndmask_b32_e64 v6, 0xffff, v6, s6
	v_cmp_eq_u32_e64 s6, v8, v30
	v_and_b32_e32 v7, v5, v34
	v_bfe_u32 v5, v5, s94, 2
	v_cmp_eq_u32_e64 s12, 0, v4
	s_and_b32 s13, s7, s8
	v_cmp_eq_u32_e64 s8, 1, v4
	s_and_b32 s14, s7, s9
	;; [unrolled: 2-line block ×3, first 2 shown]
	v_cmp_eq_u32_e64 s10, 3, v4
	s_wait_alu 0xfffe
	v_cndmask_b32_e64 v4, 0, 1, s13
	s_and_b32 s7, s7, s11
	v_cndmask_b32_e64 v8, 0, 1, s14
	v_cndmask_b32_e64 v9, 0, 1, s15
	s_wait_alu 0xfffe
	v_cndmask_b32_e64 v10, 0, 1, s7
	v_cmp_eq_u32_e64 s7, v7, v30
	v_and_b32_e32 v7, v6, v34
	v_bfe_u32 v6, v6, s94, 2
	v_cmp_eq_u32_e64 s11, 0, v5
	s_and_b32 s13, s6, s12
	v_cmp_eq_u32_e64 s12, 1, v5
	s_and_b32 s14, s6, s8
	s_and_b32 s15, s6, s9
	;; [unrolled: 1-line block ×3, first 2 shown]
	v_cmp_ne_u32_e64 s6, 0, v4
	s_wait_alu 0xfffe
	v_cndmask_b32_e64 v4, 0, 1, s13
	v_cmp_eq_u32_e64 s8, 2, v5
	v_cmp_eq_u32_e64 s9, 3, v5
	v_cndmask_b32_e64 v5, 0, 1, s14
	v_cmp_ne_u32_e64 s10, 0, v8
	v_cmp_ne_u32_e64 s13, 0, v9
	v_cndmask_b32_e64 v8, 0, 1, s15
	v_cndmask_b32_e64 v9, 0, 1, s16
	v_cmp_eq_u32_e64 s15, v7, v30
	v_cmp_eq_u32_e64 s16, 0, v6
	s_and_b32 s36, s7, s11
	v_cmp_eq_u32_e64 s11, 1, v6
	s_and_b32 s37, s7, s12
	s_bcnt1_i32_b32 s52, s6
	v_cmp_ne_u32_e64 s6, 0, v4
	s_wait_alu 0xfffe
	v_cndmask_b32_e64 v4, 0, 1, s36
	v_cmp_eq_u32_e64 s12, 2, v6
	s_and_b32 s38, s7, s8
	s_and_b32 s39, s7, s9
	v_cmp_ne_u32_e64 s7, 0, v5
	v_cndmask_b32_e64 v5, 0, 1, s37
	v_cmp_ne_u32_e64 s9, 0, v8
	s_and_b32 s16, s15, s16
	v_cmp_eq_u32_e64 s8, 3, v6
	s_wait_alu 0xfffe
	v_cndmask_b32_e64 v6, 0, 1, s38
	v_cmp_ne_u32_e64 s14, 0, v10
	s_bcnt1_i32_b32 s36, s10
	v_cmp_ne_u32_e64 s10, 0, v9
	s_and_b32 s11, s15, s11
	s_bcnt1_i32_b32 s37, s6
	v_cmp_ne_u32_e64 s6, 0, v4
	v_cndmask_b32_e64 v4, 0, 1, s16
	v_cndmask_b32_e64 v7, 0, 1, s39
	s_and_b32 s12, s15, s12
	s_bcnt1_i32_b32 s16, s7
	v_cmp_ne_u32_e64 s7, 0, v5
	s_wait_alu 0xfffe
	v_cndmask_b32_e64 v5, 0, 1, s11
	s_bcnt1_i32_b32 s13, s13
	s_bcnt1_i32_b32 s11, s9
	s_and_b32 s15, s15, s8
	v_cmp_ne_u32_e64 s8, 0, v6
	v_cndmask_b32_e64 v6, 0, 1, s12
	s_bcnt1_i32_b32 s14, s14
	s_bcnt1_i32_b32 s10, s10
	s_wait_alu 0xfffe
	s_add_co_i32 s11, s11, s13
	s_bcnt1_i32_b32 s13, s6
	v_cmp_ne_u32_e64 s6, 0, v4
	v_cmp_ne_u32_e64 s9, 0, v7
	v_cndmask_b32_e64 v7, 0, 1, s15
	s_add_co_i32 s10, s10, s14
	s_bcnt1_i32_b32 s14, s7
	v_cmp_ne_u32_e64 s7, 0, v5
	s_add_co_i32 s12, s37, s52
	s_add_co_i32 s15, s16, s36
	s_bcnt1_i32_b32 s16, s8
	v_cmp_ne_u32_e64 s8, 0, v6
	s_wait_alu 0xfffe
	s_add_co_i32 s12, s12, s13
	s_bcnt1_i32_b32 s6, s6
	s_bcnt1_i32_b32 s36, s9
	v_cmp_ne_u32_e64 s9, 0, v7
	s_add_co_i32 s13, s15, s14
	s_bcnt1_i32_b32 s7, s7
	s_wait_alu 0xfffe
	s_add_co_i32 s64, s12, s6
	s_add_co_i32 s11, s11, s16
	s_bcnt1_i32_b32 s8, s8
	s_wait_alu 0xfffe
	s_add_nc_u64 s[82:83], s[82:83], s[64:65]
	s_add_co_i32 s64, s13, s7
	s_add_co_i32 s10, s10, s36
	s_bcnt1_i32_b32 s9, s9
	s_wait_alu 0xfffe
	s_add_nc_u64 s[80:81], s[80:81], s[64:65]
	s_add_co_i32 s64, s11, s8
	v_mov_b32_e32 v4, s82
	s_wait_alu 0xfffe
	s_add_nc_u64 s[78:79], s[78:79], s[64:65]
	s_add_co_i32 s64, s10, s9
	v_mov_b32_e32 v6, s80
	s_wait_alu 0xfffe
	s_add_nc_u64 s[76:77], s[76:77], s[64:65]
	v_mov_b32_e32 v8, s78
	s_wait_alu 0xfffe
	v_dual_mov_b32 v10, s76 :: v_dual_mov_b32 v5, s83
	v_mov_b32_e32 v7, s81
	v_mov_b32_e32 v9, s79
	;; [unrolled: 1-line block ×3, first 2 shown]
	s_or_b32 s19, vcc_lo, s19
	s_wait_alu 0xfffe
	s_and_not1_b32 exec_lo, exec_lo, s19
	s_cbranch_execnz .LBB142_79
; %bb.80:                               ;   in Loop: Header=BB142_32 Depth=1
	s_or_b32 exec_lo, exec_lo, s19
.LBB142_81:                             ;   in Loop: Header=BB142_32 Depth=1
	s_wait_alu 0xfffe
	s_or_b32 exec_lo, exec_lo, s17
	v_add_co_u32 v21, s6, s74, v0
	v_and_b32_e32 v2, 0xffff, v2
	s_wait_alu 0xf1ff
	v_add_co_ci_u32_e64 v22, null, s75, 0, s6
	s_mov_b32 s10, exec_lo
	v_cmpx_gt_u64_e64 s[20:21], v[21:22]
	s_cbranch_execz .LBB142_87
; %bb.82:                               ;   in Loop: Header=BB142_32 Depth=1
	v_mul_lo_u32 v36, v22, s46
	v_mul_lo_u32 v37, v21, s47
	v_mad_co_u64_u32 v[23:24], null, v21, s46, 0
	s_mov_b32 s11, 0
	v_add3_u32 v24, v24, v37, v36
	s_delay_alu instid0(VALU_DEP_1) | instskip(NEXT) | instid1(VALU_DEP_1)
	v_lshlrev_b64_e32 v[23:24], 1, v[23:24]
	v_add_co_u32 v23, vcc_lo, s54, v23
	s_wait_alu 0xfffd
	s_delay_alu instid0(VALU_DEP_2)
	v_add_co_ci_u32_e64 v24, null, s55, v24, vcc_lo
	global_load_u16 v24, v[23:24], off
	s_branch .LBB142_84
.LBB142_83:                             ;   in Loop: Header=BB142_84 Depth=2
	s_wait_alu 0xfffe
	s_or_b32 exec_lo, exec_lo, s7
	s_wait_loadcnt 0x0
	v_cmp_lt_i16_e64 s6, -1, v24
	v_and_b32_e32 v36, 0xffff, v24
	v_lshlrev_b32_e32 v24, 16, v24
	s_and_b32 s8, exec_lo, vcc_lo
	s_wait_alu 0xfffe
	s_or_b32 s11, s8, s11
	v_cndmask_b32_e64 v37, 0xffff, v33, s6
	v_cmp_o_f32_e64 s6, v24, v24
	s_delay_alu instid0(VALU_DEP_2) | instskip(SKIP_1) | instid1(VALU_DEP_1)
	v_xor_b32_e32 v36, v37, v36
	s_wait_alu 0xf1ff
	v_cndmask_b32_e64 v24, 0xffff, v36, s6
	s_delay_alu instid0(VALU_DEP_1) | instskip(SKIP_1) | instid1(VALU_DEP_2)
	v_and_b32_e32 v36, v24, v34
	v_bfe_u32 v24, v24, s94, 2
	v_cmp_eq_u32_e64 s6, v36, v30
	s_delay_alu instid0(VALU_DEP_2)
	v_cmp_eq_u32_e64 s7, 0, v24
	v_cmp_eq_u32_e32 vcc_lo, 1, v24
	v_cmp_eq_u32_e64 s8, 2, v24
	s_and_b32 s7, s6, s7
	s_wait_alu 0xfffe
	v_cndmask_b32_e64 v36, 0, 1, s7
	s_and_b32 s7, s6, vcc_lo
	v_cmp_eq_u32_e32 vcc_lo, 3, v24
	s_wait_alu 0xfffe
	v_cndmask_b32_e64 v37, 0, 1, s7
	s_and_b32 s7, s6, s8
	s_wait_alu 0xfffe
	v_cndmask_b32_e64 v38, 0, 1, s7
	v_cmp_ne_u32_e64 s7, 0, v36
	v_cmp_ne_u32_e64 s8, 0, v37
	s_and_b32 s6, s6, vcc_lo
	s_wait_alu 0xfffe
	v_cndmask_b32_e64 v24, 0, 1, s6
	s_bcnt1_i32_b32 s6, s7
	v_cmp_ne_u32_e64 s9, 0, v38
	s_bcnt1_i32_b32 s7, s8
	s_wait_alu 0xfffe
	v_add_co_u32 v4, vcc_lo, v4, s6
	s_wait_alu 0xfffd
	v_add_co_ci_u32_e64 v5, null, 0, v5, vcc_lo
	v_add_co_u32 v6, vcc_lo, v6, s7
	s_wait_alu 0xfffd
	v_add_co_ci_u32_e64 v7, null, 0, v7, vcc_lo
	v_cmp_ne_u32_e32 vcc_lo, 0, v24
	s_bcnt1_i32_b32 s8, s9
	v_mov_b32_e32 v24, v23
	s_wait_alu 0xfffe
	v_add_co_u32 v8, s6, v8, s8
	s_wait_alu 0xf1ff
	v_add_co_ci_u32_e64 v9, null, 0, v9, s6
	s_bcnt1_i32_b32 s6, vcc_lo
	s_wait_alu 0xfffe
	v_add_co_u32 v10, vcc_lo, v10, s6
	s_wait_alu 0xfffd
	v_add_co_ci_u32_e64 v11, null, 0, v11, vcc_lo
	s_and_not1_b32 exec_lo, exec_lo, s11
	s_cbranch_execz .LBB142_86
.LBB142_84:                             ;   Parent Loop BB142_32 Depth=1
                                        ; =>  This Inner Loop Header: Depth=2
	v_add_co_u32 v21, vcc_lo, v21, v2
	s_wait_alu 0xfffd
	v_add_co_ci_u32_e64 v22, null, 0, v22, vcc_lo
	v_mov_b32_e32 v23, 0
	s_mov_b32 s7, exec_lo
	s_delay_alu instid0(VALU_DEP_2)
	v_cmp_le_u64_e32 vcc_lo, s[20:21], v[21:22]
	v_cmpx_gt_u64_e64 s[20:21], v[21:22]
	s_cbranch_execz .LBB142_83
; %bb.85:                               ;   in Loop: Header=BB142_84 Depth=2
	v_mul_lo_u32 v23, v22, s46
	v_mul_lo_u32 v38, v21, s47
	v_mad_co_u64_u32 v[36:37], null, v21, s46, 0
	s_delay_alu instid0(VALU_DEP_1) | instskip(NEXT) | instid1(VALU_DEP_1)
	v_add3_u32 v37, v37, v38, v23
	v_lshlrev_b64_e32 v[36:37], 1, v[36:37]
	s_delay_alu instid0(VALU_DEP_1) | instskip(SKIP_1) | instid1(VALU_DEP_2)
	v_add_co_u32 v36, s6, s54, v36
	s_wait_alu 0xf1ff
	v_add_co_ci_u32_e64 v37, null, s55, v37, s6
	global_load_u16 v23, v[36:37], off
	s_branch .LBB142_83
.LBB142_86:                             ;   in Loop: Header=BB142_32 Depth=1
	s_or_b32 exec_lo, exec_lo, s11
.LBB142_87:                             ;   in Loop: Header=BB142_32 Depth=1
	s_wait_alu 0xfffe
	s_or_b32 exec_lo, exec_lo, s10
	s_branch .LBB142_66
.LBB142_88:                             ;   in Loop: Header=BB142_32 Depth=1
	global_load_u16 v2, v3, s[70:71]
	v_mov_b32_e32 v6, 0
	v_mov_b32_e32 v8, 0
	v_dual_mov_b32 v10, 0 :: v_dual_mov_b32 v9, 0
	v_mov_b32_e32 v11, 0
	s_mov_b32 s104, exec_lo
	v_mov_b32_e32 v7, 0
	s_wait_loadcnt 0x0
	v_readfirstlane_b32 s6, v2
	v_and_b32_e32 v2, 0xffff, v2
	s_and_b32 s73, 0xffff, s6
	s_wait_alu 0xfffe
	s_lshl_b32 s83, s73, 2
	s_wait_alu 0xfffe
	s_cvt_f32_u32 s6, s83
	s_sub_co_i32 s7, 0, s83
	s_wait_alu 0xfffe
	s_delay_alu instid0(SALU_CYCLE_1) | instskip(NEXT) | instid1(TRANS32_DEP_1)
	v_rcp_iflag_f32_e32 v4, s6
	v_readfirstlane_b32 s6, v4
	s_mul_f32 s6, s6, 0x4f7ffffe
	s_wait_alu 0xfffe
	s_delay_alu instid0(SALU_CYCLE_2) | instskip(SKIP_1) | instid1(SALU_CYCLE_2)
	s_cvt_u32_f32 s6, s6
	s_wait_alu 0xfffe
	s_mul_i32 s7, s7, s6
	s_wait_alu 0xfffe
	s_mul_hi_u32 s7, s6, s7
	s_wait_alu 0xfffe
	s_add_co_i32 s6, s6, s7
	s_wait_alu 0xfffe
	s_mul_hi_u32 s6, s72, s6
	s_wait_alu 0xfffe
	s_mul_i32 s7, s6, s83
	s_add_co_i32 s8, s6, 1
	s_wait_alu 0xfffe
	s_sub_co_i32 s7, s72, s7
	s_wait_alu 0xfffe
	s_sub_co_i32 s9, s7, s83
	s_cmp_ge_u32 s7, s83
	s_cselect_b32 s6, s8, s6
	s_wait_alu 0xfffe
	s_cselect_b32 s7, s9, s7
	s_add_co_i32 s8, s6, 1
	s_wait_alu 0xfffe
	s_cmp_ge_u32 s7, s83
	s_cselect_b32 s82, s8, s6
	s_wait_alu 0xfffe
	v_mul_hi_u32 v5, s82, v2
	v_mul_lo_u32 v4, s82, v2
	s_delay_alu instid0(VALU_DEP_1) | instskip(SKIP_2) | instid1(VALU_DEP_3)
	v_lshlrev_b64_e32 v[21:22], 2, v[4:5]
	v_mov_b32_e32 v4, 0
	v_mov_b32_e32 v5, 0
	v_cmpx_gt_u64_e64 v[21:22], v[12:13]
	s_cbranch_execz .LBB142_92
; %bb.89:                               ;   in Loop: Header=BB142_32 Depth=1
	v_mov_b32_e32 v24, v13
	v_dual_mov_b32 v36, v31 :: v_dual_mov_b32 v23, v12
	s_lshl_b32 vcc_hi, s73, 3
	s_mov_b64 s[74:75], 0
	s_mov_b32 s52, 0
	s_mov_b64 s[76:77], 0
	s_mov_b64 s[78:79], 0
	;; [unrolled: 1-line block ×3, first 2 shown]
.LBB142_90:                             ;   Parent Loop BB142_32 Depth=1
                                        ; =>  This Inner Loop Header: Depth=2
	ds_load_b64 v[4:5], v36
	v_add_co_u32 v23, s10, v23, s83
	s_wait_alu 0xf1ff
	v_add_co_ci_u32_e64 v24, null, 0, v24, s10
	s_delay_alu instid0(VALU_DEP_1)
	v_cmp_ge_u64_e64 s10, v[23:24], v[21:22]
	s_wait_dscnt 0x0
	v_lshrrev_b32_e32 v6, 16, v4
	v_and_b32_e32 v8, 0xffff, v4
	v_cmp_lt_i16_e32 vcc_lo, -1, v4
	v_lshlrev_b32_e32 v10, 16, v4
	v_and_b32_e32 v4, 0xffff0000, v4
	v_cmp_lt_i16_e64 s6, -1, v5
	v_lshrrev_b32_e32 v7, 16, v5
	v_lshlrev_b32_e32 v9, 16, v5
	v_and_b32_e32 v11, 0xffff0000, v5
	v_cmp_o_f32_e64 s11, v4, v4
	s_wait_alu 0xfffd
	v_cndmask_b32_e32 v4, 0xffff, v33, vcc_lo
	v_and_b32_e32 v5, 0xffff, v5
	v_cmp_lt_i16_e32 vcc_lo, -1, v6
	v_cmp_o_f32_e64 s8, v10, v10
	v_cmp_o_f32_e64 s7, v9, v9
	v_xor_b32_e32 v4, v4, v8
	s_wait_alu 0xf1ff
	v_cndmask_b32_e64 v8, 0xffff, v33, s6
	v_cmp_lt_i16_e64 s6, -1, v7
	v_cmp_o_f32_e64 s9, v11, v11
	v_cndmask_b32_e64 v4, 0xffff, v4, s8
	s_delay_alu instid0(VALU_DEP_4) | instskip(SKIP_2) | instid1(VALU_DEP_2)
	v_xor_b32_e32 v5, v8, v5
	s_wait_alu 0xfffd
	v_cndmask_b32_e32 v8, 0xffff, v33, vcc_lo
	v_cndmask_b32_e64 v5, 0xffff, v5, s7
	s_delay_alu instid0(VALU_DEP_2) | instskip(SKIP_2) | instid1(VALU_DEP_2)
	v_xor_b32_e32 v6, v8, v6
	s_wait_alu 0xf1ff
	v_cndmask_b32_e64 v8, 0xffff, v33, s6
	v_cndmask_b32_e64 v6, 0xffff, v6, s11
	s_delay_alu instid0(VALU_DEP_2) | instskip(SKIP_2) | instid1(VALU_DEP_3)
	v_xor_b32_e32 v7, v8, v7
	v_and_b32_e32 v8, v4, v34
	v_bfe_u32 v4, v4, s94, 2
	v_cndmask_b32_e64 v7, 0xffff, v7, s9
	s_delay_alu instid0(VALU_DEP_3)
	v_cmp_eq_u32_e32 vcc_lo, v8, v30
	v_and_b32_e32 v8, v5, v34
	v_bfe_u32 v5, v5, s94, 2
	v_cmp_eq_u32_e64 s8, 1, v4
	v_cmp_eq_u32_e64 s7, 0, v4
	;; [unrolled: 1-line block ×5, first 2 shown]
	v_and_b32_e32 v8, v6, v34
	v_cmp_eq_u32_e64 s11, 3, v4
	v_and_b32_e32 v4, v7, v34
	v_bfe_u32 v6, v6, s94, 2
	v_bfe_u32 v7, v7, s94, 2
	v_cmp_eq_u32_e64 s13, 1, v5
	v_cmp_eq_u32_e64 s15, 3, v5
	s_and_b32 s64, s6, s12
	s_and_b32 s58, vcc_lo, s8
	v_cmp_eq_u32_e64 s14, 2, v5
	v_cmp_eq_u32_e64 s16, v8, v30
	;; [unrolled: 1-line block ×5, first 2 shown]
	s_and_b32 s53, vcc_lo, s7
	v_cmp_eq_u32_e64 s7, 1, v6
	v_cmp_eq_u32_e64 s8, 2, v6
	s_and_b32 s36, vcc_lo, s9
	v_cmp_eq_u32_e64 s9, 3, v6
	s_wait_alu 0xfffe
	v_cndmask_b32_e64 v5, 0, 1, s64
	v_cndmask_b32_e64 v6, 0, 1, s58
	;; [unrolled: 1-line block ×4, first 2 shown]
	s_and_b32 s59, s6, s13
	s_and_b32 s11, vcc_lo, s11
	s_and_b32 s15, s6, s15
	v_cmp_eq_u32_e64 s12, 1, v7
	v_cmp_eq_u32_e64 s13, 2, v7
	s_and_b32 s37, s6, s14
	v_cmp_eq_u32_e64 s14, 3, v7
	s_wait_alu 0xfffe
	v_cndmask_b32_e64 v7, 0, 1, s59
	v_cmp_ne_u32_e64 s6, 0, v5
	v_cndmask_b32_e64 v5, 0, 1, s11
	v_cmp_ne_u32_e64 s11, 0, v6
	v_cndmask_b32_e64 v6, 0, 1, s15
	s_and_b32 s15, s16, s18
	s_and_b32 s18, s17, s19
	v_cmp_ne_u32_e32 vcc_lo, 0, v4
	v_cndmask_b32_e64 v4, 0, 1, s37
	s_and_b32 s37, s16, s8
	v_cmp_ne_u32_e64 s8, 0, v8
	s_wait_alu 0xfffe
	v_cndmask_b32_e64 v8, 0, 1, s18
	s_and_b32 s19, s16, s7
	s_and_b32 s16, s16, s9
	v_cmp_ne_u32_e64 s7, 0, v7
	v_cndmask_b32_e64 v7, 0, 1, s15
	v_cmp_ne_u32_e64 s9, 0, v4
	s_wait_alu 0xfffe
	v_cndmask_b32_e64 v4, 0, 1, s19
	v_cmp_ne_u32_e64 s15, 0, v8
	v_cndmask_b32_e64 v8, 0, 1, s16
	s_and_b32 s36, s17, s12
	s_and_b32 s38, s17, s13
	v_cmp_ne_u32_e64 s13, 0, v6
	v_cndmask_b32_e64 v6, 0, 1, s37
	s_and_b32 s17, s17, s14
	v_cmp_ne_u32_e64 s14, 0, v7
	v_cmp_ne_u32_e64 s12, 0, v5
	s_wait_alu 0xfffe
	v_cndmask_b32_e64 v5, 0, 1, s36
	v_cmp_ne_u32_e64 s16, 0, v4
	s_bcnt1_i32_b32 s36, s8
	v_cmp_ne_u32_e64 s8, 0, v8
	v_cndmask_b32_e64 v7, 0, 1, s38
	s_bcnt1_i32_b32 s18, s6
	v_cmp_ne_u32_e64 s6, 0, v6
	v_cndmask_b32_e64 v4, 0, 1, s17
	s_bcnt1_i32_b32 s17, vcc_lo
	s_bcnt1_i32_b32 s14, s14
	v_cmp_ne_u32_e32 vcc_lo, 0, v5
	s_bcnt1_i32_b32 s11, s11
	s_bcnt1_i32_b32 s12, s12
	;; [unrolled: 1-line block ×4, first 2 shown]
	s_wait_alu 0xfffe
	s_add_co_i32 s14, s14, s17
	s_bcnt1_i32_b32 s19, s7
	v_cmp_ne_u32_e64 s7, 0, v7
	s_bcnt1_i32_b32 s15, s15
	s_bcnt1_i32_b32 s6, s6
	s_add_co_i32 s11, s16, s11
	s_add_co_i32 s8, s8, s12
	s_wait_alu 0xfffe
	s_add_co_i32 s12, s14, s18
	s_bcnt1_i32_b32 s37, s9
	v_cmp_ne_u32_e64 s9, 0, v4
	s_bcnt1_i32_b32 s38, vcc_lo
	s_add_co_i32 s6, s6, s36
	s_add_co_i32 s11, s11, s19
	s_wait_alu 0xfffe
	s_add_co_i32 s64, s12, s15
	s_bcnt1_i32_b32 s13, s13
	s_bcnt1_i32_b32 s7, s7
	s_add_co_i32 s6, s6, s37
	s_wait_alu 0xfffe
	s_add_nc_u64 s[80:81], s[80:81], s[64:65]
	s_add_co_i32 s64, s11, s38
	s_bcnt1_i32_b32 s9, s9
	s_add_co_i32 s8, s8, s13
	s_wait_alu 0xfffe
	s_add_nc_u64 s[78:79], s[78:79], s[64:65]
	s_add_co_i32 s64, s6, s7
	v_mov_b32_e32 v4, s80
	s_wait_alu 0xfffe
	s_add_nc_u64 s[76:77], s[76:77], s[64:65]
	s_add_co_i32 s64, s8, s9
	v_mov_b32_e32 v6, s78
	s_wait_alu 0xfffe
	s_add_nc_u64 s[74:75], s[74:75], s[64:65]
	v_mov_b32_e32 v8, s76
	s_wait_alu 0xfffe
	v_mov_b32_e32 v10, s74
	v_dual_mov_b32 v11, s75 :: v_dual_add_nc_u32 v36, vcc_hi, v36
	v_mov_b32_e32 v5, s81
	v_mov_b32_e32 v7, s79
	;; [unrolled: 1-line block ×3, first 2 shown]
	s_or_b32 s52, s10, s52
	s_wait_alu 0xfffe
	s_and_not1_b32 exec_lo, exec_lo, s52
	s_cbranch_execnz .LBB142_90
; %bb.91:                               ;   in Loop: Header=BB142_32 Depth=1
	s_or_b32 exec_lo, exec_lo, s52
.LBB142_92:                             ;   in Loop: Header=BB142_32 Depth=1
	s_delay_alu instid0(SALU_CYCLE_1)
	s_or_b32 exec_lo, exec_lo, s104
	v_add_co_u32 v21, vcc_lo, v21, v0
	s_wait_alu 0xfffd
	v_add_co_ci_u32_e64 v22, null, 0, v22, vcc_lo
	s_and_b32 s64, s72, 0x7fffffff
	s_mov_b32 s11, exec_lo
	s_wait_alu 0xfffe
	v_cmpx_gt_u64_e64 s[64:65], v[21:22]
	s_cbranch_execz .LBB142_96
; %bb.93:                               ;   in Loop: Header=BB142_32 Depth=1
	s_mul_i32 s82, s82, s73
	s_lshl_b32 s13, s73, 1
	s_wait_alu 0xfffe
	v_lshl_add_u32 v23, s82, 3, v26
	s_mov_b32 s12, 0
.LBB142_94:                             ;   Parent Loop BB142_32 Depth=1
                                        ; =>  This Inner Loop Header: Depth=2
	ds_load_u16 v24, v23
	v_add_co_u32 v21, vcc_lo, v21, v2
	s_wait_alu 0xfffd
	v_add_co_ci_u32_e64 v22, null, 0, v22, vcc_lo
	v_add_nc_u32_e32 v23, s13, v23
	s_delay_alu instid0(VALU_DEP_2)
	v_cmp_le_u64_e32 vcc_lo, s[64:65], v[21:22]
	s_wait_dscnt 0x0
	v_cmp_lt_i16_e64 s6, -1, v24
	v_and_b32_e32 v36, 0xffff, v24
	v_lshlrev_b32_e32 v24, 16, v24
	s_wait_alu 0xf1ff
	s_delay_alu instid0(VALU_DEP_3) | instskip(NEXT) | instid1(VALU_DEP_2)
	v_cndmask_b32_e64 v37, 0xffff, v33, s6
	v_cmp_o_f32_e64 s6, v24, v24
	s_delay_alu instid0(VALU_DEP_2) | instskip(SKIP_1) | instid1(VALU_DEP_1)
	v_xor_b32_e32 v36, v37, v36
	s_wait_alu 0xf1ff
	v_cndmask_b32_e64 v24, 0xffff, v36, s6
	s_delay_alu instid0(VALU_DEP_1) | instskip(SKIP_1) | instid1(VALU_DEP_2)
	v_and_b32_e32 v36, v24, v34
	v_bfe_u32 v24, v24, s94, 2
	v_cmp_eq_u32_e64 s6, v36, v30
	s_delay_alu instid0(VALU_DEP_2)
	v_cmp_eq_u32_e64 s7, 0, v24
	v_cmp_eq_u32_e64 s8, 1, v24
	v_cmp_eq_u32_e64 s9, 2, v24
	v_cmp_eq_u32_e64 s10, 3, v24
	s_and_b32 s7, s6, s7
	s_wait_alu 0xfffe
	v_cndmask_b32_e64 v24, 0, 1, s7
	s_and_b32 s7, s6, s8
	s_wait_alu 0xfffe
	v_cndmask_b32_e64 v36, 0, 1, s7
	s_and_b32 s7, s6, s9
	s_and_b32 s6, s6, s10
	s_wait_alu 0xfffe
	v_cndmask_b32_e64 v37, 0, 1, s7
	v_cndmask_b32_e64 v38, 0, 1, s6
	v_cmp_ne_u32_e64 s6, 0, v24
	v_cmp_ne_u32_e64 s7, 0, v36
	s_delay_alu instid0(VALU_DEP_4) | instskip(NEXT) | instid1(VALU_DEP_4)
	v_cmp_ne_u32_e64 s8, 0, v37
	v_cmp_ne_u32_e64 s9, 0, v38
	s_bcnt1_i32_b32 s6, s6
	s_bcnt1_i32_b32 s7, s7
	s_wait_alu 0xfffe
	v_add_co_u32 v4, s6, v4, s6
	s_bcnt1_i32_b32 s8, s8
	v_add_co_ci_u32_e64 v5, null, 0, v5, s6
	v_add_co_u32 v6, s6, v6, s7
	s_bcnt1_i32_b32 s9, s9
	v_add_co_ci_u32_e64 v7, null, 0, v7, s6
	s_wait_alu 0xfffe
	v_add_co_u32 v8, s6, v8, s8
	s_wait_alu 0xf1ff
	v_add_co_ci_u32_e64 v9, null, 0, v9, s6
	v_add_co_u32 v10, s6, v10, s9
	s_wait_alu 0xf1ff
	v_add_co_ci_u32_e64 v11, null, 0, v11, s6
	s_or_b32 s12, vcc_lo, s12
	s_wait_alu 0xfffe
	s_and_not1_b32 exec_lo, exec_lo, s12
	s_cbranch_execnz .LBB142_94
; %bb.95:                               ;   in Loop: Header=BB142_32 Depth=1
	s_or_b32 exec_lo, exec_lo, s12
.LBB142_96:                             ;   in Loop: Header=BB142_32 Depth=1
	s_delay_alu instid0(SALU_CYCLE_1)
	s_or_b32 exec_lo, exec_lo, s11
	s_lshl_b32 s6, s97, 7
	s_and_saveexec_b32 s7, s1
	s_cbranch_execnz .LBB142_67
	s_branch .LBB142_68
.LBB142_97:                             ;   in Loop: Header=BB142_32 Depth=1
                                        ; implicit-def: $sgpr6_sgpr7
	s_branch .LBB142_76
.LBB142_98:                             ;   in Loop: Header=BB142_32 Depth=1
	s_mov_b32 s8, 0
	s_and_not1_b32 vcc_lo, exec_lo, s91
	s_wait_alu 0xfffe
	s_cbranch_vccnz .LBB142_101
.LBB142_99:                             ;   in Loop: Header=BB142_32 Depth=1
	s_lshl_b32 s9, s97, 10
	s_lshl_b32 s8, s8, 5
	s_wait_alu 0xfffe
	v_add3_u32 v2, s9, s8, v32
	s_mov_b32 s8, s87
.LBB142_100:                            ;   Parent Loop BB142_32 Depth=1
                                        ; =>  This Inner Loop Header: Depth=2
	ds_load_b64 v[6:7], v2
	v_add_nc_u32_e32 v2, 32, v2
	s_wait_alu 0xfffe
	s_add_co_i32 s8, s8, -1
	s_wait_alu 0xfffe
	s_cmp_lg_u32 s8, 0
	s_wait_dscnt 0x0
	v_add_co_u32 v4, vcc_lo, v6, v4
	s_wait_alu 0xfffd
	v_add_co_ci_u32_e64 v5, null, v7, v5, vcc_lo
	s_cbranch_scc1 .LBB142_100
.LBB142_101:                            ;   in Loop: Header=BB142_32 Depth=1
	v_add_lshl_u32 v2, s6, v25, 3
	ds_store_b64 v2, v[4:5] offset:3072
.LBB142_102:                            ;   in Loop: Header=BB142_32 Depth=1
	s_wait_alu 0xfffe
	s_or_b32 exec_lo, exec_lo, s7
	s_lshl_b32 s6, s6, 3
	s_wait_loadcnt_dscnt 0x0
	s_wait_alu 0xfffe
	v_mov_b32_e32 v2, s6
	s_barrier_signal -1
	s_barrier_wait -1
	global_inv scope:SCOPE_SE
	v_cmp_eq_u64_e32 vcc_lo, 1, v[19:20]
	ds_load_b128 v[4:7], v2 offset:3072
	ds_load_b128 v[8:11], v2 offset:3088
	s_lshl_b32 s16, 3, s94
	s_mov_b32 s18, -1
	s_wait_alu 0xfffe
	s_not_b32 s72, s16
                                        ; implicit-def: $sgpr53
                                        ; implicit-def: $sgpr52
	s_wait_dscnt 0x1
	v_cmp_eq_u64_e64 s6, 1, v[4:5]
	s_wait_dscnt 0x0
	v_readfirstlane_b32 s10, v8
	v_readfirstlane_b32 s11, v9
	;; [unrolled: 1-line block ×4, first 2 shown]
	s_and_b32 s19, s6, vcc_lo
	s_mov_b32 s6, -1
	s_wait_alu 0xfffe
	s_and_saveexec_b32 s17, s19
	s_cbranch_execz .LBB142_134
; %bb.103:                              ;   in Loop: Header=BB142_32 Depth=1
	ds_load_b64 v[8:9], v3 offset:5120
	s_wait_loadcnt_dscnt 0x0
	s_barrier_signal -1
	s_barrier_wait -1
	global_inv scope:SCOPE_SE
	v_readfirstlane_b32 s6, v8
	v_readfirstlane_b32 s7, v9
	s_and_saveexec_b32 s12, s0
; %bb.104:                              ;   in Loop: Header=BB142_32 Depth=1
	ds_store_b16 v27, v3
; %bb.105:                              ;   in Loop: Header=BB142_32 Depth=1
	s_wait_alu 0xfffe
	s_or_b32 exec_lo, exec_lo, s12
	v_and_b32_e32 v30, s72, v30
	v_or_b32_e32 v34, s16, v34
	s_mov_b32 s52, -1
	s_mov_b32 s53, 0
	s_cmp_eq_u64 s[6:7], 0
	s_mov_b32 s14, 0
	s_mov_b32 s15, -1
	s_wait_loadcnt_dscnt 0x0
	s_barrier_signal -1
	s_barrier_wait -1
	global_inv scope:SCOPE_SE
                                        ; implicit-def: $vgpr35
	s_cbranch_scc1 .LBB142_119
; %bb.106:                              ;   in Loop: Header=BB142_32 Depth=1
	s_add_nc_u64 s[12:13], s[6:7], s[66:67]
	s_mov_b32 s14, s65
	s_wait_alu 0xfffe
	s_mov_b32 s15, s13
	s_wait_alu 0xfffe
	s_cmp_lg_u64 s[14:15], 0
	s_cbranch_scc0 .LBB142_160
; %bb.107:                              ;   in Loop: Header=BB142_32 Depth=1
	s_cvt_f32_u32 s14, s62
	s_sub_nc_u64 s[74:75], 0, s[62:63]
	s_wait_alu 0xfffe
	s_delay_alu instid0(SALU_CYCLE_1) | instskip(SKIP_1) | instid1(SALU_CYCLE_2)
	s_fmamk_f32 s14, s93, 0x0, s14
	s_wait_alu 0xfffe
	v_s_rcp_f32 s14, s14
	s_delay_alu instid0(TRANS32_DEP_1) | instskip(SKIP_1) | instid1(SALU_CYCLE_2)
	s_mul_f32 s14, s14, 0x5f7ffffc
	s_wait_alu 0xfffe
	s_mul_f32 s15, s14, 0x2f800000
	s_wait_alu 0xfffe
	s_delay_alu instid0(SALU_CYCLE_2) | instskip(SKIP_1) | instid1(SALU_CYCLE_2)
	s_trunc_f32 s15, s15
	s_wait_alu 0xfffe
	s_fmamk_f32 s14, s15, 0xcf800000, s14
	s_cvt_u32_f32 s15, s15
	s_wait_alu 0xfffe
	s_delay_alu instid0(SALU_CYCLE_1) | instskip(SKIP_1) | instid1(SALU_CYCLE_2)
	s_cvt_u32_f32 s14, s14
	s_wait_alu 0xfffe
	s_mul_u64 s[76:77], s[74:75], s[14:15]
	s_wait_alu 0xfffe
	s_mul_hi_u32 s79, s14, s77
	s_mul_i32 s78, s14, s77
	s_mul_hi_u32 s64, s14, s76
	s_mul_i32 s37, s15, s76
	s_wait_alu 0xfffe
	s_add_nc_u64 s[78:79], s[64:65], s[78:79]
	s_mul_hi_u32 s36, s15, s76
	s_mul_hi_u32 s38, s15, s77
	s_wait_alu 0xfffe
	s_add_co_u32 s37, s78, s37
	s_add_co_ci_u32 s64, s79, s36
	s_mul_i32 s76, s15, s77
	s_add_co_ci_u32 s77, s38, 0
	s_wait_alu 0xfffe
	s_add_nc_u64 s[76:77], s[64:65], s[76:77]
	s_wait_alu 0xfffe
	s_add_co_u32 s14, s14, s76
	s_cselect_b32 s36, -1, 0
	s_wait_alu 0xfffe
	s_cmp_lg_u32 s36, 0
	s_add_co_ci_u32 s15, s15, s77
	s_wait_alu 0xfffe
	s_mul_u64 s[74:75], s[74:75], s[14:15]
	s_wait_alu 0xfffe
	s_mul_hi_u32 s77, s14, s75
	s_mul_i32 s76, s14, s75
	s_mul_hi_u32 s64, s14, s74
	s_mul_i32 s37, s15, s74
	s_wait_alu 0xfffe
	s_add_nc_u64 s[76:77], s[64:65], s[76:77]
	s_mul_hi_u32 s36, s15, s74
	s_mul_hi_u32 s38, s15, s75
	s_wait_alu 0xfffe
	s_add_co_u32 s37, s76, s37
	s_add_co_ci_u32 s64, s77, s36
	s_mul_i32 s74, s15, s75
	s_add_co_ci_u32 s75, s38, 0
	s_wait_alu 0xfffe
	s_add_nc_u64 s[74:75], s[64:65], s[74:75]
	s_wait_alu 0xfffe
	s_add_co_u32 s14, s14, s74
	s_cselect_b32 s36, -1, 0
	s_wait_alu 0xfffe
	s_mul_hi_u32 s64, s12, s14
	s_cmp_lg_u32 s36, 0
	s_mul_hi_u32 s36, s13, s14
	s_add_co_ci_u32 s37, s15, s75
	s_mul_i32 s38, s13, s14
	s_wait_alu 0xfffe
	s_mul_hi_u32 s15, s12, s37
	s_mul_i32 s14, s12, s37
	s_mul_hi_u32 s39, s13, s37
	s_wait_alu 0xfffe
	s_add_nc_u64 s[14:15], s[64:65], s[14:15]
	s_mul_i32 s74, s13, s37
	s_wait_alu 0xfffe
	s_add_co_u32 s14, s14, s38
	s_add_co_ci_u32 s64, s15, s36
	s_add_co_ci_u32 s75, s39, 0
	s_wait_alu 0xfffe
	s_add_nc_u64 s[14:15], s[64:65], s[74:75]
	s_wait_alu 0xfffe
	s_mul_u64 s[14:15], s[62:63], s[14:15]
	s_wait_alu 0xfffe
	s_sub_co_u32 s14, s12, s14
	s_cselect_b32 s36, -1, 0
	s_wait_alu 0xfffe
	s_cmp_lg_u32 s36, 0
	s_sub_co_ci_u32 s15, s13, s15
	s_sub_co_u32 s36, s14, s62
	s_cselect_b32 s37, -1, 0
	s_wait_alu 0xfffe
	s_cmp_lg_u32 s37, 0
	s_sub_co_ci_u32 s37, s15, 0
	;; [unrolled: 5-line block ×3, first 2 shown]
	s_cmp_ge_u32 s36, s62
	s_cselect_b32 s58, -1, 0
	s_cmp_eq_u32 s37, 0
	s_wait_alu 0xfffe
	s_cselect_b32 s58, s58, -1
	s_wait_alu 0xfffe
	s_cmp_lg_u32 s58, 0
	s_cselect_b32 s37, s39, s37
	s_cselect_b32 s36, s38, s36
	s_cmp_ge_u32 s14, s62
	s_cselect_b32 s38, -1, 0
	s_cmp_eq_u32 s15, 0
	s_wait_alu 0xfffe
	s_cselect_b32 s38, s38, -1
	s_wait_alu 0xfffe
	s_cmp_lg_u32 s38, 0
	s_cselect_b32 s15, s37, s15
	s_cselect_b32 s14, s36, s14
	s_cbranch_execnz .LBB142_109
.LBB142_108:                            ;   in Loop: Header=BB142_32 Depth=1
	v_cvt_f32_u32_e32 v2, s62
	s_sub_co_i32 s15, 0, s62
	s_delay_alu instid0(VALU_DEP_1) | instskip(NEXT) | instid1(TRANS32_DEP_1)
	v_rcp_iflag_f32_e32 v2, v2
	v_mul_f32_e32 v2, 0x4f7ffffe, v2
	s_delay_alu instid0(VALU_DEP_1) | instskip(NEXT) | instid1(VALU_DEP_1)
	v_cvt_u32_f32_e32 v2, v2
	v_readfirstlane_b32 s14, v2
	s_wait_alu 0xfffe
	s_mul_i32 s15, s15, s14
	s_wait_alu 0xfffe
	s_mul_hi_u32 s15, s14, s15
	s_wait_alu 0xfffe
	s_add_co_i32 s14, s14, s15
	s_wait_alu 0xfffe
	s_mul_hi_u32 s14, s12, s14
	s_wait_alu 0xfffe
	s_mul_i32 s14, s14, s62
	s_wait_alu 0xfffe
	s_sub_co_i32 s14, s12, s14
	s_wait_alu 0xfffe
	s_sub_co_i32 s15, s14, s62
	s_cmp_ge_u32 s14, s62
	s_wait_alu 0xfffe
	s_cselect_b32 s14, s15, s14
	s_wait_alu 0xfffe
	s_sub_co_i32 s15, s14, s62
	s_cmp_ge_u32 s14, s62
	s_wait_alu 0xfffe
	s_cselect_b32 s64, s15, s14
	s_wait_alu 0xfffe
	s_mov_b64 s[14:15], s[64:65]
.LBB142_109:                            ;   in Loop: Header=BB142_32 Depth=1
	s_wait_alu 0xfffe
	s_sub_nc_u64 s[12:13], s[12:13], s[14:15]
	s_mov_b32 s15, 0
	s_mov_b32 s14, 0
	s_mov_b32 s64, exec_lo
                                        ; implicit-def: $vgpr35
	s_wait_alu 0xfffe
	v_cmpx_gt_u64_e64 s[12:13], v[0:1]
	s_cbranch_execz .LBB142_118
; %bb.110:                              ;   in Loop: Header=BB142_32 Depth=1
	v_dual_mov_b32 v2, v26 :: v_dual_mov_b32 v9, v1
	v_mov_b32_e32 v8, v0
                                        ; implicit-def: $sgpr73
	s_branch .LBB142_113
.LBB142_111:                            ;   in Loop: Header=BB142_113 Depth=2
	s_wait_alu 0xfffe
	s_or_b32 exec_lo, exec_lo, s74
	s_wait_loadcnt_dscnt 0x0
	s_barrier_signal -1
	s_barrier_wait -1
	global_inv scope:SCOPE_SE
	ds_load_b32 v10, v3 offset:3072
	s_mov_b32 s74, -1
	s_mov_b32 s75, -1
	s_wait_loadcnt_dscnt 0x0
	s_barrier_signal -1
	s_barrier_wait -1
	global_inv scope:SCOPE_SE
	v_and_b32_e32 v11, 0x7fff, v10
	s_delay_alu instid0(VALU_DEP_1)
	v_cmp_ne_u32_e32 vcc_lo, 0, v11
	s_cbranch_vccz .LBB142_116
.LBB142_112:                            ;   in Loop: Header=BB142_113 Depth=2
	s_wait_alu 0xfffe
	s_and_b32 s36, exec_lo, s74
	s_wait_alu 0xfffe
	s_or_b32 s14, s36, s14
	s_and_not1_b32 s36, s73, exec_lo
	s_and_b32 s37, s75, exec_lo
	s_wait_alu 0xfffe
	s_or_b32 s73, s36, s37
	s_and_not1_b32 exec_lo, exec_lo, s14
	s_cbranch_execz .LBB142_117
.LBB142_113:                            ;   Parent Loop BB142_32 Depth=1
                                        ; =>  This Inner Loop Header: Depth=2
	s_mov_b32 s74, exec_lo
	s_delay_alu instid0(VALU_DEP_1)
	v_cmpx_gt_u64_e64 s[6:7], v[8:9]
	s_cbranch_execz .LBB142_111
; %bb.114:                              ;   in Loop: Header=BB142_113 Depth=2
	ds_load_u16 v10, v2
	s_wait_dscnt 0x0
	v_cmp_lt_i16_e32 vcc_lo, -1, v10
	v_and_b32_e32 v11, 0xffff, v10
	s_wait_alu 0xfffd
	v_dual_cndmask_b32 v21, 0xffff, v33 :: v_dual_lshlrev_b32 v22, 16, v10
	s_delay_alu instid0(VALU_DEP_1) | instskip(NEXT) | instid1(VALU_DEP_2)
	v_cmp_o_f32_e32 vcc_lo, v22, v22
	v_xor_b32_e32 v11, v21, v11
	s_wait_alu 0xfffd
	s_delay_alu instid0(VALU_DEP_1) | instskip(NEXT) | instid1(VALU_DEP_1)
	v_cndmask_b32_e32 v11, 0xffff, v11, vcc_lo
	v_and_b32_e32 v11, v11, v34
	s_delay_alu instid0(VALU_DEP_1)
	v_cmp_eq_u32_e32 vcc_lo, v11, v30
	s_and_b32 exec_lo, exec_lo, vcc_lo
	s_cbranch_execz .LBB142_111
; %bb.115:                              ;   in Loop: Header=BB142_113 Depth=2
	v_perm_b32 v10, v10, s96, 0x5040100
	ds_store_b32 v3, v10 offset:3072
	s_branch .LBB142_111
.LBB142_116:                            ;   in Loop: Header=BB142_113 Depth=2
	v_add_co_u32 v8, vcc_lo, v8, s62
	s_wait_alu 0xfffd
	v_add_co_ci_u32_e64 v9, null, 0, v9, vcc_lo
	v_add_nc_u32_e32 v2, s92, v2
	s_mov_b32 s75, 0
	s_delay_alu instid0(VALU_DEP_2)
	v_cmp_le_u64_e32 vcc_lo, s[12:13], v[8:9]
	s_or_not1_b32 s74, vcc_lo, exec_lo
	s_branch .LBB142_112
.LBB142_117:                            ;   in Loop: Header=BB142_32 Depth=1
	s_or_b32 exec_lo, exec_lo, s14
	v_lshrrev_b32_e32 v35, 16, v10
	s_wait_alu 0xfffe
	s_and_b32 s14, s73, exec_lo
.LBB142_118:                            ;   in Loop: Header=BB142_32 Depth=1
	s_or_b32 exec_lo, exec_lo, s64
.LBB142_119:                            ;   in Loop: Header=BB142_32 Depth=1
	s_wait_alu 0xfffe
	s_and_b32 vcc_lo, exec_lo, s15
	s_wait_alu 0xfffe
	s_cbranch_vccz .LBB142_133
; %bb.120:                              ;   in Loop: Header=BB142_32 Depth=1
	s_mov_b32 s6, s65
	s_mov_b32 s7, s69
	s_wait_alu 0xfffe
	s_cmp_lg_u64 s[6:7], 0
	s_cbranch_scc0 .LBB142_164
; %bb.121:                              ;   in Loop: Header=BB142_32 Depth=1
	s_cvt_f32_u32 s6, s62
	s_sub_nc_u64 s[12:13], 0, s[62:63]
	s_wait_alu 0xfffe
	s_delay_alu instid0(SALU_CYCLE_1) | instskip(SKIP_1) | instid1(SALU_CYCLE_2)
	s_fmamk_f32 s6, s93, 0x0, s6
	s_wait_alu 0xfffe
	v_s_rcp_f32 s6, s6
	s_delay_alu instid0(TRANS32_DEP_1) | instskip(SKIP_1) | instid1(SALU_CYCLE_2)
	s_mul_f32 s6, s6, 0x5f7ffffc
	s_wait_alu 0xfffe
	s_mul_f32 s7, s6, 0x2f800000
	s_wait_alu 0xfffe
	s_delay_alu instid0(SALU_CYCLE_2) | instskip(SKIP_1) | instid1(SALU_CYCLE_2)
	s_trunc_f32 s7, s7
	s_wait_alu 0xfffe
	s_fmamk_f32 s6, s7, 0xcf800000, s6
	s_cvt_u32_f32 s7, s7
	s_wait_alu 0xfffe
	s_delay_alu instid0(SALU_CYCLE_1) | instskip(SKIP_1) | instid1(SALU_CYCLE_2)
	s_cvt_u32_f32 s6, s6
	s_wait_alu 0xfffe
	s_mul_u64 s[52:53], s[12:13], s[6:7]
	s_wait_alu 0xfffe
	s_mul_hi_u32 s75, s6, s53
	s_mul_i32 s74, s6, s53
	s_mul_hi_u32 s64, s6, s52
	s_mul_i32 s36, s7, s52
	s_wait_alu 0xfffe
	s_add_nc_u64 s[74:75], s[64:65], s[74:75]
	s_mul_hi_u32 s15, s7, s52
	s_mul_hi_u32 s37, s7, s53
	s_wait_alu 0xfffe
	s_add_co_u32 s36, s74, s36
	s_add_co_ci_u32 s64, s75, s15
	s_mul_i32 s52, s7, s53
	s_add_co_ci_u32 s53, s37, 0
	s_wait_alu 0xfffe
	s_add_nc_u64 s[52:53], s[64:65], s[52:53]
	s_wait_alu 0xfffe
	s_add_co_u32 s6, s6, s52
	s_cselect_b32 s15, -1, 0
	s_wait_alu 0xfffe
	s_cmp_lg_u32 s15, 0
	s_add_co_ci_u32 s7, s7, s53
	s_wait_alu 0xfffe
	s_mul_u64 s[12:13], s[12:13], s[6:7]
	s_wait_alu 0xfffe
	s_mul_hi_u32 s53, s6, s13
	s_mul_i32 s52, s6, s13
	s_mul_hi_u32 s64, s6, s12
	s_mul_i32 s36, s7, s12
	s_wait_alu 0xfffe
	s_add_nc_u64 s[52:53], s[64:65], s[52:53]
	s_mul_hi_u32 s15, s7, s12
	s_mul_hi_u32 s37, s7, s13
	s_mul_i32 s12, s7, s13
	s_wait_alu 0xfffe
	s_add_co_u32 s13, s52, s36
	s_add_co_ci_u32 s64, s53, s15
	s_add_co_ci_u32 s13, s37, 0
	s_wait_alu 0xfffe
	s_add_nc_u64 s[12:13], s[64:65], s[12:13]
	s_wait_alu 0xfffe
	s_add_co_u32 s6, s6, s12
	s_cselect_b32 s12, -1, 0
	s_wait_alu 0xfffe
	s_mul_hi_u32 s64, s68, s6
	s_cmp_lg_u32 s12, 0
	s_mul_hi_u32 s15, s69, s6
	s_add_co_ci_u32 s12, s7, s13
	s_mul_i32 s13, s69, s6
	s_wait_alu 0xfffe
	s_mul_hi_u32 s7, s68, s12
	s_mul_i32 s6, s68, s12
	s_mul_hi_u32 s36, s69, s12
	s_wait_alu 0xfffe
	s_add_nc_u64 s[6:7], s[64:65], s[6:7]
	s_mul_i32 s12, s69, s12
	s_wait_alu 0xfffe
	s_add_co_u32 s6, s6, s13
	s_add_co_ci_u32 s64, s7, s15
	s_add_co_ci_u32 s13, s36, 0
	s_wait_alu 0xfffe
	s_add_nc_u64 s[6:7], s[64:65], s[12:13]
	s_wait_alu 0xfffe
	s_mul_u64 s[6:7], s[62:63], s[6:7]
	s_wait_alu 0xfffe
	s_sub_co_u32 s6, s68, s6
	s_cselect_b32 s12, -1, 0
	s_wait_alu 0xfffe
	s_cmp_lg_u32 s12, 0
	s_sub_co_ci_u32 s7, s69, s7
	s_sub_co_u32 s12, s6, s62
	s_cselect_b32 s13, -1, 0
	s_wait_alu 0xfffe
	s_cmp_lg_u32 s13, 0
	s_sub_co_ci_u32 s13, s7, 0
	;; [unrolled: 5-line block ×3, first 2 shown]
	s_cmp_ge_u32 s12, s62
	s_cselect_b32 s37, -1, 0
	s_cmp_eq_u32 s13, 0
	s_wait_alu 0xfffe
	s_cselect_b32 s37, s37, -1
	s_wait_alu 0xfffe
	s_cmp_lg_u32 s37, 0
	s_cselect_b32 s13, s36, s13
	s_cselect_b32 s12, s15, s12
	s_cmp_ge_u32 s6, s62
	s_cselect_b32 s15, -1, 0
	s_cmp_eq_u32 s7, 0
	s_wait_alu 0xfffe
	s_cselect_b32 s15, s15, -1
	s_wait_alu 0xfffe
	s_cmp_lg_u32 s15, 0
	s_cselect_b32 s7, s13, s7
	s_cselect_b32 s6, s12, s6
	s_cbranch_execnz .LBB142_123
.LBB142_122:                            ;   in Loop: Header=BB142_32 Depth=1
	v_cvt_f32_u32_e32 v2, s62
	s_sub_co_i32 s7, 0, s62
	s_delay_alu instid0(VALU_DEP_1) | instskip(NEXT) | instid1(TRANS32_DEP_1)
	v_rcp_iflag_f32_e32 v2, v2
	v_mul_f32_e32 v2, 0x4f7ffffe, v2
	s_delay_alu instid0(VALU_DEP_1) | instskip(NEXT) | instid1(VALU_DEP_1)
	v_cvt_u32_f32_e32 v2, v2
	v_readfirstlane_b32 s6, v2
	s_wait_alu 0xfffe
	s_mul_i32 s7, s7, s6
	s_wait_alu 0xfffe
	s_mul_hi_u32 s7, s6, s7
	s_wait_alu 0xfffe
	s_add_co_i32 s6, s6, s7
	s_wait_alu 0xfffe
	s_mul_hi_u32 s6, s68, s6
	s_wait_alu 0xfffe
	s_mul_i32 s6, s6, s62
	s_wait_alu 0xfffe
	s_sub_co_i32 s6, s68, s6
	s_wait_alu 0xfffe
	s_sub_co_i32 s7, s6, s62
	s_cmp_ge_u32 s6, s62
	s_wait_alu 0xfffe
	s_cselect_b32 s6, s7, s6
	s_wait_alu 0xfffe
	s_sub_co_i32 s7, s6, s62
	s_cmp_ge_u32 s6, s62
	s_wait_alu 0xfffe
	s_cselect_b32 s64, s7, s6
	s_wait_alu 0xfffe
	s_mov_b64 s[6:7], s[64:65]
.LBB142_123:                            ;   in Loop: Header=BB142_32 Depth=1
	s_wait_alu 0xfffe
	s_sub_nc_u64 s[6:7], s[68:69], s[6:7]
	s_mov_b32 s12, exec_lo
                                        ; implicit-def: $vgpr35
	s_wait_alu 0xfffe
	v_cmpx_gt_u64_e64 s[6:7], v[0:1]
	s_cbranch_execz .LBB142_132
; %bb.124:                              ;   in Loop: Header=BB142_32 Depth=1
	v_dual_mov_b32 v9, v1 :: v_dual_mov_b32 v8, v0
	s_mov_b32 s13, 0
                                        ; implicit-def: $sgpr15
	s_branch .LBB142_127
.LBB142_125:                            ;   in Loop: Header=BB142_127 Depth=2
	s_wait_alu 0xfffe
	s_or_b32 exec_lo, exec_lo, s52
	s_wait_loadcnt_dscnt 0x0
	s_barrier_signal -1
	s_barrier_wait -1
	global_inv scope:SCOPE_SE
	ds_load_b32 v2, v3 offset:3072
	s_mov_b32 s53, -1
	s_mov_b32 s52, -1
	s_wait_loadcnt_dscnt 0x0
	s_barrier_signal -1
	s_barrier_wait -1
	global_inv scope:SCOPE_SE
	v_and_b32_e32 v10, 0x7fff, v2
	s_delay_alu instid0(VALU_DEP_1)
	v_cmp_ne_u32_e32 vcc_lo, 0, v10
	s_cbranch_vccz .LBB142_130
.LBB142_126:                            ;   in Loop: Header=BB142_127 Depth=2
	s_wait_alu 0xfffe
	s_and_b32 s36, exec_lo, s53
	s_wait_alu 0xfffe
	s_or_b32 s13, s36, s13
	s_and_not1_b32 s15, s15, exec_lo
	s_and_b32 s36, s52, exec_lo
	s_wait_alu 0xfffe
	s_or_b32 s15, s15, s36
	s_and_not1_b32 exec_lo, exec_lo, s13
	s_cbranch_execz .LBB142_131
.LBB142_127:                            ;   Parent Loop BB142_32 Depth=1
                                        ; =>  This Inner Loop Header: Depth=2
	s_mov_b32 s52, exec_lo
	s_delay_alu instid0(VALU_DEP_1)
	v_cmpx_gt_u64_e64 s[20:21], v[8:9]
	s_cbranch_execz .LBB142_125
; %bb.128:                              ;   in Loop: Header=BB142_127 Depth=2
	v_mul_lo_u32 v2, v9, s46
	v_mul_lo_u32 v21, v8, s47
	v_mad_co_u64_u32 v[10:11], null, v8, s46, 0
	s_delay_alu instid0(VALU_DEP_1) | instskip(NEXT) | instid1(VALU_DEP_1)
	v_add3_u32 v11, v11, v21, v2
	v_lshlrev_b64_e32 v[10:11], 1, v[10:11]
	s_delay_alu instid0(VALU_DEP_1) | instskip(SKIP_1) | instid1(VALU_DEP_2)
	v_add_co_u32 v10, vcc_lo, s54, v10
	s_wait_alu 0xfffd
	v_add_co_ci_u32_e64 v11, null, s55, v11, vcc_lo
	global_load_u16 v2, v[10:11], off
	s_wait_loadcnt 0x0
	v_cmp_lt_i16_e32 vcc_lo, -1, v2
	v_and_b32_e32 v10, 0xffff, v2
	v_lshlrev_b32_e32 v21, 16, v2
	s_wait_alu 0xfffd
	v_cndmask_b32_e32 v11, 0xffff, v33, vcc_lo
	s_delay_alu instid0(VALU_DEP_2) | instskip(NEXT) | instid1(VALU_DEP_2)
	v_cmp_o_f32_e32 vcc_lo, v21, v21
	v_xor_b32_e32 v10, v11, v10
	s_wait_alu 0xfffd
	s_delay_alu instid0(VALU_DEP_1) | instskip(NEXT) | instid1(VALU_DEP_1)
	v_cndmask_b32_e32 v10, 0xffff, v10, vcc_lo
	v_and_b32_e32 v10, v10, v34
	s_delay_alu instid0(VALU_DEP_1)
	v_cmp_eq_u32_e32 vcc_lo, v10, v30
	s_and_b32 exec_lo, exec_lo, vcc_lo
	s_cbranch_execz .LBB142_125
; %bb.129:                              ;   in Loop: Header=BB142_127 Depth=2
	v_perm_b32 v2, v2, s96, 0x5040100
	ds_store_b32 v3, v2 offset:3072
	s_branch .LBB142_125
.LBB142_130:                            ;   in Loop: Header=BB142_127 Depth=2
	v_add_co_u32 v8, vcc_lo, v8, s62
	s_wait_alu 0xfffd
	v_add_co_ci_u32_e64 v9, null, 0, v9, vcc_lo
	s_mov_b32 s52, 0
	v_cmp_le_u64_e32 vcc_lo, s[6:7], v[8:9]
	s_or_not1_b32 s53, vcc_lo, exec_lo
	s_branch .LBB142_126
.LBB142_131:                            ;   in Loop: Header=BB142_32 Depth=1
	s_or_b32 exec_lo, exec_lo, s13
	v_lshrrev_b32_e32 v35, 16, v2
	s_and_not1_b32 s6, s14, exec_lo
	s_wait_alu 0xfffe
	s_and_b32 s7, s15, exec_lo
	s_wait_alu 0xfffe
	s_or_b32 s14, s6, s7
.LBB142_132:                            ;   in Loop: Header=BB142_32 Depth=1
	s_or_b32 exec_lo, exec_lo, s12
	s_mov_b32 s52, 0
	s_mov_b32 s53, -1
.LBB142_133:                            ;   in Loop: Header=BB142_32 Depth=1
	s_wait_alu 0xfffe
	s_or_not1_b32 s6, s14, exec_lo
.LBB142_134:                            ;   in Loop: Header=BB142_32 Depth=1
	s_wait_alu 0xfffe
	s_or_b32 exec_lo, exec_lo, s17
	s_delay_alu instid0(SALU_CYCLE_1)
	s_and_not1_b32 s7, s102, exec_lo
	s_and_b32 s12, s53, exec_lo
	s_and_not1_b32 s13, s100, exec_lo
	s_and_b32 s14, s52, exec_lo
	s_and_not1_b32 s99, s99, exec_lo
	s_wait_alu 0xfffe
	s_or_b32 s102, s7, s12
	s_or_b32 s100, s13, s14
                                        ; implicit-def: $vgpr8_vgpr9
	s_and_saveexec_b32 s17, s6
	s_cbranch_execz .LBB142_31
; %bb.135:                              ;   in Loop: Header=BB142_32 Depth=1
	v_mov_b32_e32 v8, 1
	v_dual_mov_b32 v9, 0 :: v_dual_mov_b32 v2, 1
	s_xor_b32 s12, s19, -1
	s_mov_b32 s7, 0
	s_wait_alu 0xfffe
	s_and_saveexec_b32 s6, s12
	s_cbranch_execz .LBB142_144
; %bb.136:                              ;   in Loop: Header=BB142_32 Depth=1
	s_mov_b32 s7, exec_lo
	v_cmpx_le_u64_e64 v[19:20], v[4:5]
	s_wait_alu 0xfffe
	s_xor_b32 s7, exec_lo, s7
	s_cbranch_execz .LBB142_141
; %bb.137:                              ;   in Loop: Header=BB142_32 Depth=1
	ds_load_b64 v[8:9], v3 offset:5120
	v_and_b32_e32 v30, s72, v30
	v_or_b32_e32 v34, s16, v34
	s_wait_dscnt 0x0
	v_cmp_ne_u64_e32 vcc_lo, 0, v[8:9]
	s_cbranch_vccnz .LBB142_141
; %bb.138:                              ;   in Loop: Header=BB142_32 Depth=1
	s_and_saveexec_b32 s12, s3
; %bb.139:                              ;   in Loop: Header=BB142_32 Depth=1
	ds_store_b64 v3, v[4:5] offset:5128
; %bb.140:                              ;   in Loop: Header=BB142_32 Depth=1
	s_wait_alu 0xfffe
	s_or_b32 exec_lo, exec_lo, s12
	s_wait_loadcnt_dscnt 0x0
	s_barrier_signal -1
	s_barrier_wait -1
	global_inv scope:SCOPE_SE
.LBB142_141:                            ;   in Loop: Header=BB142_32 Depth=1
	s_wait_alu 0xfffe
	s_or_saveexec_b32 s7, s7
	v_mov_b32_e32 v2, 8
	s_mov_b32 s12, 0
	s_wait_alu 0xfffe
	s_xor_b32 exec_lo, exec_lo, s7
; %bb.142:                              ;   in Loop: Header=BB142_32 Depth=1
	v_sub_co_u32 v19, vcc_lo, v19, v4
	s_wait_alu 0xfffd
	v_sub_co_ci_u32_e64 v20, null, v20, v5, vcc_lo
	v_mov_b32_e32 v2, 0
	s_mov_b32 s12, exec_lo
; %bb.143:                              ;   in Loop: Header=BB142_32 Depth=1
	s_or_b32 exec_lo, exec_lo, s7
	s_delay_alu instid0(VALU_DEP_2)
	v_dual_mov_b32 v8, v19 :: v_dual_mov_b32 v9, v20
	s_wait_alu 0xfffe
	s_and_b32 s7, s12, exec_lo
.LBB142_144:                            ;   in Loop: Header=BB142_32 Depth=1
	s_wait_alu 0xfffe
	s_or_b32 exec_lo, exec_lo, s6
	s_mov_b32 s18, -1
	s_mov_b32 s6, -1
                                        ; implicit-def: $sgpr73
                                        ; implicit-def: $sgpr74
	s_and_saveexec_b32 s12, s7
	s_wait_alu 0xfffe
	s_xor_b32 s19, exec_lo, s12
	s_cbranch_execz .LBB142_289
; %bb.145:                              ;   in Loop: Header=BB142_32 Depth=1
	v_cmp_eq_u64_e32 vcc_lo, 1, v[6:7]
	v_cmp_eq_u64_e64 s6, 1, v[8:9]
                                        ; implicit-def: $sgpr74
                                        ; implicit-def: $sgpr73
	s_and_b32 s76, vcc_lo, s6
	s_mov_b32 s6, -1
	s_wait_alu 0xfffe
	s_and_saveexec_b32 s75, s76
	s_cbranch_execz .LBB142_182
; %bb.146:                              ;   in Loop: Header=BB142_32 Depth=1
	ds_load_b64 v[4:5], v3 offset:5120
	s_wait_loadcnt_dscnt 0x0
	s_barrier_signal -1
	s_barrier_wait -1
	global_inv scope:SCOPE_SE
	v_readfirstlane_b32 s6, v4
	v_readfirstlane_b32 s7, v5
	s_and_saveexec_b32 s12, s0
; %bb.147:                              ;   in Loop: Header=BB142_32 Depth=1
	ds_store_b16 v27, v3
; %bb.148:                              ;   in Loop: Header=BB142_32 Depth=1
	s_wait_alu 0xfffe
	s_or_b32 exec_lo, exec_lo, s12
	s_lshl_b32 s12, 1, s94
	v_or_b32_e32 v34, s16, v34
	s_wait_alu 0xfffe
	v_and_or_b32 v30, v30, s72, s12
	s_mov_b32 s73, -1
	s_mov_b32 s74, 0
	s_cmp_eq_u64 s[6:7], 0
	s_mov_b32 s14, 0
	s_mov_b32 s15, -1
	s_wait_loadcnt_dscnt 0x0
	s_barrier_signal -1
	s_barrier_wait -1
	global_inv scope:SCOPE_SE
                                        ; implicit-def: $vgpr35
	s_cbranch_scc1 .LBB142_167
; %bb.149:                              ;   in Loop: Header=BB142_32 Depth=1
	s_add_nc_u64 s[12:13], s[6:7], s[66:67]
	s_mov_b32 s14, s65
	s_wait_alu 0xfffe
	s_mov_b32 s15, s13
	s_wait_alu 0xfffe
	s_cmp_lg_u64 s[14:15], 0
	s_cbranch_scc0 .LBB142_209
; %bb.150:                              ;   in Loop: Header=BB142_32 Depth=1
	s_cvt_f32_u32 s14, s62
	s_sub_nc_u64 s[52:53], 0, s[62:63]
	s_wait_alu 0xfffe
	s_delay_alu instid0(SALU_CYCLE_1) | instskip(SKIP_1) | instid1(SALU_CYCLE_2)
	s_fmamk_f32 s14, s93, 0x0, s14
	s_wait_alu 0xfffe
	v_s_rcp_f32 s14, s14
	s_delay_alu instid0(TRANS32_DEP_1) | instskip(SKIP_1) | instid1(SALU_CYCLE_2)
	s_mul_f32 s14, s14, 0x5f7ffffc
	s_wait_alu 0xfffe
	s_mul_f32 s15, s14, 0x2f800000
	s_wait_alu 0xfffe
	s_delay_alu instid0(SALU_CYCLE_2) | instskip(SKIP_1) | instid1(SALU_CYCLE_2)
	s_trunc_f32 s15, s15
	s_wait_alu 0xfffe
	s_fmamk_f32 s14, s15, 0xcf800000, s14
	s_cvt_u32_f32 s15, s15
	s_wait_alu 0xfffe
	s_delay_alu instid0(SALU_CYCLE_1) | instskip(SKIP_1) | instid1(SALU_CYCLE_2)
	s_cvt_u32_f32 s14, s14
	s_wait_alu 0xfffe
	s_mul_u64 s[78:79], s[52:53], s[14:15]
	s_wait_alu 0xfffe
	s_mul_hi_u32 s81, s14, s79
	s_mul_i32 s80, s14, s79
	s_mul_hi_u32 s64, s14, s78
	s_mul_i32 s37, s15, s78
	s_wait_alu 0xfffe
	s_add_nc_u64 s[80:81], s[64:65], s[80:81]
	s_mul_hi_u32 s36, s15, s78
	s_mul_hi_u32 s38, s15, s79
	s_wait_alu 0xfffe
	s_add_co_u32 s37, s80, s37
	s_add_co_ci_u32 s64, s81, s36
	s_mul_i32 s78, s15, s79
	s_add_co_ci_u32 s79, s38, 0
	s_wait_alu 0xfffe
	s_add_nc_u64 s[78:79], s[64:65], s[78:79]
	s_wait_alu 0xfffe
	s_add_co_u32 s14, s14, s78
	s_cselect_b32 s36, -1, 0
	s_wait_alu 0xfffe
	s_cmp_lg_u32 s36, 0
	s_add_co_ci_u32 s15, s15, s79
	s_wait_alu 0xfffe
	s_mul_u64 s[52:53], s[52:53], s[14:15]
	s_wait_alu 0xfffe
	s_mul_hi_u32 s79, s14, s53
	s_mul_i32 s78, s14, s53
	s_mul_hi_u32 s64, s14, s52
	s_mul_i32 s37, s15, s52
	s_wait_alu 0xfffe
	s_add_nc_u64 s[78:79], s[64:65], s[78:79]
	s_mul_hi_u32 s36, s15, s52
	s_mul_hi_u32 s38, s15, s53
	s_wait_alu 0xfffe
	s_add_co_u32 s37, s78, s37
	s_add_co_ci_u32 s64, s79, s36
	s_mul_i32 s52, s15, s53
	s_add_co_ci_u32 s53, s38, 0
	s_wait_alu 0xfffe
	s_add_nc_u64 s[52:53], s[64:65], s[52:53]
	s_wait_alu 0xfffe
	s_add_co_u32 s14, s14, s52
	s_cselect_b32 s36, -1, 0
	s_wait_alu 0xfffe
	s_mul_hi_u32 s64, s12, s14
	s_cmp_lg_u32 s36, 0
	s_mul_hi_u32 s36, s13, s14
	s_add_co_ci_u32 s37, s15, s53
	s_mul_i32 s38, s13, s14
	s_wait_alu 0xfffe
	s_mul_hi_u32 s15, s12, s37
	s_mul_i32 s14, s12, s37
	s_mul_hi_u32 s39, s13, s37
	s_wait_alu 0xfffe
	s_add_nc_u64 s[14:15], s[64:65], s[14:15]
	s_mul_i32 s52, s13, s37
	s_wait_alu 0xfffe
	s_add_co_u32 s14, s14, s38
	s_add_co_ci_u32 s64, s15, s36
	s_add_co_ci_u32 s53, s39, 0
	s_wait_alu 0xfffe
	s_add_nc_u64 s[14:15], s[64:65], s[52:53]
	s_wait_alu 0xfffe
	s_mul_u64 s[14:15], s[62:63], s[14:15]
	s_wait_alu 0xfffe
	s_sub_co_u32 s14, s12, s14
	s_cselect_b32 s36, -1, 0
	s_wait_alu 0xfffe
	s_cmp_lg_u32 s36, 0
	s_sub_co_ci_u32 s15, s13, s15
	s_sub_co_u32 s36, s14, s62
	s_cselect_b32 s37, -1, 0
	s_wait_alu 0xfffe
	s_cmp_lg_u32 s37, 0
	s_sub_co_ci_u32 s37, s15, 0
	;; [unrolled: 5-line block ×3, first 2 shown]
	s_cmp_ge_u32 s36, s62
	s_cselect_b32 s52, -1, 0
	s_cmp_eq_u32 s37, 0
	s_wait_alu 0xfffe
	s_cselect_b32 s52, s52, -1
	s_wait_alu 0xfffe
	s_cmp_lg_u32 s52, 0
	s_cselect_b32 s37, s39, s37
	s_cselect_b32 s36, s38, s36
	s_cmp_ge_u32 s14, s62
	s_cselect_b32 s38, -1, 0
	s_cmp_eq_u32 s15, 0
	s_wait_alu 0xfffe
	s_cselect_b32 s38, s38, -1
	s_wait_alu 0xfffe
	s_cmp_lg_u32 s38, 0
	s_cselect_b32 s15, s37, s15
	s_cselect_b32 s14, s36, s14
	s_cbranch_execnz .LBB142_152
.LBB142_151:                            ;   in Loop: Header=BB142_32 Depth=1
	v_cvt_f32_u32_e32 v4, s62
	s_sub_co_i32 s15, 0, s62
	s_delay_alu instid0(VALU_DEP_1) | instskip(NEXT) | instid1(TRANS32_DEP_1)
	v_rcp_iflag_f32_e32 v4, v4
	v_mul_f32_e32 v4, 0x4f7ffffe, v4
	s_delay_alu instid0(VALU_DEP_1) | instskip(NEXT) | instid1(VALU_DEP_1)
	v_cvt_u32_f32_e32 v4, v4
	v_readfirstlane_b32 s14, v4
	s_wait_alu 0xfffe
	s_mul_i32 s15, s15, s14
	s_wait_alu 0xfffe
	s_mul_hi_u32 s15, s14, s15
	s_wait_alu 0xfffe
	s_add_co_i32 s14, s14, s15
	s_wait_alu 0xfffe
	s_mul_hi_u32 s14, s12, s14
	s_wait_alu 0xfffe
	s_mul_i32 s14, s14, s62
	s_wait_alu 0xfffe
	s_sub_co_i32 s14, s12, s14
	s_wait_alu 0xfffe
	s_sub_co_i32 s15, s14, s62
	s_cmp_ge_u32 s14, s62
	s_wait_alu 0xfffe
	s_cselect_b32 s14, s15, s14
	s_wait_alu 0xfffe
	s_sub_co_i32 s15, s14, s62
	s_cmp_ge_u32 s14, s62
	s_wait_alu 0xfffe
	s_cselect_b32 s64, s15, s14
	s_wait_alu 0xfffe
	s_mov_b64 s[14:15], s[64:65]
.LBB142_152:                            ;   in Loop: Header=BB142_32 Depth=1
	s_wait_alu 0xfffe
	s_sub_nc_u64 s[12:13], s[12:13], s[14:15]
	s_mov_b32 s15, 0
	s_mov_b32 s14, 0
	s_mov_b32 s52, exec_lo
                                        ; implicit-def: $vgpr35
	s_wait_alu 0xfffe
	v_cmpx_gt_u64_e64 s[12:13], v[0:1]
	s_cbranch_execz .LBB142_166
; %bb.153:                              ;   in Loop: Header=BB142_32 Depth=1
	v_dual_mov_b32 v10, v26 :: v_dual_mov_b32 v5, v1
	v_mov_b32_e32 v4, v0
                                        ; implicit-def: $sgpr53
	s_branch .LBB142_156
.LBB142_154:                            ;   in Loop: Header=BB142_156 Depth=2
	s_wait_alu 0xfffe
	s_or_b32 exec_lo, exec_lo, s64
	s_wait_loadcnt_dscnt 0x0
	s_barrier_signal -1
	s_barrier_wait -1
	global_inv scope:SCOPE_SE
	ds_load_b32 v11, v3 offset:3072
	s_mov_b32 s64, -1
	s_mov_b32 s77, -1
	s_wait_loadcnt_dscnt 0x0
	s_barrier_signal -1
	s_barrier_wait -1
	global_inv scope:SCOPE_SE
	v_and_b32_e32 v19, 0x7fff, v11
	s_delay_alu instid0(VALU_DEP_1)
	v_cmp_ne_u32_e32 vcc_lo, 0, v19
	s_cbranch_vccz .LBB142_159
.LBB142_155:                            ;   in Loop: Header=BB142_156 Depth=2
	s_wait_alu 0xfffe
	s_and_b32 s36, exec_lo, s64
	s_wait_alu 0xfffe
	s_or_b32 s14, s36, s14
	s_and_not1_b32 s36, s53, exec_lo
	s_and_b32 s37, s77, exec_lo
	s_wait_alu 0xfffe
	s_or_b32 s53, s36, s37
	s_and_not1_b32 exec_lo, exec_lo, s14
	s_cbranch_execz .LBB142_165
.LBB142_156:                            ;   Parent Loop BB142_32 Depth=1
                                        ; =>  This Inner Loop Header: Depth=2
	s_mov_b32 s64, exec_lo
	s_delay_alu instid0(VALU_DEP_1)
	v_cmpx_gt_u64_e64 s[6:7], v[4:5]
	s_cbranch_execz .LBB142_154
; %bb.157:                              ;   in Loop: Header=BB142_156 Depth=2
	ds_load_u16 v11, v10
	s_wait_dscnt 0x0
	v_cmp_lt_i16_e32 vcc_lo, -1, v11
	v_and_b32_e32 v19, 0xffff, v11
	s_wait_alu 0xfffd
	v_dual_cndmask_b32 v20, 0xffff, v33 :: v_dual_lshlrev_b32 v21, 16, v11
	s_delay_alu instid0(VALU_DEP_1) | instskip(NEXT) | instid1(VALU_DEP_2)
	v_cmp_o_f32_e32 vcc_lo, v21, v21
	v_xor_b32_e32 v19, v20, v19
	s_wait_alu 0xfffd
	s_delay_alu instid0(VALU_DEP_1) | instskip(NEXT) | instid1(VALU_DEP_1)
	v_cndmask_b32_e32 v19, 0xffff, v19, vcc_lo
	v_and_b32_e32 v19, v19, v34
	s_delay_alu instid0(VALU_DEP_1)
	v_cmp_eq_u32_e32 vcc_lo, v19, v30
	s_and_b32 exec_lo, exec_lo, vcc_lo
	s_cbranch_execz .LBB142_154
; %bb.158:                              ;   in Loop: Header=BB142_156 Depth=2
	v_perm_b32 v11, v11, s96, 0x5040100
	ds_store_b32 v3, v11 offset:3072
	s_branch .LBB142_154
.LBB142_159:                            ;   in Loop: Header=BB142_156 Depth=2
	v_add_co_u32 v4, vcc_lo, v4, s62
	s_wait_alu 0xfffd
	v_add_co_ci_u32_e64 v5, null, 0, v5, vcc_lo
	v_add_nc_u32_e32 v10, s92, v10
	s_mov_b32 s77, 0
	s_delay_alu instid0(VALU_DEP_2)
	v_cmp_le_u64_e32 vcc_lo, s[12:13], v[4:5]
	s_or_not1_b32 s64, vcc_lo, exec_lo
	s_branch .LBB142_155
.LBB142_160:                            ;   in Loop: Header=BB142_32 Depth=1
                                        ; implicit-def: $sgpr14_sgpr15
	s_branch .LBB142_108
.LBB142_161:                            ;   in Loop: Header=BB142_32 Depth=1
	s_or_b32 exec_lo, exec_lo, s9
	s_wait_dscnt 0x0
	s_barrier_signal -1
	s_barrier_wait -1
	global_inv scope:SCOPE_SE
	s_and_saveexec_b32 s6, s3
	s_cbranch_execz .LBB142_163
; %bb.162:                              ;   in Loop: Header=BB142_32 Depth=1
	ds_load_b32 v4, v3 offset:5144
	s_wait_dscnt 0x0
	v_ashrrev_i32_e32 v5, 31, v4
	ds_store_b64 v3, v[4:5] offset:5120
.LBB142_163:                            ;   in Loop: Header=BB142_32 Depth=1
	s_wait_alu 0xfffe
	s_or_b32 exec_lo, exec_lo, s6
	s_wait_loadcnt_dscnt 0x0
	s_barrier_signal -1
	s_mov_b32 s6, -1
	s_barrier_wait -1
	s_and_b32 vcc_lo, exec_lo, s8
	s_wait_alu 0xfffe
	s_cbranch_vccnz .LBB142_47
	s_branch .LBB142_62
.LBB142_164:                            ;   in Loop: Header=BB142_32 Depth=1
                                        ; implicit-def: $sgpr6_sgpr7
	s_branch .LBB142_122
.LBB142_165:                            ;   in Loop: Header=BB142_32 Depth=1
	s_or_b32 exec_lo, exec_lo, s14
	v_lshrrev_b32_e32 v35, 16, v11
	s_wait_alu 0xfffe
	s_and_b32 s14, s53, exec_lo
.LBB142_166:                            ;   in Loop: Header=BB142_32 Depth=1
	s_or_b32 exec_lo, exec_lo, s52
.LBB142_167:                            ;   in Loop: Header=BB142_32 Depth=1
	s_wait_alu 0xfffe
	s_and_b32 vcc_lo, exec_lo, s15
	s_wait_alu 0xfffe
	s_cbranch_vccz .LBB142_181
; %bb.168:                              ;   in Loop: Header=BB142_32 Depth=1
	s_mov_b32 s6, s65
	s_mov_b32 s7, s69
	s_wait_alu 0xfffe
	s_cmp_lg_u64 s[6:7], 0
	s_cbranch_scc0 .LBB142_210
; %bb.169:                              ;   in Loop: Header=BB142_32 Depth=1
	s_cvt_f32_u32 s6, s62
	s_sub_nc_u64 s[12:13], 0, s[62:63]
	s_wait_alu 0xfffe
	s_delay_alu instid0(SALU_CYCLE_1) | instskip(SKIP_1) | instid1(SALU_CYCLE_2)
	s_fmamk_f32 s6, s93, 0x0, s6
	s_wait_alu 0xfffe
	v_s_rcp_f32 s6, s6
	s_delay_alu instid0(TRANS32_DEP_1) | instskip(SKIP_1) | instid1(SALU_CYCLE_2)
	s_mul_f32 s6, s6, 0x5f7ffffc
	s_wait_alu 0xfffe
	s_mul_f32 s7, s6, 0x2f800000
	s_wait_alu 0xfffe
	s_delay_alu instid0(SALU_CYCLE_2) | instskip(SKIP_1) | instid1(SALU_CYCLE_2)
	s_trunc_f32 s7, s7
	s_wait_alu 0xfffe
	s_fmamk_f32 s6, s7, 0xcf800000, s6
	s_cvt_u32_f32 s7, s7
	s_wait_alu 0xfffe
	s_delay_alu instid0(SALU_CYCLE_1) | instskip(SKIP_1) | instid1(SALU_CYCLE_2)
	s_cvt_u32_f32 s6, s6
	s_wait_alu 0xfffe
	s_mul_u64 s[52:53], s[12:13], s[6:7]
	s_wait_alu 0xfffe
	s_mul_hi_u32 s79, s6, s53
	s_mul_i32 s78, s6, s53
	s_mul_hi_u32 s64, s6, s52
	s_mul_i32 s36, s7, s52
	s_wait_alu 0xfffe
	s_add_nc_u64 s[78:79], s[64:65], s[78:79]
	s_mul_hi_u32 s15, s7, s52
	s_mul_hi_u32 s37, s7, s53
	s_wait_alu 0xfffe
	s_add_co_u32 s36, s78, s36
	s_add_co_ci_u32 s64, s79, s15
	s_mul_i32 s52, s7, s53
	s_add_co_ci_u32 s53, s37, 0
	s_wait_alu 0xfffe
	s_add_nc_u64 s[52:53], s[64:65], s[52:53]
	s_wait_alu 0xfffe
	s_add_co_u32 s6, s6, s52
	s_cselect_b32 s15, -1, 0
	s_wait_alu 0xfffe
	s_cmp_lg_u32 s15, 0
	s_add_co_ci_u32 s7, s7, s53
	s_wait_alu 0xfffe
	s_mul_u64 s[12:13], s[12:13], s[6:7]
	s_wait_alu 0xfffe
	s_mul_hi_u32 s53, s6, s13
	s_mul_i32 s52, s6, s13
	s_mul_hi_u32 s64, s6, s12
	s_mul_i32 s36, s7, s12
	s_wait_alu 0xfffe
	s_add_nc_u64 s[52:53], s[64:65], s[52:53]
	s_mul_hi_u32 s15, s7, s12
	s_mul_hi_u32 s37, s7, s13
	s_mul_i32 s12, s7, s13
	s_wait_alu 0xfffe
	s_add_co_u32 s13, s52, s36
	s_add_co_ci_u32 s64, s53, s15
	s_add_co_ci_u32 s13, s37, 0
	s_wait_alu 0xfffe
	s_add_nc_u64 s[12:13], s[64:65], s[12:13]
	s_wait_alu 0xfffe
	s_add_co_u32 s6, s6, s12
	s_cselect_b32 s12, -1, 0
	s_wait_alu 0xfffe
	s_mul_hi_u32 s64, s68, s6
	s_cmp_lg_u32 s12, 0
	s_mul_hi_u32 s15, s69, s6
	s_add_co_ci_u32 s12, s7, s13
	s_mul_i32 s13, s69, s6
	s_wait_alu 0xfffe
	s_mul_hi_u32 s7, s68, s12
	s_mul_i32 s6, s68, s12
	s_mul_hi_u32 s36, s69, s12
	s_wait_alu 0xfffe
	s_add_nc_u64 s[6:7], s[64:65], s[6:7]
	s_mul_i32 s12, s69, s12
	s_wait_alu 0xfffe
	s_add_co_u32 s6, s6, s13
	s_add_co_ci_u32 s64, s7, s15
	s_add_co_ci_u32 s13, s36, 0
	s_wait_alu 0xfffe
	s_add_nc_u64 s[6:7], s[64:65], s[12:13]
	s_wait_alu 0xfffe
	s_mul_u64 s[6:7], s[62:63], s[6:7]
	s_wait_alu 0xfffe
	s_sub_co_u32 s6, s68, s6
	s_cselect_b32 s12, -1, 0
	s_wait_alu 0xfffe
	s_cmp_lg_u32 s12, 0
	s_sub_co_ci_u32 s7, s69, s7
	s_sub_co_u32 s12, s6, s62
	s_cselect_b32 s13, -1, 0
	s_wait_alu 0xfffe
	s_cmp_lg_u32 s13, 0
	s_sub_co_ci_u32 s13, s7, 0
	;; [unrolled: 5-line block ×3, first 2 shown]
	s_cmp_ge_u32 s12, s62
	s_cselect_b32 s37, -1, 0
	s_cmp_eq_u32 s13, 0
	s_wait_alu 0xfffe
	s_cselect_b32 s37, s37, -1
	s_wait_alu 0xfffe
	s_cmp_lg_u32 s37, 0
	s_cselect_b32 s13, s36, s13
	s_cselect_b32 s12, s15, s12
	s_cmp_ge_u32 s6, s62
	s_cselect_b32 s15, -1, 0
	s_cmp_eq_u32 s7, 0
	s_wait_alu 0xfffe
	s_cselect_b32 s15, s15, -1
	s_wait_alu 0xfffe
	s_cmp_lg_u32 s15, 0
	s_cselect_b32 s7, s13, s7
	s_cselect_b32 s6, s12, s6
	s_cbranch_execnz .LBB142_171
.LBB142_170:                            ;   in Loop: Header=BB142_32 Depth=1
	v_cvt_f32_u32_e32 v4, s62
	s_sub_co_i32 s7, 0, s62
	s_delay_alu instid0(VALU_DEP_1) | instskip(NEXT) | instid1(TRANS32_DEP_1)
	v_rcp_iflag_f32_e32 v4, v4
	v_mul_f32_e32 v4, 0x4f7ffffe, v4
	s_delay_alu instid0(VALU_DEP_1) | instskip(NEXT) | instid1(VALU_DEP_1)
	v_cvt_u32_f32_e32 v4, v4
	v_readfirstlane_b32 s6, v4
	s_wait_alu 0xfffe
	s_mul_i32 s7, s7, s6
	s_wait_alu 0xfffe
	s_mul_hi_u32 s7, s6, s7
	s_wait_alu 0xfffe
	s_add_co_i32 s6, s6, s7
	s_wait_alu 0xfffe
	s_mul_hi_u32 s6, s68, s6
	s_wait_alu 0xfffe
	s_mul_i32 s6, s6, s62
	s_wait_alu 0xfffe
	s_sub_co_i32 s6, s68, s6
	s_wait_alu 0xfffe
	s_sub_co_i32 s7, s6, s62
	s_cmp_ge_u32 s6, s62
	s_wait_alu 0xfffe
	s_cselect_b32 s6, s7, s6
	s_wait_alu 0xfffe
	s_sub_co_i32 s7, s6, s62
	s_cmp_ge_u32 s6, s62
	s_wait_alu 0xfffe
	s_cselect_b32 s64, s7, s6
	s_wait_alu 0xfffe
	s_mov_b64 s[6:7], s[64:65]
.LBB142_171:                            ;   in Loop: Header=BB142_32 Depth=1
	s_wait_alu 0xfffe
	s_sub_nc_u64 s[6:7], s[68:69], s[6:7]
	s_mov_b32 s12, exec_lo
                                        ; implicit-def: $vgpr35
	s_wait_alu 0xfffe
	v_cmpx_gt_u64_e64 s[6:7], v[0:1]
	s_cbranch_execz .LBB142_180
; %bb.172:                              ;   in Loop: Header=BB142_32 Depth=1
	v_dual_mov_b32 v5, v1 :: v_dual_mov_b32 v4, v0
	s_mov_b32 s13, 0
                                        ; implicit-def: $sgpr15
	s_branch .LBB142_175
.LBB142_173:                            ;   in Loop: Header=BB142_175 Depth=2
	s_wait_alu 0xfffe
	s_or_b32 exec_lo, exec_lo, s52
	s_wait_loadcnt_dscnt 0x0
	s_barrier_signal -1
	s_barrier_wait -1
	global_inv scope:SCOPE_SE
	ds_load_b32 v10, v3 offset:3072
	s_mov_b32 s53, -1
	s_mov_b32 s52, -1
	s_wait_loadcnt_dscnt 0x0
	s_barrier_signal -1
	s_barrier_wait -1
	global_inv scope:SCOPE_SE
	v_and_b32_e32 v11, 0x7fff, v10
	s_delay_alu instid0(VALU_DEP_1)
	v_cmp_eq_u32_e32 vcc_lo, 0, v11
	s_cbranch_vccnz .LBB142_178
.LBB142_174:                            ;   in Loop: Header=BB142_175 Depth=2
	s_wait_alu 0xfffe
	s_and_b32 s36, exec_lo, s53
	s_wait_alu 0xfffe
	s_or_b32 s13, s36, s13
	s_and_not1_b32 s15, s15, exec_lo
	s_and_b32 s36, s52, exec_lo
	s_wait_alu 0xfffe
	s_or_b32 s15, s15, s36
	s_and_not1_b32 exec_lo, exec_lo, s13
	s_cbranch_execz .LBB142_179
.LBB142_175:                            ;   Parent Loop BB142_32 Depth=1
                                        ; =>  This Inner Loop Header: Depth=2
	s_mov_b32 s52, exec_lo
	s_delay_alu instid0(VALU_DEP_1)
	v_cmpx_gt_u64_e64 s[20:21], v[4:5]
	s_cbranch_execz .LBB142_173
; %bb.176:                              ;   in Loop: Header=BB142_175 Depth=2
	v_mul_lo_u32 v19, v5, s46
	v_mul_lo_u32 v20, v4, s47
	v_mad_co_u64_u32 v[10:11], null, v4, s46, 0
	s_delay_alu instid0(VALU_DEP_1) | instskip(NEXT) | instid1(VALU_DEP_1)
	v_add3_u32 v11, v11, v20, v19
	v_lshlrev_b64_e32 v[10:11], 1, v[10:11]
	s_delay_alu instid0(VALU_DEP_1) | instskip(SKIP_1) | instid1(VALU_DEP_2)
	v_add_co_u32 v10, vcc_lo, s54, v10
	s_wait_alu 0xfffd
	v_add_co_ci_u32_e64 v11, null, s55, v11, vcc_lo
	global_load_u16 v10, v[10:11], off
	s_wait_loadcnt 0x0
	v_cmp_lt_i16_e32 vcc_lo, -1, v10
	v_and_b32_e32 v11, 0xffff, v10
	s_wait_alu 0xfffd
	v_dual_cndmask_b32 v19, 0xffff, v33 :: v_dual_lshlrev_b32 v20, 16, v10
	s_delay_alu instid0(VALU_DEP_1) | instskip(NEXT) | instid1(VALU_DEP_2)
	v_cmp_o_f32_e32 vcc_lo, v20, v20
	v_xor_b32_e32 v11, v19, v11
	s_wait_alu 0xfffd
	s_delay_alu instid0(VALU_DEP_1) | instskip(NEXT) | instid1(VALU_DEP_1)
	v_cndmask_b32_e32 v11, 0xffff, v11, vcc_lo
	v_and_b32_e32 v11, v11, v34
	s_delay_alu instid0(VALU_DEP_1)
	v_cmp_eq_u32_e32 vcc_lo, v11, v30
	s_and_b32 exec_lo, exec_lo, vcc_lo
	s_cbranch_execz .LBB142_173
; %bb.177:                              ;   in Loop: Header=BB142_175 Depth=2
	v_perm_b32 v10, v10, s96, 0x5040100
	ds_store_b32 v3, v10 offset:3072
	s_branch .LBB142_173
.LBB142_178:                            ;   in Loop: Header=BB142_175 Depth=2
	v_add_co_u32 v4, vcc_lo, v4, s62
	s_wait_alu 0xfffd
	v_add_co_ci_u32_e64 v5, null, 0, v5, vcc_lo
	s_mov_b32 s52, 0
	v_cmp_le_u64_e32 vcc_lo, s[6:7], v[4:5]
	s_or_not1_b32 s53, vcc_lo, exec_lo
	s_branch .LBB142_174
.LBB142_179:                            ;   in Loop: Header=BB142_32 Depth=1
	s_or_b32 exec_lo, exec_lo, s13
	v_lshrrev_b32_e32 v35, 16, v10
	s_and_not1_b32 s6, s14, exec_lo
	s_wait_alu 0xfffe
	s_and_b32 s7, s15, exec_lo
	s_wait_alu 0xfffe
	s_or_b32 s14, s6, s7
.LBB142_180:                            ;   in Loop: Header=BB142_32 Depth=1
	s_or_b32 exec_lo, exec_lo, s12
	s_mov_b32 s73, 0
	s_mov_b32 s74, -1
.LBB142_181:                            ;   in Loop: Header=BB142_32 Depth=1
	s_wait_alu 0xfffe
	s_or_not1_b32 s6, s14, exec_lo
.LBB142_182:                            ;   in Loop: Header=BB142_32 Depth=1
	s_wait_alu 0xfffe
	s_or_b32 exec_lo, exec_lo, s75
	s_mov_b32 s7, 0
	s_and_saveexec_b32 s75, s6
	s_cbranch_execz .LBB142_288
; %bb.183:                              ;   in Loop: Header=BB142_32 Depth=1
	v_mov_b32_e32 v4, 1
	v_dual_mov_b32 v5, 0 :: v_dual_mov_b32 v2, 1
	s_xor_b32 s12, s76, -1
	s_wait_alu 0xfffe
	s_and_saveexec_b32 s6, s12
	s_cbranch_execz .LBB142_193
; %bb.184:                              ;   in Loop: Header=BB142_32 Depth=1
	s_mov_b32 s7, exec_lo
	v_cmpx_le_u64_e64 v[8:9], v[6:7]
	s_wait_alu 0xfffe
	s_xor_b32 s7, exec_lo, s7
	s_cbranch_execz .LBB142_190
; %bb.185:                              ;   in Loop: Header=BB142_32 Depth=1
	ds_load_b64 v[4:5], v3 offset:5120
	s_lshl_b32 s12, 1, s94
	v_or_b32_e32 v34, s16, v34
	s_wait_alu 0xfffe
	v_and_or_b32 v30, v30, s72, s12
	s_wait_dscnt 0x0
	v_cmp_ne_u64_e32 vcc_lo, 0, v[4:5]
	s_cbranch_vccnz .LBB142_189
; %bb.186:                              ;   in Loop: Header=BB142_32 Depth=1
	s_and_saveexec_b32 s12, s3
; %bb.187:                              ;   in Loop: Header=BB142_32 Depth=1
	ds_store_b64 v3, v[6:7] offset:5128
; %bb.188:                              ;   in Loop: Header=BB142_32 Depth=1
	s_wait_alu 0xfffe
	s_or_b32 exec_lo, exec_lo, s12
	s_wait_loadcnt_dscnt 0x0
	s_barrier_signal -1
	s_barrier_wait -1
	global_inv scope:SCOPE_SE
.LBB142_189:                            ;   in Loop: Header=BB142_32 Depth=1
                                        ; implicit-def: $vgpr4_vgpr5_vgpr6_vgpr7
.LBB142_190:                            ;   in Loop: Header=BB142_32 Depth=1
	s_wait_alu 0xfffe
	s_or_saveexec_b32 s7, s7
	v_mov_b32_e32 v2, 8
	s_mov_b32 s12, 0
	s_wait_alu 0xfffe
	s_xor_b32 exec_lo, exec_lo, s7
; %bb.191:                              ;   in Loop: Header=BB142_32 Depth=1
	v_sub_co_u32 v8, vcc_lo, v8, v6
	s_wait_alu 0xfffd
	v_sub_co_ci_u32_e64 v9, null, v9, v7, vcc_lo
	v_mov_b32_e32 v2, 0
	s_mov_b32 s12, exec_lo
; %bb.192:                              ;   in Loop: Header=BB142_32 Depth=1
	s_or_b32 exec_lo, exec_lo, s7
	s_delay_alu instid0(VALU_DEP_2)
	v_dual_mov_b32 v4, v8 :: v_dual_mov_b32 v5, v9
	s_wait_alu 0xfffe
	s_and_b32 s7, s12, exec_lo
.LBB142_193:                            ;   in Loop: Header=BB142_32 Depth=1
	s_wait_alu 0xfffe
	s_or_b32 exec_lo, exec_lo, s6
	s_mov_b32 s6, -1
                                        ; implicit-def: $sgpr77
                                        ; implicit-def: $sgpr78
	s_and_saveexec_b32 s76, s7
	s_cbranch_execz .LBB142_287
; %bb.194:                              ;   in Loop: Header=BB142_32 Depth=1
	v_cmp_eq_u64_e32 vcc_lo, 1, v[4:5]
	s_cmp_eq_u64 s[10:11], 1
                                        ; implicit-def: $sgpr78
                                        ; implicit-def: $sgpr77
	s_cselect_b32 s6, -1, 0
	s_wait_alu 0xfffe
	s_and_b32 s79, s6, vcc_lo
	s_mov_b32 s6, -1
	s_wait_alu 0xfffe
	s_and_saveexec_b32 s80, s79
	s_cbranch_execz .LBB142_228
; %bb.195:                              ;   in Loop: Header=BB142_32 Depth=1
	ds_load_b64 v[6:7], v3 offset:5120
	s_wait_loadcnt_dscnt 0x0
	s_barrier_signal -1
	s_barrier_wait -1
	global_inv scope:SCOPE_SE
	v_readfirstlane_b32 s6, v6
	v_readfirstlane_b32 s7, v7
	s_and_saveexec_b32 s12, s0
; %bb.196:                              ;   in Loop: Header=BB142_32 Depth=1
	ds_store_b16 v27, v3
; %bb.197:                              ;   in Loop: Header=BB142_32 Depth=1
	s_wait_alu 0xfffe
	s_or_b32 exec_lo, exec_lo, s12
	s_lshl_b32 s12, 2, s94
	v_or_b32_e32 v34, s16, v34
	s_wait_alu 0xfffe
	v_and_or_b32 v30, v30, s72, s12
	s_mov_b32 s77, -1
	s_mov_b32 s78, 0
	s_cmp_eq_u64 s[6:7], 0
	s_mov_b32 s14, 0
	s_mov_b32 s15, -1
	s_wait_loadcnt_dscnt 0x0
	s_barrier_signal -1
	s_barrier_wait -1
	global_inv scope:SCOPE_SE
                                        ; implicit-def: $vgpr35
	s_cbranch_scc1 .LBB142_213
; %bb.198:                              ;   in Loop: Header=BB142_32 Depth=1
	s_add_nc_u64 s[12:13], s[6:7], s[66:67]
	s_mov_b32 s14, s65
	s_wait_alu 0xfffe
	s_mov_b32 s15, s13
	s_wait_alu 0xfffe
	s_cmp_lg_u64 s[14:15], 0
	s_cbranch_scc0 .LBB142_254
; %bb.199:                              ;   in Loop: Header=BB142_32 Depth=1
	s_cvt_f32_u32 s14, s62
	s_sub_nc_u64 s[52:53], 0, s[62:63]
	s_wait_alu 0xfffe
	s_delay_alu instid0(SALU_CYCLE_1) | instskip(SKIP_1) | instid1(SALU_CYCLE_2)
	s_fmamk_f32 s14, s93, 0x0, s14
	s_wait_alu 0xfffe
	v_s_rcp_f32 s14, s14
	s_delay_alu instid0(TRANS32_DEP_1) | instskip(SKIP_1) | instid1(SALU_CYCLE_2)
	s_mul_f32 s14, s14, 0x5f7ffffc
	s_wait_alu 0xfffe
	s_mul_f32 s15, s14, 0x2f800000
	s_wait_alu 0xfffe
	s_delay_alu instid0(SALU_CYCLE_2) | instskip(SKIP_1) | instid1(SALU_CYCLE_2)
	s_trunc_f32 s15, s15
	s_wait_alu 0xfffe
	s_fmamk_f32 s14, s15, 0xcf800000, s14
	s_cvt_u32_f32 s15, s15
	s_wait_alu 0xfffe
	s_delay_alu instid0(SALU_CYCLE_1) | instskip(SKIP_1) | instid1(SALU_CYCLE_2)
	s_cvt_u32_f32 s14, s14
	s_wait_alu 0xfffe
	s_mul_u64 s[82:83], s[52:53], s[14:15]
	s_wait_alu 0xfffe
	s_mul_hi_u32 vcc_hi, s14, s83
	s_mul_i32 vcc_lo, s14, s83
	s_mul_hi_u32 s64, s14, s82
	s_mul_i32 s37, s15, s82
	s_wait_alu 0xfffe
	s_add_nc_u64 vcc, s[64:65], vcc
	s_mul_hi_u32 s36, s15, s82
	s_mul_hi_u32 s38, s15, s83
	s_wait_alu 0xfffe
	s_add_co_u32 s37, vcc_lo, s37
	s_add_co_ci_u32 s64, vcc_hi, s36
	s_mul_i32 s82, s15, s83
	s_add_co_ci_u32 s83, s38, 0
	s_wait_alu 0xfffe
	s_add_nc_u64 s[82:83], s[64:65], s[82:83]
	s_wait_alu 0xfffe
	s_add_co_u32 s14, s14, s82
	s_cselect_b32 s36, -1, 0
	s_wait_alu 0xfffe
	s_cmp_lg_u32 s36, 0
	s_add_co_ci_u32 s15, s15, s83
	s_wait_alu 0xfffe
	s_mul_u64 s[52:53], s[52:53], s[14:15]
	s_wait_alu 0xfffe
	s_mul_hi_u32 s83, s14, s53
	s_mul_i32 s82, s14, s53
	s_mul_hi_u32 s64, s14, s52
	s_mul_i32 s37, s15, s52
	s_wait_alu 0xfffe
	s_add_nc_u64 s[82:83], s[64:65], s[82:83]
	s_mul_hi_u32 s36, s15, s52
	s_mul_hi_u32 s38, s15, s53
	s_wait_alu 0xfffe
	s_add_co_u32 s37, s82, s37
	s_add_co_ci_u32 s64, s83, s36
	s_mul_i32 s52, s15, s53
	s_add_co_ci_u32 s53, s38, 0
	s_wait_alu 0xfffe
	s_add_nc_u64 s[52:53], s[64:65], s[52:53]
	s_wait_alu 0xfffe
	s_add_co_u32 s14, s14, s52
	s_cselect_b32 s36, -1, 0
	s_wait_alu 0xfffe
	s_mul_hi_u32 s64, s12, s14
	s_cmp_lg_u32 s36, 0
	s_mul_hi_u32 s36, s13, s14
	s_add_co_ci_u32 s37, s15, s53
	s_mul_i32 s38, s13, s14
	s_wait_alu 0xfffe
	s_mul_hi_u32 s15, s12, s37
	s_mul_i32 s14, s12, s37
	s_mul_hi_u32 s39, s13, s37
	s_wait_alu 0xfffe
	s_add_nc_u64 s[14:15], s[64:65], s[14:15]
	s_mul_i32 s52, s13, s37
	s_wait_alu 0xfffe
	s_add_co_u32 s14, s14, s38
	s_add_co_ci_u32 s64, s15, s36
	s_add_co_ci_u32 s53, s39, 0
	s_wait_alu 0xfffe
	s_add_nc_u64 s[14:15], s[64:65], s[52:53]
	s_wait_alu 0xfffe
	s_mul_u64 s[14:15], s[62:63], s[14:15]
	s_wait_alu 0xfffe
	s_sub_co_u32 s14, s12, s14
	s_cselect_b32 s36, -1, 0
	s_wait_alu 0xfffe
	s_cmp_lg_u32 s36, 0
	s_sub_co_ci_u32 s15, s13, s15
	s_sub_co_u32 s36, s14, s62
	s_cselect_b32 s37, -1, 0
	s_wait_alu 0xfffe
	s_cmp_lg_u32 s37, 0
	s_sub_co_ci_u32 s37, s15, 0
	;; [unrolled: 5-line block ×3, first 2 shown]
	s_cmp_ge_u32 s36, s62
	s_cselect_b32 s52, -1, 0
	s_cmp_eq_u32 s37, 0
	s_wait_alu 0xfffe
	s_cselect_b32 s52, s52, -1
	s_wait_alu 0xfffe
	s_cmp_lg_u32 s52, 0
	s_cselect_b32 s37, s39, s37
	s_cselect_b32 s36, s38, s36
	s_cmp_ge_u32 s14, s62
	s_cselect_b32 s38, -1, 0
	s_cmp_eq_u32 s15, 0
	s_wait_alu 0xfffe
	s_cselect_b32 s38, s38, -1
	s_wait_alu 0xfffe
	s_cmp_lg_u32 s38, 0
	s_cselect_b32 s15, s37, s15
	s_cselect_b32 s14, s36, s14
	s_cbranch_execnz .LBB142_201
.LBB142_200:                            ;   in Loop: Header=BB142_32 Depth=1
	v_cvt_f32_u32_e32 v6, s62
	s_sub_co_i32 s15, 0, s62
	s_delay_alu instid0(VALU_DEP_1) | instskip(NEXT) | instid1(TRANS32_DEP_1)
	v_rcp_iflag_f32_e32 v6, v6
	v_mul_f32_e32 v6, 0x4f7ffffe, v6
	s_delay_alu instid0(VALU_DEP_1) | instskip(NEXT) | instid1(VALU_DEP_1)
	v_cvt_u32_f32_e32 v6, v6
	v_readfirstlane_b32 s14, v6
	s_wait_alu 0xfffe
	s_mul_i32 s15, s15, s14
	s_wait_alu 0xfffe
	s_mul_hi_u32 s15, s14, s15
	s_wait_alu 0xfffe
	s_add_co_i32 s14, s14, s15
	s_wait_alu 0xfffe
	s_mul_hi_u32 s14, s12, s14
	s_wait_alu 0xfffe
	s_mul_i32 s14, s14, s62
	s_wait_alu 0xfffe
	s_sub_co_i32 s14, s12, s14
	s_wait_alu 0xfffe
	s_sub_co_i32 s15, s14, s62
	s_cmp_ge_u32 s14, s62
	s_wait_alu 0xfffe
	s_cselect_b32 s14, s15, s14
	s_wait_alu 0xfffe
	s_sub_co_i32 s15, s14, s62
	s_cmp_ge_u32 s14, s62
	s_wait_alu 0xfffe
	s_cselect_b32 s64, s15, s14
	s_wait_alu 0xfffe
	s_mov_b64 s[14:15], s[64:65]
.LBB142_201:                            ;   in Loop: Header=BB142_32 Depth=1
	s_wait_alu 0xfffe
	s_sub_nc_u64 s[12:13], s[12:13], s[14:15]
	s_mov_b32 s15, 0
	s_mov_b32 s14, 0
	s_mov_b32 s52, exec_lo
                                        ; implicit-def: $vgpr35
	s_wait_alu 0xfffe
	v_cmpx_gt_u64_e64 s[12:13], v[0:1]
	s_cbranch_execz .LBB142_212
; %bb.202:                              ;   in Loop: Header=BB142_32 Depth=1
	v_dual_mov_b32 v8, v26 :: v_dual_mov_b32 v7, v1
	v_mov_b32_e32 v6, v0
                                        ; implicit-def: $sgpr53
	s_branch .LBB142_205
.LBB142_203:                            ;   in Loop: Header=BB142_205 Depth=2
	s_wait_alu 0xfffe
	s_or_b32 exec_lo, exec_lo, s64
	s_wait_loadcnt_dscnt 0x0
	s_barrier_signal -1
	s_barrier_wait -1
	global_inv scope:SCOPE_SE
	ds_load_b32 v9, v3 offset:3072
	s_mov_b32 s64, -1
	s_mov_b32 s81, -1
	s_wait_loadcnt_dscnt 0x0
	s_barrier_signal -1
	s_barrier_wait -1
	global_inv scope:SCOPE_SE
	v_and_b32_e32 v10, 0x7fff, v9
	s_delay_alu instid0(VALU_DEP_1)
	v_cmp_ne_u32_e32 vcc_lo, 0, v10
	s_cbranch_vccz .LBB142_208
.LBB142_204:                            ;   in Loop: Header=BB142_205 Depth=2
	s_wait_alu 0xfffe
	s_and_b32 s36, exec_lo, s64
	s_wait_alu 0xfffe
	s_or_b32 s14, s36, s14
	s_and_not1_b32 s36, s53, exec_lo
	s_and_b32 s37, s81, exec_lo
	s_wait_alu 0xfffe
	s_or_b32 s53, s36, s37
	s_and_not1_b32 exec_lo, exec_lo, s14
	s_cbranch_execz .LBB142_211
.LBB142_205:                            ;   Parent Loop BB142_32 Depth=1
                                        ; =>  This Inner Loop Header: Depth=2
	s_mov_b32 s64, exec_lo
	s_delay_alu instid0(VALU_DEP_1)
	v_cmpx_gt_u64_e64 s[6:7], v[6:7]
	s_cbranch_execz .LBB142_203
; %bb.206:                              ;   in Loop: Header=BB142_205 Depth=2
	ds_load_u16 v9, v8
	s_wait_dscnt 0x0
	v_cmp_lt_i16_e32 vcc_lo, -1, v9
	v_and_b32_e32 v10, 0xffff, v9
	s_wait_alu 0xfffd
	v_cndmask_b32_e32 v11, 0xffff, v33, vcc_lo
	s_delay_alu instid0(VALU_DEP_1) | instskip(SKIP_1) | instid1(VALU_DEP_1)
	v_xor_b32_e32 v10, v11, v10
	v_lshlrev_b32_e32 v19, 16, v9
	v_cmp_o_f32_e32 vcc_lo, v19, v19
	s_wait_alu 0xfffd
	s_delay_alu instid0(VALU_DEP_3) | instskip(NEXT) | instid1(VALU_DEP_1)
	v_cndmask_b32_e32 v10, 0xffff, v10, vcc_lo
	v_and_b32_e32 v10, v10, v34
	s_delay_alu instid0(VALU_DEP_1)
	v_cmp_eq_u32_e32 vcc_lo, v10, v30
	s_and_b32 exec_lo, exec_lo, vcc_lo
	s_cbranch_execz .LBB142_203
; %bb.207:                              ;   in Loop: Header=BB142_205 Depth=2
	v_perm_b32 v9, v9, s96, 0x5040100
	ds_store_b32 v3, v9 offset:3072
	s_branch .LBB142_203
.LBB142_208:                            ;   in Loop: Header=BB142_205 Depth=2
	v_add_co_u32 v6, vcc_lo, v6, s62
	s_wait_alu 0xfffd
	v_add_co_ci_u32_e64 v7, null, 0, v7, vcc_lo
	v_add_nc_u32_e32 v8, s92, v8
	s_mov_b32 s81, 0
	s_delay_alu instid0(VALU_DEP_2)
	v_cmp_le_u64_e32 vcc_lo, s[12:13], v[6:7]
	s_or_not1_b32 s64, vcc_lo, exec_lo
	s_branch .LBB142_204
.LBB142_209:                            ;   in Loop: Header=BB142_32 Depth=1
                                        ; implicit-def: $sgpr14_sgpr15
	s_branch .LBB142_151
.LBB142_210:                            ;   in Loop: Header=BB142_32 Depth=1
                                        ; implicit-def: $sgpr6_sgpr7
	s_branch .LBB142_170
.LBB142_211:                            ;   in Loop: Header=BB142_32 Depth=1
	s_or_b32 exec_lo, exec_lo, s14
	v_lshrrev_b32_e32 v35, 16, v9
	s_wait_alu 0xfffe
	s_and_b32 s14, s53, exec_lo
.LBB142_212:                            ;   in Loop: Header=BB142_32 Depth=1
	s_or_b32 exec_lo, exec_lo, s52
.LBB142_213:                            ;   in Loop: Header=BB142_32 Depth=1
	s_wait_alu 0xfffe
	s_and_b32 vcc_lo, exec_lo, s15
	s_wait_alu 0xfffe
	s_cbranch_vccz .LBB142_227
; %bb.214:                              ;   in Loop: Header=BB142_32 Depth=1
	s_mov_b32 s6, s65
	s_mov_b32 s7, s69
	s_wait_alu 0xfffe
	s_cmp_lg_u64 s[6:7], 0
	s_cbranch_scc0 .LBB142_255
; %bb.215:                              ;   in Loop: Header=BB142_32 Depth=1
	s_cvt_f32_u32 s6, s62
	s_sub_nc_u64 s[12:13], 0, s[62:63]
	s_wait_alu 0xfffe
	s_delay_alu instid0(SALU_CYCLE_1) | instskip(SKIP_1) | instid1(SALU_CYCLE_2)
	s_fmamk_f32 s6, s93, 0x0, s6
	s_wait_alu 0xfffe
	v_s_rcp_f32 s6, s6
	s_delay_alu instid0(TRANS32_DEP_1) | instskip(SKIP_1) | instid1(SALU_CYCLE_2)
	s_mul_f32 s6, s6, 0x5f7ffffc
	s_wait_alu 0xfffe
	s_mul_f32 s7, s6, 0x2f800000
	s_wait_alu 0xfffe
	s_delay_alu instid0(SALU_CYCLE_2) | instskip(SKIP_1) | instid1(SALU_CYCLE_2)
	s_trunc_f32 s7, s7
	s_wait_alu 0xfffe
	s_fmamk_f32 s6, s7, 0xcf800000, s6
	s_cvt_u32_f32 s7, s7
	s_wait_alu 0xfffe
	s_delay_alu instid0(SALU_CYCLE_1) | instskip(SKIP_1) | instid1(SALU_CYCLE_2)
	s_cvt_u32_f32 s6, s6
	s_wait_alu 0xfffe
	s_mul_u64 s[52:53], s[12:13], s[6:7]
	s_wait_alu 0xfffe
	s_mul_hi_u32 s83, s6, s53
	s_mul_i32 s82, s6, s53
	s_mul_hi_u32 s64, s6, s52
	s_mul_i32 s36, s7, s52
	s_wait_alu 0xfffe
	s_add_nc_u64 s[82:83], s[64:65], s[82:83]
	s_mul_hi_u32 s15, s7, s52
	s_mul_hi_u32 s37, s7, s53
	s_wait_alu 0xfffe
	s_add_co_u32 s36, s82, s36
	s_add_co_ci_u32 s64, s83, s15
	s_mul_i32 s52, s7, s53
	s_add_co_ci_u32 s53, s37, 0
	s_wait_alu 0xfffe
	s_add_nc_u64 s[52:53], s[64:65], s[52:53]
	s_wait_alu 0xfffe
	s_add_co_u32 s6, s6, s52
	s_cselect_b32 s15, -1, 0
	s_wait_alu 0xfffe
	s_cmp_lg_u32 s15, 0
	s_add_co_ci_u32 s7, s7, s53
	s_wait_alu 0xfffe
	s_mul_u64 s[12:13], s[12:13], s[6:7]
	s_wait_alu 0xfffe
	s_mul_hi_u32 s53, s6, s13
	s_mul_i32 s52, s6, s13
	s_mul_hi_u32 s64, s6, s12
	s_mul_i32 s36, s7, s12
	s_wait_alu 0xfffe
	s_add_nc_u64 s[52:53], s[64:65], s[52:53]
	s_mul_hi_u32 s15, s7, s12
	s_mul_hi_u32 s37, s7, s13
	s_mul_i32 s12, s7, s13
	s_wait_alu 0xfffe
	s_add_co_u32 s13, s52, s36
	s_add_co_ci_u32 s64, s53, s15
	s_add_co_ci_u32 s13, s37, 0
	s_wait_alu 0xfffe
	s_add_nc_u64 s[12:13], s[64:65], s[12:13]
	s_wait_alu 0xfffe
	s_add_co_u32 s6, s6, s12
	s_cselect_b32 s12, -1, 0
	s_wait_alu 0xfffe
	s_mul_hi_u32 s64, s68, s6
	s_cmp_lg_u32 s12, 0
	s_mul_hi_u32 s15, s69, s6
	s_add_co_ci_u32 s12, s7, s13
	s_mul_i32 s13, s69, s6
	s_wait_alu 0xfffe
	s_mul_hi_u32 s7, s68, s12
	s_mul_i32 s6, s68, s12
	s_mul_hi_u32 s36, s69, s12
	s_wait_alu 0xfffe
	s_add_nc_u64 s[6:7], s[64:65], s[6:7]
	s_mul_i32 s12, s69, s12
	s_wait_alu 0xfffe
	s_add_co_u32 s6, s6, s13
	s_add_co_ci_u32 s64, s7, s15
	s_add_co_ci_u32 s13, s36, 0
	s_wait_alu 0xfffe
	s_add_nc_u64 s[6:7], s[64:65], s[12:13]
	s_wait_alu 0xfffe
	s_mul_u64 s[6:7], s[62:63], s[6:7]
	s_wait_alu 0xfffe
	s_sub_co_u32 s6, s68, s6
	s_cselect_b32 s12, -1, 0
	s_wait_alu 0xfffe
	s_cmp_lg_u32 s12, 0
	s_sub_co_ci_u32 s7, s69, s7
	s_sub_co_u32 s12, s6, s62
	s_cselect_b32 s13, -1, 0
	s_wait_alu 0xfffe
	s_cmp_lg_u32 s13, 0
	s_sub_co_ci_u32 s13, s7, 0
	;; [unrolled: 5-line block ×3, first 2 shown]
	s_cmp_ge_u32 s12, s62
	s_cselect_b32 s37, -1, 0
	s_cmp_eq_u32 s13, 0
	s_wait_alu 0xfffe
	s_cselect_b32 s37, s37, -1
	s_wait_alu 0xfffe
	s_cmp_lg_u32 s37, 0
	s_cselect_b32 s13, s36, s13
	s_cselect_b32 s12, s15, s12
	s_cmp_ge_u32 s6, s62
	s_cselect_b32 s15, -1, 0
	s_cmp_eq_u32 s7, 0
	s_wait_alu 0xfffe
	s_cselect_b32 s15, s15, -1
	s_wait_alu 0xfffe
	s_cmp_lg_u32 s15, 0
	s_cselect_b32 s7, s13, s7
	s_cselect_b32 s6, s12, s6
	s_cbranch_execnz .LBB142_217
.LBB142_216:                            ;   in Loop: Header=BB142_32 Depth=1
	v_cvt_f32_u32_e32 v6, s62
	s_sub_co_i32 s7, 0, s62
	s_delay_alu instid0(VALU_DEP_1) | instskip(NEXT) | instid1(TRANS32_DEP_1)
	v_rcp_iflag_f32_e32 v6, v6
	v_mul_f32_e32 v6, 0x4f7ffffe, v6
	s_delay_alu instid0(VALU_DEP_1) | instskip(NEXT) | instid1(VALU_DEP_1)
	v_cvt_u32_f32_e32 v6, v6
	v_readfirstlane_b32 s6, v6
	s_wait_alu 0xfffe
	s_mul_i32 s7, s7, s6
	s_wait_alu 0xfffe
	s_mul_hi_u32 s7, s6, s7
	s_wait_alu 0xfffe
	s_add_co_i32 s6, s6, s7
	s_wait_alu 0xfffe
	s_mul_hi_u32 s6, s68, s6
	s_wait_alu 0xfffe
	s_mul_i32 s6, s6, s62
	s_wait_alu 0xfffe
	s_sub_co_i32 s6, s68, s6
	s_wait_alu 0xfffe
	s_sub_co_i32 s7, s6, s62
	s_cmp_ge_u32 s6, s62
	s_wait_alu 0xfffe
	s_cselect_b32 s6, s7, s6
	s_wait_alu 0xfffe
	s_sub_co_i32 s7, s6, s62
	s_cmp_ge_u32 s6, s62
	s_wait_alu 0xfffe
	s_cselect_b32 s64, s7, s6
	s_wait_alu 0xfffe
	s_mov_b64 s[6:7], s[64:65]
.LBB142_217:                            ;   in Loop: Header=BB142_32 Depth=1
	s_wait_alu 0xfffe
	s_sub_nc_u64 s[6:7], s[68:69], s[6:7]
	s_mov_b32 s12, exec_lo
                                        ; implicit-def: $vgpr35
	s_wait_alu 0xfffe
	v_cmpx_gt_u64_e64 s[6:7], v[0:1]
	s_cbranch_execz .LBB142_226
; %bb.218:                              ;   in Loop: Header=BB142_32 Depth=1
	v_dual_mov_b32 v7, v1 :: v_dual_mov_b32 v6, v0
	s_mov_b32 s13, 0
                                        ; implicit-def: $sgpr15
	s_branch .LBB142_221
.LBB142_219:                            ;   in Loop: Header=BB142_221 Depth=2
	s_wait_alu 0xfffe
	s_or_b32 exec_lo, exec_lo, s52
	s_wait_loadcnt_dscnt 0x0
	s_barrier_signal -1
	s_barrier_wait -1
	global_inv scope:SCOPE_SE
	ds_load_b32 v8, v3 offset:3072
	s_mov_b32 s53, -1
	s_mov_b32 s52, -1
	s_wait_loadcnt_dscnt 0x0
	s_barrier_signal -1
	s_barrier_wait -1
	global_inv scope:SCOPE_SE
	v_and_b32_e32 v9, 0x7fff, v8
	s_delay_alu instid0(VALU_DEP_1)
	v_cmp_eq_u32_e32 vcc_lo, 0, v9
	s_cbranch_vccnz .LBB142_224
.LBB142_220:                            ;   in Loop: Header=BB142_221 Depth=2
	s_wait_alu 0xfffe
	s_and_b32 s36, exec_lo, s53
	s_wait_alu 0xfffe
	s_or_b32 s13, s36, s13
	s_and_not1_b32 s15, s15, exec_lo
	s_and_b32 s36, s52, exec_lo
	s_wait_alu 0xfffe
	s_or_b32 s15, s15, s36
	s_and_not1_b32 exec_lo, exec_lo, s13
	s_cbranch_execz .LBB142_225
.LBB142_221:                            ;   Parent Loop BB142_32 Depth=1
                                        ; =>  This Inner Loop Header: Depth=2
	s_mov_b32 s52, exec_lo
	s_delay_alu instid0(VALU_DEP_1)
	v_cmpx_gt_u64_e64 s[20:21], v[6:7]
	s_cbranch_execz .LBB142_219
; %bb.222:                              ;   in Loop: Header=BB142_221 Depth=2
	v_mul_lo_u32 v10, v7, s46
	v_mul_lo_u32 v11, v6, s47
	v_mad_co_u64_u32 v[8:9], null, v6, s46, 0
	s_delay_alu instid0(VALU_DEP_1) | instskip(NEXT) | instid1(VALU_DEP_1)
	v_add3_u32 v9, v9, v11, v10
	v_lshlrev_b64_e32 v[8:9], 1, v[8:9]
	s_delay_alu instid0(VALU_DEP_1) | instskip(SKIP_1) | instid1(VALU_DEP_2)
	v_add_co_u32 v8, vcc_lo, s54, v8
	s_wait_alu 0xfffd
	v_add_co_ci_u32_e64 v9, null, s55, v9, vcc_lo
	global_load_u16 v8, v[8:9], off
	s_wait_loadcnt 0x0
	v_cmp_lt_i16_e32 vcc_lo, -1, v8
	v_and_b32_e32 v9, 0xffff, v8
	s_wait_alu 0xfffd
	v_dual_cndmask_b32 v10, 0xffff, v33 :: v_dual_lshlrev_b32 v11, 16, v8
	s_delay_alu instid0(VALU_DEP_1) | instskip(NEXT) | instid1(VALU_DEP_2)
	v_cmp_o_f32_e32 vcc_lo, v11, v11
	v_xor_b32_e32 v9, v10, v9
	s_wait_alu 0xfffd
	s_delay_alu instid0(VALU_DEP_1) | instskip(NEXT) | instid1(VALU_DEP_1)
	v_cndmask_b32_e32 v9, 0xffff, v9, vcc_lo
	v_and_b32_e32 v9, v9, v34
	s_delay_alu instid0(VALU_DEP_1)
	v_cmp_eq_u32_e32 vcc_lo, v9, v30
	s_and_b32 exec_lo, exec_lo, vcc_lo
	s_cbranch_execz .LBB142_219
; %bb.223:                              ;   in Loop: Header=BB142_221 Depth=2
	v_perm_b32 v8, v8, s96, 0x5040100
	ds_store_b32 v3, v8 offset:3072
	s_branch .LBB142_219
.LBB142_224:                            ;   in Loop: Header=BB142_221 Depth=2
	v_add_co_u32 v6, vcc_lo, v6, s62
	s_wait_alu 0xfffd
	v_add_co_ci_u32_e64 v7, null, 0, v7, vcc_lo
	s_mov_b32 s52, 0
	v_cmp_le_u64_e32 vcc_lo, s[6:7], v[6:7]
	s_or_not1_b32 s53, vcc_lo, exec_lo
	s_branch .LBB142_220
.LBB142_225:                            ;   in Loop: Header=BB142_32 Depth=1
	s_or_b32 exec_lo, exec_lo, s13
	v_lshrrev_b32_e32 v35, 16, v8
	s_and_not1_b32 s6, s14, exec_lo
	s_wait_alu 0xfffe
	s_and_b32 s7, s15, exec_lo
	s_wait_alu 0xfffe
	s_or_b32 s14, s6, s7
.LBB142_226:                            ;   in Loop: Header=BB142_32 Depth=1
	s_or_b32 exec_lo, exec_lo, s12
	s_mov_b32 s77, 0
	s_mov_b32 s78, -1
.LBB142_227:                            ;   in Loop: Header=BB142_32 Depth=1
	s_wait_alu 0xfffe
	s_or_not1_b32 s6, s14, exec_lo
.LBB142_228:                            ;   in Loop: Header=BB142_32 Depth=1
	s_wait_alu 0xfffe
	s_or_b32 exec_lo, exec_lo, s80
	s_mov_b32 s7, 0
	s_and_saveexec_b32 s14, s6
	s_cbranch_execz .LBB142_286
; %bb.229:                              ;   in Loop: Header=BB142_32 Depth=1
	v_mov_b32_e32 v6, 1
	v_dual_mov_b32 v7, 0 :: v_dual_mov_b32 v2, 1
	s_xor_b32 s12, s79, -1
	s_wait_alu 0xfffe
	s_and_saveexec_b32 s6, s12
	s_cbranch_execz .LBB142_238
; %bb.230:                              ;   in Loop: Header=BB142_32 Depth=1
	s_mov_b32 s7, exec_lo
	v_cmpx_ge_u64_e64 s[10:11], v[4:5]
	s_wait_alu 0xfffe
	s_xor_b32 s7, exec_lo, s7
	s_cbranch_execz .LBB142_235
; %bb.231:                              ;   in Loop: Header=BB142_32 Depth=1
	ds_load_b64 v[6:7], v3 offset:5120
	s_lshl_b32 s12, 2, s94
	v_or_b32_e32 v34, s16, v34
	s_wait_alu 0xfffe
	v_and_or_b32 v30, v30, s72, s12
	s_wait_dscnt 0x0
	v_cmp_ne_u64_e32 vcc_lo, 0, v[6:7]
	s_cbranch_vccnz .LBB142_235
; %bb.232:                              ;   in Loop: Header=BB142_32 Depth=1
	s_and_saveexec_b32 s12, s3
; %bb.233:                              ;   in Loop: Header=BB142_32 Depth=1
	v_dual_mov_b32 v6, s10 :: v_dual_mov_b32 v7, s11
	ds_store_b64 v3, v[6:7] offset:5128
; %bb.234:                              ;   in Loop: Header=BB142_32 Depth=1
	s_wait_alu 0xfffe
	s_or_b32 exec_lo, exec_lo, s12
	s_wait_loadcnt_dscnt 0x0
	s_barrier_signal -1
	s_barrier_wait -1
	global_inv scope:SCOPE_SE
.LBB142_235:                            ;   in Loop: Header=BB142_32 Depth=1
	s_wait_alu 0xfffe
	s_or_saveexec_b32 s7, s7
	v_mov_b32_e32 v2, 8
	s_mov_b32 s12, 0
	s_wait_alu 0xfffe
	s_xor_b32 exec_lo, exec_lo, s7
; %bb.236:                              ;   in Loop: Header=BB142_32 Depth=1
	v_sub_co_u32 v4, vcc_lo, v4, s10
	s_wait_alu 0xfffd
	v_subrev_co_ci_u32_e64 v5, null, s11, v5, vcc_lo
	v_mov_b32_e32 v2, 0
	s_mov_b32 s12, exec_lo
; %bb.237:                              ;   in Loop: Header=BB142_32 Depth=1
	s_or_b32 exec_lo, exec_lo, s7
	s_delay_alu instid0(VALU_DEP_2)
	v_dual_mov_b32 v7, v5 :: v_dual_mov_b32 v6, v4
	s_wait_alu 0xfffe
	s_and_b32 s7, s12, exec_lo
.LBB142_238:                            ;   in Loop: Header=BB142_32 Depth=1
	s_wait_alu 0xfffe
	s_or_b32 exec_lo, exec_lo, s6
	s_mov_b32 s6, -1
                                        ; implicit-def: $sgpr81
                                        ; implicit-def: $sgpr80
	s_and_saveexec_b32 s15, s7
	s_cbranch_execz .LBB142_285
; %bb.239:                              ;   in Loop: Header=BB142_32 Depth=1
	v_cmp_eq_u64_e32 vcc_lo, 1, v[6:7]
	s_cmp_eq_u64 s[8:9], 1
	s_mov_b32 s7, -1
	s_cselect_b32 s6, -1, 0
                                        ; implicit-def: $sgpr81
                                        ; implicit-def: $sgpr80
	s_wait_alu 0xfffe
	s_and_b32 s72, s6, vcc_lo
	s_wait_alu 0xfffe
	s_and_saveexec_b32 s79, s72
	s_cbranch_execz .LBB142_273
; %bb.240:                              ;   in Loop: Header=BB142_32 Depth=1
	ds_load_b64 v[4:5], v3 offset:5120
	s_wait_loadcnt_dscnt 0x0
	s_barrier_signal -1
	s_barrier_wait -1
	global_inv scope:SCOPE_SE
	v_readfirstlane_b32 s6, v4
	v_readfirstlane_b32 s7, v5
	s_and_saveexec_b32 s10, s0
; %bb.241:                              ;   in Loop: Header=BB142_32 Depth=1
	ds_store_b16 v27, v3
; %bb.242:                              ;   in Loop: Header=BB142_32 Depth=1
	s_wait_alu 0xfffe
	s_or_b32 exec_lo, exec_lo, s10
	v_or_b32_e32 v30, s16, v30
	v_or_b32_e32 v34, s16, v34
	s_mov_b32 s80, -1
	s_mov_b32 s81, 0
	s_cmp_eq_u64 s[6:7], 0
	s_mov_b32 s12, 0
	s_mov_b32 s13, -1
	s_wait_loadcnt_dscnt 0x0
	s_barrier_signal -1
	s_barrier_wait -1
	global_inv scope:SCOPE_SE
                                        ; implicit-def: $vgpr35
	s_cbranch_scc1 .LBB142_258
; %bb.243:                              ;   in Loop: Header=BB142_32 Depth=1
	s_add_nc_u64 s[10:11], s[6:7], s[66:67]
	s_mov_b32 s12, s65
	s_wait_alu 0xfffe
	s_mov_b32 s13, s11
	s_wait_alu 0xfffe
	s_cmp_lg_u64 s[12:13], 0
	s_cbranch_scc0 .LBB142_292
; %bb.244:                              ;   in Loop: Header=BB142_32 Depth=1
	s_cvt_f32_u32 s12, s62
	s_sub_nc_u64 s[52:53], 0, s[62:63]
	s_wait_alu 0xfffe
	s_delay_alu instid0(SALU_CYCLE_1) | instskip(SKIP_1) | instid1(SALU_CYCLE_2)
	s_fmamk_f32 s12, s93, 0x0, s12
	s_wait_alu 0xfffe
	v_s_rcp_f32 s12, s12
	s_delay_alu instid0(TRANS32_DEP_1) | instskip(SKIP_1) | instid1(SALU_CYCLE_2)
	s_mul_f32 s12, s12, 0x5f7ffffc
	s_wait_alu 0xfffe
	s_mul_f32 s13, s12, 0x2f800000
	s_wait_alu 0xfffe
	s_delay_alu instid0(SALU_CYCLE_2) | instskip(SKIP_1) | instid1(SALU_CYCLE_2)
	s_trunc_f32 s13, s13
	s_wait_alu 0xfffe
	s_fmamk_f32 s12, s13, 0xcf800000, s12
	s_cvt_u32_f32 s13, s13
	s_wait_alu 0xfffe
	s_delay_alu instid0(SALU_CYCLE_1) | instskip(SKIP_1) | instid1(SALU_CYCLE_2)
	s_cvt_u32_f32 s12, s12
	s_wait_alu 0xfffe
	s_mul_u64 s[82:83], s[52:53], s[12:13]
	s_wait_alu 0xfffe
	s_mul_hi_u32 vcc_hi, s12, s83
	s_mul_i32 vcc_lo, s12, s83
	s_mul_hi_u32 s64, s12, s82
	s_mul_i32 s37, s13, s82
	s_wait_alu 0xfffe
	s_add_nc_u64 vcc, s[64:65], vcc
	s_mul_hi_u32 s36, s13, s82
	s_mul_hi_u32 s38, s13, s83
	s_wait_alu 0xfffe
	s_add_co_u32 s37, vcc_lo, s37
	s_add_co_ci_u32 s64, vcc_hi, s36
	s_mul_i32 s82, s13, s83
	s_add_co_ci_u32 s83, s38, 0
	s_wait_alu 0xfffe
	s_add_nc_u64 s[82:83], s[64:65], s[82:83]
	s_wait_alu 0xfffe
	s_add_co_u32 s12, s12, s82
	s_cselect_b32 s36, -1, 0
	s_wait_alu 0xfffe
	s_cmp_lg_u32 s36, 0
	s_add_co_ci_u32 s13, s13, s83
	s_wait_alu 0xfffe
	s_mul_u64 s[52:53], s[52:53], s[12:13]
	s_wait_alu 0xfffe
	s_mul_hi_u32 s83, s12, s53
	s_mul_i32 s82, s12, s53
	s_mul_hi_u32 s64, s12, s52
	s_mul_i32 s37, s13, s52
	s_wait_alu 0xfffe
	s_add_nc_u64 s[82:83], s[64:65], s[82:83]
	s_mul_hi_u32 s36, s13, s52
	s_mul_hi_u32 s38, s13, s53
	s_wait_alu 0xfffe
	s_add_co_u32 s37, s82, s37
	s_add_co_ci_u32 s64, s83, s36
	s_mul_i32 s52, s13, s53
	s_add_co_ci_u32 s53, s38, 0
	s_wait_alu 0xfffe
	s_add_nc_u64 s[52:53], s[64:65], s[52:53]
	s_wait_alu 0xfffe
	s_add_co_u32 s12, s12, s52
	s_cselect_b32 s36, -1, 0
	s_wait_alu 0xfffe
	s_mul_hi_u32 s64, s10, s12
	s_cmp_lg_u32 s36, 0
	s_mul_hi_u32 s36, s11, s12
	s_add_co_ci_u32 s37, s13, s53
	s_mul_i32 s38, s11, s12
	s_wait_alu 0xfffe
	s_mul_hi_u32 s13, s10, s37
	s_mul_i32 s12, s10, s37
	s_mul_hi_u32 s39, s11, s37
	s_wait_alu 0xfffe
	s_add_nc_u64 s[12:13], s[64:65], s[12:13]
	s_mul_i32 s52, s11, s37
	s_wait_alu 0xfffe
	s_add_co_u32 s12, s12, s38
	s_add_co_ci_u32 s64, s13, s36
	s_add_co_ci_u32 s53, s39, 0
	s_wait_alu 0xfffe
	s_add_nc_u64 s[12:13], s[64:65], s[52:53]
	s_wait_alu 0xfffe
	s_mul_u64 s[12:13], s[62:63], s[12:13]
	s_wait_alu 0xfffe
	s_sub_co_u32 s12, s10, s12
	s_cselect_b32 s36, -1, 0
	s_wait_alu 0xfffe
	s_cmp_lg_u32 s36, 0
	s_sub_co_ci_u32 s13, s11, s13
	s_sub_co_u32 s36, s12, s62
	s_cselect_b32 s37, -1, 0
	s_wait_alu 0xfffe
	s_cmp_lg_u32 s37, 0
	s_sub_co_ci_u32 s37, s13, 0
	;; [unrolled: 5-line block ×3, first 2 shown]
	s_cmp_ge_u32 s36, s62
	s_cselect_b32 s52, -1, 0
	s_cmp_eq_u32 s37, 0
	s_wait_alu 0xfffe
	s_cselect_b32 s52, s52, -1
	s_wait_alu 0xfffe
	s_cmp_lg_u32 s52, 0
	s_cselect_b32 s37, s39, s37
	s_cselect_b32 s36, s38, s36
	s_cmp_ge_u32 s12, s62
	s_cselect_b32 s38, -1, 0
	s_cmp_eq_u32 s13, 0
	s_wait_alu 0xfffe
	s_cselect_b32 s38, s38, -1
	s_wait_alu 0xfffe
	s_cmp_lg_u32 s38, 0
	s_cselect_b32 s13, s37, s13
	s_cselect_b32 s12, s36, s12
	s_cbranch_execnz .LBB142_246
.LBB142_245:                            ;   in Loop: Header=BB142_32 Depth=1
	v_cvt_f32_u32_e32 v4, s62
	s_sub_co_i32 s13, 0, s62
	s_delay_alu instid0(VALU_DEP_1) | instskip(NEXT) | instid1(TRANS32_DEP_1)
	v_rcp_iflag_f32_e32 v4, v4
	v_mul_f32_e32 v4, 0x4f7ffffe, v4
	s_delay_alu instid0(VALU_DEP_1) | instskip(NEXT) | instid1(VALU_DEP_1)
	v_cvt_u32_f32_e32 v4, v4
	v_readfirstlane_b32 s12, v4
	s_wait_alu 0xfffe
	s_mul_i32 s13, s13, s12
	s_wait_alu 0xfffe
	s_mul_hi_u32 s13, s12, s13
	s_wait_alu 0xfffe
	s_add_co_i32 s12, s12, s13
	s_wait_alu 0xfffe
	s_mul_hi_u32 s12, s10, s12
	s_wait_alu 0xfffe
	s_mul_i32 s12, s12, s62
	s_wait_alu 0xfffe
	s_sub_co_i32 s12, s10, s12
	s_wait_alu 0xfffe
	s_sub_co_i32 s13, s12, s62
	s_cmp_ge_u32 s12, s62
	s_wait_alu 0xfffe
	s_cselect_b32 s12, s13, s12
	s_wait_alu 0xfffe
	s_sub_co_i32 s13, s12, s62
	s_cmp_ge_u32 s12, s62
	s_wait_alu 0xfffe
	s_cselect_b32 s64, s13, s12
	s_wait_alu 0xfffe
	s_mov_b64 s[12:13], s[64:65]
.LBB142_246:                            ;   in Loop: Header=BB142_32 Depth=1
	s_wait_alu 0xfffe
	s_sub_nc_u64 s[10:11], s[10:11], s[12:13]
	s_mov_b32 s13, 0
	s_mov_b32 s12, 0
	s_mov_b32 s52, exec_lo
                                        ; implicit-def: $vgpr35
	s_wait_alu 0xfffe
	v_cmpx_gt_u64_e64 s[10:11], v[0:1]
	s_cbranch_execz .LBB142_257
; %bb.247:                              ;   in Loop: Header=BB142_32 Depth=1
	v_dual_mov_b32 v8, v26 :: v_dual_mov_b32 v5, v1
	v_mov_b32_e32 v4, v0
                                        ; implicit-def: $sgpr53
	s_branch .LBB142_250
.LBB142_248:                            ;   in Loop: Header=BB142_250 Depth=2
	s_wait_alu 0xfffe
	s_or_b32 exec_lo, exec_lo, s64
	s_wait_loadcnt_dscnt 0x0
	s_barrier_signal -1
	s_barrier_wait -1
	global_inv scope:SCOPE_SE
	ds_load_b32 v9, v3 offset:3072
	s_mov_b32 s64, -1
	s_mov_b32 s82, -1
	s_wait_loadcnt_dscnt 0x0
	s_barrier_signal -1
	s_barrier_wait -1
	global_inv scope:SCOPE_SE
	v_and_b32_e32 v10, 0x7fff, v9
	s_delay_alu instid0(VALU_DEP_1)
	v_cmp_ne_u32_e32 vcc_lo, 0, v10
	s_cbranch_vccz .LBB142_253
.LBB142_249:                            ;   in Loop: Header=BB142_250 Depth=2
	s_wait_alu 0xfffe
	s_and_b32 s36, exec_lo, s64
	s_wait_alu 0xfffe
	s_or_b32 s12, s36, s12
	s_and_not1_b32 s36, s53, exec_lo
	s_and_b32 s37, s82, exec_lo
	s_wait_alu 0xfffe
	s_or_b32 s53, s36, s37
	s_and_not1_b32 exec_lo, exec_lo, s12
	s_cbranch_execz .LBB142_256
.LBB142_250:                            ;   Parent Loop BB142_32 Depth=1
                                        ; =>  This Inner Loop Header: Depth=2
	s_mov_b32 s64, exec_lo
	s_delay_alu instid0(VALU_DEP_1)
	v_cmpx_gt_u64_e64 s[6:7], v[4:5]
	s_cbranch_execz .LBB142_248
; %bb.251:                              ;   in Loop: Header=BB142_250 Depth=2
	ds_load_u16 v9, v8
	s_wait_dscnt 0x0
	v_cmp_lt_i16_e32 vcc_lo, -1, v9
	v_and_b32_e32 v10, 0xffff, v9
	s_wait_alu 0xfffd
	v_cndmask_b32_e32 v11, 0xffff, v33, vcc_lo
	s_delay_alu instid0(VALU_DEP_1) | instskip(SKIP_1) | instid1(VALU_DEP_1)
	v_xor_b32_e32 v10, v11, v10
	v_lshlrev_b32_e32 v19, 16, v9
	v_cmp_o_f32_e32 vcc_lo, v19, v19
	s_wait_alu 0xfffd
	s_delay_alu instid0(VALU_DEP_3) | instskip(NEXT) | instid1(VALU_DEP_1)
	v_cndmask_b32_e32 v10, 0xffff, v10, vcc_lo
	v_and_b32_e32 v10, v10, v34
	s_delay_alu instid0(VALU_DEP_1)
	v_cmp_eq_u32_e32 vcc_lo, v10, v30
	s_and_b32 exec_lo, exec_lo, vcc_lo
	s_cbranch_execz .LBB142_248
; %bb.252:                              ;   in Loop: Header=BB142_250 Depth=2
	v_perm_b32 v9, v9, s96, 0x5040100
	ds_store_b32 v3, v9 offset:3072
	s_branch .LBB142_248
.LBB142_253:                            ;   in Loop: Header=BB142_250 Depth=2
	v_add_co_u32 v4, vcc_lo, v4, s62
	s_wait_alu 0xfffd
	v_add_co_ci_u32_e64 v5, null, 0, v5, vcc_lo
	v_add_nc_u32_e32 v8, s92, v8
	s_mov_b32 s82, 0
	s_delay_alu instid0(VALU_DEP_2)
	v_cmp_le_u64_e32 vcc_lo, s[10:11], v[4:5]
	s_or_not1_b32 s64, vcc_lo, exec_lo
	s_branch .LBB142_249
.LBB142_254:                            ;   in Loop: Header=BB142_32 Depth=1
                                        ; implicit-def: $sgpr14_sgpr15
	s_branch .LBB142_200
.LBB142_255:                            ;   in Loop: Header=BB142_32 Depth=1
                                        ; implicit-def: $sgpr6_sgpr7
	s_branch .LBB142_216
.LBB142_256:                            ;   in Loop: Header=BB142_32 Depth=1
	s_or_b32 exec_lo, exec_lo, s12
	v_lshrrev_b32_e32 v35, 16, v9
	s_wait_alu 0xfffe
	s_and_b32 s12, s53, exec_lo
.LBB142_257:                            ;   in Loop: Header=BB142_32 Depth=1
	s_or_b32 exec_lo, exec_lo, s52
.LBB142_258:                            ;   in Loop: Header=BB142_32 Depth=1
	s_wait_alu 0xfffe
	s_and_b32 vcc_lo, exec_lo, s13
	s_wait_alu 0xfffe
	s_cbranch_vccz .LBB142_272
; %bb.259:                              ;   in Loop: Header=BB142_32 Depth=1
	s_mov_b32 s6, s65
	s_mov_b32 s7, s69
	s_wait_alu 0xfffe
	s_cmp_lg_u64 s[6:7], 0
	s_cbranch_scc0 .LBB142_293
; %bb.260:                              ;   in Loop: Header=BB142_32 Depth=1
	s_cvt_f32_u32 s6, s62
	s_sub_nc_u64 s[10:11], 0, s[62:63]
	s_wait_alu 0xfffe
	s_delay_alu instid0(SALU_CYCLE_1) | instskip(SKIP_1) | instid1(SALU_CYCLE_2)
	s_fmamk_f32 s6, s93, 0x0, s6
	s_wait_alu 0xfffe
	v_s_rcp_f32 s6, s6
	s_delay_alu instid0(TRANS32_DEP_1) | instskip(SKIP_1) | instid1(SALU_CYCLE_2)
	s_mul_f32 s6, s6, 0x5f7ffffc
	s_wait_alu 0xfffe
	s_mul_f32 s7, s6, 0x2f800000
	s_wait_alu 0xfffe
	s_delay_alu instid0(SALU_CYCLE_2) | instskip(SKIP_1) | instid1(SALU_CYCLE_2)
	s_trunc_f32 s7, s7
	s_wait_alu 0xfffe
	s_fmamk_f32 s6, s7, 0xcf800000, s6
	s_cvt_u32_f32 s7, s7
	s_wait_alu 0xfffe
	s_delay_alu instid0(SALU_CYCLE_1) | instskip(SKIP_1) | instid1(SALU_CYCLE_2)
	s_cvt_u32_f32 s6, s6
	s_wait_alu 0xfffe
	s_mul_u64 s[52:53], s[10:11], s[6:7]
	s_wait_alu 0xfffe
	s_mul_hi_u32 s81, s6, s53
	s_mul_i32 s80, s6, s53
	s_mul_hi_u32 s64, s6, s52
	s_mul_i32 s36, s7, s52
	s_wait_alu 0xfffe
	s_add_nc_u64 s[80:81], s[64:65], s[80:81]
	s_mul_hi_u32 s13, s7, s52
	s_mul_hi_u32 s37, s7, s53
	s_wait_alu 0xfffe
	s_add_co_u32 s36, s80, s36
	s_add_co_ci_u32 s64, s81, s13
	s_mul_i32 s52, s7, s53
	s_add_co_ci_u32 s53, s37, 0
	s_wait_alu 0xfffe
	s_add_nc_u64 s[52:53], s[64:65], s[52:53]
	s_wait_alu 0xfffe
	s_add_co_u32 s6, s6, s52
	s_cselect_b32 s13, -1, 0
	s_wait_alu 0xfffe
	s_cmp_lg_u32 s13, 0
	s_add_co_ci_u32 s7, s7, s53
	s_wait_alu 0xfffe
	s_mul_u64 s[10:11], s[10:11], s[6:7]
	s_wait_alu 0xfffe
	s_mul_hi_u32 s53, s6, s11
	s_mul_i32 s52, s6, s11
	s_mul_hi_u32 s64, s6, s10
	s_mul_i32 s36, s7, s10
	s_wait_alu 0xfffe
	s_add_nc_u64 s[52:53], s[64:65], s[52:53]
	s_mul_hi_u32 s13, s7, s10
	s_mul_hi_u32 s37, s7, s11
	s_mul_i32 s10, s7, s11
	s_wait_alu 0xfffe
	s_add_co_u32 s11, s52, s36
	s_add_co_ci_u32 s64, s53, s13
	s_add_co_ci_u32 s11, s37, 0
	s_wait_alu 0xfffe
	s_add_nc_u64 s[10:11], s[64:65], s[10:11]
	s_wait_alu 0xfffe
	s_add_co_u32 s6, s6, s10
	s_cselect_b32 s10, -1, 0
	s_wait_alu 0xfffe
	s_mul_hi_u32 s64, s68, s6
	s_cmp_lg_u32 s10, 0
	s_mul_hi_u32 s13, s69, s6
	s_add_co_ci_u32 s10, s7, s11
	s_mul_i32 s11, s69, s6
	s_wait_alu 0xfffe
	s_mul_hi_u32 s7, s68, s10
	s_mul_i32 s6, s68, s10
	s_mul_hi_u32 s36, s69, s10
	s_wait_alu 0xfffe
	s_add_nc_u64 s[6:7], s[64:65], s[6:7]
	s_mul_i32 s10, s69, s10
	s_wait_alu 0xfffe
	s_add_co_u32 s6, s6, s11
	s_add_co_ci_u32 s64, s7, s13
	s_add_co_ci_u32 s11, s36, 0
	s_wait_alu 0xfffe
	s_add_nc_u64 s[6:7], s[64:65], s[10:11]
	s_wait_alu 0xfffe
	s_mul_u64 s[6:7], s[62:63], s[6:7]
	s_wait_alu 0xfffe
	s_sub_co_u32 s6, s68, s6
	s_cselect_b32 s10, -1, 0
	s_wait_alu 0xfffe
	s_cmp_lg_u32 s10, 0
	s_sub_co_ci_u32 s7, s69, s7
	s_sub_co_u32 s10, s6, s62
	s_cselect_b32 s11, -1, 0
	s_wait_alu 0xfffe
	s_cmp_lg_u32 s11, 0
	s_sub_co_ci_u32 s11, s7, 0
	;; [unrolled: 5-line block ×3, first 2 shown]
	s_cmp_ge_u32 s10, s62
	s_cselect_b32 s37, -1, 0
	s_cmp_eq_u32 s11, 0
	s_wait_alu 0xfffe
	s_cselect_b32 s37, s37, -1
	s_wait_alu 0xfffe
	s_cmp_lg_u32 s37, 0
	s_cselect_b32 s11, s36, s11
	s_cselect_b32 s10, s13, s10
	s_cmp_ge_u32 s6, s62
	s_cselect_b32 s13, -1, 0
	s_cmp_eq_u32 s7, 0
	s_wait_alu 0xfffe
	s_cselect_b32 s13, s13, -1
	s_wait_alu 0xfffe
	s_cmp_lg_u32 s13, 0
	s_cselect_b32 s7, s11, s7
	s_cselect_b32 s6, s10, s6
	s_cbranch_execnz .LBB142_262
.LBB142_261:                            ;   in Loop: Header=BB142_32 Depth=1
	v_cvt_f32_u32_e32 v4, s62
	s_sub_co_i32 s7, 0, s62
	s_delay_alu instid0(VALU_DEP_1) | instskip(NEXT) | instid1(TRANS32_DEP_1)
	v_rcp_iflag_f32_e32 v4, v4
	v_mul_f32_e32 v4, 0x4f7ffffe, v4
	s_delay_alu instid0(VALU_DEP_1) | instskip(NEXT) | instid1(VALU_DEP_1)
	v_cvt_u32_f32_e32 v4, v4
	v_readfirstlane_b32 s6, v4
	s_wait_alu 0xfffe
	s_mul_i32 s7, s7, s6
	s_wait_alu 0xfffe
	s_mul_hi_u32 s7, s6, s7
	s_wait_alu 0xfffe
	s_add_co_i32 s6, s6, s7
	s_wait_alu 0xfffe
	s_mul_hi_u32 s6, s68, s6
	s_wait_alu 0xfffe
	s_mul_i32 s6, s6, s62
	s_wait_alu 0xfffe
	s_sub_co_i32 s6, s68, s6
	s_wait_alu 0xfffe
	s_sub_co_i32 s7, s6, s62
	s_cmp_ge_u32 s6, s62
	s_wait_alu 0xfffe
	s_cselect_b32 s6, s7, s6
	s_wait_alu 0xfffe
	s_sub_co_i32 s7, s6, s62
	s_cmp_ge_u32 s6, s62
	s_wait_alu 0xfffe
	s_cselect_b32 s64, s7, s6
	s_wait_alu 0xfffe
	s_mov_b64 s[6:7], s[64:65]
.LBB142_262:                            ;   in Loop: Header=BB142_32 Depth=1
	s_wait_alu 0xfffe
	s_sub_nc_u64 s[6:7], s[68:69], s[6:7]
	s_mov_b32 s10, exec_lo
                                        ; implicit-def: $vgpr35
	s_wait_alu 0xfffe
	v_cmpx_gt_u64_e64 s[6:7], v[0:1]
	s_cbranch_execz .LBB142_271
; %bb.263:                              ;   in Loop: Header=BB142_32 Depth=1
	v_dual_mov_b32 v5, v1 :: v_dual_mov_b32 v4, v0
	s_mov_b32 s11, 0
                                        ; implicit-def: $sgpr13
	s_branch .LBB142_266
.LBB142_264:                            ;   in Loop: Header=BB142_266 Depth=2
	s_wait_alu 0xfffe
	s_or_b32 exec_lo, exec_lo, s52
	s_wait_loadcnt_dscnt 0x0
	s_barrier_signal -1
	s_barrier_wait -1
	global_inv scope:SCOPE_SE
	ds_load_b32 v8, v3 offset:3072
	s_mov_b32 s53, -1
	s_mov_b32 s52, -1
	s_wait_loadcnt_dscnt 0x0
	s_barrier_signal -1
	s_barrier_wait -1
	global_inv scope:SCOPE_SE
	v_and_b32_e32 v9, 0x7fff, v8
	s_delay_alu instid0(VALU_DEP_1)
	v_cmp_eq_u32_e32 vcc_lo, 0, v9
	s_cbranch_vccnz .LBB142_269
.LBB142_265:                            ;   in Loop: Header=BB142_266 Depth=2
	s_wait_alu 0xfffe
	s_and_b32 s36, exec_lo, s53
	s_wait_alu 0xfffe
	s_or_b32 s11, s36, s11
	s_and_not1_b32 s13, s13, exec_lo
	s_and_b32 s36, s52, exec_lo
	s_wait_alu 0xfffe
	s_or_b32 s13, s13, s36
	s_and_not1_b32 exec_lo, exec_lo, s11
	s_cbranch_execz .LBB142_270
.LBB142_266:                            ;   Parent Loop BB142_32 Depth=1
                                        ; =>  This Inner Loop Header: Depth=2
	s_mov_b32 s52, exec_lo
	s_delay_alu instid0(VALU_DEP_1)
	v_cmpx_gt_u64_e64 s[20:21], v[4:5]
	s_cbranch_execz .LBB142_264
; %bb.267:                              ;   in Loop: Header=BB142_266 Depth=2
	v_mul_lo_u32 v10, v5, s46
	v_mul_lo_u32 v11, v4, s47
	v_mad_co_u64_u32 v[8:9], null, v4, s46, 0
	s_delay_alu instid0(VALU_DEP_1) | instskip(NEXT) | instid1(VALU_DEP_1)
	v_add3_u32 v9, v9, v11, v10
	v_lshlrev_b64_e32 v[8:9], 1, v[8:9]
	s_delay_alu instid0(VALU_DEP_1) | instskip(SKIP_1) | instid1(VALU_DEP_2)
	v_add_co_u32 v8, vcc_lo, s54, v8
	s_wait_alu 0xfffd
	v_add_co_ci_u32_e64 v9, null, s55, v9, vcc_lo
	global_load_u16 v8, v[8:9], off
	s_wait_loadcnt 0x0
	v_cmp_lt_i16_e32 vcc_lo, -1, v8
	v_and_b32_e32 v9, 0xffff, v8
	s_wait_alu 0xfffd
	v_dual_cndmask_b32 v10, 0xffff, v33 :: v_dual_lshlrev_b32 v11, 16, v8
	s_delay_alu instid0(VALU_DEP_1) | instskip(NEXT) | instid1(VALU_DEP_2)
	v_cmp_o_f32_e32 vcc_lo, v11, v11
	v_xor_b32_e32 v9, v10, v9
	s_wait_alu 0xfffd
	s_delay_alu instid0(VALU_DEP_1) | instskip(NEXT) | instid1(VALU_DEP_1)
	v_cndmask_b32_e32 v9, 0xffff, v9, vcc_lo
	v_and_b32_e32 v9, v9, v34
	s_delay_alu instid0(VALU_DEP_1)
	v_cmp_eq_u32_e32 vcc_lo, v9, v30
	s_and_b32 exec_lo, exec_lo, vcc_lo
	s_cbranch_execz .LBB142_264
; %bb.268:                              ;   in Loop: Header=BB142_266 Depth=2
	v_perm_b32 v8, v8, s96, 0x5040100
	ds_store_b32 v3, v8 offset:3072
	s_branch .LBB142_264
.LBB142_269:                            ;   in Loop: Header=BB142_266 Depth=2
	v_add_co_u32 v4, vcc_lo, v4, s62
	s_wait_alu 0xfffd
	v_add_co_ci_u32_e64 v5, null, 0, v5, vcc_lo
	s_mov_b32 s52, 0
	v_cmp_le_u64_e32 vcc_lo, s[6:7], v[4:5]
	s_or_not1_b32 s53, vcc_lo, exec_lo
	s_branch .LBB142_265
.LBB142_270:                            ;   in Loop: Header=BB142_32 Depth=1
	s_or_b32 exec_lo, exec_lo, s11
	v_lshrrev_b32_e32 v35, 16, v8
	s_and_not1_b32 s6, s12, exec_lo
	s_wait_alu 0xfffe
	s_and_b32 s7, s13, exec_lo
	s_wait_alu 0xfffe
	s_or_b32 s12, s6, s7
.LBB142_271:                            ;   in Loop: Header=BB142_32 Depth=1
	s_or_b32 exec_lo, exec_lo, s10
	s_mov_b32 s80, 0
	s_mov_b32 s81, -1
.LBB142_272:                            ;   in Loop: Header=BB142_32 Depth=1
	s_wait_alu 0xfffe
	s_or_not1_b32 s7, s12, exec_lo
.LBB142_273:                            ;   in Loop: Header=BB142_32 Depth=1
	s_wait_alu 0xfffe
	s_or_b32 exec_lo, exec_lo, s79
	s_mov_b32 s10, 0
	s_and_saveexec_b32 s6, s7
	s_cbranch_execz .LBB142_284
; %bb.274:                              ;   in Loop: Header=BB142_32 Depth=1
	v_mov_b32_e32 v4, 1
	v_dual_mov_b32 v5, 0 :: v_dual_mov_b32 v2, 1
	s_xor_b32 s10, s72, -1
	s_wait_alu 0xfffe
	s_and_saveexec_b32 s7, s10
	s_cbranch_execz .LBB142_283
; %bb.275:                              ;   in Loop: Header=BB142_32 Depth=1
	s_mov_b32 s10, exec_lo
	v_cmpx_ge_u64_e64 s[8:9], v[6:7]
	s_wait_alu 0xfffe
	s_xor_b32 s10, exec_lo, s10
	s_cbranch_execz .LBB142_280
; %bb.276:                              ;   in Loop: Header=BB142_32 Depth=1
	ds_load_b64 v[4:5], v3 offset:5120
	v_or_b32_e32 v30, s16, v30
	v_or_b32_e32 v34, s16, v34
	s_wait_dscnt 0x0
	v_cmp_ne_u64_e32 vcc_lo, 0, v[4:5]
	s_cbranch_vccnz .LBB142_280
; %bb.277:                              ;   in Loop: Header=BB142_32 Depth=1
	s_and_saveexec_b32 s11, s3
; %bb.278:                              ;   in Loop: Header=BB142_32 Depth=1
	v_dual_mov_b32 v4, s8 :: v_dual_mov_b32 v5, s9
	ds_store_b64 v3, v[4:5] offset:5128
; %bb.279:                              ;   in Loop: Header=BB142_32 Depth=1
	s_wait_alu 0xfffe
	s_or_b32 exec_lo, exec_lo, s11
	s_wait_loadcnt_dscnt 0x0
	s_barrier_signal -1
	s_barrier_wait -1
	global_inv scope:SCOPE_SE
.LBB142_280:                            ;   in Loop: Header=BB142_32 Depth=1
	s_wait_alu 0xfffe
	s_and_not1_saveexec_b32 s10, s10
; %bb.281:                              ;   in Loop: Header=BB142_32 Depth=1
	v_sub_co_u32 v6, vcc_lo, v6, s8
	s_wait_alu 0xfffd
	v_subrev_co_ci_u32_e64 v7, null, s9, v7, vcc_lo
; %bb.282:                              ;   in Loop: Header=BB142_32 Depth=1
	s_wait_alu 0xfffe
	s_or_b32 exec_lo, exec_lo, s10
	v_mov_b32_e32 v4, v6
	s_delay_alu instid0(VALU_DEP_2)
	v_dual_mov_b32 v2, 8 :: v_dual_mov_b32 v5, v7
.LBB142_283:                            ;   in Loop: Header=BB142_32 Depth=1
	s_wait_alu 0xfffe
	s_or_b32 exec_lo, exec_lo, s7
	s_delay_alu instid0(VALU_DEP_1)
	v_dual_mov_b32 v7, v5 :: v_dual_mov_b32 v6, v4
	s_mov_b32 s10, exec_lo
.LBB142_284:                            ;   in Loop: Header=BB142_32 Depth=1
	s_wait_alu 0xfffe
	s_or_b32 exec_lo, exec_lo, s6
	s_delay_alu instid0(SALU_CYCLE_1)
	s_or_not1_b32 s6, s10, exec_lo
.LBB142_285:                            ;   in Loop: Header=BB142_32 Depth=1
	s_wait_alu 0xfffe
	s_or_b32 exec_lo, exec_lo, s15
	v_dual_mov_b32 v4, v6 :: v_dual_mov_b32 v5, v7
	s_and_not1_b32 s7, s78, exec_lo
	s_and_b32 s8, s81, exec_lo
	s_and_not1_b32 s9, s77, exec_lo
	s_and_b32 s10, s80, exec_lo
	s_wait_alu 0xfffe
	s_or_b32 s78, s7, s8
	s_or_b32 s77, s9, s10
	s_and_b32 s7, s6, exec_lo
.LBB142_286:                            ;   in Loop: Header=BB142_32 Depth=1
	s_wait_alu 0xfffe
	s_or_b32 exec_lo, exec_lo, s14
	s_delay_alu instid0(SALU_CYCLE_1)
	s_or_not1_b32 s6, s7, exec_lo
.LBB142_287:                            ;   in Loop: Header=BB142_32 Depth=1
	s_wait_alu 0xfffe
	s_or_b32 exec_lo, exec_lo, s76
	v_dual_mov_b32 v9, v5 :: v_dual_mov_b32 v8, v4
	s_and_not1_b32 s7, s74, exec_lo
	s_and_b32 s8, s78, exec_lo
	s_and_not1_b32 s9, s73, exec_lo
	s_and_b32 s10, s77, exec_lo
	s_wait_alu 0xfffe
	s_or_b32 s74, s7, s8
	s_or_b32 s73, s9, s10
	s_and_b32 s7, s6, exec_lo
.LBB142_288:                            ;   in Loop: Header=BB142_32 Depth=1
	s_wait_alu 0xfffe
	s_or_b32 exec_lo, exec_lo, s75
	s_delay_alu instid0(SALU_CYCLE_1)
	s_or_not1_b32 s6, s7, exec_lo
.LBB142_289:                            ;   in Loop: Header=BB142_32 Depth=1
	s_wait_alu 0xfffe
	s_or_b32 exec_lo, exec_lo, s19
	s_mov_b32 s7, 0
	s_and_saveexec_b32 s8, s6
	s_wait_alu 0xfffe
	s_xor_b32 s6, exec_lo, s8
	s_cbranch_execz .LBB142_30
; %bb.290:                              ;   in Loop: Header=BB142_32 Depth=1
	v_and_b32_e32 v2, 7, v2
	s_mov_b32 s8, -1
	s_mov_b32 s7, -1
	s_mov_b32 s9, exec_lo
	s_delay_alu instid0(VALU_DEP_1)
	v_cmpx_eq_u32_e32 0, v2
	s_cbranch_execz .LBB142_29
; %bb.291:                              ;   in Loop: Header=BB142_32 Depth=1
	s_xor_b32 s97, s97, 1
	s_add_co_i32 s10, s94, -2
	s_cmp_eq_u32 s94, 0
	s_wait_alu 0xfffe
	s_mov_b32 s94, s10
	s_cselect_b32 s8, -1, 0
	s_xor_b32 s7, exec_lo, -1
	s_wait_alu 0xfffe
	s_or_not1_b32 s8, s8, exec_lo
	s_branch .LBB142_29
.LBB142_292:                            ;   in Loop: Header=BB142_32 Depth=1
                                        ; implicit-def: $sgpr12_sgpr13
	s_branch .LBB142_245
.LBB142_293:                            ;   in Loop: Header=BB142_32 Depth=1
                                        ; implicit-def: $sgpr6_sgpr7
	s_branch .LBB142_261
.LBB142_294:
	s_or_b32 exec_lo, exec_lo, s95
	s_xor_b32 s3, s103, -1
	s_xor_b32 s1, s101, -1
	;; [unrolled: 1-line block ×3, first 2 shown]
	s_mov_b32 s0, 0
	s_and_saveexec_b32 s5, s1
	s_wait_alu 0xfffe
	s_xor_b32 s1, exec_lo, s5
	s_cbranch_execnz .LBB142_299
; %bb.295:
	s_and_not1_saveexec_b32 s1, s1
	s_cbranch_execnz .LBB142_312
.LBB142_296:
	s_or_b32 exec_lo, exec_lo, s1
	s_and_saveexec_b32 s1, s0
.LBB142_297:
	; divergent unreachable
.LBB142_298:
	s_endpgm
.LBB142_299:
	s_and_saveexec_b32 s0, s3
	s_delay_alu instid0(SALU_CYCLE_1)
	s_xor_b32 s3, exec_lo, s0
	s_cbranch_execz .LBB142_310
; %bb.300:
	s_and_saveexec_b32 s0, s4
	s_delay_alu instid0(SALU_CYCLE_1)
	s_xor_b32 s0, exec_lo, s0
; %bb.301:
	v_and_b32_e32 v2, 0x8000, v30
	v_mov_b32_e32 v3, 0xffff
	s_delay_alu instid0(VALU_DEP_2) | instskip(SKIP_1) | instid1(VALU_DEP_2)
	v_cmp_eq_u32_e32 vcc_lo, 0, v2
	s_wait_alu 0xfffd
	v_cndmask_b32_e32 v2, 0x8000, v3, vcc_lo
	s_delay_alu instid0(VALU_DEP_1)
	v_xor_b32_e32 v35, v2, v30
; %bb.302:
	s_or_b32 exec_lo, exec_lo, s0
	s_mul_u64 s[4:5], s[50:51], s[28:29]
	s_mul_u64 s[6:7], s[50:51], s[40:41]
	s_wait_alu 0xfffe
	s_sub_nc_u64 s[4:5], s[48:49], s[4:5]
	s_mul_u64 s[8:9], s[48:49], s[30:31]
	s_wait_alu 0xfffe
	s_mul_u64 s[4:5], s[4:5], s[42:43]
	s_lshl_b64 s[6:7], s[6:7], 1
	s_sub_nc_u64 s[8:9], s[34:35], s[8:9]
	s_wait_alu 0xfffe
	s_add_nc_u64 s[6:7], s[60:61], s[6:7]
	s_lshl_b64 s[4:5], s[4:5], 1
	s_mul_u64 s[8:9], s[8:9], s[56:57]
	v_mov_b32_e32 v2, 0
	s_wait_alu 0xfffe
	s_add_nc_u64 s[4:5], s[6:7], s[4:5]
	s_lshl_b64 s[6:7], s[8:9], 1
	s_wait_alu 0xfffe
	s_add_nc_u64 s[4:5], s[4:5], s[6:7]
	global_store_b16 v2, v35, s[4:5]
	s_and_saveexec_b32 s4, s2
	s_cbranch_execz .LBB142_309
; %bb.303:
	v_lshlrev_b32_e32 v4, 16, v35
	s_mov_b32 s2, 0
                                        ; implicit-def: $sgpr5
                                        ; implicit-def: $sgpr8
                                        ; implicit-def: $sgpr7
	s_delay_alu instid0(VALU_DEP_1)
	v_cmp_u_f32_e32 vcc_lo, v4, v4
	s_xor_b32 s6, vcc_lo, -1
	s_branch .LBB142_305
.LBB142_304:                            ;   in Loop: Header=BB142_305 Depth=1
	s_or_b32 exec_lo, exec_lo, s0
	s_wait_alu 0xfffe
	s_and_b32 s0, exec_lo, s8
	s_delay_alu instid0(SALU_CYCLE_1)
	s_or_b32 s2, s0, s2
	s_and_not1_b32 s0, s5, exec_lo
	s_and_b32 s5, s7, exec_lo
	s_wait_alu 0xfffe
	s_or_b32 s5, s0, s5
	s_and_not1_b32 exec_lo, exec_lo, s2
	s_cbranch_execz .LBB142_307
.LBB142_305:                            ; =>This Inner Loop Header: Depth=1
	v_dual_mov_b32 v3, v1 :: v_dual_mov_b32 v2, v0
	s_or_b32 s7, s7, exec_lo
	s_or_b32 s8, s8, exec_lo
	s_delay_alu instid0(VALU_DEP_1) | instskip(NEXT) | instid1(VALU_DEP_2)
	v_mul_lo_u32 v5, v3, s46
	v_mul_lo_u32 v6, v2, s47
	v_mad_co_u64_u32 v[0:1], null, v2, s46, 0
	s_delay_alu instid0(VALU_DEP_1) | instskip(NEXT) | instid1(VALU_DEP_1)
	v_add3_u32 v1, v1, v6, v5
	v_lshlrev_b64_e32 v[0:1], 1, v[0:1]
	s_delay_alu instid0(VALU_DEP_1) | instskip(SKIP_1) | instid1(VALU_DEP_2)
	v_add_co_u32 v0, vcc_lo, s54, v0
	s_wait_alu 0xfffd
	v_add_co_ci_u32_e64 v1, null, s55, v1, vcc_lo
	global_load_u16 v0, v[0:1], off
	s_wait_loadcnt 0x0
	v_lshlrev_b32_e32 v0, 16, v0
	s_delay_alu instid0(VALU_DEP_1)
	v_cmp_o_f32_e32 vcc_lo, v0, v0
	v_cmp_neq_f32_e64 s0, v0, v4
                                        ; implicit-def: $vgpr0_vgpr1
	s_wait_alu 0xfffe
	s_or_b32 s9, s6, vcc_lo
	s_wait_alu 0xfffe
	s_and_b32 s9, s0, s9
	s_wait_alu 0xfffe
	s_and_saveexec_b32 s0, s9
	s_cbranch_execz .LBB142_304
; %bb.306:                              ;   in Loop: Header=BB142_305 Depth=1
	v_add_co_u32 v0, vcc_lo, v2, s62
	s_wait_alu 0xfffd
	v_add_co_ci_u32_e64 v1, null, 0, v3, vcc_lo
	s_and_not1_b32 s8, s8, exec_lo
	s_and_not1_b32 s7, s7, exec_lo
	v_cmp_le_u64_e32 vcc_lo, s[20:21], v[0:1]
	s_and_b32 s9, vcc_lo, exec_lo
	s_wait_alu 0xfffe
	s_or_b32 s8, s8, s9
	s_branch .LBB142_304
.LBB142_307:
	s_or_b32 exec_lo, exec_lo, s2
	s_wait_alu 0xfffe
	s_and_saveexec_b32 s0, s5
	s_delay_alu instid0(SALU_CYCLE_1)
	s_xor_b32 s0, exec_lo, s0
	s_cbranch_execz .LBB142_309
; %bb.308:
	v_readlane_b32 s12, v40, 2
	v_readlane_b32 s13, v40, 3
	;; [unrolled: 1-line block ×4, first 2 shown]
	s_mul_u64 s[6:7], s[44:45], s[24:25]
	s_mul_u64 s[10:11], s[22:23], s[26:27]
	s_mul_u64 s[8:9], s[44:45], s[12:13]
	v_readlane_b32 s12, v40, 6
	v_readlane_b32 s13, v40, 7
	s_wait_alu 0xfffe
	s_lshl_b64 s[8:9], s[8:9], 3
	s_sub_nc_u64 s[6:7], s[22:23], s[6:7]
	s_sub_nc_u64 s[10:11], s[34:35], s[10:11]
	s_wait_alu 0xfffe
	s_mul_u64 s[6:7], s[6:7], s[14:15]
	s_add_nc_u64 s[8:9], s[12:13], s[8:9]
	v_readlane_b32 s12, v40, 0
	v_readlane_b32 s13, v40, 1
	s_wait_alu 0xfffe
	s_lshl_b64 s[6:7], s[6:7], 3
	v_mov_b32_e32 v0, 0
	s_wait_alu 0xfffe
	s_add_nc_u64 s[6:7], s[8:9], s[6:7]
	s_mul_u64 s[10:11], s[10:11], s[12:13]
	s_wait_alu 0xfffe
	s_lshl_b64 s[8:9], s[10:11], 3
	s_wait_alu 0xfffe
	s_add_nc_u64 s[6:7], s[6:7], s[8:9]
	global_store_b64 v0, v[2:3], s[6:7]
.LBB142_309:
	s_wait_alu 0xfffe
	s_or_b32 exec_lo, exec_lo, s4
.LBB142_310:
	s_wait_alu 0xfffe
	s_or_saveexec_b32 s0, s3
	s_mov_b32 s2, 0
	s_xor_b32 exec_lo, exec_lo, s0
	s_cbranch_execnz .LBB142_313
.LBB142_311:
	s_or_b32 exec_lo, exec_lo, s0
	s_wait_alu 0xfffe
	s_and_b32 s0, s2, exec_lo
	s_and_not1_saveexec_b32 s1, s1
	s_cbranch_execz .LBB142_296
.LBB142_312:
	s_or_b32 s0, s0, exec_lo
	s_trap 2
	s_or_b32 exec_lo, exec_lo, s1
	s_and_saveexec_b32 s1, s0
	s_cbranch_execnz .LBB142_297
	s_branch .LBB142_298
.LBB142_313:
	s_mov_b32 s2, exec_lo
	s_trap 2
	s_branch .LBB142_311
	.section	.rodata,"a",@progbits
	.p2align	6, 0x0
	.amdhsa_kernel _ZN2at6native12_GLOBAL__N_112gatherMedianIN3c108BFloat16EmLi3EEEvNS_4cuda6detail10TensorInfoIT_T0_EENS7_IlS9_EENS7_IKS8_S9_EES9_S9_S9_b
		.amdhsa_group_segment_fixed_size 5152
		.amdhsa_private_segment_fixed_size 0
		.amdhsa_kernarg_size 1536
		.amdhsa_user_sgpr_count 2
		.amdhsa_user_sgpr_dispatch_ptr 0
		.amdhsa_user_sgpr_queue_ptr 0
		.amdhsa_user_sgpr_kernarg_segment_ptr 1
		.amdhsa_user_sgpr_dispatch_id 0
		.amdhsa_user_sgpr_private_segment_size 0
		.amdhsa_wavefront_size32 1
		.amdhsa_uses_dynamic_stack 0
		.amdhsa_enable_private_segment 0
		.amdhsa_system_sgpr_workgroup_id_x 1
		.amdhsa_system_sgpr_workgroup_id_y 1
		.amdhsa_system_sgpr_workgroup_id_z 1
		.amdhsa_system_sgpr_workgroup_info 0
		.amdhsa_system_vgpr_workitem_id 0
		.amdhsa_next_free_vgpr 41
		.amdhsa_next_free_sgpr 105
		.amdhsa_reserve_vcc 1
		.amdhsa_float_round_mode_32 0
		.amdhsa_float_round_mode_16_64 0
		.amdhsa_float_denorm_mode_32 3
		.amdhsa_float_denorm_mode_16_64 3
		.amdhsa_fp16_overflow 0
		.amdhsa_workgroup_processor_mode 1
		.amdhsa_memory_ordered 1
		.amdhsa_forward_progress 1
		.amdhsa_inst_pref_size 161
		.amdhsa_round_robin_scheduling 0
		.amdhsa_exception_fp_ieee_invalid_op 0
		.amdhsa_exception_fp_denorm_src 0
		.amdhsa_exception_fp_ieee_div_zero 0
		.amdhsa_exception_fp_ieee_overflow 0
		.amdhsa_exception_fp_ieee_underflow 0
		.amdhsa_exception_fp_ieee_inexact 0
		.amdhsa_exception_int_div_zero 0
	.end_amdhsa_kernel
	.section	.text._ZN2at6native12_GLOBAL__N_112gatherMedianIN3c108BFloat16EmLi3EEEvNS_4cuda6detail10TensorInfoIT_T0_EENS7_IlS9_EENS7_IKS8_S9_EES9_S9_S9_b,"axG",@progbits,_ZN2at6native12_GLOBAL__N_112gatherMedianIN3c108BFloat16EmLi3EEEvNS_4cuda6detail10TensorInfoIT_T0_EENS7_IlS9_EENS7_IKS8_S9_EES9_S9_S9_b,comdat
.Lfunc_end142:
	.size	_ZN2at6native12_GLOBAL__N_112gatherMedianIN3c108BFloat16EmLi3EEEvNS_4cuda6detail10TensorInfoIT_T0_EENS7_IlS9_EENS7_IKS8_S9_EES9_S9_S9_b, .Lfunc_end142-_ZN2at6native12_GLOBAL__N_112gatherMedianIN3c108BFloat16EmLi3EEEvNS_4cuda6detail10TensorInfoIT_T0_EENS7_IlS9_EENS7_IKS8_S9_EES9_S9_S9_b
                                        ; -- End function
	.set _ZN2at6native12_GLOBAL__N_112gatherMedianIN3c108BFloat16EmLi3EEEvNS_4cuda6detail10TensorInfoIT_T0_EENS7_IlS9_EENS7_IKS8_S9_EES9_S9_S9_b.num_vgpr, 41
	.set _ZN2at6native12_GLOBAL__N_112gatherMedianIN3c108BFloat16EmLi3EEEvNS_4cuda6detail10TensorInfoIT_T0_EENS7_IlS9_EENS7_IKS8_S9_EES9_S9_S9_b.num_agpr, 0
	.set _ZN2at6native12_GLOBAL__N_112gatherMedianIN3c108BFloat16EmLi3EEEvNS_4cuda6detail10TensorInfoIT_T0_EENS7_IlS9_EENS7_IKS8_S9_EES9_S9_S9_b.numbered_sgpr, 105
	.set _ZN2at6native12_GLOBAL__N_112gatherMedianIN3c108BFloat16EmLi3EEEvNS_4cuda6detail10TensorInfoIT_T0_EENS7_IlS9_EENS7_IKS8_S9_EES9_S9_S9_b.num_named_barrier, 0
	.set _ZN2at6native12_GLOBAL__N_112gatherMedianIN3c108BFloat16EmLi3EEEvNS_4cuda6detail10TensorInfoIT_T0_EENS7_IlS9_EENS7_IKS8_S9_EES9_S9_S9_b.private_seg_size, 0
	.set _ZN2at6native12_GLOBAL__N_112gatherMedianIN3c108BFloat16EmLi3EEEvNS_4cuda6detail10TensorInfoIT_T0_EENS7_IlS9_EENS7_IKS8_S9_EES9_S9_S9_b.uses_vcc, 1
	.set _ZN2at6native12_GLOBAL__N_112gatherMedianIN3c108BFloat16EmLi3EEEvNS_4cuda6detail10TensorInfoIT_T0_EENS7_IlS9_EENS7_IKS8_S9_EES9_S9_S9_b.uses_flat_scratch, 0
	.set _ZN2at6native12_GLOBAL__N_112gatherMedianIN3c108BFloat16EmLi3EEEvNS_4cuda6detail10TensorInfoIT_T0_EENS7_IlS9_EENS7_IKS8_S9_EES9_S9_S9_b.has_dyn_sized_stack, 0
	.set _ZN2at6native12_GLOBAL__N_112gatherMedianIN3c108BFloat16EmLi3EEEvNS_4cuda6detail10TensorInfoIT_T0_EENS7_IlS9_EENS7_IKS8_S9_EES9_S9_S9_b.has_recursion, 0
	.set _ZN2at6native12_GLOBAL__N_112gatherMedianIN3c108BFloat16EmLi3EEEvNS_4cuda6detail10TensorInfoIT_T0_EENS7_IlS9_EENS7_IKS8_S9_EES9_S9_S9_b.has_indirect_call, 0
	.section	.AMDGPU.csdata,"",@progbits
; Kernel info:
; codeLenInByte = 20580
; TotalNumSgprs: 107
; NumVgprs: 41
; ScratchSize: 0
; MemoryBound: 0
; FloatMode: 240
; IeeeMode: 1
; LDSByteSize: 5152 bytes/workgroup (compile time only)
; SGPRBlocks: 0
; VGPRBlocks: 5
; NumSGPRsForWavesPerEU: 107
; NumVGPRsForWavesPerEU: 41
; Occupancy: 16
; WaveLimiterHint : 1
; COMPUTE_PGM_RSRC2:SCRATCH_EN: 0
; COMPUTE_PGM_RSRC2:USER_SGPR: 2
; COMPUTE_PGM_RSRC2:TRAP_HANDLER: 0
; COMPUTE_PGM_RSRC2:TGID_X_EN: 1
; COMPUTE_PGM_RSRC2:TGID_Y_EN: 1
; COMPUTE_PGM_RSRC2:TGID_Z_EN: 1
; COMPUTE_PGM_RSRC2:TIDIG_COMP_CNT: 0
	.section	.text._ZN2at6native12_GLOBAL__N_112gatherMedianIN3c108BFloat16EmLin1EEEvNS_4cuda6detail10TensorInfoIT_T0_EENS7_IlS9_EENS7_IKS8_S9_EES9_S9_S9_b,"axG",@progbits,_ZN2at6native12_GLOBAL__N_112gatherMedianIN3c108BFloat16EmLin1EEEvNS_4cuda6detail10TensorInfoIT_T0_EENS7_IlS9_EENS7_IKS8_S9_EES9_S9_S9_b,comdat
	.globl	_ZN2at6native12_GLOBAL__N_112gatherMedianIN3c108BFloat16EmLin1EEEvNS_4cuda6detail10TensorInfoIT_T0_EENS7_IlS9_EENS7_IKS8_S9_EES9_S9_S9_b ; -- Begin function _ZN2at6native12_GLOBAL__N_112gatherMedianIN3c108BFloat16EmLin1EEEvNS_4cuda6detail10TensorInfoIT_T0_EENS7_IlS9_EENS7_IKS8_S9_EES9_S9_S9_b
	.p2align	8
	.type	_ZN2at6native12_GLOBAL__N_112gatherMedianIN3c108BFloat16EmLin1EEEvNS_4cuda6detail10TensorInfoIT_T0_EENS7_IlS9_EENS7_IKS8_S9_EES9_S9_S9_b,@function
_ZN2at6native12_GLOBAL__N_112gatherMedianIN3c108BFloat16EmLin1EEEvNS_4cuda6detail10TensorInfoIT_T0_EENS7_IlS9_EENS7_IKS8_S9_EES9_S9_S9_b: ; @_ZN2at6native12_GLOBAL__N_112gatherMedianIN3c108BFloat16EmLin1EEEvNS_4cuda6detail10TensorInfoIT_T0_EENS7_IlS9_EENS7_IKS8_S9_EES9_S9_S9_b
; %bb.0:
	s_clause 0x1
	s_load_b64 s[6:7], s[0:1], 0x500
	s_load_b128 s[28:31], s[0:1], 0x4e0
	s_lshr_b32 s2, ttmp7, 16
	s_and_b32 s3, ttmp7, 0xffff
	s_wait_kmcnt 0x0
	s_mul_i32 s2, s7, s2
	s_delay_alu instid0(SALU_CYCLE_1) | instskip(SKIP_2) | instid1(SALU_CYCLE_1)
	s_add_co_i32 s2, s2, s3
	s_mov_b32 s3, 0
	s_mul_i32 s2, s2, s6
	s_add_co_i32 s2, s2, ttmp9
	s_delay_alu instid0(SALU_CYCLE_1)
	v_cmp_le_u64_e64 s4, s[30:31], s[2:3]
	s_and_b32 vcc_lo, exec_lo, s4
	s_cbranch_vccnz .LBB143_311
; %bb.1:
	s_clause 0x1
	s_load_b32 s5, s[0:1], 0x198
	s_load_b64 s[30:31], s[0:1], 0x4f0
	s_mov_b64 s[26:27], 0
	s_mov_b64 s[36:37], s[2:3]
	s_wait_kmcnt 0x0
	s_cmp_lt_i32 s5, 2
	s_cbranch_scc1 .LBB143_9
; %bb.2:
	s_mov_b32 s4, 0
	s_add_co_i32 s8, s5, -1
	s_mov_b32 s9, s4
	s_add_co_i32 s7, s5, 1
	s_lshl_b64 s[8:9], s[8:9], 3
	s_mov_b64 s[10:11], s[2:3]
	s_add_nc_u64 s[8:9], s[0:1], s[8:9]
	s_delay_alu instid0(SALU_CYCLE_1)
	s_add_nc_u64 s[8:9], s[8:9], 8
.LBB143_3:                              ; =>This Inner Loop Header: Depth=1
	s_load_b64 s[12:13], s[8:9], 0x0
                                        ; implicit-def: $sgpr36_sgpr37
	s_wait_kmcnt 0x0
	s_or_b64 s[14:15], s[10:11], s[12:13]
	s_delay_alu instid0(SALU_CYCLE_1)
	s_mov_b32 s5, s15
	s_wait_alu 0xfffe
	s_cmp_lg_u64 s[4:5], 0
	s_mov_b32 s5, -1
	s_cbranch_scc0 .LBB143_5
; %bb.4:                                ;   in Loop: Header=BB143_3 Depth=1
	s_cvt_f32_u32 s5, s12
	s_cvt_f32_u32 s14, s13
	s_sub_nc_u64 s[16:17], 0, s[12:13]
	s_mov_b32 s19, s4
	s_mov_b32 s23, s4
	s_wait_alu 0xfffe
	s_fmamk_f32 s5, s14, 0x4f800000, s5
	s_wait_alu 0xfffe
	s_delay_alu instid0(SALU_CYCLE_2) | instskip(NEXT) | instid1(TRANS32_DEP_1)
	v_s_rcp_f32 s5, s5
	s_mul_f32 s5, s5, 0x5f7ffffc
	s_wait_alu 0xfffe
	s_delay_alu instid0(SALU_CYCLE_2) | instskip(NEXT) | instid1(SALU_CYCLE_3)
	s_mul_f32 s14, s5, 0x2f800000
	s_trunc_f32 s14, s14
	s_delay_alu instid0(SALU_CYCLE_3) | instskip(SKIP_2) | instid1(SALU_CYCLE_1)
	s_fmamk_f32 s5, s14, 0xcf800000, s5
	s_cvt_u32_f32 s15, s14
	s_wait_alu 0xfffe
	s_cvt_u32_f32 s14, s5
	s_delay_alu instid0(SALU_CYCLE_3) | instskip(NEXT) | instid1(SALU_CYCLE_1)
	s_mul_u64 s[20:21], s[16:17], s[14:15]
	s_mul_hi_u32 s25, s14, s21
	s_mul_i32 s24, s14, s21
	s_mul_hi_u32 s18, s14, s20
	s_mul_i32 s22, s15, s20
	s_add_nc_u64 s[18:19], s[18:19], s[24:25]
	s_mul_hi_u32 s5, s15, s20
	s_mul_hi_u32 s33, s15, s21
	s_add_co_u32 s18, s18, s22
	s_wait_alu 0xfffe
	s_add_co_ci_u32 s22, s19, s5
	s_mul_i32 s20, s15, s21
	s_add_co_ci_u32 s21, s33, 0
	s_delay_alu instid0(SALU_CYCLE_1)
	s_add_nc_u64 s[18:19], s[22:23], s[20:21]
	s_mov_b32 s21, s4
	s_add_co_u32 s14, s14, s18
	s_cselect_b32 s5, -1, 0
	s_wait_alu 0xfffe
	s_cmp_lg_u32 s5, 0
	s_add_co_ci_u32 s15, s15, s19
	s_mov_b32 s19, s4
	s_mul_u64 s[16:17], s[16:17], s[14:15]
	s_delay_alu instid0(SALU_CYCLE_1)
	s_mul_hi_u32 s23, s14, s17
	s_mul_i32 s22, s14, s17
	s_mul_hi_u32 s18, s14, s16
	s_mul_i32 s20, s15, s16
	s_add_nc_u64 s[18:19], s[18:19], s[22:23]
	s_mul_hi_u32 s5, s15, s16
	s_mul_hi_u32 s24, s15, s17
	s_mul_i32 s16, s15, s17
	s_add_co_u32 s17, s18, s20
	s_wait_alu 0xfffe
	s_add_co_ci_u32 s20, s19, s5
	s_add_co_ci_u32 s17, s24, 0
	s_mov_b32 s19, s4
	s_add_nc_u64 s[16:17], s[20:21], s[16:17]
	s_delay_alu instid0(SALU_CYCLE_1)
	s_add_co_u32 s5, s14, s16
	s_cselect_b32 s14, -1, 0
	s_wait_alu 0xfffe
	s_mul_hi_u32 s18, s10, s5
	s_cmp_lg_u32 s14, 0
	s_mul_hi_u32 s20, s11, s5
	s_add_co_ci_u32 s16, s15, s17
	s_mul_i32 s5, s11, s5
	s_mul_hi_u32 s15, s10, s16
	s_mul_i32 s14, s10, s16
	s_mul_hi_u32 s17, s11, s16
	s_add_nc_u64 s[14:15], s[18:19], s[14:15]
	s_mul_i32 s16, s11, s16
	s_wait_alu 0xfffe
	s_add_co_u32 s5, s14, s5
	s_add_co_ci_u32 s20, s15, s20
	s_add_co_ci_u32 s17, s17, 0
	s_delay_alu instid0(SALU_CYCLE_1) | instskip(NEXT) | instid1(SALU_CYCLE_1)
	s_add_nc_u64 s[14:15], s[20:21], s[16:17]
	s_mul_u64 s[16:17], s[12:13], s[14:15]
	s_delay_alu instid0(SALU_CYCLE_1)
	s_sub_co_u32 s5, s10, s16
	s_cselect_b32 s16, -1, 0
	s_sub_co_i32 s18, s11, s17
	s_cmp_lg_u32 s16, 0
	s_sub_co_ci_u32 s18, s18, s13
	s_wait_alu 0xfffe
	s_sub_co_u32 s19, s5, s12
	s_cselect_b32 s20, -1, 0
	s_delay_alu instid0(SALU_CYCLE_1) | instskip(SKIP_1) | instid1(SALU_CYCLE_1)
	s_cmp_lg_u32 s20, 0
	s_sub_co_ci_u32 s18, s18, 0
	s_cmp_ge_u32 s18, s13
	s_cselect_b32 s20, -1, 0
	s_cmp_ge_u32 s19, s12
	s_cselect_b32 s21, -1, 0
	s_cmp_eq_u32 s18, s13
	s_add_nc_u64 s[18:19], s[14:15], 1
	s_cselect_b32 s22, s21, s20
	s_add_nc_u64 s[20:21], s[14:15], 2
	s_cmp_lg_u32 s22, 0
	s_cselect_b32 s18, s20, s18
	s_cselect_b32 s19, s21, s19
	s_cmp_lg_u32 s16, 0
	s_sub_co_ci_u32 s16, s11, s17
	s_delay_alu instid0(SALU_CYCLE_1)
	s_cmp_ge_u32 s16, s13
	s_cselect_b32 s17, -1, 0
	s_cmp_ge_u32 s5, s12
	s_cselect_b32 s5, -1, 0
	s_cmp_eq_u32 s16, s13
	s_wait_alu 0xfffe
	s_cselect_b32 s5, s5, s17
	s_wait_alu 0xfffe
	s_cmp_lg_u32 s5, 0
	s_mov_b32 s5, 0
	s_cselect_b32 s37, s19, s15
	s_cselect_b32 s36, s18, s14
.LBB143_5:                              ;   in Loop: Header=BB143_3 Depth=1
	s_wait_alu 0xfffe
	s_and_not1_b32 vcc_lo, exec_lo, s5
	s_cbranch_vccnz .LBB143_7
; %bb.6:                                ;   in Loop: Header=BB143_3 Depth=1
	v_cvt_f32_u32_e32 v1, s12
	s_sub_co_i32 s14, 0, s12
	s_mov_b32 s37, s4
	s_delay_alu instid0(VALU_DEP_1) | instskip(NEXT) | instid1(TRANS32_DEP_1)
	v_rcp_iflag_f32_e32 v1, v1
	v_mul_f32_e32 v1, 0x4f7ffffe, v1
	s_delay_alu instid0(VALU_DEP_1) | instskip(NEXT) | instid1(VALU_DEP_1)
	v_cvt_u32_f32_e32 v1, v1
	v_readfirstlane_b32 s5, v1
	s_mul_i32 s14, s14, s5
	s_delay_alu instid0(SALU_CYCLE_1) | instskip(NEXT) | instid1(SALU_CYCLE_1)
	s_mul_hi_u32 s14, s5, s14
	s_add_co_i32 s5, s5, s14
	s_wait_alu 0xfffe
	s_mul_hi_u32 s5, s10, s5
	s_wait_alu 0xfffe
	s_mul_i32 s14, s5, s12
	s_add_co_i32 s15, s5, 1
	s_sub_co_i32 s14, s10, s14
	s_delay_alu instid0(SALU_CYCLE_1)
	s_sub_co_i32 s16, s14, s12
	s_cmp_ge_u32 s14, s12
	s_cselect_b32 s5, s15, s5
	s_cselect_b32 s14, s16, s14
	s_wait_alu 0xfffe
	s_add_co_i32 s15, s5, 1
	s_cmp_ge_u32 s14, s12
	s_cselect_b32 s36, s15, s5
.LBB143_7:                              ;   in Loop: Header=BB143_3 Depth=1
	s_load_b64 s[14:15], s[8:9], 0xc8
	s_mul_u64 s[12:13], s[36:37], s[12:13]
	s_add_co_i32 s7, s7, -1
	s_wait_alu 0xfffe
	s_sub_nc_u64 s[10:11], s[10:11], s[12:13]
	s_cmp_gt_u32 s7, 2
	s_add_nc_u64 s[8:9], s[8:9], -8
	s_wait_kmcnt 0x0
	s_mul_u64 s[10:11], s[14:15], s[10:11]
	s_delay_alu instid0(SALU_CYCLE_1)
	s_add_nc_u64 s[26:27], s[10:11], s[26:27]
	s_cbranch_scc0 .LBB143_9
; %bb.8:                                ;   in Loop: Header=BB143_3 Depth=1
	s_mov_b64 s[10:11], s[36:37]
	s_branch .LBB143_3
.LBB143_9:
	s_load_b32 s7, s[0:1], 0x338
	s_add_nc_u64 s[8:9], s[0:1], 0x500
	s_add_nc_u64 s[4:5], s[0:1], 0x1a0
	s_mov_b64 s[34:35], 0
	s_mov_b64 s[38:39], s[2:3]
	s_wait_kmcnt 0x0
	s_cmp_lt_i32 s7, 2
	s_cbranch_scc1 .LBB143_17
; %bb.10:
	s_mov_b32 s10, 0
	s_add_co_i32 s12, s7, -1
	s_mov_b32 s13, s10
	s_add_co_i32 s7, s7, 1
	s_wait_alu 0xfffe
	s_lshl_b64 s[12:13], s[12:13], 3
	s_mov_b64 s[14:15], s[2:3]
	s_wait_alu 0xfffe
	s_add_nc_u64 s[12:13], s[4:5], s[12:13]
	s_wait_alu 0xfffe
	s_add_nc_u64 s[12:13], s[12:13], 8
.LBB143_11:                             ; =>This Inner Loop Header: Depth=1
	s_load_b64 s[16:17], s[12:13], 0x0
                                        ; implicit-def: $sgpr38_sgpr39
	s_wait_kmcnt 0x0
	s_or_b64 s[18:19], s[14:15], s[16:17]
	s_delay_alu instid0(SALU_CYCLE_1)
	s_mov_b32 s11, s19
	s_wait_alu 0xfffe
	s_cmp_lg_u64 s[10:11], 0
	s_mov_b32 s11, -1
	s_cbranch_scc0 .LBB143_13
; %bb.12:                               ;   in Loop: Header=BB143_11 Depth=1
	s_cvt_f32_u32 s11, s16
	s_cvt_f32_u32 s18, s17
	s_sub_nc_u64 s[20:21], 0, s[16:17]
	s_mov_b32 s23, s10
	s_mov_b32 s39, s10
	s_wait_alu 0xfffe
	s_fmamk_f32 s11, s18, 0x4f800000, s11
	s_wait_alu 0xfffe
	s_delay_alu instid0(SALU_CYCLE_2) | instskip(NEXT) | instid1(TRANS32_DEP_1)
	v_s_rcp_f32 s11, s11
	s_mul_f32 s11, s11, 0x5f7ffffc
	s_wait_alu 0xfffe
	s_delay_alu instid0(SALU_CYCLE_2) | instskip(NEXT) | instid1(SALU_CYCLE_3)
	s_mul_f32 s18, s11, 0x2f800000
	s_trunc_f32 s18, s18
	s_delay_alu instid0(SALU_CYCLE_3) | instskip(SKIP_2) | instid1(SALU_CYCLE_1)
	s_fmamk_f32 s11, s18, 0xcf800000, s11
	s_cvt_u32_f32 s19, s18
	s_wait_alu 0xfffe
	s_cvt_u32_f32 s18, s11
	s_delay_alu instid0(SALU_CYCLE_3) | instskip(NEXT) | instid1(SALU_CYCLE_1)
	s_mul_u64 s[24:25], s[20:21], s[18:19]
	s_mul_hi_u32 s41, s18, s25
	s_mul_i32 s40, s18, s25
	s_mul_hi_u32 s22, s18, s24
	s_mul_i32 s33, s19, s24
	s_add_nc_u64 s[22:23], s[22:23], s[40:41]
	s_mul_hi_u32 s11, s19, s24
	s_mul_hi_u32 s42, s19, s25
	s_add_co_u32 s22, s22, s33
	s_wait_alu 0xfffe
	s_add_co_ci_u32 s38, s23, s11
	s_mul_i32 s24, s19, s25
	s_add_co_ci_u32 s25, s42, 0
	s_delay_alu instid0(SALU_CYCLE_1)
	s_add_nc_u64 s[22:23], s[38:39], s[24:25]
	s_mov_b32 s25, s10
	s_add_co_u32 s18, s18, s22
	s_cselect_b32 s11, -1, 0
	s_wait_alu 0xfffe
	s_cmp_lg_u32 s11, 0
	s_add_co_ci_u32 s19, s19, s23
	s_mov_b32 s23, s10
	s_mul_u64 s[20:21], s[20:21], s[18:19]
	s_delay_alu instid0(SALU_CYCLE_1)
	s_mul_hi_u32 s39, s18, s21
	s_mul_i32 s38, s18, s21
	s_mul_hi_u32 s22, s18, s20
	s_mul_i32 s24, s19, s20
	s_add_nc_u64 s[22:23], s[22:23], s[38:39]
	s_mul_hi_u32 s11, s19, s20
	s_mul_hi_u32 s33, s19, s21
	s_mul_i32 s20, s19, s21
	s_add_co_u32 s21, s22, s24
	s_wait_alu 0xfffe
	s_add_co_ci_u32 s24, s23, s11
	s_add_co_ci_u32 s21, s33, 0
	s_mov_b32 s23, s10
	s_add_nc_u64 s[20:21], s[24:25], s[20:21]
	s_delay_alu instid0(SALU_CYCLE_1)
	s_add_co_u32 s11, s18, s20
	s_cselect_b32 s18, -1, 0
	s_wait_alu 0xfffe
	s_mul_hi_u32 s22, s14, s11
	s_cmp_lg_u32 s18, 0
	s_mul_hi_u32 s24, s15, s11
	s_add_co_ci_u32 s20, s19, s21
	s_mul_i32 s11, s15, s11
	s_mul_hi_u32 s19, s14, s20
	s_mul_i32 s18, s14, s20
	s_mul_hi_u32 s21, s15, s20
	s_add_nc_u64 s[18:19], s[22:23], s[18:19]
	s_mul_i32 s20, s15, s20
	s_wait_alu 0xfffe
	s_add_co_u32 s11, s18, s11
	s_add_co_ci_u32 s24, s19, s24
	s_add_co_ci_u32 s21, s21, 0
	s_delay_alu instid0(SALU_CYCLE_1) | instskip(NEXT) | instid1(SALU_CYCLE_1)
	s_add_nc_u64 s[18:19], s[24:25], s[20:21]
	s_mul_u64 s[20:21], s[16:17], s[18:19]
	s_delay_alu instid0(SALU_CYCLE_1)
	s_sub_co_u32 s11, s14, s20
	s_cselect_b32 s20, -1, 0
	s_sub_co_i32 s22, s15, s21
	s_cmp_lg_u32 s20, 0
	s_sub_co_ci_u32 s22, s22, s17
	s_wait_alu 0xfffe
	s_sub_co_u32 s23, s11, s16
	s_cselect_b32 s24, -1, 0
	s_delay_alu instid0(SALU_CYCLE_1) | instskip(SKIP_1) | instid1(SALU_CYCLE_1)
	s_cmp_lg_u32 s24, 0
	s_sub_co_ci_u32 s22, s22, 0
	s_cmp_ge_u32 s22, s17
	s_cselect_b32 s24, -1, 0
	s_cmp_ge_u32 s23, s16
	s_cselect_b32 s25, -1, 0
	s_cmp_eq_u32 s22, s17
	s_add_nc_u64 s[22:23], s[18:19], 1
	s_cselect_b32 s33, s25, s24
	s_add_nc_u64 s[24:25], s[18:19], 2
	s_cmp_lg_u32 s33, 0
	s_cselect_b32 s22, s24, s22
	s_cselect_b32 s23, s25, s23
	s_cmp_lg_u32 s20, 0
	s_sub_co_ci_u32 s20, s15, s21
	s_delay_alu instid0(SALU_CYCLE_1)
	s_cmp_ge_u32 s20, s17
	s_cselect_b32 s21, -1, 0
	s_cmp_ge_u32 s11, s16
	s_cselect_b32 s11, -1, 0
	s_cmp_eq_u32 s20, s17
	s_wait_alu 0xfffe
	s_cselect_b32 s11, s11, s21
	s_wait_alu 0xfffe
	s_cmp_lg_u32 s11, 0
	s_mov_b32 s11, 0
	s_cselect_b32 s39, s23, s19
	s_cselect_b32 s38, s22, s18
.LBB143_13:                             ;   in Loop: Header=BB143_11 Depth=1
	s_wait_alu 0xfffe
	s_and_not1_b32 vcc_lo, exec_lo, s11
	s_cbranch_vccnz .LBB143_15
; %bb.14:                               ;   in Loop: Header=BB143_11 Depth=1
	v_cvt_f32_u32_e32 v1, s16
	s_sub_co_i32 s18, 0, s16
	s_mov_b32 s39, s10
	s_delay_alu instid0(VALU_DEP_1) | instskip(NEXT) | instid1(TRANS32_DEP_1)
	v_rcp_iflag_f32_e32 v1, v1
	v_mul_f32_e32 v1, 0x4f7ffffe, v1
	s_delay_alu instid0(VALU_DEP_1) | instskip(NEXT) | instid1(VALU_DEP_1)
	v_cvt_u32_f32_e32 v1, v1
	v_readfirstlane_b32 s11, v1
	s_mul_i32 s18, s18, s11
	s_delay_alu instid0(SALU_CYCLE_1) | instskip(NEXT) | instid1(SALU_CYCLE_1)
	s_mul_hi_u32 s18, s11, s18
	s_add_co_i32 s11, s11, s18
	s_wait_alu 0xfffe
	s_mul_hi_u32 s11, s14, s11
	s_wait_alu 0xfffe
	s_mul_i32 s18, s11, s16
	s_add_co_i32 s19, s11, 1
	s_sub_co_i32 s18, s14, s18
	s_delay_alu instid0(SALU_CYCLE_1)
	s_sub_co_i32 s20, s18, s16
	s_cmp_ge_u32 s18, s16
	s_cselect_b32 s11, s19, s11
	s_cselect_b32 s18, s20, s18
	s_wait_alu 0xfffe
	s_add_co_i32 s19, s11, 1
	s_cmp_ge_u32 s18, s16
	s_cselect_b32 s38, s19, s11
.LBB143_15:                             ;   in Loop: Header=BB143_11 Depth=1
	s_load_b64 s[18:19], s[12:13], 0xc8
	s_mul_u64 s[16:17], s[38:39], s[16:17]
	s_add_co_i32 s7, s7, -1
	s_wait_alu 0xfffe
	s_sub_nc_u64 s[14:15], s[14:15], s[16:17]
	s_cmp_gt_u32 s7, 2
	s_add_nc_u64 s[12:13], s[12:13], -8
	s_wait_kmcnt 0x0
	s_mul_u64 s[14:15], s[18:19], s[14:15]
	s_delay_alu instid0(SALU_CYCLE_1)
	s_add_nc_u64 s[34:35], s[14:15], s[34:35]
	s_cbranch_scc0 .LBB143_17
; %bb.16:                               ;   in Loop: Header=BB143_11 Depth=1
	s_mov_b64 s[14:15], s[38:39]
	s_branch .LBB143_11
.LBB143_17:
	s_clause 0x1
	s_load_b64 s[40:41], s[0:1], 0xd0
	s_load_b32 s7, s[0:1], 0x4d8
	s_mov_b64 s[10:11], 0
	s_wait_kmcnt 0x0
	s_cmp_lt_i32 s7, 2
	s_cbranch_scc1 .LBB143_25
; %bb.18:
	s_mov_b32 s12, 0
	s_add_co_i32 s10, s7, -1
	s_wait_alu 0xfffe
	s_mov_b32 s11, s12
	s_add_nc_u64 s[14:15], s[0:1], 0x340
	s_wait_alu 0xfffe
	s_lshl_b64 s[10:11], s[10:11], 3
	s_add_co_i32 s7, s7, 1
	s_wait_alu 0xfffe
	s_add_nc_u64 s[10:11], s[14:15], s[10:11]
	s_wait_alu 0xfffe
	s_add_nc_u64 s[14:15], s[10:11], 8
	s_mov_b64 s[10:11], 0
.LBB143_19:                             ; =>This Inner Loop Header: Depth=1
	s_load_b64 s[16:17], s[14:15], 0x0
	s_wait_kmcnt 0x0
	s_or_b64 s[18:19], s[2:3], s[16:17]
	s_delay_alu instid0(SALU_CYCLE_1)
	s_mov_b32 s13, s19
                                        ; implicit-def: $sgpr18_sgpr19
	s_wait_alu 0xfffe
	s_cmp_lg_u64 s[12:13], 0
	s_mov_b32 s13, -1
	s_cbranch_scc0 .LBB143_21
; %bb.20:                               ;   in Loop: Header=BB143_19 Depth=1
	s_cvt_f32_u32 s13, s16
	s_cvt_f32_u32 s18, s17
	s_sub_nc_u64 s[20:21], 0, s[16:17]
	s_mov_b32 s23, s12
	s_mov_b32 s43, s12
	s_wait_alu 0xfffe
	s_fmamk_f32 s13, s18, 0x4f800000, s13
	s_wait_alu 0xfffe
	s_delay_alu instid0(SALU_CYCLE_2) | instskip(NEXT) | instid1(TRANS32_DEP_1)
	v_s_rcp_f32 s13, s13
	s_mul_f32 s13, s13, 0x5f7ffffc
	s_wait_alu 0xfffe
	s_delay_alu instid0(SALU_CYCLE_2) | instskip(NEXT) | instid1(SALU_CYCLE_3)
	s_mul_f32 s18, s13, 0x2f800000
	s_trunc_f32 s18, s18
	s_delay_alu instid0(SALU_CYCLE_3) | instskip(SKIP_2) | instid1(SALU_CYCLE_1)
	s_fmamk_f32 s13, s18, 0xcf800000, s13
	s_cvt_u32_f32 s19, s18
	s_wait_alu 0xfffe
	s_cvt_u32_f32 s18, s13
	s_delay_alu instid0(SALU_CYCLE_3) | instskip(NEXT) | instid1(SALU_CYCLE_1)
	s_mul_u64 s[24:25], s[20:21], s[18:19]
	s_mul_hi_u32 s45, s18, s25
	s_mul_i32 s44, s18, s25
	s_mul_hi_u32 s22, s18, s24
	s_mul_i32 s33, s19, s24
	s_add_nc_u64 s[22:23], s[22:23], s[44:45]
	s_mul_hi_u32 s13, s19, s24
	s_mul_hi_u32 s46, s19, s25
	s_add_co_u32 s22, s22, s33
	s_wait_alu 0xfffe
	s_add_co_ci_u32 s42, s23, s13
	s_mul_i32 s24, s19, s25
	s_add_co_ci_u32 s25, s46, 0
	s_delay_alu instid0(SALU_CYCLE_1)
	s_add_nc_u64 s[22:23], s[42:43], s[24:25]
	s_mov_b32 s25, s12
	s_add_co_u32 s18, s18, s22
	s_cselect_b32 s13, -1, 0
	s_wait_alu 0xfffe
	s_cmp_lg_u32 s13, 0
	s_add_co_ci_u32 s19, s19, s23
	s_mov_b32 s23, s12
	s_mul_u64 s[20:21], s[20:21], s[18:19]
	s_delay_alu instid0(SALU_CYCLE_1)
	s_mul_hi_u32 s43, s18, s21
	s_mul_i32 s42, s18, s21
	s_mul_hi_u32 s22, s18, s20
	s_mul_i32 s24, s19, s20
	s_add_nc_u64 s[22:23], s[22:23], s[42:43]
	s_mul_hi_u32 s13, s19, s20
	s_mul_hi_u32 s33, s19, s21
	s_mul_i32 s20, s19, s21
	s_add_co_u32 s21, s22, s24
	s_wait_alu 0xfffe
	s_add_co_ci_u32 s24, s23, s13
	s_add_co_ci_u32 s21, s33, 0
	s_mov_b32 s23, s12
	s_add_nc_u64 s[20:21], s[24:25], s[20:21]
	s_delay_alu instid0(SALU_CYCLE_1)
	s_add_co_u32 s13, s18, s20
	s_cselect_b32 s18, -1, 0
	s_wait_alu 0xfffe
	s_mul_hi_u32 s22, s2, s13
	s_cmp_lg_u32 s18, 0
	s_mul_hi_u32 s24, s3, s13
	s_add_co_ci_u32 s20, s19, s21
	s_mul_i32 s13, s3, s13
	s_mul_hi_u32 s19, s2, s20
	s_mul_i32 s18, s2, s20
	s_mul_hi_u32 s21, s3, s20
	s_add_nc_u64 s[18:19], s[22:23], s[18:19]
	s_mul_i32 s20, s3, s20
	s_wait_alu 0xfffe
	s_add_co_u32 s13, s18, s13
	s_add_co_ci_u32 s24, s19, s24
	s_add_co_ci_u32 s21, s21, 0
	s_delay_alu instid0(SALU_CYCLE_1) | instskip(NEXT) | instid1(SALU_CYCLE_1)
	s_add_nc_u64 s[18:19], s[24:25], s[20:21]
	s_mul_u64 s[20:21], s[16:17], s[18:19]
	s_delay_alu instid0(SALU_CYCLE_1)
	s_sub_co_u32 s13, s2, s20
	s_cselect_b32 s20, -1, 0
	s_sub_co_i32 s22, s3, s21
	s_cmp_lg_u32 s20, 0
	s_sub_co_ci_u32 s22, s22, s17
	s_wait_alu 0xfffe
	s_sub_co_u32 s23, s13, s16
	s_cselect_b32 s24, -1, 0
	s_delay_alu instid0(SALU_CYCLE_1) | instskip(SKIP_1) | instid1(SALU_CYCLE_1)
	s_cmp_lg_u32 s24, 0
	s_sub_co_ci_u32 s22, s22, 0
	s_cmp_ge_u32 s22, s17
	s_cselect_b32 s24, -1, 0
	s_cmp_ge_u32 s23, s16
	s_cselect_b32 s25, -1, 0
	s_cmp_eq_u32 s22, s17
	s_add_nc_u64 s[22:23], s[18:19], 1
	s_cselect_b32 s33, s25, s24
	s_add_nc_u64 s[24:25], s[18:19], 2
	s_cmp_lg_u32 s33, 0
	s_cselect_b32 s22, s24, s22
	s_cselect_b32 s23, s25, s23
	s_cmp_lg_u32 s20, 0
	s_sub_co_ci_u32 s20, s3, s21
	s_delay_alu instid0(SALU_CYCLE_1)
	s_cmp_ge_u32 s20, s17
	s_cselect_b32 s21, -1, 0
	s_cmp_ge_u32 s13, s16
	s_cselect_b32 s13, -1, 0
	s_cmp_eq_u32 s20, s17
	s_wait_alu 0xfffe
	s_cselect_b32 s13, s13, s21
	s_wait_alu 0xfffe
	s_cmp_lg_u32 s13, 0
	s_mov_b32 s13, 0
	s_cselect_b32 s19, s23, s19
	s_cselect_b32 s18, s22, s18
.LBB143_21:                             ;   in Loop: Header=BB143_19 Depth=1
	s_wait_alu 0xfffe
	s_and_not1_b32 vcc_lo, exec_lo, s13
	s_cbranch_vccnz .LBB143_23
; %bb.22:                               ;   in Loop: Header=BB143_19 Depth=1
	v_cvt_f32_u32_e32 v1, s16
	s_sub_co_i32 s18, 0, s16
	s_delay_alu instid0(VALU_DEP_1) | instskip(NEXT) | instid1(TRANS32_DEP_1)
	v_rcp_iflag_f32_e32 v1, v1
	v_mul_f32_e32 v1, 0x4f7ffffe, v1
	s_delay_alu instid0(VALU_DEP_1) | instskip(NEXT) | instid1(VALU_DEP_1)
	v_cvt_u32_f32_e32 v1, v1
	v_readfirstlane_b32 s13, v1
	s_mul_i32 s18, s18, s13
	s_delay_alu instid0(SALU_CYCLE_1) | instskip(NEXT) | instid1(SALU_CYCLE_1)
	s_mul_hi_u32 s18, s13, s18
	s_add_co_i32 s13, s13, s18
	s_wait_alu 0xfffe
	s_mul_hi_u32 s13, s2, s13
	s_wait_alu 0xfffe
	s_mul_i32 s18, s13, s16
	s_add_co_i32 s19, s13, 1
	s_sub_co_i32 s18, s2, s18
	s_delay_alu instid0(SALU_CYCLE_1)
	s_sub_co_i32 s20, s18, s16
	s_cmp_ge_u32 s18, s16
	s_cselect_b32 s13, s19, s13
	s_cselect_b32 s18, s20, s18
	s_wait_alu 0xfffe
	s_add_co_i32 s19, s13, 1
	s_cmp_ge_u32 s18, s16
	s_cselect_b32 s18, s19, s13
	s_mov_b32 s19, s12
.LBB143_23:                             ;   in Loop: Header=BB143_19 Depth=1
	s_load_b64 s[20:21], s[14:15], 0xc8
	s_mul_u64 s[16:17], s[18:19], s[16:17]
	s_add_co_i32 s7, s7, -1
	s_wait_alu 0xfffe
	s_sub_nc_u64 s[2:3], s[2:3], s[16:17]
	s_cmp_gt_u32 s7, 2
	s_add_nc_u64 s[14:15], s[14:15], -8
	s_wait_kmcnt 0x0
	s_wait_alu 0xfffe
	s_mul_u64 s[2:3], s[20:21], s[2:3]
	s_wait_alu 0xfffe
	s_add_nc_u64 s[10:11], s[2:3], s[10:11]
	s_cbranch_scc0 .LBB143_26
; %bb.24:                               ;   in Loop: Header=BB143_19 Depth=1
	s_mov_b64 s[2:3], s[18:19]
	s_branch .LBB143_19
.LBB143_25:
	s_mov_b64 s[18:19], s[2:3]
.LBB143_26:
	s_clause 0x2
	s_load_b64 s[42:43], s[4:5], 0xd0
	s_load_b64 s[4:5], s[0:1], 0x410
	;; [unrolled: 1-line block ×3, first 2 shown]
	v_dual_mov_b32 v1, 0 :: v_dual_mov_b32 v2, 0
	v_mov_b32_e32 v3, 0
	s_delay_alu instid0(VALU_DEP_2)
	v_cmp_gt_u64_e64 s2, s[28:29], v[0:1]
	s_wait_kmcnt 0x0
	s_mul_u64 s[4:5], s[4:5], s[18:19]
	s_and_saveexec_b32 s7, s2
	s_cbranch_execz .LBB143_30
; %bb.27:
	v_mad_co_u64_u32 v[2:3], null, s30, v0, 0
	s_load_b32 s3, s[8:9], 0xc
	s_lshl_b64 s[18:19], s[10:11], 1
	s_lshl_b64 s[16:17], s[4:5], 1
	s_add_nc_u64 s[18:19], s[12:13], s[18:19]
	s_mov_b32 s15, 0
	s_wait_alu 0xfffe
	s_add_nc_u64 s[16:17], s[18:19], s[16:17]
	v_mad_co_u64_u32 v[3:4], null, s31, v0, v[3:4]
	v_dual_mov_b32 v7, v1 :: v_dual_mov_b32 v6, v0
	s_delay_alu instid0(VALU_DEP_2)
	v_lshlrev_b64_e32 v[4:5], 1, v[2:3]
	v_mov_b32_e32 v2, 0
	v_mov_b32_e32 v3, 0
	s_wait_kmcnt 0x0
	s_and_b32 s14, s3, 0xffff
	s_wait_alu 0xfffe
	v_add_co_u32 v4, vcc_lo, s16, v4
	s_delay_alu instid0(VALU_DEP_1)
	v_add_co_ci_u32_e64 v5, null, s17, v5, vcc_lo
	s_mul_u64 s[16:17], s[30:31], s[14:15]
	s_wait_alu 0xfffe
	s_lshl_b64 s[16:17], s[16:17], 1
.LBB143_28:                             ; =>This Inner Loop Header: Depth=1
	global_load_u16 v8, v[4:5], off
	v_add_co_u32 v6, vcc_lo, v6, s14
	s_wait_alu 0xfffd
	v_add_co_ci_u32_e64 v7, null, 0, v7, vcc_lo
	s_wait_alu 0xfffe
	v_add_co_u32 v4, vcc_lo, v4, s16
	s_wait_alu 0xfffd
	v_add_co_ci_u32_e64 v5, null, s17, v5, vcc_lo
	s_wait_loadcnt 0x0
	v_lshlrev_b32_e32 v8, 16, v8
	s_delay_alu instid0(VALU_DEP_1) | instskip(SKIP_3) | instid1(VALU_DEP_2)
	v_cmp_u_f32_e32 vcc_lo, v8, v8
	s_wait_alu 0xfffd
	v_cndmask_b32_e64 v8, 0, 1, vcc_lo
	v_cmp_le_u64_e32 vcc_lo, s[28:29], v[6:7]
	v_add_co_u32 v2, s3, v2, v8
	s_wait_alu 0xf1ff
	v_add_co_ci_u32_e64 v3, null, 0, v3, s3
	s_or_b32 s15, vcc_lo, s15
	s_wait_alu 0xfffe
	s_and_not1_b32 exec_lo, exec_lo, s15
	s_cbranch_execnz .LBB143_28
; %bb.29:
	s_or_b32 exec_lo, exec_lo, s15
.LBB143_30:
	s_delay_alu instid0(SALU_CYCLE_1)
	s_or_b32 exec_lo, exec_lo, s7
	s_clause 0x1
	s_load_b64 s[46:47], s[0:1], 0x0
	s_load_b64 s[44:45], s[0:1], 0x1a0
	v_cmp_eq_u32_e64 s3, 0, v0
	s_and_saveexec_b32 s7, s3
; %bb.31:
	v_mov_b32_e32 v4, 0
	s_delay_alu instid0(VALU_DEP_1)
	v_mov_b32_e32 v5, v4
	ds_store_b64 v4, v[4:5] offset:5136
; %bb.32:
	s_or_b32 exec_lo, exec_lo, s7
	s_mov_b64 s[14:15], 0
	s_mov_b32 s7, exec_lo
	s_wait_dscnt 0x0
	s_barrier_signal -1
	s_barrier_wait -1
	global_inv scope:SCOPE_SE
	v_cmpx_ne_u64_e32 0, v[2:3]
	s_cbranch_execz .LBB143_37
; %bb.33:
	s_mov_b32 s16, exec_lo
.LBB143_34:                             ; =>This Inner Loop Header: Depth=1
	s_wait_alu 0xfffe
	s_ctz_i32_b32 s17, s16
	s_wait_alu 0xfffe
	v_readlane_b32 s19, v3, s17
	v_readlane_b32 s18, v2, s17
	s_lshl_b32 s17, 1, s17
	s_wait_alu 0xfffe
	s_and_not1_b32 s16, s16, s17
	s_wait_alu 0xfffe
	s_cmp_lg_u32 s16, 0
	s_add_nc_u64 s[14:15], s[14:15], s[18:19]
	s_cbranch_scc1 .LBB143_34
; %bb.35:
	v_mbcnt_lo_u32_b32 v2, exec_lo, 0
	s_mov_b32 s16, exec_lo
	s_delay_alu instid0(VALU_DEP_1)
	v_cmpx_eq_u32_e32 0, v2
	s_wait_alu 0xfffe
	s_xor_b32 s16, exec_lo, s16
; %bb.36:
	v_mov_b32_e32 v2, s14
	v_dual_mov_b32 v4, 0 :: v_dual_mov_b32 v3, s15
	ds_add_u64 v4, v[2:3] offset:5136
.LBB143_37:
	s_or_b32 exec_lo, exec_lo, s7
	v_mov_b32_e32 v2, 0
	v_mov_b32_e32 v30, s29
	s_wait_loadcnt_dscnt 0x0
	s_barrier_signal -1
	s_barrier_wait -1
	global_inv scope:SCOPE_SE
	v_mov_b32_e32 v29, s28
	ds_load_b64 v[2:3], v2 offset:5136
	s_load_b32 s0, s[0:1], 0x4f8
	s_wait_dscnt 0x0
	v_cmp_gt_i64_e32 vcc_lo, 1, v[2:3]
	s_wait_kmcnt 0x0
	s_bitcmp1_b32 s0, 0
	s_cselect_b32 s0, -1, 0
	s_delay_alu instid0(SALU_CYCLE_1) | instskip(NEXT) | instid1(SALU_CYCLE_1)
	s_or_b32 s0, s0, vcc_lo
	s_and_not1_b32 vcc_lo, exec_lo, s0
	s_wait_alu 0xfffe
	s_cbranch_vccnz .LBB143_39
; %bb.38:
	v_not_b32_e32 v2, v2
	v_not_b32_e32 v3, v3
	s_delay_alu instid0(VALU_DEP_2) | instskip(SKIP_1) | instid1(VALU_DEP_2)
	v_add_co_u32 v2, vcc_lo, s28, v2
	s_wait_alu 0xfffd
	v_add_co_ci_u32_e64 v3, null, s29, v3, vcc_lo
	s_delay_alu instid0(VALU_DEP_1) | instskip(NEXT) | instid1(VALU_DEP_1)
	v_lshrrev_b64 v[2:3], 1, v[2:3]
	v_add_co_u32 v29, vcc_lo, v2, 1
	s_wait_alu 0xfffd
	s_delay_alu instid0(VALU_DEP_2)
	v_add_co_ci_u32_e64 v30, null, 0, v3, vcc_lo
.LBB143_39:
	s_and_saveexec_b32 s0, s3
	s_cbranch_execz .LBB143_41
; %bb.40:
	v_dual_mov_b32 v2, 0 :: v_dual_mov_b32 v5, s29
	s_delay_alu instid0(VALU_DEP_1)
	v_dual_mov_b32 v4, s28 :: v_dual_mov_b32 v3, v2
	ds_store_b32 v2, v2 offset:5144
	ds_store_b128 v2, v[2:5] offset:5120
.LBB143_41:
	s_or_b32 exec_lo, exec_lo, s0
	v_mad_co_u64_u32 v[4:5], null, s30, v0, 0
	v_mbcnt_lo_u32_b32 v41, -1, 0
	s_lshl_b64 s[14:15], s[4:5], 1
	v_cmp_gt_u32_e32 vcc_lo, 32, v0
	s_lshl_b64 s[50:51], s[10:11], 1
	s_wait_alu 0xfffe
	s_add_nc_u64 s[10:11], s[12:13], s[14:15]
	v_cmp_gt_i32_e64 s4, 4, v41
	v_mov_b32_e32 v2, v5
	s_wait_alu 0xfffe
	s_add_nc_u64 s[56:57], s[10:11], s[50:51]
	v_lshlrev_b64_e64 v[8:9], v41, -1
	s_wait_loadcnt_dscnt 0x0
	s_and_b32 s84, vcc_lo, s4
	v_mad_co_u64_u32 v[2:3], null, s31, v0, v[2:3]
	v_dual_mov_b32 v3, 0 :: v_dual_lshlrev_b32 v42, 1, v0
	s_delay_alu instid0(VALU_DEP_3) | instskip(SKIP_3) | instid1(VALU_DEP_4)
	v_not_b32_e32 v44, v8
	v_not_b32_e32 v8, v0
	s_barrier_signal -1
	s_barrier_wait -1
	v_dual_mov_b32 v5, v2 :: v_dual_add_nc_u32 v2, 2, v0
	v_mov_b32_e32 v17, v3
	global_inv scope:SCOPE_SE
	s_load_b32 s5, s[8:9], 0xc
	v_lshlrev_b64_e32 v[6:7], 1, v[4:5]
	s_movk_i32 s4, 0x3e0
	v_lshlrev_b64_e32 v[4:5], 3, v[4:5]
	s_wait_alu 0xfffe
	v_and_or_b32 v45, v0, s4, 0xc00
	s_mov_b32 s53, 0
	v_cmp_lt_u64_e64 s33, 0x600, s[28:29]
	v_add_co_u32 v14, vcc_lo, s56, v6
	s_wait_alu 0xfffd
	v_add_co_ci_u32_e64 v15, null, s57, v7, vcc_lo
	v_cmp_gt_u64_e32 vcc_lo, s[28:29], v[2:3]
	s_mov_b32 s49, s53
	v_cmp_gt_u32_e64 s0, 2, v0
	v_cmp_eq_u32_e64 s1, 0, v41
	v_lshl_or_b32 v48, v41, 3, 0xc00
	v_mov_b32_e32 v50, 0x8000
	s_wait_alu 0xfffd
	v_cndmask_b32_e64 v2, v2, s28, vcc_lo
	v_cndmask_b32_e64 v9, 0, s29, vcc_lo
	v_mov_b32_e32 v52, 0
	s_wait_kmcnt 0x0
	s_and_b32 s48, s5, 0xffff
	s_bfe_u32 s7, s5, 0xb0005
	v_add_co_u32 v8, vcc_lo, v2, v8
	s_wait_alu 0xfffd
	v_add_co_ci_u32_e64 v9, null, -1, v9, vcc_lo
	s_cmp_gt_u32 s48, 31
	v_and_b32_e32 v18, -2, v8
	s_cselect_b32 s85, -1, 0
	s_cmp_lt_u32 ttmp9, s6
	v_dual_mov_b32 v19, v9 :: v_dual_lshlrev_b32 v16, 2, v0
	s_delay_alu instid0(VALU_DEP_2)
	v_add_co_u32 v20, vcc_lo, v18, v0
	s_wait_alu 0xfffd
	v_add_co_ci_u32_e64 v2, null, 0, v9, vcc_lo
	v_dual_mov_b32 v51, 0 :: v_dual_lshlrev_b32 v2, 3, v0
	s_cselect_b32 s52, 12, 18
	s_add_co_i32 s5, s7, -1
	s_bfe_u32 s88, s48, 0x30005
	s_delay_alu instid0(VALU_DEP_1)
	v_or_b32_e32 v10, 6, v2
	v_or_b32_e32 v12, 4, v2
	;; [unrolled: 1-line block ×3, first 2 shown]
	s_wait_alu 0xfffe
	s_and_b32 s5, s5, 0xffff
	v_cmp_lt_u64_e64 s4, 1, v[8:9]
	v_mad_co_u64_u32 v[21:22], null, s30, v10, s[10:11]
	v_add_nc_u32_e32 v43, 0xc00, v42
	v_mad_co_u64_u32 v[23:24], null, s30, v12, s[10:11]
	v_mad_co_u64_u32 v[25:26], null, s30, v13, s[10:11]
	s_wait_alu 0xfffe
	s_cmp_gt_u32 s5, 6
	s_delay_alu instid0(VALU_DEP_4)
	v_mov_b32_e32 v2, v22
	v_cmp_ne_u64_e64 s5, v[8:9], v[18:19]
	s_cselect_b32 s89, -1, 0
	v_dual_mov_b32 v8, v24 :: v_dual_lshlrev_b32 v47, 3, v0
	v_mad_co_u64_u32 v[10:11], null, s31, v10, v[2:3]
	v_mov_b32_e32 v9, v26
	s_and_b32 s90, s7, 0x7f8
	s_add_nc_u64 s[6:7], s[14:15], s[50:51]
	s_cmp_lg_u32 s88, 0
	s_add_nc_u64 s[62:63], s[12:13], s[6:7]
	v_mad_co_u64_u32 v[11:12], null, s31, v12, v[8:9]
	s_delay_alu instid0(VALU_DEP_3)
	v_mad_co_u64_u32 v[8:9], null, s31, v13, v[9:10]
	s_add_nc_u64 s[6:7], s[12:13], s[50:51]
	s_cselect_b32 s91, -1, 0
	s_lshl_b64 s[64:65], s[30:31], 1
	v_add_co_u32 v27, vcc_lo, s10, v4
	s_add_nc_u64 s[6:7], s[6:7], s[14:15]
	v_mul_lo_u32 v49, 0, s64
	s_wait_alu 0xfffd
	v_add_co_ci_u32_e64 v28, null, s11, v5, vcc_lo
	v_add_co_u32 v12, vcc_lo, s6, v6
	v_mov_b32_e32 v22, v10
	v_mov_b32_e32 v24, v11
	v_mov_b32_e32 v26, v8
	s_wait_alu 0xfffd
	v_add_co_ci_u32_e64 v13, null, s7, v7, vcc_lo
	v_mov_b32_e32 v46, 0
	s_add_nc_u64 s[58:59], s[48:49], -1
	s_mul_u64 s[10:11], s[30:31], s[48:49]
	s_add_nc_u64 s[60:61], s[58:59], s[28:29]
	s_mov_b32 s86, s30
	s_mov_b32 s87, s31
	s_lshl_b64 s[66:67], s[30:31], 3
	s_lshl_b32 s92, s48, 1
	s_wait_alu 0xfffe
	s_lshl_b64 s[54:55], s[10:11], 1
	s_mov_b32 s95, 14
	s_mov_b32 s93, 0x4f800000
	s_movk_i32 s94, 0x3f80
	s_add_nc_u64 s[68:69], s[8:9], s[52:53]
	s_mov_b32 s96, 0
	s_mov_b32 s97, 0
                                        ; implicit-def: $sgpr101
                                        ; implicit-def: $sgpr103
                                        ; implicit-def: $sgpr98
                                        ; implicit-def: $sgpr100
                                        ; implicit-def: $sgpr102
                                        ; implicit-def: $sgpr99
	s_branch .LBB143_45
.LBB143_42:                             ;   in Loop: Header=BB143_45 Depth=1
	s_wait_alu 0xfffe
	s_or_b32 exec_lo, exec_lo, s9
	s_delay_alu instid0(SALU_CYCLE_1)
	s_and_b32 s7, s7, exec_lo
	s_and_not1_b32 s22, s22, exec_lo
	s_and_not1_b32 s21, s21, exec_lo
	s_or_not1_b32 s18, s8, exec_lo
.LBB143_43:                             ;   in Loop: Header=BB143_45 Depth=1
	s_wait_alu 0xfffe
	s_or_b32 exec_lo, exec_lo, s6
	s_delay_alu instid0(SALU_CYCLE_1)
	s_and_not1_b32 s6, s99, exec_lo
	s_and_b32 s7, s7, exec_lo
	s_and_not1_b32 s8, s100, exec_lo
	s_wait_alu 0xfffe
	s_or_b32 s99, s6, s7
	s_and_not1_b32 s6, s102, exec_lo
	s_and_b32 s7, s22, exec_lo
	s_and_b32 s9, s21, exec_lo
	s_wait_alu 0xfffe
	s_or_b32 s102, s6, s7
	s_or_b32 s100, s8, s9
	s_or_not1_b32 s18, s18, exec_lo
.LBB143_44:                             ;   in Loop: Header=BB143_45 Depth=1
	s_wait_alu 0xfffe
	s_or_b32 exec_lo, exec_lo, s17
	s_delay_alu instid0(SALU_CYCLE_1)
	s_and_b32 s6, exec_lo, s18
	v_dual_mov_b32 v30, v9 :: v_dual_mov_b32 v29, v8
	s_wait_alu 0xfffe
	s_or_b32 s96, s6, s96
	s_and_not1_b32 s6, s98, exec_lo
	s_and_b32 s7, s99, exec_lo
	s_and_not1_b32 s8, s103, exec_lo
	s_wait_alu 0xfffe
	s_or_b32 s98, s6, s7
	s_and_b32 s6, s102, exec_lo
	s_and_not1_b32 s7, s101, exec_lo
	s_and_b32 s9, s100, exec_lo
	s_wait_alu 0xfffe
	s_or_b32 s103, s8, s6
	s_or_b32 s101, s7, s9
	s_and_not1_b32 exec_lo, exec_lo, s96
	s_cbranch_execz .LBB143_307
.LBB143_45:                             ; =>This Loop Header: Depth=1
                                        ;     Child Loop BB143_50 Depth 2
                                        ;     Child Loop BB143_64 Depth 2
                                        ;     Child Loop BB143_68 Depth 2
                                        ;     Child Loop BB143_103 Depth 2
                                        ;     Child Loop BB143_107 Depth 2
                                        ;     Child Loop BB143_92 Depth 2
                                        ;     Child Loop BB143_97 Depth 2
                                        ;     Child Loop BB143_85 Depth 2
                                        ;     Child Loop BB143_113 Depth 2
                                        ;     Child Loop BB143_126 Depth 2
                                        ;     Child Loop BB143_140 Depth 2
                                        ;     Child Loop BB143_169 Depth 2
                                        ;     Child Loop BB143_188 Depth 2
                                        ;     Child Loop BB143_218 Depth 2
                                        ;     Child Loop BB143_234 Depth 2
                                        ;     Child Loop BB143_263 Depth 2
                                        ;     Child Loop BB143_279 Depth 2
	ds_load_b128 v[4:7], v3 offset:5120
	s_wait_dscnt 0x0
	v_readfirstlane_b32 s71, v5
	v_readfirstlane_b32 s70, v4
	s_cmp_lg_u64 s[70:71], 0
	s_cbranch_scc1 .LBB143_77
; %bb.46:                               ;   in Loop: Header=BB143_45 Depth=1
	s_and_b32 vcc_lo, exec_lo, s33
	s_wait_alu 0xfffe
	s_cbranch_vccz .LBB143_58
; %bb.47:                               ;   in Loop: Header=BB143_45 Depth=1
	v_cmp_gt_u64_e32 vcc_lo, 0x601, v[6:7]
	s_mov_b32 s8, 0
	s_mov_b32 s6, 0
	s_cbranch_vccz .LBB143_59
; %bb.48:                               ;   in Loop: Header=BB143_45 Depth=1
	global_load_u16 v2, v3, s[68:69]
	global_load_u16 v8, v[14:15], off
	s_mov_b32 s9, 0
	s_wait_loadcnt 0x1
	v_and_b32_e32 v2, 0xffff, v2
	s_delay_alu instid0(VALU_DEP_1) | instskip(SKIP_2) | instid1(VALU_DEP_3)
	v_add_nc_u32_e32 v6, v0, v2
	v_mul_lo_u32 v7, v2, s65
	v_mul_hi_u32 v10, v2, s64
	v_mad_co_u64_u32 v[4:5], null, s64, v6, s[62:63]
	s_delay_alu instid0(VALU_DEP_1) | instskip(NEXT) | instid1(VALU_DEP_4)
	v_mad_co_u64_u32 v[5:6], null, s65, v6, v[5:6]
	v_add_nc_u32_e32 v6, v7, v49
	s_delay_alu instid0(VALU_DEP_1)
	v_dual_mov_b32 v7, v1 :: v_dual_add_nc_u32 v10, v6, v10
	v_mul_lo_u32 v9, v2, s64
	v_mov_b32_e32 v6, v0
	s_branch .LBB143_50
.LBB143_49:                             ;   in Loop: Header=BB143_50 Depth=2
	s_wait_alu 0xfffe
	s_or_b32 exec_lo, exec_lo, s7
	v_add_co_u32 v4, vcc_lo, v4, v9
	s_wait_alu 0xfffd
	v_add_co_ci_u32_e64 v5, null, v5, v10, vcc_lo
	v_mov_b32_e32 v8, v11
	s_and_not1_b32 exec_lo, exec_lo, s9
	s_cbranch_execz .LBB143_174
.LBB143_50:                             ;   Parent Loop BB143_45 Depth=1
                                        ; =>  This Inner Loop Header: Depth=2
	s_delay_alu instid0(VALU_DEP_1)
	v_add_co_u32 v6, vcc_lo, v6, v2
	s_wait_alu 0xfffd
	v_add_co_ci_u32_e64 v7, null, 0, v7, vcc_lo
	s_wait_dscnt 0x0
	v_mov_b32_e32 v31, 0
	v_mov_b32_e32 v11, 0
	s_mov_b32 s7, exec_lo
	v_cmp_le_u64_e32 vcc_lo, s[28:29], v[6:7]
	v_cmpx_gt_u64_e64 s[28:29], v[6:7]
	s_cbranch_execz .LBB143_52
; %bb.51:                               ;   in Loop: Header=BB143_50 Depth=2
	global_load_u16 v11, v[4:5], off
.LBB143_52:                             ;   in Loop: Header=BB143_50 Depth=2
	s_wait_alu 0xfffe
	s_or_b32 exec_lo, exec_lo, s7
	s_wait_loadcnt 0x0
	v_cmp_lt_i16_e64 s6, -1, v8
	v_and_b32_e32 v32, 0xffff, v8
	v_lshlrev_b32_e32 v34, 16, v8
	s_wait_alu 0xf1ff
	s_delay_alu instid0(VALU_DEP_3) | instskip(NEXT) | instid1(VALU_DEP_2)
	v_cndmask_b32_e64 v33, 0xffff, v50, s6
	v_cmp_o_f32_e64 s6, v34, v34
	s_delay_alu instid0(VALU_DEP_2) | instskip(SKIP_1) | instid1(VALU_DEP_1)
	v_xor_b32_e32 v32, v33, v32
	s_wait_alu 0xf1ff
	v_cndmask_b32_e64 v32, 0xffff, v32, s6
	s_delay_alu instid0(VALU_DEP_1) | instskip(NEXT) | instid1(VALU_DEP_1)
	v_and_b32_e32 v32, v32, v51
	v_cmp_eq_u32_e64 s6, v32, v46
	s_cmp_lg_u32 s6, 0
	s_cselect_b32 s7, -1, 0
	s_wait_alu 0xfffe
	s_and_b32 s7, s1, s7
	s_wait_alu 0xfffe
	s_and_saveexec_b32 s10, s7
	s_cbranch_execz .LBB143_56
; %bb.53:                               ;   in Loop: Header=BB143_50 Depth=2
	s_mov_b32 s13, exec_lo
	s_bcnt1_i32_b32 s11, s6
	s_wait_alu 0xfffe
	v_mbcnt_lo_u32_b32 v31, s13, 0
	s_mov_b32 s12, exec_lo
                                        ; implicit-def: $vgpr32
	s_delay_alu instid0(VALU_DEP_1)
	v_cmpx_eq_u32_e32 0, v31
; %bb.54:                               ;   in Loop: Header=BB143_50 Depth=2
	s_bcnt1_i32_b32 s7, s13
	s_wait_alu 0xfffe
	s_mul_i32 s7, s11, s7
	s_wait_alu 0xfffe
	v_mov_b32_e32 v32, s7
	ds_add_rtn_u32 v32, v3, v32 offset:5144
; %bb.55:                               ;   in Loop: Header=BB143_50 Depth=2
	s_or_b32 exec_lo, exec_lo, s12
	s_wait_dscnt 0x0
	v_readfirstlane_b32 s7, v32
	s_wait_alu 0xf1ff
	s_delay_alu instid0(VALU_DEP_1)
	v_mad_u32_u24 v31, s11, v31, s7
.LBB143_56:                             ;   in Loop: Header=BB143_50 Depth=2
	s_wait_alu 0xfffe
	s_or_b32 exec_lo, exec_lo, s10
	ds_bpermute_b32 v31, v3, v31
	s_and_b32 s7, exec_lo, vcc_lo
	s_wait_alu 0xfffe
	s_or_b32 s9, s7, s9
	s_and_saveexec_b32 s7, s6
	s_cbranch_execz .LBB143_49
; %bb.57:                               ;   in Loop: Header=BB143_50 Depth=2
	v_and_b32_e32 v32, s6, v44
	s_delay_alu instid0(VALU_DEP_1) | instskip(NEXT) | instid1(VALU_DEP_1)
	v_bcnt_u32_b32 v32, v32, 0
	v_lshlrev_b32_e32 v32, 1, v32
	s_wait_dscnt 0x0
	s_delay_alu instid0(VALU_DEP_1)
	v_lshl_add_u32 v31, v31, 1, v32
	ds_store_b16 v31, v8
	s_branch .LBB143_49
.LBB143_58:                             ;   in Loop: Header=BB143_45 Depth=1
	s_mov_b32 s8, -1
	s_mov_b32 s6, 0
.LBB143_59:                             ;   in Loop: Header=BB143_45 Depth=1
	s_wait_alu 0xfffe
	s_and_b32 vcc_lo, exec_lo, s8
	s_wait_alu 0xfffe
	s_cbranch_vccz .LBB143_75
.LBB143_60:                             ;   in Loop: Header=BB143_45 Depth=1
	s_and_saveexec_b32 s7, s2
	s_cbranch_execz .LBB143_72
; %bb.61:                               ;   in Loop: Header=BB143_45 Depth=1
	global_load_u16 v4, v3, s[68:69]
	global_load_u16 v31, v[14:15], off
	v_mov_b32_e32 v6, v0
	s_mov_b32 s12, exec_lo
	s_wait_loadcnt 0x1
	v_and_b32_e32 v2, 0xffff, v4
	v_readfirstlane_b32 s6, v4
	s_delay_alu instid0(VALU_DEP_2) | instskip(NEXT) | instid1(VALU_DEP_1)
	v_add_nc_u32_e32 v2, v2, v0
	v_cmpx_gt_u64_e64 s[28:29], v[2:3]
	s_cbranch_execz .LBB143_71
; %bb.62:                               ;   in Loop: Header=BB143_45 Depth=1
	s_and_b32 s52, s6, 0xffff
	v_dual_mov_b32 v9, v1 :: v_dual_mov_b32 v8, v0
	s_wait_alu 0xfffe
	s_cmp_eq_u32 s52, 1
	v_dual_mov_b32 v5, v3 :: v_dual_mov_b32 v4, v2
	s_cselect_b32 s6, -1, 0
                                        ; implicit-def: $vgpr6_vgpr7
	s_wait_alu 0xfffe
	s_and_b32 s9, s4, s6
	s_mov_b32 s6, -1
	s_wait_alu 0xfffe
	s_and_saveexec_b32 s8, s9
	s_cbranch_execz .LBB143_66
; %bb.63:                               ;   in Loop: Header=BB143_45 Depth=1
	v_add_co_u32 v4, s6, v2, 1
	s_wait_alu 0xf1ff
	v_add_co_ci_u32_e64 v5, null, 0, 0, s6
	s_wait_loadcnt 0x0
	v_dual_mov_b32 v8, v18 :: v_dual_lshlrev_b32 v11, 16, v31
	v_dual_mov_b32 v9, v19 :: v_dual_mov_b32 v10, v42
	s_delay_alu instid0(VALU_DEP_3)
	v_mov_b32_e32 v7, v5
	v_dual_mov_b32 v6, v4 :: v_dual_mov_b32 v5, v3
	v_mov_b32_e32 v4, v2
	s_mov_b32 s9, 0
.LBB143_64:                             ;   Parent Loop BB143_45 Depth=1
                                        ; =>  This Inner Loop Header: Depth=2
	s_delay_alu instid0(VALU_DEP_2) | instskip(NEXT) | instid1(VALU_DEP_2)
	v_mul_lo_u32 v35, v5, s30
	v_mul_lo_u32 v36, v4, s31
	v_mad_co_u64_u32 v[31:32], null, v4, s30, 0
	v_mul_lo_u32 v37, v7, s86
	v_mul_lo_u32 v38, v6, s87
	v_mad_co_u64_u32 v[33:34], null, v6, s86, 0
	s_delay_alu instid0(VALU_DEP_4) | instskip(NEXT) | instid1(VALU_DEP_2)
	v_add3_u32 v32, v32, v36, v35
	v_add3_u32 v34, v34, v38, v37
	s_delay_alu instid0(VALU_DEP_2) | instskip(NEXT) | instid1(VALU_DEP_2)
	v_lshlrev_b64_e32 v[31:32], 1, v[31:32]
	v_lshlrev_b64_e32 v[33:34], 1, v[33:34]
	s_delay_alu instid0(VALU_DEP_2) | instskip(SKIP_1) | instid1(VALU_DEP_3)
	v_add_co_u32 v31, vcc_lo, s56, v31
	s_wait_alu 0xfffd
	v_add_co_ci_u32_e64 v32, null, s57, v32, vcc_lo
	s_delay_alu instid0(VALU_DEP_3)
	v_add_co_u32 v33, vcc_lo, s56, v33
	s_wait_alu 0xfffd
	v_add_co_ci_u32_e64 v34, null, s57, v34, vcc_lo
	s_clause 0x1
	global_load_u16 v32, v[31:32], off
	global_load_u16 v31, v[33:34], off
	v_add_co_u32 v8, vcc_lo, v8, -2
	s_wait_alu 0xfffd
	v_add_co_ci_u32_e64 v9, null, -1, v9, vcc_lo
	v_add_co_u32 v6, vcc_lo, v6, 2
	s_wait_alu 0xfffd
	v_add_co_ci_u32_e64 v7, null, 0, v7, vcc_lo
	s_delay_alu instid0(VALU_DEP_3) | instskip(SKIP_4) | instid1(VALU_DEP_3)
	v_cmp_eq_u64_e64 s6, 0, v[8:9]
	v_add_co_u32 v4, vcc_lo, v4, 2
	s_wait_alu 0xfffd
	v_add_co_ci_u32_e64 v5, null, 0, v5, vcc_lo
	s_wait_alu 0xfffe
	s_or_b32 s9, s6, s9
	s_wait_loadcnt 0x1
	v_alignbit_b32 v11, v32, v11, 16
	s_wait_loadcnt 0x0
	v_perm_b32 v32, v31, v32, 0x5040100
	ds_store_b32 v10, v11
	v_dual_mov_b32 v11, v32 :: v_dual_add_nc_u32 v10, 4, v10
	s_wait_alu 0xfffe
	s_and_not1_b32 exec_lo, exec_lo, s9
	s_cbranch_execnz .LBB143_64
; %bb.65:                               ;   in Loop: Header=BB143_45 Depth=1
	s_or_b32 exec_lo, exec_lo, s9
	v_add_co_u32 v4, vcc_lo, v2, v18
	s_wait_alu 0xfffd
	v_add_co_ci_u32_e64 v5, null, 0, v19, vcc_lo
	v_dual_mov_b32 v8, v20 :: v_dual_mov_b32 v9, v21
	s_delay_alu instid0(VALU_DEP_3)
	v_add_co_u32 v6, vcc_lo, v4, -1
	s_or_not1_b32 s6, s5, exec_lo
	s_wait_alu 0xfffd
	v_add_co_ci_u32_e64 v2, null, -1, v5, vcc_lo
.LBB143_66:                             ;   in Loop: Header=BB143_45 Depth=1
	s_wait_alu 0xfffe
	s_or_b32 exec_lo, exec_lo, s8
	s_and_saveexec_b32 s13, s6
	s_cbranch_execz .LBB143_70
; %bb.67:                               ;   in Loop: Header=BB143_45 Depth=1
	v_mad_co_u64_u32 v[10:11], null, s64, v4, s[62:63]
	v_mul_lo_u32 v2, s64, v5
	v_mul_lo_u32 v6, s65, v4
	s_sub_nc_u64 s[8:9], 0, s[52:53]
	s_mul_u64 s[10:11], s[64:65], s[52:53]
	s_mov_b32 s14, 0
	s_delay_alu instid0(VALU_DEP_1)
	v_add3_u32 v11, v6, v11, v2
.LBB143_68:                             ;   Parent Loop BB143_45 Depth=1
                                        ; =>  This Inner Loop Header: Depth=2
	s_wait_loadcnt 0x0
	v_dual_mov_b32 v2, v31 :: v_dual_mov_b32 v33, v5
	global_load_u16 v31, v[10:11], off
	v_dual_mov_b32 v32, v4 :: v_dual_lshlrev_b32 v7, 1, v8
	s_delay_alu instid0(VALU_DEP_1)
	v_add_co_u32 v4, vcc_lo, v32, s52
	s_wait_alu 0xfffd
	v_add_co_ci_u32_e64 v5, null, 0, v33, vcc_lo
	s_wait_alu 0xfffe
	v_add_co_u32 v10, vcc_lo, v10, s10
	s_wait_alu 0xfffd
	v_add_co_ci_u32_e64 v11, null, s11, v11, vcc_lo
	v_cmp_le_u64_e32 vcc_lo, s[28:29], v[4:5]
	v_add_co_u32 v6, s6, s8, v4
	s_wait_alu 0xf1ff
	v_add_co_ci_u32_e64 v8, null, s9, v5, s6
	v_dual_mov_b32 v8, v32 :: v_dual_mov_b32 v9, v33
	s_or_b32 s14, vcc_lo, s14
	ds_store_b16 v7, v2
	s_wait_alu 0xfffe
	s_and_not1_b32 exec_lo, exec_lo, s14
	s_cbranch_execnz .LBB143_68
; %bb.69:                               ;   in Loop: Header=BB143_45 Depth=1
	s_or_b32 exec_lo, exec_lo, s14
.LBB143_70:                             ;   in Loop: Header=BB143_45 Depth=1
	s_wait_alu 0xfffe
	s_or_b32 exec_lo, exec_lo, s13
.LBB143_71:                             ;   in Loop: Header=BB143_45 Depth=1
	s_wait_alu 0xfffe
	s_or_b32 exec_lo, exec_lo, s12
	v_lshlrev_b32_e32 v2, 1, v6
	s_wait_loadcnt 0x0
	ds_store_b16 v2, v31
.LBB143_72:                             ;   in Loop: Header=BB143_45 Depth=1
	s_wait_alu 0xfffe
	s_or_b32 exec_lo, exec_lo, s7
	s_wait_loadcnt_dscnt 0x0
	s_barrier_signal -1
	s_barrier_wait -1
	global_inv scope:SCOPE_SE
	s_and_saveexec_b32 s6, s3
; %bb.73:                               ;   in Loop: Header=BB143_45 Depth=1
	v_dual_mov_b32 v4, s28 :: v_dual_mov_b32 v5, s29
	ds_store_b64 v3, v[4:5] offset:5120
; %bb.74:                               ;   in Loop: Header=BB143_45 Depth=1
	s_wait_alu 0xfffe
	s_or_b32 exec_lo, exec_lo, s6
	s_mov_b32 s6, -1
	s_wait_loadcnt_dscnt 0x0
	s_barrier_signal -1
	s_barrier_wait -1
.LBB143_75:                             ;   in Loop: Header=BB143_45 Depth=1
	s_wait_alu 0xfffe
	s_and_b32 vcc_lo, exec_lo, s6
	s_mov_b64 s[70:71], 0
	s_wait_alu 0xfffe
	s_cbranch_vccz .LBB143_77
; %bb.76:                               ;   in Loop: Header=BB143_45 Depth=1
	s_wait_loadcnt 0x0
	global_inv scope:SCOPE_SE
	ds_load_b64 v[4:5], v3 offset:5120
	s_wait_dscnt 0x0
	v_readfirstlane_b32 s70, v4
.LBB143_77:                             ;   in Loop: Header=BB143_45 Depth=1
	s_delay_alu instid0(VALU_DEP_1)
	s_cmp_lt_i32 s70, 1
	s_mov_b32 s6, -1
                                        ; implicit-def: $vgpr4_vgpr5
                                        ; implicit-def: $vgpr8_vgpr9
	s_cbranch_scc1 .LBB143_87
; %bb.78:                               ;   in Loop: Header=BB143_45 Depth=1
	s_wait_alu 0xfffe
	s_and_b32 vcc_lo, exec_lo, s6
	s_wait_alu 0xfffe
	s_cbranch_vccnz .LBB143_101
.LBB143_79:                             ;   in Loop: Header=BB143_45 Depth=1
	s_lshl_b32 s6, s97, 7
	s_and_saveexec_b32 s7, s1
	s_cbranch_execz .LBB143_81
.LBB143_80:                             ;   in Loop: Header=BB143_45 Depth=1
	s_wait_alu 0xfffe
	v_lshl_add_u32 v2, s6, 3, v45
	ds_store_b128 v2, v[4:7]
	ds_store_b128 v2, v[8:11] offset:16
.LBB143_81:                             ;   in Loop: Header=BB143_45 Depth=1
	s_wait_alu 0xfffe
	s_or_b32 exec_lo, exec_lo, s7
	s_wait_loadcnt_dscnt 0x0
	s_barrier_signal -1
	s_barrier_wait -1
	global_inv scope:SCOPE_SE
	s_and_saveexec_b32 s7, s84
	s_cbranch_execz .LBB143_115
; %bb.82:                               ;   in Loop: Header=BB143_45 Depth=1
	v_mov_b32_e32 v4, 0
	v_mov_b32_e32 v5, 0
	s_and_not1_b32 vcc_lo, exec_lo, s85
	s_wait_alu 0xfffe
	s_cbranch_vccnz .LBB143_114
; %bb.83:                               ;   in Loop: Header=BB143_45 Depth=1
	v_mov_b32_e32 v4, 0
	v_mov_b32_e32 v5, 0
	s_and_not1_b32 vcc_lo, exec_lo, s89
	s_wait_alu 0xfffe
	s_cbranch_vccnz .LBB143_111
; %bb.84:                               ;   in Loop: Header=BB143_45 Depth=1
	v_lshl_add_u32 v2, s97, 10, v48
	s_mov_b32 s8, 0
.LBB143_85:                             ;   Parent Loop BB143_45 Depth=1
                                        ; =>  This Inner Loop Header: Depth=2
	ds_load_2addr_b64 v[6:9], v2 offset1:4
	ds_load_2addr_b64 v[31:34], v2 offset0:8 offset1:12
	ds_load_2addr_b64 v[35:38], v2 offset0:16 offset1:20
	s_wait_alu 0xfffe
	s_add_co_i32 s8, s8, 8
	s_wait_alu 0xfffe
	s_cmp_eq_u32 s90, s8
	s_wait_dscnt 0x2
	v_add_co_u32 v4, vcc_lo, v6, v4
	s_wait_alu 0xfffd
	v_add_co_ci_u32_e64 v5, null, v7, v5, vcc_lo
	s_delay_alu instid0(VALU_DEP_2) | instskip(SKIP_1) | instid1(VALU_DEP_2)
	v_add_co_u32 v8, vcc_lo, v8, v4
	s_wait_alu 0xfffd
	v_add_co_ci_u32_e64 v9, null, v9, v5, vcc_lo
	ds_load_2addr_b64 v[4:7], v2 offset0:24 offset1:28
	s_wait_dscnt 0x2
	v_add_co_u32 v8, vcc_lo, v31, v8
	s_wait_alu 0xfffd
	v_add_co_ci_u32_e64 v9, null, v32, v9, vcc_lo
	v_add_nc_u32_e32 v2, 0x100, v2
	s_delay_alu instid0(VALU_DEP_3) | instskip(SKIP_1) | instid1(VALU_DEP_3)
	v_add_co_u32 v8, vcc_lo, v33, v8
	s_wait_alu 0xfffd
	v_add_co_ci_u32_e64 v9, null, v34, v9, vcc_lo
	s_wait_dscnt 0x1
	s_delay_alu instid0(VALU_DEP_2) | instskip(SKIP_1) | instid1(VALU_DEP_2)
	v_add_co_u32 v8, vcc_lo, v35, v8
	s_wait_alu 0xfffd
	v_add_co_ci_u32_e64 v9, null, v36, v9, vcc_lo
	s_delay_alu instid0(VALU_DEP_2) | instskip(SKIP_1) | instid1(VALU_DEP_2)
	v_add_co_u32 v8, vcc_lo, v37, v8
	s_wait_alu 0xfffd
	v_add_co_ci_u32_e64 v9, null, v38, v9, vcc_lo
	s_wait_dscnt 0x0
	s_delay_alu instid0(VALU_DEP_2) | instskip(SKIP_1) | instid1(VALU_DEP_2)
	v_add_co_u32 v4, vcc_lo, v4, v8
	s_wait_alu 0xfffd
	v_add_co_ci_u32_e64 v5, null, v5, v9, vcc_lo
	s_delay_alu instid0(VALU_DEP_2) | instskip(SKIP_1) | instid1(VALU_DEP_2)
	v_add_co_u32 v4, vcc_lo, v6, v4
	s_wait_alu 0xfffd
	v_add_co_ci_u32_e64 v5, null, v7, v5, vcc_lo
	s_cbranch_scc0 .LBB143_85
; %bb.86:                               ;   in Loop: Header=BB143_45 Depth=1
	s_mov_b32 s8, s90
	s_and_not1_b32 vcc_lo, exec_lo, s91
	s_wait_alu 0xfffe
	s_cbranch_vccz .LBB143_112
	s_branch .LBB143_114
.LBB143_87:                             ;   in Loop: Header=BB143_45 Depth=1
	global_load_u16 v2, v3, s[68:69]
	s_mov_b32 s7, s29
	s_wait_loadcnt 0x0
	v_readfirstlane_b32 s6, v2
	s_wait_alu 0xfffe
	s_and_b32 s8, 0xffff, s6
	s_mov_b32 s6, s53
	s_wait_alu 0xfffe
	s_lshl_b32 s72, s8, 2
	s_cmp_lg_u64 s[6:7], 0
	s_cbranch_scc0 .LBB143_110
; %bb.88:                               ;   in Loop: Header=BB143_45 Depth=1
	s_wait_alu 0xfffe
	s_cvt_f32_u32 s6, s72
	s_mov_b32 s73, s53
	s_wait_alu 0xfffe
	s_sub_nc_u64 s[8:9], 0, s[72:73]
	s_fmamk_f32 s6, s93, 0x0, s6
	s_wait_alu 0xfffe
	s_delay_alu instid0(SALU_CYCLE_2) | instskip(NEXT) | instid1(TRANS32_DEP_1)
	v_s_rcp_f32 s6, s6
	s_mul_f32 s6, s6, 0x5f7ffffc
	s_wait_alu 0xfffe
	s_delay_alu instid0(SALU_CYCLE_2) | instskip(SKIP_1) | instid1(SALU_CYCLE_2)
	s_mul_f32 s7, s6, 0x2f800000
	s_wait_alu 0xfffe
	s_trunc_f32 s7, s7
	s_wait_alu 0xfffe
	s_delay_alu instid0(SALU_CYCLE_2) | instskip(SKIP_2) | instid1(SALU_CYCLE_1)
	s_fmamk_f32 s6, s7, 0xcf800000, s6
	s_cvt_u32_f32 s7, s7
	s_wait_alu 0xfffe
	s_cvt_u32_f32 s6, s6
	s_wait_alu 0xfffe
	s_delay_alu instid0(SALU_CYCLE_2)
	s_mul_u64 s[10:11], s[8:9], s[6:7]
	s_wait_alu 0xfffe
	s_mul_hi_u32 s13, s6, s11
	s_mul_i32 s12, s6, s11
	s_mul_hi_u32 s52, s6, s10
	s_mul_i32 s15, s7, s10
	s_wait_alu 0xfffe
	s_add_nc_u64 s[12:13], s[52:53], s[12:13]
	s_mul_hi_u32 s14, s7, s10
	s_mul_hi_u32 s16, s7, s11
	s_mul_i32 s10, s7, s11
	s_wait_alu 0xfffe
	s_add_co_u32 s11, s12, s15
	s_add_co_ci_u32 s52, s13, s14
	s_add_co_ci_u32 s11, s16, 0
	s_wait_alu 0xfffe
	s_add_nc_u64 s[10:11], s[52:53], s[10:11]
	s_wait_alu 0xfffe
	s_add_co_u32 s6, s6, s10
	s_cselect_b32 s10, -1, 0
	s_wait_alu 0xfffe
	s_cmp_lg_u32 s10, 0
	s_add_co_ci_u32 s7, s7, s11
	s_wait_alu 0xfffe
	s_mul_u64 s[8:9], s[8:9], s[6:7]
	s_wait_alu 0xfffe
	s_mul_hi_u32 s11, s6, s9
	s_mul_i32 s10, s6, s9
	s_mul_hi_u32 s52, s6, s8
	s_mul_i32 s13, s7, s8
	s_wait_alu 0xfffe
	s_add_nc_u64 s[10:11], s[52:53], s[10:11]
	s_mul_hi_u32 s12, s7, s8
	s_mul_hi_u32 s14, s7, s9
	s_mul_i32 s8, s7, s9
	s_wait_alu 0xfffe
	s_add_co_u32 s9, s10, s13
	s_add_co_ci_u32 s52, s11, s12
	s_add_co_ci_u32 s9, s14, 0
	s_wait_alu 0xfffe
	s_add_nc_u64 s[8:9], s[52:53], s[8:9]
	s_wait_alu 0xfffe
	s_add_co_u32 s6, s6, s8
	s_cselect_b32 s8, -1, 0
	s_wait_alu 0xfffe
	s_mul_hi_u32 s52, s28, s6
	s_cmp_lg_u32 s8, 0
	s_mul_hi_u32 s10, s29, s6
	s_add_co_ci_u32 s8, s7, s9
	s_mul_i32 s9, s29, s6
	s_wait_alu 0xfffe
	s_mul_hi_u32 s7, s28, s8
	s_mul_i32 s6, s28, s8
	s_mul_hi_u32 s11, s29, s8
	s_wait_alu 0xfffe
	s_add_nc_u64 s[6:7], s[52:53], s[6:7]
	s_mul_i32 s8, s29, s8
	s_wait_alu 0xfffe
	s_add_co_u32 s6, s6, s9
	s_add_co_ci_u32 s52, s7, s10
	s_add_co_ci_u32 s9, s11, 0
	s_wait_alu 0xfffe
	s_add_nc_u64 s[6:7], s[52:53], s[8:9]
	s_wait_alu 0xfffe
	s_mul_u64 s[6:7], s[72:73], s[6:7]
	s_wait_alu 0xfffe
	s_sub_co_u32 s6, s28, s6
	s_cselect_b32 s8, -1, 0
	s_wait_alu 0xfffe
	s_cmp_lg_u32 s8, 0
	s_sub_co_ci_u32 s7, s29, s7
	s_sub_co_u32 s8, s6, s72
	s_cselect_b32 s9, -1, 0
	s_wait_alu 0xfffe
	s_cmp_lg_u32 s9, 0
	s_sub_co_ci_u32 s9, s7, 0
	;; [unrolled: 5-line block ×3, first 2 shown]
	s_cmp_ge_u32 s8, s72
	s_cselect_b32 s12, -1, 0
	s_cmp_eq_u32 s9, 0
	s_wait_alu 0xfffe
	s_cselect_b32 s12, s12, -1
	s_wait_alu 0xfffe
	s_cmp_lg_u32 s12, 0
	s_cselect_b32 s9, s11, s9
	s_cselect_b32 s8, s10, s8
	s_cmp_ge_u32 s6, s72
	s_cselect_b32 s10, -1, 0
	s_cmp_eq_u32 s7, 0
	s_wait_alu 0xfffe
	s_cselect_b32 s10, s10, -1
	s_wait_alu 0xfffe
	s_cmp_lg_u32 s10, 0
	s_cselect_b32 s7, s9, s7
	s_cselect_b32 s6, s8, s6
	s_cbranch_execnz .LBB143_90
.LBB143_89:                             ;   in Loop: Header=BB143_45 Depth=1
	s_wait_alu 0xfffe
	v_cvt_f32_u32_e32 v4, s72
	s_sub_co_i32 s7, 0, s72
	s_delay_alu instid0(VALU_DEP_1) | instskip(NEXT) | instid1(TRANS32_DEP_1)
	v_rcp_iflag_f32_e32 v4, v4
	v_mul_f32_e32 v4, 0x4f7ffffe, v4
	s_delay_alu instid0(VALU_DEP_1) | instskip(NEXT) | instid1(VALU_DEP_1)
	v_cvt_u32_f32_e32 v4, v4
	v_readfirstlane_b32 s6, v4
	s_wait_alu 0xfffe
	s_mul_i32 s7, s7, s6
	s_wait_alu 0xfffe
	s_mul_hi_u32 s7, s6, s7
	s_wait_alu 0xfffe
	s_add_co_i32 s6, s6, s7
	s_wait_alu 0xfffe
	s_mul_hi_u32 s6, s28, s6
	s_wait_alu 0xfffe
	s_mul_i32 s6, s6, s72
	s_wait_alu 0xfffe
	s_sub_co_i32 s6, s28, s6
	s_wait_alu 0xfffe
	s_sub_co_i32 s7, s6, s72
	s_cmp_ge_u32 s6, s72
	s_wait_alu 0xfffe
	s_cselect_b32 s6, s7, s6
	s_wait_alu 0xfffe
	s_sub_co_i32 s7, s6, s72
	s_cmp_ge_u32 s6, s72
	s_wait_alu 0xfffe
	s_cselect_b32 s52, s7, s6
	s_wait_alu 0xfffe
	s_mov_b64 s[6:7], s[52:53]
.LBB143_90:                             ;   in Loop: Header=BB143_45 Depth=1
	v_mov_b32_e32 v4, 0
	v_dual_mov_b32 v8, 0 :: v_dual_mov_b32 v5, 0
	v_dual_mov_b32 v6, 0 :: v_dual_mov_b32 v9, 0
	;; [unrolled: 1-line block ×3, first 2 shown]
	v_dual_mov_b32 v11, 0 :: v_dual_and_b32 v2, 0xffff, v2
	s_wait_alu 0xfffe
	s_sub_nc_u64 s[74:75], s[28:29], s[6:7]
	s_mov_b32 s71, exec_lo
	s_wait_alu 0xfffe
	v_cmpx_gt_u64_e64 s[74:75], v[16:17]
	s_cbranch_execz .LBB143_94
; %bb.91:                               ;   in Loop: Header=BB143_45 Depth=1
	v_mul_lo_u32 v4, v2, s67
	v_mul_lo_u32 v5, 0, s66
	v_mul_hi_u32 v6, v2, s66
	v_mul_lo_u32 v53, v2, s66
	v_mov_b32_e32 v32, v28
	v_mov_b32_e32 v34, v26
	;; [unrolled: 1-line block ×5, first 2 shown]
	v_dual_mov_b32 v31, v27 :: v_dual_add_nc_u32 v4, v4, v5
	v_mov_b32_e32 v33, v25
	v_mov_b32_e32 v35, v23
	s_delay_alu instid0(VALU_DEP_3)
	v_dual_mov_b32 v37, v21 :: v_dual_add_nc_u32 v54, v4, v6
	v_mov_b32_e32 v39, v16
	s_mov_b64 s[76:77], 0
	s_mov_b32 s73, 0
	s_mov_b64 s[78:79], 0
	s_mov_b64 s[80:81], 0
	;; [unrolled: 1-line block ×3, first 2 shown]
.LBB143_92:                             ;   Parent Loop BB143_45 Depth=1
                                        ; =>  This Inner Loop Header: Depth=2
	v_add_co_u32 v4, vcc_lo, v31, s50
	s_wait_alu 0xfffd
	v_add_co_ci_u32_e64 v5, null, s51, v32, vcc_lo
	v_add_co_u32 v6, vcc_lo, v33, s50
	s_wait_alu 0xfffd
	v_add_co_ci_u32_e64 v7, null, s51, v34, vcc_lo
	;; [unrolled: 3-line block ×4, first 2 shown]
	global_load_u16 v4, v[4:5], off
	global_load_u16 v5, v[6:7], off
	;; [unrolled: 1-line block ×4, first 2 shown]
	v_add_co_u32 v39, vcc_lo, v39, s72
	s_wait_alu 0xfffd
	v_add_co_ci_u32_e64 v40, null, 0, v40, vcc_lo
	v_add_co_u32 v37, vcc_lo, v37, v53
	s_wait_alu 0xfffd
	v_add_co_ci_u32_e64 v38, null, v38, v54, vcc_lo
	;; [unrolled: 3-line block ×5, first 2 shown]
	v_cmp_le_u64_e32 vcc_lo, s[74:75], v[39:40]
	s_wait_loadcnt 0x3
	v_cmp_lt_i16_e64 s6, -1, v4
	v_and_b32_e32 v8, 0xffff, v4
	v_lshlrev_b32_e32 v4, 16, v4
	s_wait_loadcnt 0x2
	v_and_b32_e32 v10, 0xffff, v5
	s_wait_loadcnt 0x1
	v_and_b32_e32 v55, 0xffff, v6
	s_wait_alu 0xf1ff
	v_cndmask_b32_e64 v9, 0xffff, v50, s6
	v_cmp_lt_i16_e64 s6, -1, v5
	v_lshlrev_b32_e32 v5, 16, v5
	v_cmp_o_f32_e64 s9, v4, v4
	s_wait_loadcnt 0x0
	v_and_b32_e32 v57, 0xffff, v7
	v_xor_b32_e32 v8, v9, v8
	s_wait_alu 0xf1ff
	v_cndmask_b32_e64 v11, 0xffff, v50, s6
	v_cmp_lt_i16_e64 s6, -1, v6
	v_lshlrev_b32_e32 v6, 16, v6
	v_cndmask_b32_e64 v4, 0xffff, v8, s9
	s_delay_alu instid0(VALU_DEP_4)
	v_xor_b32_e32 v9, v11, v10
	s_wait_alu 0xf1ff
	v_cndmask_b32_e64 v56, 0xffff, v50, s6
	v_cmp_lt_i16_e64 s6, -1, v7
	v_lshlrev_b32_e32 v7, 16, v7
	v_cmp_o_f32_e64 s7, v6, v6
	v_and_b32_e32 v8, v4, v51
	v_bfe_u32 v4, v4, s95, 2
	s_wait_alu 0xf1ff
	v_cndmask_b32_e64 v58, 0xffff, v50, s6
	v_cmp_o_f32_e64 s6, v5, v5
	v_xor_b32_e32 v5, v56, v55
	v_cmp_o_f32_e64 s8, v7, v7
	v_cmp_eq_u32_e64 s10, 0, v4
	v_xor_b32_e32 v6, v58, v57
	s_wait_alu 0xf1ff
	v_cndmask_b32_e64 v7, 0xffff, v9, s6
	v_cndmask_b32_e64 v5, 0xffff, v5, s7
	v_cmp_eq_u32_e64 s6, v8, v46
	v_cmp_eq_u32_e64 s14, 1, v4
	v_cndmask_b32_e64 v6, 0xffff, v6, s8
	v_and_b32_e32 v9, v7, v51
	v_bfe_u32 v7, v7, s95, 2
	v_and_b32_e32 v10, v5, v51
	v_bfe_u32 v5, v5, s95, 2
	;; [unrolled: 2-line block ×3, first 2 shown]
	v_cmp_eq_u32_e64 s7, v9, v46
	v_cmp_eq_u32_e64 s11, 0, v7
	;; [unrolled: 1-line block ×4, first 2 shown]
	s_and_b32 s10, s6, s10
	v_cmp_eq_u32_e64 s9, v11, v46
	v_cmp_eq_u32_e64 s13, 0, v6
	;; [unrolled: 1-line block ×4, first 2 shown]
	s_wait_alu 0xfffe
	v_cndmask_b32_e64 v4, 0, 1, s10
	s_and_b32 s10, s7, s11
	v_cmp_eq_u32_e64 s16, 1, v5
	v_cmp_eq_u32_e64 s20, 2, v5
	;; [unrolled: 1-line block ×3, first 2 shown]
	s_wait_alu 0xfffe
	v_cndmask_b32_e64 v5, 0, 1, s10
	s_and_b32 s10, s8, s12
	v_cmp_eq_u32_e64 s15, 1, v7
	v_cmp_eq_u32_e64 s17, 1, v6
	v_cmp_eq_u32_e64 s21, 2, v6
	v_cmp_eq_u32_e64 s25, 3, v6
	s_wait_alu 0xfffe
	v_cndmask_b32_e64 v6, 0, 1, s10
	s_and_b32 s10, s9, s13
	v_cmp_eq_u32_e64 s19, 2, v7
	v_cmp_eq_u32_e64 s23, 3, v7
	s_wait_alu 0xfffe
	v_cndmask_b32_e64 v7, 0, 1, s10
	s_and_b32 s10, s6, s14
	s_wait_alu 0xfffe
	v_cndmask_b32_e64 v8, 0, 1, s10
	s_and_b32 s10, s7, s15
	;; [unrolled: 3-line block ×4, first 2 shown]
	v_cmp_ne_u32_e64 s11, 0, v9
	s_wait_alu 0xfffe
	v_cndmask_b32_e64 v11, 0, 1, s10
	s_and_b32 s10, s6, s18
	s_and_b32 s6, s6, s22
	s_wait_alu 0xfffe
	v_cndmask_b32_e64 v55, 0, 1, s10
	v_cndmask_b32_e64 v59, 0, 1, s6
	s_and_b32 s6, s7, s23
	s_and_b32 s10, s7, s19
	s_wait_alu 0xfffe
	v_cndmask_b32_e64 v60, 0, 1, s6
	s_and_b32 s6, s8, s24
	v_cndmask_b32_e64 v56, 0, 1, s10
	s_and_b32 s10, s8, s20
	s_wait_alu 0xfffe
	v_cndmask_b32_e64 v61, 0, 1, s6
	s_and_b32 s6, s9, s25
	v_cndmask_b32_e64 v57, 0, 1, s10
	s_and_b32 s10, s9, s21
	s_wait_alu 0xfffe
	v_cndmask_b32_e64 v62, 0, 1, s6
	v_cmp_ne_u32_e64 s6, 0, v4
	v_cmp_ne_u32_e64 s7, 0, v5
	v_cndmask_b32_e64 v58, 0, 1, s10
	v_cmp_ne_u32_e64 s8, 0, v6
	v_cmp_ne_u32_e64 s10, 0, v8
	;; [unrolled: 1-line block ×6, first 2 shown]
	s_bcnt1_i32_b32 s6, s6
	s_bcnt1_i32_b32 s7, s7
	v_cmp_ne_u32_e64 s13, 0, v11
	v_cmp_ne_u32_e64 s16, 0, v57
	;; [unrolled: 1-line block ×4, first 2 shown]
	s_bcnt1_i32_b32 s8, s8
	s_bcnt1_i32_b32 s10, s10
	;; [unrolled: 1-line block ×3, first 2 shown]
	s_wait_alu 0xfffe
	s_add_co_i32 s6, s7, s6
	v_cmp_ne_u32_e64 s17, 0, v58
	v_cmp_ne_u32_e64 s20, 0, v61
	s_bcnt1_i32_b32 s9, s9
	s_bcnt1_i32_b32 s12, s12
	;; [unrolled: 1-line block ×4, first 2 shown]
	s_add_co_i32 s7, s11, s10
	s_wait_alu 0xfffe
	s_add_co_i32 s6, s6, s8
	v_cmp_ne_u32_e64 s21, 0, v62
	s_bcnt1_i32_b32 s13, s13
	s_bcnt1_i32_b32 s16, s16
	;; [unrolled: 1-line block ×4, first 2 shown]
	s_add_co_i32 s10, s15, s14
	s_add_co_i32 s7, s7, s12
	s_wait_alu 0xfffe
	s_add_co_i32 s52, s6, s9
	s_bcnt1_i32_b32 s17, s17
	s_bcnt1_i32_b32 s20, s20
	s_add_co_i32 s11, s19, s18
	s_add_co_i32 s8, s10, s16
	s_wait_alu 0xfffe
	s_add_nc_u64 s[82:83], s[82:83], s[52:53]
	s_add_co_i32 s52, s7, s13
	s_bcnt1_i32_b32 s21, s21
	s_add_co_i32 s10, s11, s20
	s_wait_alu 0xfffe
	s_add_nc_u64 s[80:81], s[80:81], s[52:53]
	s_add_co_i32 s52, s8, s17
	v_mov_b32_e32 v4, s82
	s_wait_alu 0xfffe
	s_add_nc_u64 s[78:79], s[78:79], s[52:53]
	s_add_co_i32 s52, s10, s21
	v_mov_b32_e32 v6, s80
	s_wait_alu 0xfffe
	s_add_nc_u64 s[76:77], s[76:77], s[52:53]
	v_mov_b32_e32 v8, s78
	s_wait_alu 0xfffe
	v_dual_mov_b32 v10, s76 :: v_dual_mov_b32 v5, s83
	v_mov_b32_e32 v7, s81
	v_mov_b32_e32 v9, s79
	;; [unrolled: 1-line block ×3, first 2 shown]
	s_or_b32 s73, vcc_lo, s73
	s_wait_alu 0xfffe
	s_and_not1_b32 exec_lo, exec_lo, s73
	s_cbranch_execnz .LBB143_92
; %bb.93:                               ;   in Loop: Header=BB143_45 Depth=1
	s_or_b32 exec_lo, exec_lo, s73
.LBB143_94:                             ;   in Loop: Header=BB143_45 Depth=1
	s_delay_alu instid0(SALU_CYCLE_1)
	s_or_b32 exec_lo, exec_lo, s71
	v_add_co_u32 v31, s6, s74, v0
	s_wait_alu 0xf1ff
	v_add_co_ci_u32_e64 v32, null, s75, 0, s6
	s_mov_b32 s10, exec_lo
	v_cmpx_gt_u64_e64 s[28:29], v[31:32]
	s_cbranch_execz .LBB143_100
; %bb.95:                               ;   in Loop: Header=BB143_45 Depth=1
	v_mul_lo_u32 v35, v32, s30
	v_mul_lo_u32 v36, v31, s31
	v_mad_co_u64_u32 v[33:34], null, v31, s30, 0
	s_mov_b32 s11, 0
	v_add3_u32 v34, v34, v36, v35
	s_delay_alu instid0(VALU_DEP_1) | instskip(NEXT) | instid1(VALU_DEP_1)
	v_lshlrev_b64_e32 v[33:34], 1, v[33:34]
	v_add_co_u32 v33, vcc_lo, s56, v33
	s_wait_alu 0xfffd
	s_delay_alu instid0(VALU_DEP_2)
	v_add_co_ci_u32_e64 v34, null, s57, v34, vcc_lo
	global_load_u16 v34, v[33:34], off
	s_branch .LBB143_97
.LBB143_96:                             ;   in Loop: Header=BB143_97 Depth=2
	s_wait_alu 0xfffe
	s_or_b32 exec_lo, exec_lo, s7
	s_wait_loadcnt 0x0
	v_cmp_lt_i16_e64 s6, -1, v34
	v_and_b32_e32 v35, 0xffff, v34
	v_lshlrev_b32_e32 v34, 16, v34
	s_and_b32 s8, exec_lo, vcc_lo
	s_wait_alu 0xfffe
	s_or_b32 s11, s8, s11
	v_cndmask_b32_e64 v36, 0xffff, v50, s6
	v_cmp_o_f32_e64 s6, v34, v34
	s_delay_alu instid0(VALU_DEP_2) | instskip(SKIP_1) | instid1(VALU_DEP_1)
	v_xor_b32_e32 v35, v36, v35
	s_wait_alu 0xf1ff
	v_cndmask_b32_e64 v34, 0xffff, v35, s6
	s_delay_alu instid0(VALU_DEP_1) | instskip(SKIP_1) | instid1(VALU_DEP_2)
	v_and_b32_e32 v35, v34, v51
	v_bfe_u32 v34, v34, s95, 2
	v_cmp_eq_u32_e64 s6, v35, v46
	s_delay_alu instid0(VALU_DEP_2)
	v_cmp_eq_u32_e64 s7, 0, v34
	v_cmp_eq_u32_e32 vcc_lo, 1, v34
	v_cmp_eq_u32_e64 s8, 2, v34
	s_and_b32 s7, s6, s7
	s_wait_alu 0xfffe
	v_cndmask_b32_e64 v35, 0, 1, s7
	s_and_b32 s7, s6, vcc_lo
	v_cmp_eq_u32_e32 vcc_lo, 3, v34
	s_wait_alu 0xfffe
	v_cndmask_b32_e64 v36, 0, 1, s7
	s_and_b32 s7, s6, s8
	s_wait_alu 0xfffe
	v_cndmask_b32_e64 v37, 0, 1, s7
	v_cmp_ne_u32_e64 s7, 0, v35
	v_cmp_ne_u32_e64 s8, 0, v36
	s_and_b32 s6, s6, vcc_lo
	s_wait_alu 0xfffe
	v_cndmask_b32_e64 v34, 0, 1, s6
	s_bcnt1_i32_b32 s6, s7
	v_cmp_ne_u32_e64 s9, 0, v37
	s_bcnt1_i32_b32 s7, s8
	s_wait_alu 0xfffe
	v_add_co_u32 v4, vcc_lo, v4, s6
	s_wait_alu 0xfffd
	v_add_co_ci_u32_e64 v5, null, 0, v5, vcc_lo
	v_add_co_u32 v6, vcc_lo, v6, s7
	s_wait_alu 0xfffd
	v_add_co_ci_u32_e64 v7, null, 0, v7, vcc_lo
	v_cmp_ne_u32_e32 vcc_lo, 0, v34
	s_bcnt1_i32_b32 s8, s9
	v_mov_b32_e32 v34, v33
	s_wait_alu 0xfffe
	v_add_co_u32 v8, s6, v8, s8
	s_wait_alu 0xf1ff
	v_add_co_ci_u32_e64 v9, null, 0, v9, s6
	s_bcnt1_i32_b32 s6, vcc_lo
	s_wait_alu 0xfffe
	v_add_co_u32 v10, vcc_lo, v10, s6
	s_wait_alu 0xfffd
	v_add_co_ci_u32_e64 v11, null, 0, v11, vcc_lo
	s_and_not1_b32 exec_lo, exec_lo, s11
	s_cbranch_execz .LBB143_99
.LBB143_97:                             ;   Parent Loop BB143_45 Depth=1
                                        ; =>  This Inner Loop Header: Depth=2
	v_add_co_u32 v31, vcc_lo, v31, v2
	s_wait_alu 0xfffd
	v_add_co_ci_u32_e64 v32, null, 0, v32, vcc_lo
	v_mov_b32_e32 v33, 0
	s_mov_b32 s7, exec_lo
	s_delay_alu instid0(VALU_DEP_2)
	v_cmp_le_u64_e32 vcc_lo, s[28:29], v[31:32]
	v_cmpx_gt_u64_e64 s[28:29], v[31:32]
	s_cbranch_execz .LBB143_96
; %bb.98:                               ;   in Loop: Header=BB143_97 Depth=2
	v_mul_lo_u32 v33, v32, s30
	v_mul_lo_u32 v37, v31, s31
	v_mad_co_u64_u32 v[35:36], null, v31, s30, 0
	s_delay_alu instid0(VALU_DEP_1) | instskip(NEXT) | instid1(VALU_DEP_1)
	v_add3_u32 v36, v36, v37, v33
	v_lshlrev_b64_e32 v[35:36], 1, v[35:36]
	s_delay_alu instid0(VALU_DEP_1) | instskip(SKIP_1) | instid1(VALU_DEP_2)
	v_add_co_u32 v35, s6, s56, v35
	s_wait_alu 0xf1ff
	v_add_co_ci_u32_e64 v36, null, s57, v36, s6
	global_load_u16 v33, v[35:36], off
	s_branch .LBB143_96
.LBB143_99:                             ;   in Loop: Header=BB143_45 Depth=1
	s_or_b32 exec_lo, exec_lo, s11
.LBB143_100:                            ;   in Loop: Header=BB143_45 Depth=1
	s_wait_alu 0xfffe
	s_or_b32 exec_lo, exec_lo, s10
	s_branch .LBB143_79
.LBB143_101:                            ;   in Loop: Header=BB143_45 Depth=1
	global_load_u16 v2, v3, s[68:69]
	v_mov_b32_e32 v6, 0
	v_mov_b32_e32 v8, 0
	v_dual_mov_b32 v10, 0 :: v_dual_mov_b32 v9, 0
	v_mov_b32_e32 v11, 0
	s_mov_b32 s76, exec_lo
	v_mov_b32_e32 v7, 0
	s_wait_loadcnt 0x0
	v_readfirstlane_b32 s6, v2
	v_and_b32_e32 v2, 0xffff, v2
	s_and_b32 s71, 0xffff, s6
	s_delay_alu instid0(SALU_CYCLE_1) | instskip(SKIP_4) | instid1(SALU_CYCLE_1)
	s_lshl_b32 s75, s71, 2
	s_wait_alu 0xfffe
	s_cvt_f32_u32 s6, s75
	s_sub_co_i32 s7, 0, s75
	s_wait_alu 0xfffe
	v_rcp_iflag_f32_e32 v4, s6
	s_delay_alu instid0(TRANS32_DEP_1) | instskip(SKIP_2) | instid1(SALU_CYCLE_2)
	v_readfirstlane_b32 s6, v4
	s_mul_f32 s6, s6, 0x4f7ffffe
	s_wait_alu 0xfffe
	s_cvt_u32_f32 s6, s6
	s_wait_alu 0xfffe
	s_delay_alu instid0(SALU_CYCLE_2)
	s_mul_i32 s7, s7, s6
	s_wait_alu 0xfffe
	s_mul_hi_u32 s7, s6, s7
	s_wait_alu 0xfffe
	s_add_co_i32 s6, s6, s7
	s_wait_alu 0xfffe
	s_mul_hi_u32 s6, s70, s6
	s_wait_alu 0xfffe
	s_mul_i32 s7, s6, s75
	s_add_co_i32 s8, s6, 1
	s_wait_alu 0xfffe
	s_sub_co_i32 s7, s70, s7
	s_wait_alu 0xfffe
	s_sub_co_i32 s9, s7, s75
	s_cmp_ge_u32 s7, s75
	s_cselect_b32 s6, s8, s6
	s_wait_alu 0xfffe
	s_cselect_b32 s7, s9, s7
	s_add_co_i32 s8, s6, 1
	s_wait_alu 0xfffe
	s_cmp_ge_u32 s7, s75
	s_cselect_b32 s74, s8, s6
	s_wait_alu 0xfffe
	v_mul_hi_u32 v5, s74, v2
	v_mul_lo_u32 v4, s74, v2
	s_delay_alu instid0(VALU_DEP_1) | instskip(SKIP_2) | instid1(VALU_DEP_3)
	v_lshlrev_b64_e32 v[31:32], 2, v[4:5]
	v_mov_b32_e32 v4, 0
	v_mov_b32_e32 v5, 0
	v_cmpx_gt_u64_e64 v[31:32], v[16:17]
	s_cbranch_execz .LBB143_105
; %bb.102:                              ;   in Loop: Header=BB143_45 Depth=1
	v_dual_mov_b32 v35, v47 :: v_dual_mov_b32 v34, v17
	v_mov_b32_e32 v33, v16
	s_lshl_b32 s77, s71, 3
	s_mov_b64 s[20:21], 0
	s_mov_b32 s78, 0
	s_mov_b64 s[22:23], 0
	s_mov_b64 s[24:25], 0
	;; [unrolled: 1-line block ×3, first 2 shown]
.LBB143_103:                            ;   Parent Loop BB143_45 Depth=1
                                        ; =>  This Inner Loop Header: Depth=2
	ds_load_b64 v[4:5], v35
	v_add_co_u32 v33, vcc_lo, v33, s75
	s_wait_alu 0xfffd
	v_add_co_ci_u32_e64 v34, null, 0, v34, vcc_lo
	s_delay_alu instid0(VALU_DEP_1)
	v_cmp_ge_u64_e32 vcc_lo, v[33:34], v[31:32]
	s_wait_dscnt 0x0
	v_cmp_lt_i16_e64 s6, -1, v4
	v_lshrrev_b32_e32 v7, 16, v5
	v_lshrrev_b32_e32 v6, 16, v4
	v_and_b32_e32 v8, 0xffff, v4
	v_lshlrev_b32_e32 v10, 16, v4
	s_wait_alu 0xf1ff
	v_cndmask_b32_e64 v9, 0xffff, v50, s6
	v_cmp_lt_i16_e64 s6, -1, v5
	v_and_b32_e32 v11, 0xffff, v5
	v_cmp_lt_i16_e64 s7, -1, v7
	v_lshlrev_b32_e32 v37, 16, v5
	v_xor_b32_e32 v8, v9, v8
	s_wait_alu 0xf1ff
	v_cndmask_b32_e64 v36, 0xffff, v50, s6
	v_cmp_lt_i16_e64 s6, -1, v6
	v_and_b32_e32 v4, 0xffff0000, v4
	v_and_b32_e32 v5, 0xffff0000, v5
	s_delay_alu instid0(VALU_DEP_4)
	v_xor_b32_e32 v11, v36, v11
	v_cndmask_b32_e64 v36, 0xffff, v50, s7
	v_cmp_o_f32_e64 s7, v10, v10
	s_wait_alu 0xf1ff
	v_cndmask_b32_e64 v9, 0xffff, v50, s6
	v_cmp_o_f32_e64 s6, v37, v37
	v_xor_b32_e32 v7, v36, v7
	v_cndmask_b32_e64 v8, 0xffff, v8, s7
	s_delay_alu instid0(VALU_DEP_4)
	v_xor_b32_e32 v6, v9, v6
	s_wait_alu 0xf1ff
	v_cndmask_b32_e64 v9, 0xffff, v11, s6
	v_cmp_o_f32_e64 s6, v5, v5
	v_cmp_o_f32_e64 s7, v4, v4
	v_and_b32_e32 v5, v8, v51
	v_bfe_u32 v8, v8, s95, 2
	s_wait_alu 0xf1ff
	s_delay_alu instid0(VALU_DEP_3)
	v_cndmask_b32_e64 v4, 0xffff, v6, s7
	v_cndmask_b32_e64 v6, 0xffff, v7, s6
	v_and_b32_e32 v7, v9, v51
	v_bfe_u32 v9, v9, s95, 2
	v_cmp_eq_u32_e64 s6, v5, v46
	v_cmp_eq_u32_e64 s8, 0, v8
	v_and_b32_e32 v5, v4, v51
	v_cmp_eq_u32_e64 s7, v7, v46
	v_bfe_u32 v4, v4, s95, 2
	v_cmp_eq_u32_e64 s9, 0, v9
	v_cmp_eq_u32_e64 s10, 1, v8
	;; [unrolled: 1-line block ×3, first 2 shown]
	v_and_b32_e32 v7, v6, v51
	v_bfe_u32 v6, v6, s95, 2
	v_cmp_eq_u32_e64 s11, 1, v9
	v_cmp_eq_u32_e64 s13, 2, v9
	;; [unrolled: 1-line block ×3, first 2 shown]
	s_and_b32 s8, s6, s8
	v_cmp_eq_u32_e64 s15, 3, v9
	v_cmp_eq_u32_e64 s16, v5, v46
	;; [unrolled: 1-line block ×3, first 2 shown]
	s_wait_alu 0xfffe
	v_cndmask_b32_e64 v5, 0, 1, s8
	s_and_b32 s8, s7, s9
	s_and_b32 s10, s6, s10
	;; [unrolled: 1-line block ×3, first 2 shown]
	v_cmp_eq_u32_e64 s17, v7, v46
	v_cmp_eq_u32_e64 s19, 0, v6
	s_wait_alu 0xfffe
	v_cndmask_b32_e64 v7, 0, 1, s8
	v_cmp_eq_u32_e64 s8, 1, v4
	v_cndmask_b32_e64 v8, 0, 1, s10
	s_and_b32 s10, s7, s11
	v_cndmask_b32_e64 v10, 0, 1, s12
	s_and_b32 s12, s7, s13
	s_and_b32 s6, s6, s14
	v_cmp_eq_u32_e64 s9, 1, v6
	s_wait_alu 0xfffe
	v_cndmask_b32_e64 v9, 0, 1, s10
	v_cmp_eq_u32_e64 s10, 2, v4
	v_cmp_eq_u32_e64 s11, 2, v6
	v_cndmask_b32_e64 v11, 0, 1, s12
	v_cmp_eq_u32_e64 s12, 3, v4
	v_cndmask_b32_e64 v4, 0, 1, s6
	s_and_b32 s6, s7, s15
	s_and_b32 s7, s16, s18
	v_cmp_eq_u32_e64 s13, 3, v6
	s_wait_alu 0xfffe
	v_cndmask_b32_e64 v6, 0, 1, s6
	v_cmp_ne_u32_e64 s6, 0, v5
	v_cndmask_b32_e64 v5, 0, 1, s7
	s_and_b32 s14, s17, s19
	s_and_b32 s8, s16, s8
	v_cmp_ne_u32_e64 s7, 0, v7
	s_wait_alu 0xfffe
	v_cndmask_b32_e64 v7, 0, 1, s14
	v_cmp_ne_u32_e64 s14, 0, v8
	v_cndmask_b32_e64 v8, 0, 1, s8
	s_and_b32 s9, s17, s9
	s_and_b32 s10, s16, s10
	s_and_b32 s11, s17, s11
	s_and_b32 s12, s16, s12
	v_cmp_ne_u32_e64 s8, 0, v9
	s_wait_alu 0xfffe
	v_cndmask_b32_e64 v9, 0, 1, s9
	v_cmp_ne_u32_e64 s9, 0, v10
	v_cndmask_b32_e64 v10, 0, 1, s10
	v_cmp_ne_u32_e64 s10, 0, v11
	;; [unrolled: 2-line block ×3, first 2 shown]
	v_cndmask_b32_e64 v4, 0, 1, s12
	s_and_b32 s13, s17, s13
	s_bcnt1_i32_b32 s15, s6
	v_cmp_ne_u32_e64 s6, 0, v5
	v_cmp_ne_u32_e64 s12, 0, v6
	s_wait_alu 0xfffe
	v_cndmask_b32_e64 v6, 0, 1, s13
	v_cmp_ne_u32_e64 s13, 0, v8
	s_bcnt1_i32_b32 s16, s7
	v_cmp_ne_u32_e64 s7, 0, v7
	s_bcnt1_i32_b32 s18, s9
	v_cmp_ne_u32_e64 s9, 0, v10
	s_bcnt1_i32_b32 s52, s11
	v_cmp_ne_u32_e64 s11, 0, v4
	s_bcnt1_i32_b32 s6, s6
	s_bcnt1_i32_b32 s17, s8
	v_cmp_ne_u32_e64 s8, 0, v9
	s_bcnt1_i32_b32 s14, s14
	s_bcnt1_i32_b32 s13, s13
	s_wait_alu 0xfffe
	s_add_co_i32 s6, s6, s15
	s_bcnt1_i32_b32 s19, s10
	v_cmp_ne_u32_e64 s10, 0, v11
	s_bcnt1_i32_b32 s7, s7
	s_bcnt1_i32_b32 s9, s9
	;; [unrolled: 1-line block ×3, first 2 shown]
	s_add_co_i32 s13, s13, s14
	s_wait_alu 0xfffe
	s_add_co_i32 s6, s6, s16
	s_bcnt1_i32_b32 s79, s12
	v_cmp_ne_u32_e64 s12, 0, v6
	s_bcnt1_i32_b32 s8, s8
	s_add_co_i32 s9, s9, s18
	s_add_co_i32 s11, s11, s52
	;; [unrolled: 1-line block ×3, first 2 shown]
	s_wait_alu 0xfffe
	s_add_co_i32 s52, s6, s7
	s_bcnt1_i32_b32 s10, s10
	s_add_co_i32 s9, s9, s19
	s_wait_alu 0xfffe
	s_add_nc_u64 s[72:73], s[72:73], s[52:53]
	s_add_co_i32 s52, s13, s8
	s_bcnt1_i32_b32 s12, s12
	s_add_co_i32 s11, s11, s79
	s_wait_alu 0xfffe
	s_add_nc_u64 s[24:25], s[24:25], s[52:53]
	s_add_co_i32 s52, s9, s10
	v_dual_mov_b32 v4, s72 :: v_dual_add_nc_u32 v35, s77, v35
	s_wait_alu 0xfffe
	s_add_nc_u64 s[22:23], s[22:23], s[52:53]
	s_add_co_i32 s52, s11, s12
	v_mov_b32_e32 v6, s24
	s_wait_alu 0xfffe
	s_add_nc_u64 s[20:21], s[20:21], s[52:53]
	v_mov_b32_e32 v8, s22
	s_wait_alu 0xfffe
	v_dual_mov_b32 v10, s20 :: v_dual_mov_b32 v5, s73
	v_mov_b32_e32 v7, s25
	v_mov_b32_e32 v9, s23
	;; [unrolled: 1-line block ×3, first 2 shown]
	s_or_b32 s78, vcc_lo, s78
	s_wait_alu 0xfffe
	s_and_not1_b32 exec_lo, exec_lo, s78
	s_cbranch_execnz .LBB143_103
; %bb.104:                              ;   in Loop: Header=BB143_45 Depth=1
	s_or_b32 exec_lo, exec_lo, s78
.LBB143_105:                            ;   in Loop: Header=BB143_45 Depth=1
	s_delay_alu instid0(SALU_CYCLE_1)
	s_or_b32 exec_lo, exec_lo, s76
	v_add_co_u32 v31, vcc_lo, v31, v0
	s_wait_alu 0xfffd
	v_add_co_ci_u32_e64 v32, null, 0, v32, vcc_lo
	s_and_b32 s52, s70, 0x7fffffff
	s_mov_b32 s11, exec_lo
	s_wait_alu 0xfffe
	v_cmpx_gt_u64_e64 s[52:53], v[31:32]
	s_cbranch_execz .LBB143_109
; %bb.106:                              ;   in Loop: Header=BB143_45 Depth=1
	s_mul_i32 s74, s74, s71
	s_lshl_b32 s13, s71, 1
	s_wait_alu 0xfffe
	v_lshl_add_u32 v33, s74, 3, v42
	s_mov_b32 s12, 0
.LBB143_107:                            ;   Parent Loop BB143_45 Depth=1
                                        ; =>  This Inner Loop Header: Depth=2
	ds_load_u16 v34, v33
	v_add_co_u32 v31, vcc_lo, v31, v2
	s_wait_alu 0xfffd
	v_add_co_ci_u32_e64 v32, null, 0, v32, vcc_lo
	v_add_nc_u32_e32 v33, s13, v33
	s_delay_alu instid0(VALU_DEP_2)
	v_cmp_le_u64_e32 vcc_lo, s[52:53], v[31:32]
	s_wait_dscnt 0x0
	v_cmp_lt_i16_e64 s6, -1, v34
	v_and_b32_e32 v35, 0xffff, v34
	v_lshlrev_b32_e32 v34, 16, v34
	s_wait_alu 0xf1ff
	s_delay_alu instid0(VALU_DEP_3) | instskip(NEXT) | instid1(VALU_DEP_2)
	v_cndmask_b32_e64 v36, 0xffff, v50, s6
	v_cmp_o_f32_e64 s6, v34, v34
	s_delay_alu instid0(VALU_DEP_2) | instskip(SKIP_1) | instid1(VALU_DEP_1)
	v_xor_b32_e32 v35, v36, v35
	s_wait_alu 0xf1ff
	v_cndmask_b32_e64 v34, 0xffff, v35, s6
	s_delay_alu instid0(VALU_DEP_1) | instskip(SKIP_1) | instid1(VALU_DEP_2)
	v_and_b32_e32 v35, v34, v51
	v_bfe_u32 v34, v34, s95, 2
	v_cmp_eq_u32_e64 s6, v35, v46
	s_delay_alu instid0(VALU_DEP_2)
	v_cmp_eq_u32_e64 s7, 0, v34
	v_cmp_eq_u32_e64 s8, 1, v34
	;; [unrolled: 1-line block ×4, first 2 shown]
	s_and_b32 s7, s6, s7
	s_wait_alu 0xfffe
	v_cndmask_b32_e64 v34, 0, 1, s7
	s_and_b32 s7, s6, s8
	s_wait_alu 0xfffe
	v_cndmask_b32_e64 v35, 0, 1, s7
	s_and_b32 s7, s6, s9
	s_and_b32 s6, s6, s10
	s_wait_alu 0xfffe
	v_cndmask_b32_e64 v36, 0, 1, s7
	v_cndmask_b32_e64 v37, 0, 1, s6
	v_cmp_ne_u32_e64 s6, 0, v34
	v_cmp_ne_u32_e64 s7, 0, v35
	s_delay_alu instid0(VALU_DEP_4) | instskip(NEXT) | instid1(VALU_DEP_4)
	v_cmp_ne_u32_e64 s8, 0, v36
	v_cmp_ne_u32_e64 s9, 0, v37
	s_bcnt1_i32_b32 s6, s6
	s_bcnt1_i32_b32 s7, s7
	s_wait_alu 0xfffe
	v_add_co_u32 v4, s6, v4, s6
	s_bcnt1_i32_b32 s8, s8
	v_add_co_ci_u32_e64 v5, null, 0, v5, s6
	v_add_co_u32 v6, s6, v6, s7
	s_bcnt1_i32_b32 s9, s9
	v_add_co_ci_u32_e64 v7, null, 0, v7, s6
	s_wait_alu 0xfffe
	v_add_co_u32 v8, s6, v8, s8
	s_wait_alu 0xf1ff
	v_add_co_ci_u32_e64 v9, null, 0, v9, s6
	v_add_co_u32 v10, s6, v10, s9
	s_wait_alu 0xf1ff
	v_add_co_ci_u32_e64 v11, null, 0, v11, s6
	s_or_b32 s12, vcc_lo, s12
	s_wait_alu 0xfffe
	s_and_not1_b32 exec_lo, exec_lo, s12
	s_cbranch_execnz .LBB143_107
; %bb.108:                              ;   in Loop: Header=BB143_45 Depth=1
	s_or_b32 exec_lo, exec_lo, s12
.LBB143_109:                            ;   in Loop: Header=BB143_45 Depth=1
	s_delay_alu instid0(SALU_CYCLE_1)
	s_or_b32 exec_lo, exec_lo, s11
	s_lshl_b32 s6, s97, 7
	s_and_saveexec_b32 s7, s1
	s_cbranch_execnz .LBB143_80
	s_branch .LBB143_81
.LBB143_110:                            ;   in Loop: Header=BB143_45 Depth=1
                                        ; implicit-def: $sgpr6_sgpr7
	s_branch .LBB143_89
.LBB143_111:                            ;   in Loop: Header=BB143_45 Depth=1
	s_mov_b32 s8, 0
	s_and_not1_b32 vcc_lo, exec_lo, s91
	s_wait_alu 0xfffe
	s_cbranch_vccnz .LBB143_114
.LBB143_112:                            ;   in Loop: Header=BB143_45 Depth=1
	s_lshl_b32 s9, s97, 10
	s_lshl_b32 s8, s8, 5
	s_wait_alu 0xfffe
	v_add3_u32 v2, s9, s8, v48
	s_mov_b32 s8, s88
.LBB143_113:                            ;   Parent Loop BB143_45 Depth=1
                                        ; =>  This Inner Loop Header: Depth=2
	ds_load_b64 v[6:7], v2
	v_add_nc_u32_e32 v2, 32, v2
	s_wait_alu 0xfffe
	s_add_co_i32 s8, s8, -1
	s_wait_alu 0xfffe
	s_cmp_lg_u32 s8, 0
	s_wait_dscnt 0x0
	v_add_co_u32 v4, vcc_lo, v6, v4
	s_wait_alu 0xfffd
	v_add_co_ci_u32_e64 v5, null, v7, v5, vcc_lo
	s_cbranch_scc1 .LBB143_113
.LBB143_114:                            ;   in Loop: Header=BB143_45 Depth=1
	v_add_lshl_u32 v2, s6, v41, 3
	ds_store_b64 v2, v[4:5] offset:3072
.LBB143_115:                            ;   in Loop: Header=BB143_45 Depth=1
	s_wait_alu 0xfffe
	s_or_b32 exec_lo, exec_lo, s7
	s_lshl_b32 s6, s6, 3
	s_wait_loadcnt_dscnt 0x0
	s_wait_alu 0xfffe
	v_mov_b32_e32 v2, s6
	s_barrier_signal -1
	s_barrier_wait -1
	global_inv scope:SCOPE_SE
	v_cmp_eq_u64_e32 vcc_lo, 1, v[29:30]
	ds_load_b128 v[4:7], v2 offset:3072
	ds_load_b128 v[8:11], v2 offset:3088
	s_lshl_b32 s16, 3, s95
	s_mov_b32 s18, -1
	s_wait_alu 0xfffe
	s_not_b32 s20, s16
                                        ; implicit-def: $sgpr22
                                        ; implicit-def: $sgpr21
	s_wait_dscnt 0x1
	v_cmp_eq_u64_e64 s6, 1, v[4:5]
	s_wait_dscnt 0x0
	v_readfirstlane_b32 s10, v8
	v_readfirstlane_b32 s11, v9
	;; [unrolled: 1-line block ×4, first 2 shown]
	s_and_b32 s19, s6, vcc_lo
	s_mov_b32 s6, -1
	s_and_saveexec_b32 s17, s19
	s_cbranch_execz .LBB143_147
; %bb.116:                              ;   in Loop: Header=BB143_45 Depth=1
	ds_load_b64 v[8:9], v3 offset:5120
	s_wait_loadcnt_dscnt 0x0
	s_barrier_signal -1
	s_barrier_wait -1
	global_inv scope:SCOPE_SE
	v_readfirstlane_b32 s6, v8
	v_readfirstlane_b32 s7, v9
	s_and_saveexec_b32 s12, s0
; %bb.117:                              ;   in Loop: Header=BB143_45 Depth=1
	ds_store_b16 v43, v3
; %bb.118:                              ;   in Loop: Header=BB143_45 Depth=1
	s_wait_alu 0xfffe
	s_or_b32 exec_lo, exec_lo, s12
	v_and_b32_e32 v46, s20, v46
	v_or_b32_e32 v51, s16, v51
	s_mov_b32 s21, -1
	s_mov_b32 s22, 0
	s_cmp_eq_u64 s[6:7], 0
	s_mov_b32 s14, 0
	s_mov_b32 s15, -1
	s_wait_loadcnt_dscnt 0x0
	s_barrier_signal -1
	s_barrier_wait -1
	global_inv scope:SCOPE_SE
                                        ; implicit-def: $vgpr52
	s_cbranch_scc1 .LBB143_132
; %bb.119:                              ;   in Loop: Header=BB143_45 Depth=1
	s_add_nc_u64 s[12:13], s[6:7], s[58:59]
	s_mov_b32 s14, s53
	s_wait_alu 0xfffe
	s_mov_b32 s15, s13
	s_wait_alu 0xfffe
	s_cmp_lg_u64 s[14:15], 0
	s_cbranch_scc0 .LBB143_173
; %bb.120:                              ;   in Loop: Header=BB143_45 Depth=1
	s_cvt_f32_u32 s14, s48
	s_sub_nc_u64 s[24:25], 0, s[48:49]
	s_wait_alu 0xfffe
	s_delay_alu instid0(SALU_CYCLE_1) | instskip(SKIP_1) | instid1(SALU_CYCLE_2)
	s_fmamk_f32 s14, s93, 0x0, s14
	s_wait_alu 0xfffe
	v_s_rcp_f32 s14, s14
	s_delay_alu instid0(TRANS32_DEP_1) | instskip(SKIP_1) | instid1(SALU_CYCLE_2)
	s_mul_f32 s14, s14, 0x5f7ffffc
	s_wait_alu 0xfffe
	s_mul_f32 s15, s14, 0x2f800000
	s_wait_alu 0xfffe
	s_delay_alu instid0(SALU_CYCLE_2) | instskip(SKIP_1) | instid1(SALU_CYCLE_2)
	s_trunc_f32 s15, s15
	s_wait_alu 0xfffe
	s_fmamk_f32 s14, s15, 0xcf800000, s14
	s_cvt_u32_f32 s15, s15
	s_wait_alu 0xfffe
	s_delay_alu instid0(SALU_CYCLE_1) | instskip(SKIP_1) | instid1(SALU_CYCLE_2)
	s_cvt_u32_f32 s14, s14
	s_wait_alu 0xfffe
	s_mul_u64 s[70:71], s[24:25], s[14:15]
	s_delay_alu instid0(SALU_CYCLE_1)
	s_mul_hi_u32 s73, s14, s71
	s_mul_i32 s72, s14, s71
	s_mul_hi_u32 s52, s14, s70
	s_mul_i32 s74, s15, s70
	s_wait_alu 0xfffe
	s_add_nc_u64 s[72:73], s[52:53], s[72:73]
	s_mul_hi_u32 s23, s15, s70
	s_mul_hi_u32 s75, s15, s71
	s_wait_alu 0xfffe
	s_add_co_u32 s52, s72, s74
	s_add_co_ci_u32 s52, s73, s23
	s_mul_i32 s70, s15, s71
	s_add_co_ci_u32 s71, s75, 0
	s_wait_alu 0xfffe
	s_add_nc_u64 s[70:71], s[52:53], s[70:71]
	s_delay_alu instid0(SALU_CYCLE_1)
	s_add_co_u32 s14, s14, s70
	s_cselect_b32 s23, -1, 0
	s_wait_alu 0xfffe
	s_cmp_lg_u32 s23, 0
	s_add_co_ci_u32 s15, s15, s71
	s_wait_alu 0xfffe
	s_mul_u64 s[24:25], s[24:25], s[14:15]
	s_wait_alu 0xfffe
	s_mul_hi_u32 s71, s14, s25
	s_mul_i32 s70, s14, s25
	s_mul_hi_u32 s52, s14, s24
	s_mul_i32 s72, s15, s24
	s_wait_alu 0xfffe
	s_add_nc_u64 s[70:71], s[52:53], s[70:71]
	s_mul_hi_u32 s23, s15, s24
	s_mul_hi_u32 s73, s15, s25
	s_mul_i32 s24, s15, s25
	s_add_co_u32 s25, s70, s72
	s_wait_alu 0xfffe
	s_add_co_ci_u32 s52, s71, s23
	s_add_co_ci_u32 s25, s73, 0
	s_wait_alu 0xfffe
	s_add_nc_u64 s[24:25], s[52:53], s[24:25]
	s_wait_alu 0xfffe
	s_add_co_u32 s14, s14, s24
	s_cselect_b32 s23, -1, 0
	s_wait_alu 0xfffe
	s_mul_hi_u32 s52, s12, s14
	s_cmp_lg_u32 s23, 0
	s_mul_hi_u32 s23, s13, s14
	s_add_co_ci_u32 s24, s15, s25
	s_mul_i32 s25, s13, s14
	s_wait_alu 0xfffe
	s_mul_hi_u32 s15, s12, s24
	s_mul_i32 s14, s12, s24
	s_mul_hi_u32 s70, s13, s24
	s_wait_alu 0xfffe
	s_add_nc_u64 s[14:15], s[52:53], s[14:15]
	s_mul_i32 s24, s13, s24
	s_wait_alu 0xfffe
	s_add_co_u32 s14, s14, s25
	s_add_co_ci_u32 s52, s15, s23
	s_add_co_ci_u32 s25, s70, 0
	s_wait_alu 0xfffe
	s_add_nc_u64 s[14:15], s[52:53], s[24:25]
	s_wait_alu 0xfffe
	s_mul_u64 s[14:15], s[48:49], s[14:15]
	s_wait_alu 0xfffe
	s_sub_co_u32 s14, s12, s14
	s_cselect_b32 s23, -1, 0
	s_wait_alu 0xfffe
	s_cmp_lg_u32 s23, 0
	s_sub_co_ci_u32 s15, s13, s15
	s_sub_co_u32 s23, s14, s48
	s_cselect_b32 s24, -1, 0
	s_wait_alu 0xfffe
	s_cmp_lg_u32 s24, 0
	s_sub_co_ci_u32 s24, s15, 0
	;; [unrolled: 5-line block ×3, first 2 shown]
	s_cmp_ge_u32 s23, s48
	s_cselect_b32 s70, -1, 0
	s_cmp_eq_u32 s24, 0
	s_cselect_b32 s70, s70, -1
	s_delay_alu instid0(SALU_CYCLE_1)
	s_cmp_lg_u32 s70, 0
	s_wait_alu 0xfffe
	s_cselect_b32 s24, s52, s24
	s_cselect_b32 s23, s25, s23
	s_cmp_ge_u32 s14, s48
	s_cselect_b32 s25, -1, 0
	s_cmp_eq_u32 s15, 0
	s_wait_alu 0xfffe
	s_cselect_b32 s25, s25, -1
	s_wait_alu 0xfffe
	s_cmp_lg_u32 s25, 0
	s_cselect_b32 s15, s24, s15
	s_cselect_b32 s14, s23, s14
	s_cbranch_execnz .LBB143_122
.LBB143_121:                            ;   in Loop: Header=BB143_45 Depth=1
	v_cvt_f32_u32_e32 v2, s48
	s_sub_co_i32 s15, 0, s48
	s_delay_alu instid0(VALU_DEP_1) | instskip(NEXT) | instid1(TRANS32_DEP_1)
	v_rcp_iflag_f32_e32 v2, v2
	v_mul_f32_e32 v2, 0x4f7ffffe, v2
	s_delay_alu instid0(VALU_DEP_1) | instskip(NEXT) | instid1(VALU_DEP_1)
	v_cvt_u32_f32_e32 v2, v2
	v_readfirstlane_b32 s14, v2
	s_wait_alu 0xfffe
	s_mul_i32 s15, s15, s14
	s_wait_alu 0xfffe
	s_mul_hi_u32 s15, s14, s15
	s_wait_alu 0xfffe
	s_add_co_i32 s14, s14, s15
	s_wait_alu 0xfffe
	s_mul_hi_u32 s14, s12, s14
	s_wait_alu 0xfffe
	s_mul_i32 s14, s14, s48
	s_wait_alu 0xfffe
	s_sub_co_i32 s14, s12, s14
	s_wait_alu 0xfffe
	s_sub_co_i32 s15, s14, s48
	s_cmp_ge_u32 s14, s48
	s_wait_alu 0xfffe
	s_cselect_b32 s14, s15, s14
	s_wait_alu 0xfffe
	s_sub_co_i32 s15, s14, s48
	s_cmp_ge_u32 s14, s48
	s_wait_alu 0xfffe
	s_cselect_b32 s52, s15, s14
	s_wait_alu 0xfffe
	s_mov_b64 s[14:15], s[52:53]
.LBB143_122:                            ;   in Loop: Header=BB143_45 Depth=1
	s_wait_alu 0xfffe
	s_sub_nc_u64 s[12:13], s[12:13], s[14:15]
	s_mov_b32 s15, 0
	s_mov_b32 s14, 0
	s_mov_b32 s23, exec_lo
                                        ; implicit-def: $vgpr52
	s_wait_alu 0xfffe
	v_cmpx_gt_u64_e64 s[12:13], v[0:1]
	s_cbranch_execz .LBB143_131
; %bb.123:                              ;   in Loop: Header=BB143_45 Depth=1
	v_dual_mov_b32 v2, v42 :: v_dual_mov_b32 v9, v1
	v_mov_b32_e32 v8, v0
                                        ; implicit-def: $sgpr24
	s_branch .LBB143_126
.LBB143_124:                            ;   in Loop: Header=BB143_126 Depth=2
	s_wait_alu 0xfffe
	s_or_b32 exec_lo, exec_lo, s25
	s_wait_loadcnt_dscnt 0x0
	s_barrier_signal -1
	s_barrier_wait -1
	global_inv scope:SCOPE_SE
	ds_load_b32 v10, v3 offset:3072
	s_mov_b32 s25, -1
	s_mov_b32 s52, -1
	s_wait_loadcnt_dscnt 0x0
	s_barrier_signal -1
	s_barrier_wait -1
	global_inv scope:SCOPE_SE
	v_and_b32_e32 v11, 0x7fff, v10
	s_delay_alu instid0(VALU_DEP_1)
	v_cmp_ne_u32_e32 vcc_lo, 0, v11
	s_cbranch_vccz .LBB143_129
.LBB143_125:                            ;   in Loop: Header=BB143_126 Depth=2
	s_wait_alu 0xfffe
	s_and_b32 s25, exec_lo, s25
	s_wait_alu 0xfffe
	s_or_b32 s14, s25, s14
	s_and_not1_b32 s24, s24, exec_lo
	s_and_b32 s25, s52, exec_lo
	s_wait_alu 0xfffe
	s_or_b32 s24, s24, s25
	s_and_not1_b32 exec_lo, exec_lo, s14
	s_cbranch_execz .LBB143_130
.LBB143_126:                            ;   Parent Loop BB143_45 Depth=1
                                        ; =>  This Inner Loop Header: Depth=2
	s_mov_b32 s25, exec_lo
	s_delay_alu instid0(VALU_DEP_1)
	v_cmpx_gt_u64_e64 s[6:7], v[8:9]
	s_cbranch_execz .LBB143_124
; %bb.127:                              ;   in Loop: Header=BB143_126 Depth=2
	ds_load_u16 v10, v2
	s_wait_dscnt 0x0
	v_cmp_lt_i16_e32 vcc_lo, -1, v10
	v_and_b32_e32 v11, 0xffff, v10
	s_wait_alu 0xfffd
	v_cndmask_b32_e32 v31, 0xffff, v50, vcc_lo
	s_delay_alu instid0(VALU_DEP_1) | instskip(SKIP_1) | instid1(VALU_DEP_1)
	v_xor_b32_e32 v11, v31, v11
	v_lshlrev_b32_e32 v32, 16, v10
	v_cmp_o_f32_e32 vcc_lo, v32, v32
	s_wait_alu 0xfffd
	s_delay_alu instid0(VALU_DEP_3) | instskip(NEXT) | instid1(VALU_DEP_1)
	v_cndmask_b32_e32 v11, 0xffff, v11, vcc_lo
	v_and_b32_e32 v11, v11, v51
	s_delay_alu instid0(VALU_DEP_1)
	v_cmp_eq_u32_e32 vcc_lo, v11, v46
	s_and_b32 exec_lo, exec_lo, vcc_lo
	s_cbranch_execz .LBB143_124
; %bb.128:                              ;   in Loop: Header=BB143_126 Depth=2
	v_perm_b32 v10, v10, s94, 0x5040100
	ds_store_b32 v3, v10 offset:3072
	s_branch .LBB143_124
.LBB143_129:                            ;   in Loop: Header=BB143_126 Depth=2
	v_add_co_u32 v8, vcc_lo, v8, s48
	s_wait_alu 0xfffd
	v_add_co_ci_u32_e64 v9, null, 0, v9, vcc_lo
	v_add_nc_u32_e32 v2, s92, v2
	s_mov_b32 s52, 0
	s_delay_alu instid0(VALU_DEP_2)
	v_cmp_le_u64_e32 vcc_lo, s[12:13], v[8:9]
	s_or_not1_b32 s25, vcc_lo, exec_lo
	s_branch .LBB143_125
.LBB143_130:                            ;   in Loop: Header=BB143_45 Depth=1
	s_or_b32 exec_lo, exec_lo, s14
	v_lshrrev_b32_e32 v52, 16, v10
	s_wait_alu 0xfffe
	s_and_b32 s14, s24, exec_lo
.LBB143_131:                            ;   in Loop: Header=BB143_45 Depth=1
	s_or_b32 exec_lo, exec_lo, s23
.LBB143_132:                            ;   in Loop: Header=BB143_45 Depth=1
	s_wait_alu 0xfffe
	s_and_b32 vcc_lo, exec_lo, s15
	s_wait_alu 0xfffe
	s_cbranch_vccz .LBB143_146
; %bb.133:                              ;   in Loop: Header=BB143_45 Depth=1
	s_mov_b32 s6, s53
	s_mov_b32 s7, s61
	s_wait_alu 0xfffe
	s_cmp_lg_u64 s[6:7], 0
	s_cbranch_scc0 .LBB143_177
; %bb.134:                              ;   in Loop: Header=BB143_45 Depth=1
	s_cvt_f32_u32 s6, s48
	s_sub_nc_u64 s[12:13], 0, s[48:49]
	s_wait_alu 0xfffe
	s_delay_alu instid0(SALU_CYCLE_1) | instskip(SKIP_1) | instid1(SALU_CYCLE_2)
	s_fmamk_f32 s6, s93, 0x0, s6
	s_wait_alu 0xfffe
	v_s_rcp_f32 s6, s6
	s_delay_alu instid0(TRANS32_DEP_1) | instskip(SKIP_1) | instid1(SALU_CYCLE_2)
	s_mul_f32 s6, s6, 0x5f7ffffc
	s_wait_alu 0xfffe
	s_mul_f32 s7, s6, 0x2f800000
	s_wait_alu 0xfffe
	s_delay_alu instid0(SALU_CYCLE_2) | instskip(SKIP_1) | instid1(SALU_CYCLE_2)
	s_trunc_f32 s7, s7
	s_wait_alu 0xfffe
	s_fmamk_f32 s6, s7, 0xcf800000, s6
	s_cvt_u32_f32 s7, s7
	s_wait_alu 0xfffe
	s_delay_alu instid0(SALU_CYCLE_1) | instskip(SKIP_1) | instid1(SALU_CYCLE_2)
	s_cvt_u32_f32 s6, s6
	s_wait_alu 0xfffe
	s_mul_u64 s[22:23], s[12:13], s[6:7]
	s_wait_alu 0xfffe
	s_mul_hi_u32 s25, s6, s23
	s_mul_i32 s24, s6, s23
	s_mul_hi_u32 s52, s6, s22
	s_mul_i32 s21, s7, s22
	s_wait_alu 0xfffe
	s_add_nc_u64 s[24:25], s[52:53], s[24:25]
	s_mul_hi_u32 s15, s7, s22
	s_mul_hi_u32 s70, s7, s23
	s_wait_alu 0xfffe
	s_add_co_u32 s21, s24, s21
	s_add_co_ci_u32 s52, s25, s15
	s_mul_i32 s22, s7, s23
	s_add_co_ci_u32 s23, s70, 0
	s_wait_alu 0xfffe
	s_add_nc_u64 s[22:23], s[52:53], s[22:23]
	s_wait_alu 0xfffe
	s_add_co_u32 s6, s6, s22
	s_cselect_b32 s15, -1, 0
	s_wait_alu 0xfffe
	s_cmp_lg_u32 s15, 0
	s_add_co_ci_u32 s7, s7, s23
	s_wait_alu 0xfffe
	s_mul_u64 s[12:13], s[12:13], s[6:7]
	s_wait_alu 0xfffe
	s_mul_hi_u32 s23, s6, s13
	s_mul_i32 s22, s6, s13
	s_mul_hi_u32 s52, s6, s12
	s_mul_i32 s21, s7, s12
	s_wait_alu 0xfffe
	s_add_nc_u64 s[22:23], s[52:53], s[22:23]
	s_mul_hi_u32 s15, s7, s12
	s_mul_hi_u32 s24, s7, s13
	s_mul_i32 s12, s7, s13
	s_wait_alu 0xfffe
	s_add_co_u32 s13, s22, s21
	s_add_co_ci_u32 s52, s23, s15
	s_add_co_ci_u32 s13, s24, 0
	s_wait_alu 0xfffe
	s_add_nc_u64 s[12:13], s[52:53], s[12:13]
	s_wait_alu 0xfffe
	s_add_co_u32 s6, s6, s12
	s_cselect_b32 s12, -1, 0
	s_wait_alu 0xfffe
	s_mul_hi_u32 s52, s60, s6
	s_cmp_lg_u32 s12, 0
	s_mul_hi_u32 s15, s61, s6
	s_add_co_ci_u32 s12, s7, s13
	s_mul_i32 s13, s61, s6
	s_wait_alu 0xfffe
	s_mul_hi_u32 s7, s60, s12
	s_mul_i32 s6, s60, s12
	s_mul_hi_u32 s21, s61, s12
	s_wait_alu 0xfffe
	s_add_nc_u64 s[6:7], s[52:53], s[6:7]
	s_mul_i32 s12, s61, s12
	s_wait_alu 0xfffe
	s_add_co_u32 s6, s6, s13
	s_add_co_ci_u32 s52, s7, s15
	s_add_co_ci_u32 s13, s21, 0
	s_wait_alu 0xfffe
	s_add_nc_u64 s[6:7], s[52:53], s[12:13]
	s_wait_alu 0xfffe
	s_mul_u64 s[6:7], s[48:49], s[6:7]
	s_wait_alu 0xfffe
	s_sub_co_u32 s6, s60, s6
	s_cselect_b32 s12, -1, 0
	s_wait_alu 0xfffe
	s_cmp_lg_u32 s12, 0
	s_sub_co_ci_u32 s7, s61, s7
	s_sub_co_u32 s12, s6, s48
	s_cselect_b32 s13, -1, 0
	s_wait_alu 0xfffe
	s_cmp_lg_u32 s13, 0
	s_sub_co_ci_u32 s13, s7, 0
	s_sub_co_u32 s15, s12, s48
	s_cselect_b32 s21, -1, 0
	s_wait_alu 0xfffe
	s_cmp_lg_u32 s21, 0
	s_sub_co_ci_u32 s21, s13, 0
	s_cmp_ge_u32 s12, s48
	s_cselect_b32 s22, -1, 0
	s_cmp_eq_u32 s13, 0
	s_wait_alu 0xfffe
	s_cselect_b32 s22, s22, -1
	s_wait_alu 0xfffe
	s_cmp_lg_u32 s22, 0
	s_cselect_b32 s13, s21, s13
	s_cselect_b32 s12, s15, s12
	s_cmp_ge_u32 s6, s48
	s_cselect_b32 s15, -1, 0
	s_cmp_eq_u32 s7, 0
	s_wait_alu 0xfffe
	s_cselect_b32 s15, s15, -1
	s_wait_alu 0xfffe
	s_cmp_lg_u32 s15, 0
	s_cselect_b32 s7, s13, s7
	s_cselect_b32 s6, s12, s6
	s_cbranch_execnz .LBB143_136
.LBB143_135:                            ;   in Loop: Header=BB143_45 Depth=1
	v_cvt_f32_u32_e32 v2, s48
	s_sub_co_i32 s7, 0, s48
	s_delay_alu instid0(VALU_DEP_1) | instskip(NEXT) | instid1(TRANS32_DEP_1)
	v_rcp_iflag_f32_e32 v2, v2
	v_mul_f32_e32 v2, 0x4f7ffffe, v2
	s_delay_alu instid0(VALU_DEP_1) | instskip(NEXT) | instid1(VALU_DEP_1)
	v_cvt_u32_f32_e32 v2, v2
	v_readfirstlane_b32 s6, v2
	s_wait_alu 0xfffe
	s_mul_i32 s7, s7, s6
	s_wait_alu 0xfffe
	s_mul_hi_u32 s7, s6, s7
	s_wait_alu 0xfffe
	s_add_co_i32 s6, s6, s7
	s_wait_alu 0xfffe
	s_mul_hi_u32 s6, s60, s6
	s_wait_alu 0xfffe
	s_mul_i32 s6, s6, s48
	s_wait_alu 0xfffe
	s_sub_co_i32 s6, s60, s6
	s_wait_alu 0xfffe
	s_sub_co_i32 s7, s6, s48
	s_cmp_ge_u32 s6, s48
	s_wait_alu 0xfffe
	s_cselect_b32 s6, s7, s6
	s_wait_alu 0xfffe
	s_sub_co_i32 s7, s6, s48
	s_cmp_ge_u32 s6, s48
	s_wait_alu 0xfffe
	s_cselect_b32 s52, s7, s6
	s_wait_alu 0xfffe
	s_mov_b64 s[6:7], s[52:53]
.LBB143_136:                            ;   in Loop: Header=BB143_45 Depth=1
	s_wait_alu 0xfffe
	s_sub_nc_u64 s[12:13], s[60:61], s[6:7]
	s_mov_b32 s7, exec_lo
                                        ; implicit-def: $vgpr52
	s_wait_alu 0xfffe
	v_cmpx_gt_u64_e64 s[12:13], v[0:1]
	s_cbranch_execz .LBB143_145
; %bb.137:                              ;   in Loop: Header=BB143_45 Depth=1
	v_dual_mov_b32 v8, v12 :: v_dual_mov_b32 v9, v13
	v_dual_mov_b32 v11, v1 :: v_dual_mov_b32 v10, v0
	s_mov_b32 s15, 0
                                        ; implicit-def: $sgpr21
	s_branch .LBB143_140
.LBB143_138:                            ;   in Loop: Header=BB143_140 Depth=2
	s_wait_alu 0xfffe
	s_or_b32 exec_lo, exec_lo, s6
	s_wait_loadcnt_dscnt 0x0
	s_barrier_signal -1
	s_barrier_wait -1
	global_inv scope:SCOPE_SE
	ds_load_b32 v2, v3 offset:3072
	s_mov_b32 s6, -1
	s_mov_b32 s22, -1
	s_wait_loadcnt_dscnt 0x0
	s_barrier_signal -1
	s_barrier_wait -1
	global_inv scope:SCOPE_SE
	v_and_b32_e32 v31, 0x7fff, v2
	s_delay_alu instid0(VALU_DEP_1)
	v_cmp_ne_u32_e32 vcc_lo, 0, v31
	s_cbranch_vccz .LBB143_143
.LBB143_139:                            ;   in Loop: Header=BB143_140 Depth=2
	s_wait_alu 0xfffe
	s_and_b32 s6, exec_lo, s6
	s_wait_alu 0xfffe
	s_or_b32 s15, s6, s15
	s_and_not1_b32 s6, s21, exec_lo
	s_and_b32 s21, s22, exec_lo
	s_wait_alu 0xfffe
	s_or_b32 s21, s6, s21
	s_and_not1_b32 exec_lo, exec_lo, s15
	s_cbranch_execz .LBB143_144
.LBB143_140:                            ;   Parent Loop BB143_45 Depth=1
                                        ; =>  This Inner Loop Header: Depth=2
	s_mov_b32 s6, exec_lo
	s_delay_alu instid0(VALU_DEP_1)
	v_cmpx_gt_u64_e64 s[28:29], v[10:11]
	s_cbranch_execz .LBB143_138
; %bb.141:                              ;   in Loop: Header=BB143_140 Depth=2
	global_load_u16 v2, v[8:9], off
	s_wait_loadcnt 0x0
	v_cmp_lt_i16_e32 vcc_lo, -1, v2
	v_and_b32_e32 v31, 0xffff, v2
	v_lshlrev_b32_e32 v33, 16, v2
	s_wait_alu 0xfffd
	v_cndmask_b32_e32 v32, 0xffff, v50, vcc_lo
	s_delay_alu instid0(VALU_DEP_2) | instskip(NEXT) | instid1(VALU_DEP_2)
	v_cmp_o_f32_e32 vcc_lo, v33, v33
	v_xor_b32_e32 v31, v32, v31
	s_wait_alu 0xfffd
	s_delay_alu instid0(VALU_DEP_1) | instskip(NEXT) | instid1(VALU_DEP_1)
	v_cndmask_b32_e32 v31, 0xffff, v31, vcc_lo
	v_and_b32_e32 v31, v31, v51
	s_delay_alu instid0(VALU_DEP_1)
	v_cmp_eq_u32_e32 vcc_lo, v31, v46
	s_and_b32 exec_lo, exec_lo, vcc_lo
	s_cbranch_execz .LBB143_138
; %bb.142:                              ;   in Loop: Header=BB143_140 Depth=2
	v_perm_b32 v2, v2, s94, 0x5040100
	ds_store_b32 v3, v2 offset:3072
	s_branch .LBB143_138
.LBB143_143:                            ;   in Loop: Header=BB143_140 Depth=2
	v_add_co_u32 v10, vcc_lo, v10, s48
	s_wait_alu 0xfffd
	v_add_co_ci_u32_e64 v11, null, 0, v11, vcc_lo
	v_add_co_u32 v8, s6, v8, s54
	s_wait_alu 0xf1fe
	v_add_co_ci_u32_e64 v9, null, s55, v9, s6
	s_delay_alu instid0(VALU_DEP_3)
	v_cmp_le_u64_e32 vcc_lo, s[12:13], v[10:11]
	s_mov_b32 s22, 0
	s_or_not1_b32 s6, vcc_lo, exec_lo
	s_branch .LBB143_139
.LBB143_144:                            ;   in Loop: Header=BB143_45 Depth=1
	s_or_b32 exec_lo, exec_lo, s15
	v_lshrrev_b32_e32 v52, 16, v2
	s_and_not1_b32 s6, s14, exec_lo
	s_wait_alu 0xfffe
	s_and_b32 s12, s21, exec_lo
	s_wait_alu 0xfffe
	s_or_b32 s14, s6, s12
.LBB143_145:                            ;   in Loop: Header=BB143_45 Depth=1
	s_or_b32 exec_lo, exec_lo, s7
	s_mov_b32 s21, 0
	s_mov_b32 s22, -1
.LBB143_146:                            ;   in Loop: Header=BB143_45 Depth=1
	s_wait_alu 0xfffe
	s_or_not1_b32 s6, s14, exec_lo
.LBB143_147:                            ;   in Loop: Header=BB143_45 Depth=1
	s_wait_alu 0xfffe
	s_or_b32 exec_lo, exec_lo, s17
	s_delay_alu instid0(SALU_CYCLE_1)
	s_and_not1_b32 s7, s102, exec_lo
	s_and_b32 s12, s22, exec_lo
	s_and_not1_b32 s13, s100, exec_lo
	s_and_b32 s14, s21, exec_lo
	s_and_not1_b32 s99, s99, exec_lo
	s_wait_alu 0xfffe
	s_or_b32 s102, s7, s12
	s_or_b32 s100, s13, s14
                                        ; implicit-def: $vgpr8_vgpr9
	s_and_saveexec_b32 s17, s6
	s_cbranch_execz .LBB143_44
; %bb.148:                              ;   in Loop: Header=BB143_45 Depth=1
	v_mov_b32_e32 v8, 1
	v_dual_mov_b32 v9, 0 :: v_dual_mov_b32 v2, 1
	s_xor_b32 s12, s19, -1
	s_mov_b32 s7, 0
	s_wait_alu 0xfffe
	s_and_saveexec_b32 s6, s12
	s_cbranch_execz .LBB143_157
; %bb.149:                              ;   in Loop: Header=BB143_45 Depth=1
	s_mov_b32 s7, exec_lo
	v_cmpx_le_u64_e64 v[29:30], v[4:5]
	s_wait_alu 0xfffe
	s_xor_b32 s7, exec_lo, s7
	s_cbranch_execz .LBB143_154
; %bb.150:                              ;   in Loop: Header=BB143_45 Depth=1
	ds_load_b64 v[8:9], v3 offset:5120
	v_and_b32_e32 v46, s20, v46
	v_or_b32_e32 v51, s16, v51
	s_wait_dscnt 0x0
	v_cmp_ne_u64_e32 vcc_lo, 0, v[8:9]
	s_cbranch_vccnz .LBB143_154
; %bb.151:                              ;   in Loop: Header=BB143_45 Depth=1
	s_and_saveexec_b32 s12, s3
; %bb.152:                              ;   in Loop: Header=BB143_45 Depth=1
	ds_store_b64 v3, v[4:5] offset:5128
; %bb.153:                              ;   in Loop: Header=BB143_45 Depth=1
	s_wait_alu 0xfffe
	s_or_b32 exec_lo, exec_lo, s12
	s_wait_loadcnt_dscnt 0x0
	s_barrier_signal -1
	s_barrier_wait -1
	global_inv scope:SCOPE_SE
.LBB143_154:                            ;   in Loop: Header=BB143_45 Depth=1
	s_wait_alu 0xfffe
	s_or_saveexec_b32 s7, s7
	v_mov_b32_e32 v2, 8
	s_mov_b32 s12, 0
	s_wait_alu 0xfffe
	s_xor_b32 exec_lo, exec_lo, s7
; %bb.155:                              ;   in Loop: Header=BB143_45 Depth=1
	v_sub_co_u32 v29, vcc_lo, v29, v4
	s_wait_alu 0xfffd
	v_sub_co_ci_u32_e64 v30, null, v30, v5, vcc_lo
	v_mov_b32_e32 v2, 0
	s_mov_b32 s12, exec_lo
; %bb.156:                              ;   in Loop: Header=BB143_45 Depth=1
	s_or_b32 exec_lo, exec_lo, s7
	s_delay_alu instid0(VALU_DEP_2)
	v_dual_mov_b32 v8, v29 :: v_dual_mov_b32 v9, v30
	s_wait_alu 0xfffe
	s_and_b32 s7, s12, exec_lo
.LBB143_157:                            ;   in Loop: Header=BB143_45 Depth=1
	s_wait_alu 0xfffe
	s_or_b32 exec_lo, exec_lo, s6
	s_mov_b32 s18, -1
	s_mov_b32 s6, -1
                                        ; implicit-def: $sgpr21
                                        ; implicit-def: $sgpr22
	s_and_saveexec_b32 s12, s7
	s_wait_alu 0xfffe
	s_xor_b32 s19, exec_lo, s12
	s_cbranch_execz .LBB143_302
; %bb.158:                              ;   in Loop: Header=BB143_45 Depth=1
	v_cmp_eq_u64_e32 vcc_lo, 1, v[6:7]
	v_cmp_eq_u64_e64 s6, 1, v[8:9]
                                        ; implicit-def: $sgpr22
                                        ; implicit-def: $sgpr21
	s_and_b32 s24, vcc_lo, s6
	s_mov_b32 s6, -1
	s_wait_alu 0xfffe
	s_and_saveexec_b32 s23, s24
	s_cbranch_execz .LBB143_195
; %bb.159:                              ;   in Loop: Header=BB143_45 Depth=1
	ds_load_b64 v[4:5], v3 offset:5120
	s_wait_loadcnt_dscnt 0x0
	s_barrier_signal -1
	s_barrier_wait -1
	global_inv scope:SCOPE_SE
	v_readfirstlane_b32 s6, v4
	v_readfirstlane_b32 s7, v5
	s_and_saveexec_b32 s12, s0
; %bb.160:                              ;   in Loop: Header=BB143_45 Depth=1
	ds_store_b16 v43, v3
; %bb.161:                              ;   in Loop: Header=BB143_45 Depth=1
	s_wait_alu 0xfffe
	s_or_b32 exec_lo, exec_lo, s12
	s_lshl_b32 s12, 1, s95
	v_or_b32_e32 v51, s16, v51
	s_wait_alu 0xfffe
	v_and_or_b32 v46, v46, s20, s12
	s_mov_b32 s21, -1
	s_mov_b32 s22, 0
	s_cmp_eq_u64 s[6:7], 0
	s_mov_b32 s14, 0
	s_mov_b32 s15, -1
	s_wait_loadcnt_dscnt 0x0
	s_barrier_signal -1
	s_barrier_wait -1
	global_inv scope:SCOPE_SE
                                        ; implicit-def: $vgpr52
	s_cbranch_scc1 .LBB143_180
; %bb.162:                              ;   in Loop: Header=BB143_45 Depth=1
	s_add_nc_u64 s[12:13], s[6:7], s[58:59]
	s_mov_b32 s14, s53
	s_wait_alu 0xfffe
	s_mov_b32 s15, s13
	s_wait_alu 0xfffe
	s_cmp_lg_u64 s[14:15], 0
	s_cbranch_scc0 .LBB143_222
; %bb.163:                              ;   in Loop: Header=BB143_45 Depth=1
	s_cvt_f32_u32 s14, s48
	s_sub_nc_u64 s[70:71], 0, s[48:49]
	s_wait_alu 0xfffe
	s_delay_alu instid0(SALU_CYCLE_1) | instskip(SKIP_1) | instid1(SALU_CYCLE_2)
	s_fmamk_f32 s14, s93, 0x0, s14
	s_wait_alu 0xfffe
	v_s_rcp_f32 s14, s14
	s_delay_alu instid0(TRANS32_DEP_1) | instskip(SKIP_1) | instid1(SALU_CYCLE_2)
	s_mul_f32 s14, s14, 0x5f7ffffc
	s_wait_alu 0xfffe
	s_mul_f32 s15, s14, 0x2f800000
	s_wait_alu 0xfffe
	s_delay_alu instid0(SALU_CYCLE_2) | instskip(SKIP_1) | instid1(SALU_CYCLE_2)
	s_trunc_f32 s15, s15
	s_wait_alu 0xfffe
	s_fmamk_f32 s14, s15, 0xcf800000, s14
	s_cvt_u32_f32 s15, s15
	s_wait_alu 0xfffe
	s_delay_alu instid0(SALU_CYCLE_1) | instskip(SKIP_1) | instid1(SALU_CYCLE_2)
	s_cvt_u32_f32 s14, s14
	s_wait_alu 0xfffe
	s_mul_u64 s[72:73], s[70:71], s[14:15]
	s_wait_alu 0xfffe
	s_mul_hi_u32 s75, s14, s73
	s_mul_i32 s74, s14, s73
	s_mul_hi_u32 s52, s14, s72
	s_mul_i32 s76, s15, s72
	s_wait_alu 0xfffe
	s_add_nc_u64 s[74:75], s[52:53], s[74:75]
	s_mul_hi_u32 s25, s15, s72
	s_mul_hi_u32 s77, s15, s73
	s_wait_alu 0xfffe
	s_add_co_u32 s52, s74, s76
	s_add_co_ci_u32 s52, s75, s25
	s_mul_i32 s72, s15, s73
	s_add_co_ci_u32 s73, s77, 0
	s_wait_alu 0xfffe
	s_add_nc_u64 s[72:73], s[52:53], s[72:73]
	s_wait_alu 0xfffe
	s_add_co_u32 s14, s14, s72
	s_cselect_b32 s25, -1, 0
	s_wait_alu 0xfffe
	s_cmp_lg_u32 s25, 0
	s_add_co_ci_u32 s15, s15, s73
	s_wait_alu 0xfffe
	s_mul_u64 s[70:71], s[70:71], s[14:15]
	s_delay_alu instid0(SALU_CYCLE_1)
	s_mul_hi_u32 s73, s14, s71
	s_mul_i32 s72, s14, s71
	s_mul_hi_u32 s52, s14, s70
	s_mul_i32 s74, s15, s70
	s_wait_alu 0xfffe
	s_add_nc_u64 s[72:73], s[52:53], s[72:73]
	s_mul_hi_u32 s25, s15, s70
	s_mul_hi_u32 s75, s15, s71
	s_wait_alu 0xfffe
	s_add_co_u32 s52, s72, s74
	s_add_co_ci_u32 s52, s73, s25
	s_mul_i32 s70, s15, s71
	s_add_co_ci_u32 s71, s75, 0
	s_wait_alu 0xfffe
	s_add_nc_u64 s[70:71], s[52:53], s[70:71]
	s_delay_alu instid0(SALU_CYCLE_1)
	s_add_co_u32 s14, s14, s70
	s_cselect_b32 s25, -1, 0
	s_wait_alu 0xfffe
	s_mul_hi_u32 s52, s12, s14
	s_cmp_lg_u32 s25, 0
	s_mul_hi_u32 s25, s13, s14
	s_add_co_ci_u32 s70, s15, s71
	s_mul_i32 s71, s13, s14
	s_mul_hi_u32 s15, s12, s70
	s_mul_i32 s14, s12, s70
	s_mul_hi_u32 s72, s13, s70
	s_wait_alu 0xfffe
	s_add_nc_u64 s[14:15], s[52:53], s[14:15]
	s_mul_i32 s70, s13, s70
	s_wait_alu 0xfffe
	s_add_co_u32 s14, s14, s71
	s_add_co_ci_u32 s52, s15, s25
	s_add_co_ci_u32 s71, s72, 0
	s_wait_alu 0xfffe
	s_add_nc_u64 s[14:15], s[52:53], s[70:71]
	s_wait_alu 0xfffe
	s_mul_u64 s[14:15], s[48:49], s[14:15]
	s_wait_alu 0xfffe
	s_sub_co_u32 s14, s12, s14
	s_cselect_b32 s25, -1, 0
	s_wait_alu 0xfffe
	s_cmp_lg_u32 s25, 0
	s_sub_co_ci_u32 s15, s13, s15
	s_sub_co_u32 s25, s14, s48
	s_cselect_b32 s52, -1, 0
	s_wait_alu 0xfffe
	s_cmp_lg_u32 s52, 0
	s_sub_co_ci_u32 s52, s15, 0
	s_sub_co_u32 s70, s25, s48
	s_cselect_b32 s71, -1, 0
	s_delay_alu instid0(SALU_CYCLE_1)
	s_cmp_lg_u32 s71, 0
	s_wait_alu 0xfffe
	s_sub_co_ci_u32 s71, s52, 0
	s_cmp_ge_u32 s25, s48
	s_cselect_b32 s72, -1, 0
	s_cmp_eq_u32 s52, 0
	s_wait_alu 0xfffe
	s_cselect_b32 s72, s72, -1
	s_wait_alu 0xfffe
	s_cmp_lg_u32 s72, 0
	s_cselect_b32 s52, s71, s52
	s_cselect_b32 s25, s70, s25
	s_cmp_ge_u32 s14, s48
	s_cselect_b32 s70, -1, 0
	s_cmp_eq_u32 s15, 0
	s_cselect_b32 s70, s70, -1
	s_delay_alu instid0(SALU_CYCLE_1)
	s_cmp_lg_u32 s70, 0
	s_wait_alu 0xfffe
	s_cselect_b32 s15, s52, s15
	s_cselect_b32 s14, s25, s14
	s_cbranch_execnz .LBB143_165
.LBB143_164:                            ;   in Loop: Header=BB143_45 Depth=1
	v_cvt_f32_u32_e32 v4, s48
	s_sub_co_i32 s15, 0, s48
	s_delay_alu instid0(VALU_DEP_1) | instskip(NEXT) | instid1(TRANS32_DEP_1)
	v_rcp_iflag_f32_e32 v4, v4
	v_mul_f32_e32 v4, 0x4f7ffffe, v4
	s_delay_alu instid0(VALU_DEP_1) | instskip(NEXT) | instid1(VALU_DEP_1)
	v_cvt_u32_f32_e32 v4, v4
	v_readfirstlane_b32 s14, v4
	s_wait_alu 0xfffe
	s_mul_i32 s15, s15, s14
	s_wait_alu 0xfffe
	s_mul_hi_u32 s15, s14, s15
	s_wait_alu 0xfffe
	s_add_co_i32 s14, s14, s15
	s_wait_alu 0xfffe
	s_mul_hi_u32 s14, s12, s14
	s_wait_alu 0xfffe
	s_mul_i32 s14, s14, s48
	s_wait_alu 0xfffe
	s_sub_co_i32 s14, s12, s14
	s_wait_alu 0xfffe
	s_sub_co_i32 s15, s14, s48
	s_cmp_ge_u32 s14, s48
	s_wait_alu 0xfffe
	s_cselect_b32 s14, s15, s14
	s_wait_alu 0xfffe
	s_sub_co_i32 s15, s14, s48
	s_cmp_ge_u32 s14, s48
	s_wait_alu 0xfffe
	s_cselect_b32 s52, s15, s14
	s_wait_alu 0xfffe
	s_mov_b64 s[14:15], s[52:53]
.LBB143_165:                            ;   in Loop: Header=BB143_45 Depth=1
	s_wait_alu 0xfffe
	s_sub_nc_u64 s[12:13], s[12:13], s[14:15]
	s_mov_b32 s15, 0
	s_mov_b32 s14, 0
	s_mov_b32 s25, exec_lo
                                        ; implicit-def: $vgpr52
	s_wait_alu 0xfffe
	v_cmpx_gt_u64_e64 s[12:13], v[0:1]
	s_cbranch_execz .LBB143_179
; %bb.166:                              ;   in Loop: Header=BB143_45 Depth=1
	v_dual_mov_b32 v10, v42 :: v_dual_mov_b32 v5, v1
	v_mov_b32_e32 v4, v0
                                        ; implicit-def: $sgpr52
	s_branch .LBB143_169
.LBB143_167:                            ;   in Loop: Header=BB143_169 Depth=2
	s_or_b32 exec_lo, exec_lo, s70
	s_wait_loadcnt_dscnt 0x0
	s_barrier_signal -1
	s_barrier_wait -1
	global_inv scope:SCOPE_SE
	ds_load_b32 v11, v3 offset:3072
	s_mov_b32 s70, -1
	s_mov_b32 s71, -1
	s_wait_loadcnt_dscnt 0x0
	s_barrier_signal -1
	s_barrier_wait -1
	global_inv scope:SCOPE_SE
	v_and_b32_e32 v29, 0x7fff, v11
	s_delay_alu instid0(VALU_DEP_1)
	v_cmp_ne_u32_e32 vcc_lo, 0, v29
	s_cbranch_vccz .LBB143_172
.LBB143_168:                            ;   in Loop: Header=BB143_169 Depth=2
	s_and_b32 s70, exec_lo, s70
	s_delay_alu instid0(SALU_CYCLE_1)
	s_or_b32 s14, s70, s14
	s_wait_alu 0xfffe
	s_and_not1_b32 s52, s52, exec_lo
	s_and_b32 s70, s71, exec_lo
	s_wait_alu 0xfffe
	s_or_b32 s52, s52, s70
	s_and_not1_b32 exec_lo, exec_lo, s14
	s_cbranch_execz .LBB143_178
.LBB143_169:                            ;   Parent Loop BB143_45 Depth=1
                                        ; =>  This Inner Loop Header: Depth=2
	s_mov_b32 s70, exec_lo
	s_delay_alu instid0(VALU_DEP_1)
	v_cmpx_gt_u64_e64 s[6:7], v[4:5]
	s_cbranch_execz .LBB143_167
; %bb.170:                              ;   in Loop: Header=BB143_169 Depth=2
	ds_load_u16 v11, v10
	s_wait_dscnt 0x0
	v_cmp_lt_i16_e32 vcc_lo, -1, v11
	v_and_b32_e32 v29, 0xffff, v11
	s_wait_alu 0xfffd
	v_dual_cndmask_b32 v30, 0xffff, v50 :: v_dual_lshlrev_b32 v31, 16, v11
	s_delay_alu instid0(VALU_DEP_1) | instskip(NEXT) | instid1(VALU_DEP_2)
	v_cmp_o_f32_e32 vcc_lo, v31, v31
	v_xor_b32_e32 v29, v30, v29
	s_wait_alu 0xfffd
	s_delay_alu instid0(VALU_DEP_1) | instskip(NEXT) | instid1(VALU_DEP_1)
	v_cndmask_b32_e32 v29, 0xffff, v29, vcc_lo
	v_and_b32_e32 v29, v29, v51
	s_delay_alu instid0(VALU_DEP_1)
	v_cmp_eq_u32_e32 vcc_lo, v29, v46
	s_and_b32 exec_lo, exec_lo, vcc_lo
	s_cbranch_execz .LBB143_167
; %bb.171:                              ;   in Loop: Header=BB143_169 Depth=2
	v_perm_b32 v11, v11, s94, 0x5040100
	ds_store_b32 v3, v11 offset:3072
	s_branch .LBB143_167
.LBB143_172:                            ;   in Loop: Header=BB143_169 Depth=2
	v_add_co_u32 v4, vcc_lo, v4, s48
	s_wait_alu 0xfffd
	v_add_co_ci_u32_e64 v5, null, 0, v5, vcc_lo
	v_add_nc_u32_e32 v10, s92, v10
	s_mov_b32 s71, 0
	s_delay_alu instid0(VALU_DEP_2)
	v_cmp_le_u64_e32 vcc_lo, s[12:13], v[4:5]
	s_or_not1_b32 s70, vcc_lo, exec_lo
	s_branch .LBB143_168
.LBB143_173:                            ;   in Loop: Header=BB143_45 Depth=1
                                        ; implicit-def: $sgpr14_sgpr15
	s_branch .LBB143_121
.LBB143_174:                            ;   in Loop: Header=BB143_45 Depth=1
	s_or_b32 exec_lo, exec_lo, s9
	s_wait_dscnt 0x0
	s_barrier_signal -1
	s_barrier_wait -1
	global_inv scope:SCOPE_SE
	s_and_saveexec_b32 s6, s3
	s_cbranch_execz .LBB143_176
; %bb.175:                              ;   in Loop: Header=BB143_45 Depth=1
	ds_load_b32 v4, v3 offset:5144
	s_wait_dscnt 0x0
	v_ashrrev_i32_e32 v5, 31, v4
	ds_store_b64 v3, v[4:5] offset:5120
.LBB143_176:                            ;   in Loop: Header=BB143_45 Depth=1
	s_wait_alu 0xfffe
	s_or_b32 exec_lo, exec_lo, s6
	s_wait_loadcnt_dscnt 0x0
	s_barrier_signal -1
	s_mov_b32 s6, -1
	s_barrier_wait -1
	s_and_b32 vcc_lo, exec_lo, s8
	s_wait_alu 0xfffe
	s_cbranch_vccnz .LBB143_60
	s_branch .LBB143_75
.LBB143_177:                            ;   in Loop: Header=BB143_45 Depth=1
                                        ; implicit-def: $sgpr6_sgpr7
	s_branch .LBB143_135
.LBB143_178:                            ;   in Loop: Header=BB143_45 Depth=1
	s_or_b32 exec_lo, exec_lo, s14
	v_lshrrev_b32_e32 v52, 16, v11
	s_wait_alu 0xfffe
	s_and_b32 s14, s52, exec_lo
.LBB143_179:                            ;   in Loop: Header=BB143_45 Depth=1
	s_or_b32 exec_lo, exec_lo, s25
.LBB143_180:                            ;   in Loop: Header=BB143_45 Depth=1
	s_wait_alu 0xfffe
	s_and_b32 vcc_lo, exec_lo, s15
	s_wait_alu 0xfffe
	s_cbranch_vccz .LBB143_194
; %bb.181:                              ;   in Loop: Header=BB143_45 Depth=1
	s_mov_b32 s6, s53
	s_mov_b32 s7, s61
	s_wait_alu 0xfffe
	s_cmp_lg_u64 s[6:7], 0
	s_cbranch_scc0 .LBB143_223
; %bb.182:                              ;   in Loop: Header=BB143_45 Depth=1
	s_cvt_f32_u32 s6, s48
	s_sub_nc_u64 s[12:13], 0, s[48:49]
	s_wait_alu 0xfffe
	s_delay_alu instid0(SALU_CYCLE_1) | instskip(SKIP_1) | instid1(SALU_CYCLE_2)
	s_fmamk_f32 s6, s93, 0x0, s6
	s_wait_alu 0xfffe
	v_s_rcp_f32 s6, s6
	s_delay_alu instid0(TRANS32_DEP_1) | instskip(SKIP_1) | instid1(SALU_CYCLE_2)
	s_mul_f32 s6, s6, 0x5f7ffffc
	s_wait_alu 0xfffe
	s_mul_f32 s7, s6, 0x2f800000
	s_wait_alu 0xfffe
	s_delay_alu instid0(SALU_CYCLE_2) | instskip(SKIP_1) | instid1(SALU_CYCLE_2)
	s_trunc_f32 s7, s7
	s_wait_alu 0xfffe
	s_fmamk_f32 s6, s7, 0xcf800000, s6
	s_cvt_u32_f32 s7, s7
	s_wait_alu 0xfffe
	s_delay_alu instid0(SALU_CYCLE_1) | instskip(SKIP_1) | instid1(SALU_CYCLE_2)
	s_cvt_u32_f32 s6, s6
	s_wait_alu 0xfffe
	s_mul_u64 s[70:71], s[12:13], s[6:7]
	s_delay_alu instid0(SALU_CYCLE_1)
	s_mul_hi_u32 s73, s6, s71
	s_mul_i32 s72, s6, s71
	s_mul_hi_u32 s52, s6, s70
	s_mul_i32 s21, s7, s70
	s_wait_alu 0xfffe
	s_add_nc_u64 s[72:73], s[52:53], s[72:73]
	s_mul_hi_u32 s15, s7, s70
	s_mul_hi_u32 s22, s7, s71
	s_wait_alu 0xfffe
	s_add_co_u32 s21, s72, s21
	s_add_co_ci_u32 s52, s73, s15
	s_mul_i32 s70, s7, s71
	s_add_co_ci_u32 s71, s22, 0
	s_wait_alu 0xfffe
	s_add_nc_u64 s[70:71], s[52:53], s[70:71]
	s_delay_alu instid0(SALU_CYCLE_1)
	s_add_co_u32 s6, s6, s70
	s_cselect_b32 s15, -1, 0
	s_wait_alu 0xfffe
	s_cmp_lg_u32 s15, 0
	s_add_co_ci_u32 s7, s7, s71
	s_wait_alu 0xfffe
	s_mul_u64 s[12:13], s[12:13], s[6:7]
	s_wait_alu 0xfffe
	s_mul_hi_u32 s71, s6, s13
	s_mul_i32 s70, s6, s13
	s_mul_hi_u32 s52, s6, s12
	s_mul_i32 s21, s7, s12
	s_wait_alu 0xfffe
	s_add_nc_u64 s[70:71], s[52:53], s[70:71]
	s_mul_hi_u32 s15, s7, s12
	s_mul_hi_u32 s22, s7, s13
	s_mul_i32 s12, s7, s13
	s_add_co_u32 s13, s70, s21
	s_wait_alu 0xfffe
	s_add_co_ci_u32 s52, s71, s15
	s_add_co_ci_u32 s13, s22, 0
	s_wait_alu 0xfffe
	s_add_nc_u64 s[12:13], s[52:53], s[12:13]
	s_wait_alu 0xfffe
	s_add_co_u32 s6, s6, s12
	s_cselect_b32 s12, -1, 0
	s_wait_alu 0xfffe
	s_mul_hi_u32 s52, s60, s6
	s_cmp_lg_u32 s12, 0
	s_mul_hi_u32 s15, s61, s6
	s_add_co_ci_u32 s12, s7, s13
	s_mul_i32 s13, s61, s6
	s_wait_alu 0xfffe
	s_mul_hi_u32 s7, s60, s12
	s_mul_i32 s6, s60, s12
	s_mul_hi_u32 s21, s61, s12
	s_wait_alu 0xfffe
	s_add_nc_u64 s[6:7], s[52:53], s[6:7]
	s_mul_i32 s12, s61, s12
	s_wait_alu 0xfffe
	s_add_co_u32 s6, s6, s13
	s_add_co_ci_u32 s52, s7, s15
	s_add_co_ci_u32 s13, s21, 0
	s_wait_alu 0xfffe
	s_add_nc_u64 s[6:7], s[52:53], s[12:13]
	s_wait_alu 0xfffe
	s_mul_u64 s[6:7], s[48:49], s[6:7]
	s_wait_alu 0xfffe
	s_sub_co_u32 s6, s60, s6
	s_cselect_b32 s12, -1, 0
	s_wait_alu 0xfffe
	s_cmp_lg_u32 s12, 0
	s_sub_co_ci_u32 s7, s61, s7
	s_sub_co_u32 s12, s6, s48
	s_cselect_b32 s13, -1, 0
	s_wait_alu 0xfffe
	s_cmp_lg_u32 s13, 0
	s_sub_co_ci_u32 s13, s7, 0
	;; [unrolled: 5-line block ×3, first 2 shown]
	s_cmp_ge_u32 s12, s48
	s_cselect_b32 s22, -1, 0
	s_cmp_eq_u32 s13, 0
	s_wait_alu 0xfffe
	s_cselect_b32 s22, s22, -1
	s_wait_alu 0xfffe
	s_cmp_lg_u32 s22, 0
	s_cselect_b32 s13, s21, s13
	s_cselect_b32 s12, s15, s12
	s_cmp_ge_u32 s6, s48
	s_cselect_b32 s15, -1, 0
	s_cmp_eq_u32 s7, 0
	s_wait_alu 0xfffe
	s_cselect_b32 s15, s15, -1
	s_wait_alu 0xfffe
	s_cmp_lg_u32 s15, 0
	s_cselect_b32 s7, s13, s7
	s_cselect_b32 s6, s12, s6
	s_cbranch_execnz .LBB143_184
.LBB143_183:                            ;   in Loop: Header=BB143_45 Depth=1
	v_cvt_f32_u32_e32 v4, s48
	s_sub_co_i32 s7, 0, s48
	s_delay_alu instid0(VALU_DEP_1) | instskip(NEXT) | instid1(TRANS32_DEP_1)
	v_rcp_iflag_f32_e32 v4, v4
	v_mul_f32_e32 v4, 0x4f7ffffe, v4
	s_delay_alu instid0(VALU_DEP_1) | instskip(NEXT) | instid1(VALU_DEP_1)
	v_cvt_u32_f32_e32 v4, v4
	v_readfirstlane_b32 s6, v4
	s_wait_alu 0xfffe
	s_mul_i32 s7, s7, s6
	s_wait_alu 0xfffe
	s_mul_hi_u32 s7, s6, s7
	s_wait_alu 0xfffe
	s_add_co_i32 s6, s6, s7
	s_wait_alu 0xfffe
	s_mul_hi_u32 s6, s60, s6
	s_wait_alu 0xfffe
	s_mul_i32 s6, s6, s48
	s_wait_alu 0xfffe
	s_sub_co_i32 s6, s60, s6
	s_wait_alu 0xfffe
	s_sub_co_i32 s7, s6, s48
	s_cmp_ge_u32 s6, s48
	s_wait_alu 0xfffe
	s_cselect_b32 s6, s7, s6
	s_wait_alu 0xfffe
	s_sub_co_i32 s7, s6, s48
	s_cmp_ge_u32 s6, s48
	s_wait_alu 0xfffe
	s_cselect_b32 s52, s7, s6
	s_wait_alu 0xfffe
	s_mov_b64 s[6:7], s[52:53]
.LBB143_184:                            ;   in Loop: Header=BB143_45 Depth=1
	s_wait_alu 0xfffe
	s_sub_nc_u64 s[12:13], s[60:61], s[6:7]
	s_mov_b32 s7, exec_lo
                                        ; implicit-def: $vgpr52
	s_wait_alu 0xfffe
	v_cmpx_gt_u64_e64 s[12:13], v[0:1]
	s_cbranch_execz .LBB143_193
; %bb.185:                              ;   in Loop: Header=BB143_45 Depth=1
	v_dual_mov_b32 v4, v12 :: v_dual_mov_b32 v5, v13
	v_dual_mov_b32 v11, v1 :: v_dual_mov_b32 v10, v0
	s_mov_b32 s15, 0
                                        ; implicit-def: $sgpr21
	s_branch .LBB143_188
.LBB143_186:                            ;   in Loop: Header=BB143_188 Depth=2
	s_wait_alu 0xfffe
	s_or_b32 exec_lo, exec_lo, s6
	s_wait_loadcnt_dscnt 0x0
	s_barrier_signal -1
	s_barrier_wait -1
	global_inv scope:SCOPE_SE
	ds_load_b32 v29, v3 offset:3072
	s_mov_b32 s6, -1
	s_mov_b32 s22, -1
	s_wait_loadcnt_dscnt 0x0
	s_barrier_signal -1
	s_barrier_wait -1
	global_inv scope:SCOPE_SE
	v_and_b32_e32 v30, 0x7fff, v29
	s_delay_alu instid0(VALU_DEP_1)
	v_cmp_eq_u32_e32 vcc_lo, 0, v30
	s_cbranch_vccnz .LBB143_191
.LBB143_187:                            ;   in Loop: Header=BB143_188 Depth=2
	s_wait_alu 0xfffe
	s_and_b32 s6, exec_lo, s6
	s_wait_alu 0xfffe
	s_or_b32 s15, s6, s15
	s_and_not1_b32 s6, s21, exec_lo
	s_and_b32 s21, s22, exec_lo
	s_wait_alu 0xfffe
	s_or_b32 s21, s6, s21
	s_and_not1_b32 exec_lo, exec_lo, s15
	s_cbranch_execz .LBB143_192
.LBB143_188:                            ;   Parent Loop BB143_45 Depth=1
                                        ; =>  This Inner Loop Header: Depth=2
	s_mov_b32 s6, exec_lo
	s_delay_alu instid0(VALU_DEP_1)
	v_cmpx_gt_u64_e64 s[28:29], v[10:11]
	s_cbranch_execz .LBB143_186
; %bb.189:                              ;   in Loop: Header=BB143_188 Depth=2
	global_load_u16 v29, v[4:5], off
	s_wait_loadcnt 0x0
	v_cmp_lt_i16_e32 vcc_lo, -1, v29
	v_and_b32_e32 v30, 0xffff, v29
	s_wait_alu 0xfffd
	v_dual_cndmask_b32 v31, 0xffff, v50 :: v_dual_lshlrev_b32 v32, 16, v29
	s_delay_alu instid0(VALU_DEP_1) | instskip(NEXT) | instid1(VALU_DEP_2)
	v_cmp_o_f32_e32 vcc_lo, v32, v32
	v_xor_b32_e32 v30, v31, v30
	s_wait_alu 0xfffd
	s_delay_alu instid0(VALU_DEP_1) | instskip(NEXT) | instid1(VALU_DEP_1)
	v_cndmask_b32_e32 v30, 0xffff, v30, vcc_lo
	v_and_b32_e32 v30, v30, v51
	s_delay_alu instid0(VALU_DEP_1)
	v_cmp_eq_u32_e32 vcc_lo, v30, v46
	s_and_b32 exec_lo, exec_lo, vcc_lo
	s_cbranch_execz .LBB143_186
; %bb.190:                              ;   in Loop: Header=BB143_188 Depth=2
	v_perm_b32 v29, v29, s94, 0x5040100
	ds_store_b32 v3, v29 offset:3072
	s_branch .LBB143_186
.LBB143_191:                            ;   in Loop: Header=BB143_188 Depth=2
	v_add_co_u32 v10, vcc_lo, v10, s48
	s_wait_alu 0xfffd
	v_add_co_ci_u32_e64 v11, null, 0, v11, vcc_lo
	v_add_co_u32 v4, s6, v4, s54
	s_wait_alu 0xf1fe
	v_add_co_ci_u32_e64 v5, null, s55, v5, s6
	s_delay_alu instid0(VALU_DEP_3)
	v_cmp_le_u64_e32 vcc_lo, s[12:13], v[10:11]
	s_mov_b32 s22, 0
	s_or_not1_b32 s6, vcc_lo, exec_lo
	s_branch .LBB143_187
.LBB143_192:                            ;   in Loop: Header=BB143_45 Depth=1
	s_or_b32 exec_lo, exec_lo, s15
	v_lshrrev_b32_e32 v52, 16, v29
	s_and_not1_b32 s6, s14, exec_lo
	s_wait_alu 0xfffe
	s_and_b32 s12, s21, exec_lo
	s_wait_alu 0xfffe
	s_or_b32 s14, s6, s12
.LBB143_193:                            ;   in Loop: Header=BB143_45 Depth=1
	s_or_b32 exec_lo, exec_lo, s7
	s_mov_b32 s21, 0
	s_mov_b32 s22, -1
.LBB143_194:                            ;   in Loop: Header=BB143_45 Depth=1
	s_wait_alu 0xfffe
	s_or_not1_b32 s6, s14, exec_lo
.LBB143_195:                            ;   in Loop: Header=BB143_45 Depth=1
	s_wait_alu 0xfffe
	s_or_b32 exec_lo, exec_lo, s23
	s_mov_b32 s7, 0
	s_and_saveexec_b32 s23, s6
	s_cbranch_execz .LBB143_301
; %bb.196:                              ;   in Loop: Header=BB143_45 Depth=1
	v_mov_b32_e32 v4, 1
	v_dual_mov_b32 v5, 0 :: v_dual_mov_b32 v2, 1
	s_xor_b32 s12, s24, -1
	s_wait_alu 0xfffe
	s_and_saveexec_b32 s6, s12
	s_cbranch_execz .LBB143_206
; %bb.197:                              ;   in Loop: Header=BB143_45 Depth=1
	s_mov_b32 s7, exec_lo
	v_cmpx_le_u64_e64 v[8:9], v[6:7]
	s_wait_alu 0xfffe
	s_xor_b32 s7, exec_lo, s7
	s_cbranch_execz .LBB143_203
; %bb.198:                              ;   in Loop: Header=BB143_45 Depth=1
	ds_load_b64 v[4:5], v3 offset:5120
	s_lshl_b32 s12, 1, s95
	v_or_b32_e32 v51, s16, v51
	s_wait_alu 0xfffe
	v_and_or_b32 v46, v46, s20, s12
	s_wait_dscnt 0x0
	v_cmp_ne_u64_e32 vcc_lo, 0, v[4:5]
	s_cbranch_vccnz .LBB143_202
; %bb.199:                              ;   in Loop: Header=BB143_45 Depth=1
	s_and_saveexec_b32 s12, s3
; %bb.200:                              ;   in Loop: Header=BB143_45 Depth=1
	ds_store_b64 v3, v[6:7] offset:5128
; %bb.201:                              ;   in Loop: Header=BB143_45 Depth=1
	s_wait_alu 0xfffe
	s_or_b32 exec_lo, exec_lo, s12
	s_wait_loadcnt_dscnt 0x0
	s_barrier_signal -1
	s_barrier_wait -1
	global_inv scope:SCOPE_SE
.LBB143_202:                            ;   in Loop: Header=BB143_45 Depth=1
                                        ; implicit-def: $vgpr4_vgpr5_vgpr6_vgpr7
.LBB143_203:                            ;   in Loop: Header=BB143_45 Depth=1
	s_wait_alu 0xfffe
	s_or_saveexec_b32 s7, s7
	v_mov_b32_e32 v2, 8
	s_mov_b32 s12, 0
	s_wait_alu 0xfffe
	s_xor_b32 exec_lo, exec_lo, s7
; %bb.204:                              ;   in Loop: Header=BB143_45 Depth=1
	v_sub_co_u32 v8, vcc_lo, v8, v6
	s_wait_alu 0xfffd
	v_sub_co_ci_u32_e64 v9, null, v9, v7, vcc_lo
	v_mov_b32_e32 v2, 0
	s_mov_b32 s12, exec_lo
; %bb.205:                              ;   in Loop: Header=BB143_45 Depth=1
	s_or_b32 exec_lo, exec_lo, s7
	s_delay_alu instid0(VALU_DEP_2)
	v_dual_mov_b32 v4, v8 :: v_dual_mov_b32 v5, v9
	s_wait_alu 0xfffe
	s_and_b32 s7, s12, exec_lo
.LBB143_206:                            ;   in Loop: Header=BB143_45 Depth=1
	s_wait_alu 0xfffe
	s_or_b32 exec_lo, exec_lo, s6
	s_mov_b32 s6, -1
                                        ; implicit-def: $sgpr25
                                        ; implicit-def: $sgpr70
	s_and_saveexec_b32 s24, s7
	s_cbranch_execz .LBB143_300
; %bb.207:                              ;   in Loop: Header=BB143_45 Depth=1
	v_cmp_eq_u64_e32 vcc_lo, 1, v[4:5]
	s_cmp_eq_u64 s[10:11], 1
                                        ; implicit-def: $sgpr70
                                        ; implicit-def: $sgpr25
	s_cselect_b32 s6, -1, 0
	s_wait_alu 0xfffe
	s_and_b32 s71, s6, vcc_lo
	s_mov_b32 s6, -1
	s_and_saveexec_b32 s72, s71
	s_cbranch_execz .LBB143_241
; %bb.208:                              ;   in Loop: Header=BB143_45 Depth=1
	ds_load_b64 v[6:7], v3 offset:5120
	s_wait_loadcnt_dscnt 0x0
	s_barrier_signal -1
	s_barrier_wait -1
	global_inv scope:SCOPE_SE
	v_readfirstlane_b32 s6, v6
	v_readfirstlane_b32 s7, v7
	s_and_saveexec_b32 s12, s0
; %bb.209:                              ;   in Loop: Header=BB143_45 Depth=1
	ds_store_b16 v43, v3
; %bb.210:                              ;   in Loop: Header=BB143_45 Depth=1
	s_wait_alu 0xfffe
	s_or_b32 exec_lo, exec_lo, s12
	s_lshl_b32 s12, 2, s95
	v_or_b32_e32 v51, s16, v51
	s_wait_alu 0xfffe
	v_and_or_b32 v46, v46, s20, s12
	s_mov_b32 s25, -1
	s_mov_b32 s70, 0
	s_cmp_eq_u64 s[6:7], 0
	s_mov_b32 s14, 0
	s_mov_b32 s15, -1
	s_wait_loadcnt_dscnt 0x0
	s_barrier_signal -1
	s_barrier_wait -1
	global_inv scope:SCOPE_SE
                                        ; implicit-def: $vgpr52
	s_cbranch_scc1 .LBB143_226
; %bb.211:                              ;   in Loop: Header=BB143_45 Depth=1
	s_add_nc_u64 s[12:13], s[6:7], s[58:59]
	s_mov_b32 s14, s53
	s_wait_alu 0xfffe
	s_mov_b32 s15, s13
	s_wait_alu 0xfffe
	s_cmp_lg_u64 s[14:15], 0
	s_cbranch_scc0 .LBB143_267
; %bb.212:                              ;   in Loop: Header=BB143_45 Depth=1
	s_cvt_f32_u32 s14, s48
	s_sub_nc_u64 s[74:75], 0, s[48:49]
	s_wait_alu 0xfffe
	s_delay_alu instid0(SALU_CYCLE_1) | instskip(SKIP_1) | instid1(SALU_CYCLE_2)
	s_fmamk_f32 s14, s93, 0x0, s14
	s_wait_alu 0xfffe
	v_s_rcp_f32 s14, s14
	s_delay_alu instid0(TRANS32_DEP_1) | instskip(SKIP_1) | instid1(SALU_CYCLE_2)
	s_mul_f32 s14, s14, 0x5f7ffffc
	s_wait_alu 0xfffe
	s_mul_f32 s15, s14, 0x2f800000
	s_wait_alu 0xfffe
	s_delay_alu instid0(SALU_CYCLE_2) | instskip(SKIP_1) | instid1(SALU_CYCLE_2)
	s_trunc_f32 s15, s15
	s_wait_alu 0xfffe
	s_fmamk_f32 s14, s15, 0xcf800000, s14
	s_cvt_u32_f32 s15, s15
	s_wait_alu 0xfffe
	s_delay_alu instid0(SALU_CYCLE_1) | instskip(SKIP_1) | instid1(SALU_CYCLE_2)
	s_cvt_u32_f32 s14, s14
	s_wait_alu 0xfffe
	s_mul_u64 s[76:77], s[74:75], s[14:15]
	s_wait_alu 0xfffe
	s_mul_hi_u32 s79, s14, s77
	s_mul_i32 s78, s14, s77
	s_mul_hi_u32 s52, s14, s76
	s_mul_i32 s80, s15, s76
	s_wait_alu 0xfffe
	s_add_nc_u64 s[78:79], s[52:53], s[78:79]
	s_mul_hi_u32 s73, s15, s76
	s_mul_hi_u32 s81, s15, s77
	s_wait_alu 0xfffe
	s_add_co_u32 s52, s78, s80
	s_add_co_ci_u32 s52, s79, s73
	s_mul_i32 s76, s15, s77
	s_add_co_ci_u32 s77, s81, 0
	s_wait_alu 0xfffe
	s_add_nc_u64 s[76:77], s[52:53], s[76:77]
	s_wait_alu 0xfffe
	s_add_co_u32 s14, s14, s76
	s_cselect_b32 s52, -1, 0
	s_wait_alu 0xfffe
	s_cmp_lg_u32 s52, 0
	s_add_co_ci_u32 s15, s15, s77
	s_wait_alu 0xfffe
	s_mul_u64 s[74:75], s[74:75], s[14:15]
	s_wait_alu 0xfffe
	s_mul_hi_u32 s77, s14, s75
	s_mul_i32 s76, s14, s75
	s_mul_hi_u32 s52, s14, s74
	s_mul_i32 s78, s15, s74
	s_wait_alu 0xfffe
	s_add_nc_u64 s[76:77], s[52:53], s[76:77]
	s_mul_hi_u32 s73, s15, s74
	s_mul_hi_u32 s79, s15, s75
	s_wait_alu 0xfffe
	s_add_co_u32 s52, s76, s78
	s_add_co_ci_u32 s52, s77, s73
	s_mul_i32 s74, s15, s75
	s_add_co_ci_u32 s75, s79, 0
	s_wait_alu 0xfffe
	s_add_nc_u64 s[74:75], s[52:53], s[74:75]
	s_wait_alu 0xfffe
	s_add_co_u32 s14, s14, s74
	s_cselect_b32 s73, -1, 0
	s_wait_alu 0xfffe
	s_mul_hi_u32 s52, s12, s14
	s_cmp_lg_u32 s73, 0
	s_mul_hi_u32 s73, s13, s14
	s_add_co_ci_u32 s74, s15, s75
	s_mul_i32 s75, s13, s14
	s_wait_alu 0xfffe
	s_mul_hi_u32 s15, s12, s74
	s_mul_i32 s14, s12, s74
	s_mul_hi_u32 s76, s13, s74
	s_wait_alu 0xfffe
	s_add_nc_u64 s[14:15], s[52:53], s[14:15]
	s_mul_i32 s74, s13, s74
	s_wait_alu 0xfffe
	s_add_co_u32 s14, s14, s75
	s_add_co_ci_u32 s52, s15, s73
	s_add_co_ci_u32 s75, s76, 0
	s_wait_alu 0xfffe
	s_add_nc_u64 s[14:15], s[52:53], s[74:75]
	s_wait_alu 0xfffe
	s_mul_u64 s[14:15], s[48:49], s[14:15]
	s_wait_alu 0xfffe
	s_sub_co_u32 s14, s12, s14
	s_cselect_b32 s52, -1, 0
	s_wait_alu 0xfffe
	s_cmp_lg_u32 s52, 0
	s_sub_co_ci_u32 s15, s13, s15
	s_sub_co_u32 s52, s14, s48
	s_cselect_b32 s73, -1, 0
	s_wait_alu 0xfffe
	s_cmp_lg_u32 s73, 0
	s_sub_co_ci_u32 s73, s15, 0
	;; [unrolled: 5-line block ×3, first 2 shown]
	s_cmp_ge_u32 s52, s48
	s_cselect_b32 s76, -1, 0
	s_cmp_eq_u32 s73, 0
	s_wait_alu 0xfffe
	s_cselect_b32 s76, s76, -1
	s_wait_alu 0xfffe
	s_cmp_lg_u32 s76, 0
	s_cselect_b32 s73, s75, s73
	s_cselect_b32 s52, s74, s52
	s_cmp_ge_u32 s14, s48
	s_cselect_b32 s74, -1, 0
	s_cmp_eq_u32 s15, 0
	s_wait_alu 0xfffe
	s_cselect_b32 s74, s74, -1
	s_wait_alu 0xfffe
	s_cmp_lg_u32 s74, 0
	s_cselect_b32 s15, s73, s15
	s_cselect_b32 s14, s52, s14
	s_cbranch_execnz .LBB143_214
.LBB143_213:                            ;   in Loop: Header=BB143_45 Depth=1
	v_cvt_f32_u32_e32 v6, s48
	s_sub_co_i32 s15, 0, s48
	s_delay_alu instid0(VALU_DEP_1) | instskip(NEXT) | instid1(TRANS32_DEP_1)
	v_rcp_iflag_f32_e32 v6, v6
	v_mul_f32_e32 v6, 0x4f7ffffe, v6
	s_delay_alu instid0(VALU_DEP_1) | instskip(NEXT) | instid1(VALU_DEP_1)
	v_cvt_u32_f32_e32 v6, v6
	v_readfirstlane_b32 s14, v6
	s_wait_alu 0xfffe
	s_mul_i32 s15, s15, s14
	s_wait_alu 0xfffe
	s_mul_hi_u32 s15, s14, s15
	s_wait_alu 0xfffe
	s_add_co_i32 s14, s14, s15
	s_wait_alu 0xfffe
	s_mul_hi_u32 s14, s12, s14
	s_wait_alu 0xfffe
	s_mul_i32 s14, s14, s48
	s_wait_alu 0xfffe
	s_sub_co_i32 s14, s12, s14
	s_wait_alu 0xfffe
	s_sub_co_i32 s15, s14, s48
	s_cmp_ge_u32 s14, s48
	s_wait_alu 0xfffe
	s_cselect_b32 s14, s15, s14
	s_wait_alu 0xfffe
	s_sub_co_i32 s15, s14, s48
	s_cmp_ge_u32 s14, s48
	s_wait_alu 0xfffe
	s_cselect_b32 s52, s15, s14
	s_wait_alu 0xfffe
	s_mov_b64 s[14:15], s[52:53]
.LBB143_214:                            ;   in Loop: Header=BB143_45 Depth=1
	s_wait_alu 0xfffe
	s_sub_nc_u64 s[12:13], s[12:13], s[14:15]
	s_mov_b32 s15, 0
	s_mov_b32 s14, 0
	s_mov_b32 s52, exec_lo
                                        ; implicit-def: $vgpr52
	s_wait_alu 0xfffe
	v_cmpx_gt_u64_e64 s[12:13], v[0:1]
	s_cbranch_execz .LBB143_225
; %bb.215:                              ;   in Loop: Header=BB143_45 Depth=1
	v_dual_mov_b32 v8, v42 :: v_dual_mov_b32 v7, v1
	v_mov_b32_e32 v6, v0
                                        ; implicit-def: $sgpr73
	s_branch .LBB143_218
.LBB143_216:                            ;   in Loop: Header=BB143_218 Depth=2
	s_wait_alu 0xfffe
	s_or_b32 exec_lo, exec_lo, s74
	s_wait_loadcnt_dscnt 0x0
	s_barrier_signal -1
	s_barrier_wait -1
	global_inv scope:SCOPE_SE
	ds_load_b32 v9, v3 offset:3072
	s_mov_b32 s74, -1
	s_mov_b32 s75, -1
	s_wait_loadcnt_dscnt 0x0
	s_barrier_signal -1
	s_barrier_wait -1
	global_inv scope:SCOPE_SE
	v_and_b32_e32 v10, 0x7fff, v9
	s_delay_alu instid0(VALU_DEP_1)
	v_cmp_ne_u32_e32 vcc_lo, 0, v10
	s_cbranch_vccz .LBB143_221
.LBB143_217:                            ;   in Loop: Header=BB143_218 Depth=2
	s_wait_alu 0xfffe
	s_and_b32 s74, exec_lo, s74
	s_wait_alu 0xfffe
	s_or_b32 s14, s74, s14
	s_and_not1_b32 s73, s73, exec_lo
	s_and_b32 s74, s75, exec_lo
	s_wait_alu 0xfffe
	s_or_b32 s73, s73, s74
	s_and_not1_b32 exec_lo, exec_lo, s14
	s_cbranch_execz .LBB143_224
.LBB143_218:                            ;   Parent Loop BB143_45 Depth=1
                                        ; =>  This Inner Loop Header: Depth=2
	s_mov_b32 s74, exec_lo
	s_delay_alu instid0(VALU_DEP_1)
	v_cmpx_gt_u64_e64 s[6:7], v[6:7]
	s_cbranch_execz .LBB143_216
; %bb.219:                              ;   in Loop: Header=BB143_218 Depth=2
	ds_load_u16 v9, v8
	s_wait_dscnt 0x0
	v_cmp_lt_i16_e32 vcc_lo, -1, v9
	s_wait_alu 0xfffd
	v_dual_cndmask_b32 v11, 0xffff, v50 :: v_dual_and_b32 v10, 0xffff, v9
	s_delay_alu instid0(VALU_DEP_1) | instskip(SKIP_1) | instid1(VALU_DEP_1)
	v_xor_b32_e32 v10, v11, v10
	v_lshlrev_b32_e32 v29, 16, v9
	v_cmp_o_f32_e32 vcc_lo, v29, v29
	s_wait_alu 0xfffd
	s_delay_alu instid0(VALU_DEP_3) | instskip(NEXT) | instid1(VALU_DEP_1)
	v_cndmask_b32_e32 v10, 0xffff, v10, vcc_lo
	v_and_b32_e32 v10, v10, v51
	s_delay_alu instid0(VALU_DEP_1)
	v_cmp_eq_u32_e32 vcc_lo, v10, v46
	s_and_b32 exec_lo, exec_lo, vcc_lo
	s_cbranch_execz .LBB143_216
; %bb.220:                              ;   in Loop: Header=BB143_218 Depth=2
	v_perm_b32 v9, v9, s94, 0x5040100
	ds_store_b32 v3, v9 offset:3072
	s_branch .LBB143_216
.LBB143_221:                            ;   in Loop: Header=BB143_218 Depth=2
	v_add_co_u32 v6, vcc_lo, v6, s48
	s_wait_alu 0xfffd
	v_add_co_ci_u32_e64 v7, null, 0, v7, vcc_lo
	v_add_nc_u32_e32 v8, s92, v8
	s_mov_b32 s75, 0
	s_delay_alu instid0(VALU_DEP_2)
	v_cmp_le_u64_e32 vcc_lo, s[12:13], v[6:7]
	s_or_not1_b32 s74, vcc_lo, exec_lo
	s_branch .LBB143_217
.LBB143_222:                            ;   in Loop: Header=BB143_45 Depth=1
                                        ; implicit-def: $sgpr14_sgpr15
	s_branch .LBB143_164
.LBB143_223:                            ;   in Loop: Header=BB143_45 Depth=1
                                        ; implicit-def: $sgpr6_sgpr7
	s_branch .LBB143_183
.LBB143_224:                            ;   in Loop: Header=BB143_45 Depth=1
	s_or_b32 exec_lo, exec_lo, s14
	v_lshrrev_b32_e32 v52, 16, v9
	s_wait_alu 0xfffe
	s_and_b32 s14, s73, exec_lo
.LBB143_225:                            ;   in Loop: Header=BB143_45 Depth=1
	s_or_b32 exec_lo, exec_lo, s52
.LBB143_226:                            ;   in Loop: Header=BB143_45 Depth=1
	s_wait_alu 0xfffe
	s_and_b32 vcc_lo, exec_lo, s15
	s_wait_alu 0xfffe
	s_cbranch_vccz .LBB143_240
; %bb.227:                              ;   in Loop: Header=BB143_45 Depth=1
	s_mov_b32 s6, s53
	s_mov_b32 s7, s61
	s_wait_alu 0xfffe
	s_cmp_lg_u64 s[6:7], 0
	s_cbranch_scc0 .LBB143_268
; %bb.228:                              ;   in Loop: Header=BB143_45 Depth=1
	s_cvt_f32_u32 s6, s48
	s_sub_nc_u64 s[12:13], 0, s[48:49]
	s_wait_alu 0xfffe
	s_delay_alu instid0(SALU_CYCLE_1) | instskip(SKIP_1) | instid1(SALU_CYCLE_2)
	s_fmamk_f32 s6, s93, 0x0, s6
	s_wait_alu 0xfffe
	v_s_rcp_f32 s6, s6
	s_delay_alu instid0(TRANS32_DEP_1) | instskip(SKIP_1) | instid1(SALU_CYCLE_2)
	s_mul_f32 s6, s6, 0x5f7ffffc
	s_wait_alu 0xfffe
	s_mul_f32 s7, s6, 0x2f800000
	s_wait_alu 0xfffe
	s_delay_alu instid0(SALU_CYCLE_2) | instskip(SKIP_1) | instid1(SALU_CYCLE_2)
	s_trunc_f32 s7, s7
	s_wait_alu 0xfffe
	s_fmamk_f32 s6, s7, 0xcf800000, s6
	s_cvt_u32_f32 s7, s7
	s_wait_alu 0xfffe
	s_delay_alu instid0(SALU_CYCLE_1) | instskip(SKIP_1) | instid1(SALU_CYCLE_2)
	s_cvt_u32_f32 s6, s6
	s_wait_alu 0xfffe
	s_mul_u64 s[74:75], s[12:13], s[6:7]
	s_wait_alu 0xfffe
	s_mul_hi_u32 s77, s6, s75
	s_mul_i32 s76, s6, s75
	s_mul_hi_u32 s52, s6, s74
	s_mul_i32 s25, s7, s74
	s_wait_alu 0xfffe
	s_add_nc_u64 s[76:77], s[52:53], s[76:77]
	s_mul_hi_u32 s15, s7, s74
	s_mul_hi_u32 s70, s7, s75
	s_wait_alu 0xfffe
	s_add_co_u32 s25, s76, s25
	s_add_co_ci_u32 s52, s77, s15
	s_mul_i32 s74, s7, s75
	s_add_co_ci_u32 s75, s70, 0
	s_wait_alu 0xfffe
	s_add_nc_u64 s[74:75], s[52:53], s[74:75]
	s_wait_alu 0xfffe
	s_add_co_u32 s6, s6, s74
	s_cselect_b32 s15, -1, 0
	s_wait_alu 0xfffe
	s_cmp_lg_u32 s15, 0
	s_add_co_ci_u32 s7, s7, s75
	s_wait_alu 0xfffe
	s_mul_u64 s[12:13], s[12:13], s[6:7]
	s_wait_alu 0xfffe
	s_mul_hi_u32 s75, s6, s13
	s_mul_i32 s74, s6, s13
	s_mul_hi_u32 s52, s6, s12
	s_mul_i32 s25, s7, s12
	s_wait_alu 0xfffe
	s_add_nc_u64 s[74:75], s[52:53], s[74:75]
	s_mul_hi_u32 s15, s7, s12
	s_mul_hi_u32 s70, s7, s13
	s_mul_i32 s12, s7, s13
	s_wait_alu 0xfffe
	s_add_co_u32 s13, s74, s25
	s_add_co_ci_u32 s52, s75, s15
	s_add_co_ci_u32 s13, s70, 0
	s_wait_alu 0xfffe
	s_add_nc_u64 s[12:13], s[52:53], s[12:13]
	s_wait_alu 0xfffe
	s_add_co_u32 s6, s6, s12
	s_cselect_b32 s12, -1, 0
	s_wait_alu 0xfffe
	s_mul_hi_u32 s52, s60, s6
	s_cmp_lg_u32 s12, 0
	s_mul_hi_u32 s15, s61, s6
	s_add_co_ci_u32 s12, s7, s13
	s_mul_i32 s13, s61, s6
	s_wait_alu 0xfffe
	s_mul_hi_u32 s7, s60, s12
	s_mul_i32 s6, s60, s12
	s_mul_hi_u32 s25, s61, s12
	s_wait_alu 0xfffe
	s_add_nc_u64 s[6:7], s[52:53], s[6:7]
	s_mul_i32 s12, s61, s12
	s_wait_alu 0xfffe
	s_add_co_u32 s6, s6, s13
	s_add_co_ci_u32 s52, s7, s15
	s_add_co_ci_u32 s13, s25, 0
	s_wait_alu 0xfffe
	s_add_nc_u64 s[6:7], s[52:53], s[12:13]
	s_wait_alu 0xfffe
	s_mul_u64 s[6:7], s[48:49], s[6:7]
	s_wait_alu 0xfffe
	s_sub_co_u32 s6, s60, s6
	s_cselect_b32 s12, -1, 0
	s_wait_alu 0xfffe
	s_cmp_lg_u32 s12, 0
	s_sub_co_ci_u32 s7, s61, s7
	s_sub_co_u32 s12, s6, s48
	s_cselect_b32 s13, -1, 0
	s_wait_alu 0xfffe
	s_cmp_lg_u32 s13, 0
	s_sub_co_ci_u32 s13, s7, 0
	s_sub_co_u32 s15, s12, s48
	s_cselect_b32 s25, -1, 0
	s_wait_alu 0xfffe
	s_cmp_lg_u32 s25, 0
	s_sub_co_ci_u32 s25, s13, 0
	s_cmp_ge_u32 s12, s48
	s_cselect_b32 s52, -1, 0
	s_cmp_eq_u32 s13, 0
	s_wait_alu 0xfffe
	s_cselect_b32 s52, s52, -1
	s_wait_alu 0xfffe
	s_cmp_lg_u32 s52, 0
	s_cselect_b32 s13, s25, s13
	s_cselect_b32 s12, s15, s12
	s_cmp_ge_u32 s6, s48
	s_cselect_b32 s15, -1, 0
	s_cmp_eq_u32 s7, 0
	s_wait_alu 0xfffe
	s_cselect_b32 s15, s15, -1
	s_wait_alu 0xfffe
	s_cmp_lg_u32 s15, 0
	s_cselect_b32 s7, s13, s7
	s_cselect_b32 s6, s12, s6
	s_cbranch_execnz .LBB143_230
.LBB143_229:                            ;   in Loop: Header=BB143_45 Depth=1
	v_cvt_f32_u32_e32 v6, s48
	s_sub_co_i32 s7, 0, s48
	s_delay_alu instid0(VALU_DEP_1) | instskip(NEXT) | instid1(TRANS32_DEP_1)
	v_rcp_iflag_f32_e32 v6, v6
	v_mul_f32_e32 v6, 0x4f7ffffe, v6
	s_delay_alu instid0(VALU_DEP_1) | instskip(NEXT) | instid1(VALU_DEP_1)
	v_cvt_u32_f32_e32 v6, v6
	v_readfirstlane_b32 s6, v6
	s_wait_alu 0xfffe
	s_mul_i32 s7, s7, s6
	s_wait_alu 0xfffe
	s_mul_hi_u32 s7, s6, s7
	s_wait_alu 0xfffe
	s_add_co_i32 s6, s6, s7
	s_wait_alu 0xfffe
	s_mul_hi_u32 s6, s60, s6
	s_wait_alu 0xfffe
	s_mul_i32 s6, s6, s48
	s_wait_alu 0xfffe
	s_sub_co_i32 s6, s60, s6
	s_wait_alu 0xfffe
	s_sub_co_i32 s7, s6, s48
	s_cmp_ge_u32 s6, s48
	s_wait_alu 0xfffe
	s_cselect_b32 s6, s7, s6
	s_wait_alu 0xfffe
	s_sub_co_i32 s7, s6, s48
	s_cmp_ge_u32 s6, s48
	s_wait_alu 0xfffe
	s_cselect_b32 s52, s7, s6
	s_wait_alu 0xfffe
	s_mov_b64 s[6:7], s[52:53]
.LBB143_230:                            ;   in Loop: Header=BB143_45 Depth=1
	s_wait_alu 0xfffe
	s_sub_nc_u64 s[12:13], s[60:61], s[6:7]
	s_mov_b32 s7, exec_lo
                                        ; implicit-def: $vgpr52
	s_wait_alu 0xfffe
	v_cmpx_gt_u64_e64 s[12:13], v[0:1]
	s_cbranch_execz .LBB143_239
; %bb.231:                              ;   in Loop: Header=BB143_45 Depth=1
	v_dual_mov_b32 v6, v12 :: v_dual_mov_b32 v7, v13
	v_dual_mov_b32 v9, v1 :: v_dual_mov_b32 v8, v0
	s_mov_b32 s15, 0
                                        ; implicit-def: $sgpr25
	s_branch .LBB143_234
.LBB143_232:                            ;   in Loop: Header=BB143_234 Depth=2
	s_wait_alu 0xfffe
	s_or_b32 exec_lo, exec_lo, s6
	s_wait_loadcnt_dscnt 0x0
	s_barrier_signal -1
	s_barrier_wait -1
	global_inv scope:SCOPE_SE
	ds_load_b32 v10, v3 offset:3072
	s_mov_b32 s6, -1
	s_mov_b32 s52, -1
	s_wait_loadcnt_dscnt 0x0
	s_barrier_signal -1
	s_barrier_wait -1
	global_inv scope:SCOPE_SE
	v_and_b32_e32 v11, 0x7fff, v10
	s_delay_alu instid0(VALU_DEP_1)
	v_cmp_eq_u32_e32 vcc_lo, 0, v11
	s_cbranch_vccnz .LBB143_237
.LBB143_233:                            ;   in Loop: Header=BB143_234 Depth=2
	s_wait_alu 0xfffe
	s_and_b32 s6, exec_lo, s6
	s_wait_alu 0xfffe
	s_or_b32 s15, s6, s15
	s_and_not1_b32 s6, s25, exec_lo
	s_and_b32 s25, s52, exec_lo
	s_wait_alu 0xfffe
	s_or_b32 s25, s6, s25
	s_and_not1_b32 exec_lo, exec_lo, s15
	s_cbranch_execz .LBB143_238
.LBB143_234:                            ;   Parent Loop BB143_45 Depth=1
                                        ; =>  This Inner Loop Header: Depth=2
	s_mov_b32 s6, exec_lo
	s_delay_alu instid0(VALU_DEP_1)
	v_cmpx_gt_u64_e64 s[28:29], v[8:9]
	s_cbranch_execz .LBB143_232
; %bb.235:                              ;   in Loop: Header=BB143_234 Depth=2
	global_load_u16 v10, v[6:7], off
	s_wait_loadcnt 0x0
	v_cmp_lt_i16_e32 vcc_lo, -1, v10
	v_and_b32_e32 v11, 0xffff, v10
	s_wait_alu 0xfffd
	v_cndmask_b32_e32 v29, 0xffff, v50, vcc_lo
	s_delay_alu instid0(VALU_DEP_1) | instskip(SKIP_1) | instid1(VALU_DEP_1)
	v_xor_b32_e32 v11, v29, v11
	v_lshlrev_b32_e32 v30, 16, v10
	v_cmp_o_f32_e32 vcc_lo, v30, v30
	s_wait_alu 0xfffd
	s_delay_alu instid0(VALU_DEP_3) | instskip(NEXT) | instid1(VALU_DEP_1)
	v_cndmask_b32_e32 v11, 0xffff, v11, vcc_lo
	v_and_b32_e32 v11, v11, v51
	s_delay_alu instid0(VALU_DEP_1)
	v_cmp_eq_u32_e32 vcc_lo, v11, v46
	s_and_b32 exec_lo, exec_lo, vcc_lo
	s_cbranch_execz .LBB143_232
; %bb.236:                              ;   in Loop: Header=BB143_234 Depth=2
	v_perm_b32 v10, v10, s94, 0x5040100
	ds_store_b32 v3, v10 offset:3072
	s_branch .LBB143_232
.LBB143_237:                            ;   in Loop: Header=BB143_234 Depth=2
	v_add_co_u32 v8, vcc_lo, v8, s48
	s_wait_alu 0xfffd
	v_add_co_ci_u32_e64 v9, null, 0, v9, vcc_lo
	v_add_co_u32 v6, s6, v6, s54
	s_wait_alu 0xf1fe
	v_add_co_ci_u32_e64 v7, null, s55, v7, s6
	s_delay_alu instid0(VALU_DEP_3)
	v_cmp_le_u64_e32 vcc_lo, s[12:13], v[8:9]
	s_mov_b32 s52, 0
	s_or_not1_b32 s6, vcc_lo, exec_lo
	s_branch .LBB143_233
.LBB143_238:                            ;   in Loop: Header=BB143_45 Depth=1
	s_or_b32 exec_lo, exec_lo, s15
	v_lshrrev_b32_e32 v52, 16, v10
	s_and_not1_b32 s6, s14, exec_lo
	s_wait_alu 0xfffe
	s_and_b32 s12, s25, exec_lo
	s_wait_alu 0xfffe
	s_or_b32 s14, s6, s12
.LBB143_239:                            ;   in Loop: Header=BB143_45 Depth=1
	s_or_b32 exec_lo, exec_lo, s7
	s_mov_b32 s25, 0
	s_mov_b32 s70, -1
.LBB143_240:                            ;   in Loop: Header=BB143_45 Depth=1
	s_wait_alu 0xfffe
	s_or_not1_b32 s6, s14, exec_lo
.LBB143_241:                            ;   in Loop: Header=BB143_45 Depth=1
	s_wait_alu 0xfffe
	s_or_b32 exec_lo, exec_lo, s72
	s_mov_b32 s7, 0
	s_and_saveexec_b32 s14, s6
	s_cbranch_execz .LBB143_299
; %bb.242:                              ;   in Loop: Header=BB143_45 Depth=1
	v_mov_b32_e32 v6, 1
	v_dual_mov_b32 v7, 0 :: v_dual_mov_b32 v2, 1
	s_xor_b32 s12, s71, -1
	s_wait_alu 0xfffe
	s_and_saveexec_b32 s6, s12
	s_cbranch_execz .LBB143_251
; %bb.243:                              ;   in Loop: Header=BB143_45 Depth=1
	s_mov_b32 s7, exec_lo
	v_cmpx_ge_u64_e64 s[10:11], v[4:5]
	s_wait_alu 0xfffe
	s_xor_b32 s7, exec_lo, s7
	s_cbranch_execz .LBB143_248
; %bb.244:                              ;   in Loop: Header=BB143_45 Depth=1
	ds_load_b64 v[6:7], v3 offset:5120
	s_lshl_b32 s12, 2, s95
	v_or_b32_e32 v51, s16, v51
	s_wait_alu 0xfffe
	v_and_or_b32 v46, v46, s20, s12
	s_wait_dscnt 0x0
	v_cmp_ne_u64_e32 vcc_lo, 0, v[6:7]
	s_cbranch_vccnz .LBB143_248
; %bb.245:                              ;   in Loop: Header=BB143_45 Depth=1
	s_and_saveexec_b32 s12, s3
; %bb.246:                              ;   in Loop: Header=BB143_45 Depth=1
	v_dual_mov_b32 v6, s10 :: v_dual_mov_b32 v7, s11
	ds_store_b64 v3, v[6:7] offset:5128
; %bb.247:                              ;   in Loop: Header=BB143_45 Depth=1
	s_wait_alu 0xfffe
	s_or_b32 exec_lo, exec_lo, s12
	s_wait_loadcnt_dscnt 0x0
	s_barrier_signal -1
	s_barrier_wait -1
	global_inv scope:SCOPE_SE
.LBB143_248:                            ;   in Loop: Header=BB143_45 Depth=1
	s_wait_alu 0xfffe
	s_or_saveexec_b32 s7, s7
	v_mov_b32_e32 v2, 8
	s_mov_b32 s12, 0
	s_wait_alu 0xfffe
	s_xor_b32 exec_lo, exec_lo, s7
; %bb.249:                              ;   in Loop: Header=BB143_45 Depth=1
	v_sub_co_u32 v4, vcc_lo, v4, s10
	s_wait_alu 0xfffd
	v_subrev_co_ci_u32_e64 v5, null, s11, v5, vcc_lo
	v_mov_b32_e32 v2, 0
	s_mov_b32 s12, exec_lo
; %bb.250:                              ;   in Loop: Header=BB143_45 Depth=1
	s_or_b32 exec_lo, exec_lo, s7
	s_delay_alu instid0(VALU_DEP_2)
	v_dual_mov_b32 v7, v5 :: v_dual_mov_b32 v6, v4
	s_wait_alu 0xfffe
	s_and_b32 s7, s12, exec_lo
.LBB143_251:                            ;   in Loop: Header=BB143_45 Depth=1
	s_wait_alu 0xfffe
	s_or_b32 exec_lo, exec_lo, s6
	s_mov_b32 s6, -1
                                        ; implicit-def: $sgpr73
                                        ; implicit-def: $sgpr72
	s_and_saveexec_b32 s15, s7
	s_cbranch_execz .LBB143_298
; %bb.252:                              ;   in Loop: Header=BB143_45 Depth=1
	v_cmp_eq_u64_e32 vcc_lo, 1, v[6:7]
	s_cmp_eq_u64 s[8:9], 1
	s_mov_b32 s7, -1
	s_cselect_b32 s6, -1, 0
                                        ; implicit-def: $sgpr73
                                        ; implicit-def: $sgpr72
	s_wait_alu 0xfffe
	s_and_b32 s20, s6, vcc_lo
	s_wait_alu 0xfffe
	s_and_saveexec_b32 s71, s20
	s_cbranch_execz .LBB143_286
; %bb.253:                              ;   in Loop: Header=BB143_45 Depth=1
	ds_load_b64 v[4:5], v3 offset:5120
	s_wait_loadcnt_dscnt 0x0
	s_barrier_signal -1
	s_barrier_wait -1
	global_inv scope:SCOPE_SE
	v_readfirstlane_b32 s6, v4
	v_readfirstlane_b32 s7, v5
	s_and_saveexec_b32 s10, s0
; %bb.254:                              ;   in Loop: Header=BB143_45 Depth=1
	ds_store_b16 v43, v3
; %bb.255:                              ;   in Loop: Header=BB143_45 Depth=1
	s_wait_alu 0xfffe
	s_or_b32 exec_lo, exec_lo, s10
	v_or_b32_e32 v46, s16, v46
	v_or_b32_e32 v51, s16, v51
	s_mov_b32 s72, -1
	s_mov_b32 s73, 0
	s_cmp_eq_u64 s[6:7], 0
	s_mov_b32 s12, 0
	s_mov_b32 s13, -1
	s_wait_loadcnt_dscnt 0x0
	s_barrier_signal -1
	s_barrier_wait -1
	global_inv scope:SCOPE_SE
                                        ; implicit-def: $vgpr52
	s_cbranch_scc1 .LBB143_271
; %bb.256:                              ;   in Loop: Header=BB143_45 Depth=1
	s_add_nc_u64 s[10:11], s[6:7], s[58:59]
	s_mov_b32 s12, s53
	s_wait_alu 0xfffe
	s_mov_b32 s13, s11
	s_wait_alu 0xfffe
	s_cmp_lg_u64 s[12:13], 0
	s_cbranch_scc0 .LBB143_305
; %bb.257:                              ;   in Loop: Header=BB143_45 Depth=1
	s_cvt_f32_u32 s12, s48
	s_sub_nc_u64 s[74:75], 0, s[48:49]
	s_wait_alu 0xfffe
	s_delay_alu instid0(SALU_CYCLE_1) | instskip(SKIP_1) | instid1(SALU_CYCLE_2)
	s_fmamk_f32 s12, s93, 0x0, s12
	s_wait_alu 0xfffe
	v_s_rcp_f32 s12, s12
	s_delay_alu instid0(TRANS32_DEP_1) | instskip(SKIP_1) | instid1(SALU_CYCLE_2)
	s_mul_f32 s12, s12, 0x5f7ffffc
	s_wait_alu 0xfffe
	s_mul_f32 s13, s12, 0x2f800000
	s_wait_alu 0xfffe
	s_delay_alu instid0(SALU_CYCLE_2) | instskip(SKIP_1) | instid1(SALU_CYCLE_2)
	s_trunc_f32 s13, s13
	s_wait_alu 0xfffe
	s_fmamk_f32 s12, s13, 0xcf800000, s12
	s_cvt_u32_f32 s13, s13
	s_wait_alu 0xfffe
	s_delay_alu instid0(SALU_CYCLE_1) | instskip(SKIP_1) | instid1(SALU_CYCLE_2)
	s_cvt_u32_f32 s12, s12
	s_wait_alu 0xfffe
	s_mul_u64 s[76:77], s[74:75], s[12:13]
	s_wait_alu 0xfffe
	s_mul_hi_u32 s79, s12, s77
	s_mul_i32 s78, s12, s77
	s_mul_hi_u32 s52, s12, s76
	s_mul_i32 s81, s13, s76
	s_wait_alu 0xfffe
	s_add_nc_u64 s[78:79], s[52:53], s[78:79]
	s_mul_hi_u32 s80, s13, s76
	s_mul_hi_u32 s82, s13, s77
	s_wait_alu 0xfffe
	s_add_co_u32 s52, s78, s81
	s_add_co_ci_u32 s52, s79, s80
	s_mul_i32 s76, s13, s77
	s_add_co_ci_u32 s77, s82, 0
	s_wait_alu 0xfffe
	s_add_nc_u64 s[76:77], s[52:53], s[76:77]
	s_wait_alu 0xfffe
	s_add_co_u32 s12, s12, s76
	s_cselect_b32 s52, -1, 0
	s_wait_alu 0xfffe
	s_cmp_lg_u32 s52, 0
	s_add_co_ci_u32 s13, s13, s77
	s_wait_alu 0xfffe
	s_mul_u64 s[74:75], s[74:75], s[12:13]
	s_wait_alu 0xfffe
	s_mul_hi_u32 s77, s12, s75
	s_mul_i32 s76, s12, s75
	s_mul_hi_u32 s52, s12, s74
	s_mul_i32 s79, s13, s74
	s_wait_alu 0xfffe
	s_add_nc_u64 s[76:77], s[52:53], s[76:77]
	s_mul_hi_u32 s78, s13, s74
	s_mul_hi_u32 s80, s13, s75
	s_wait_alu 0xfffe
	s_add_co_u32 s52, s76, s79
	s_add_co_ci_u32 s52, s77, s78
	s_mul_i32 s74, s13, s75
	s_add_co_ci_u32 s75, s80, 0
	s_wait_alu 0xfffe
	s_add_nc_u64 s[74:75], s[52:53], s[74:75]
	s_wait_alu 0xfffe
	s_add_co_u32 s12, s12, s74
	s_cselect_b32 s74, -1, 0
	s_wait_alu 0xfffe
	s_mul_hi_u32 s52, s10, s12
	s_cmp_lg_u32 s74, 0
	s_mul_hi_u32 s76, s11, s12
	s_add_co_ci_u32 s74, s13, s75
	s_mul_i32 s75, s11, s12
	s_wait_alu 0xfffe
	s_mul_hi_u32 s13, s10, s74
	s_mul_i32 s12, s10, s74
	s_mul_hi_u32 s77, s11, s74
	s_wait_alu 0xfffe
	s_add_nc_u64 s[12:13], s[52:53], s[12:13]
	s_mul_i32 s74, s11, s74
	s_wait_alu 0xfffe
	s_add_co_u32 s12, s12, s75
	s_add_co_ci_u32 s52, s13, s76
	s_add_co_ci_u32 s75, s77, 0
	s_wait_alu 0xfffe
	s_add_nc_u64 s[12:13], s[52:53], s[74:75]
	s_wait_alu 0xfffe
	s_mul_u64 s[12:13], s[48:49], s[12:13]
	s_wait_alu 0xfffe
	s_sub_co_u32 s12, s10, s12
	s_cselect_b32 s52, -1, 0
	s_wait_alu 0xfffe
	s_cmp_lg_u32 s52, 0
	s_sub_co_ci_u32 s13, s11, s13
	s_sub_co_u32 s52, s12, s48
	s_cselect_b32 s74, -1, 0
	s_wait_alu 0xfffe
	s_cmp_lg_u32 s74, 0
	s_sub_co_ci_u32 s74, s13, 0
	;; [unrolled: 5-line block ×3, first 2 shown]
	s_cmp_ge_u32 s52, s48
	s_cselect_b32 s77, -1, 0
	s_cmp_eq_u32 s74, 0
	s_wait_alu 0xfffe
	s_cselect_b32 s77, s77, -1
	s_wait_alu 0xfffe
	s_cmp_lg_u32 s77, 0
	s_cselect_b32 s74, s76, s74
	s_cselect_b32 s52, s75, s52
	s_cmp_ge_u32 s12, s48
	s_cselect_b32 s75, -1, 0
	s_cmp_eq_u32 s13, 0
	s_wait_alu 0xfffe
	s_cselect_b32 s75, s75, -1
	s_wait_alu 0xfffe
	s_cmp_lg_u32 s75, 0
	s_cselect_b32 s13, s74, s13
	s_cselect_b32 s12, s52, s12
	s_cbranch_execnz .LBB143_259
.LBB143_258:                            ;   in Loop: Header=BB143_45 Depth=1
	v_cvt_f32_u32_e32 v4, s48
	s_sub_co_i32 s13, 0, s48
	s_delay_alu instid0(VALU_DEP_1) | instskip(NEXT) | instid1(TRANS32_DEP_1)
	v_rcp_iflag_f32_e32 v4, v4
	v_mul_f32_e32 v4, 0x4f7ffffe, v4
	s_delay_alu instid0(VALU_DEP_1) | instskip(NEXT) | instid1(VALU_DEP_1)
	v_cvt_u32_f32_e32 v4, v4
	v_readfirstlane_b32 s12, v4
	s_wait_alu 0xfffe
	s_mul_i32 s13, s13, s12
	s_wait_alu 0xfffe
	s_mul_hi_u32 s13, s12, s13
	s_wait_alu 0xfffe
	s_add_co_i32 s12, s12, s13
	s_wait_alu 0xfffe
	s_mul_hi_u32 s12, s10, s12
	s_wait_alu 0xfffe
	s_mul_i32 s12, s12, s48
	s_wait_alu 0xfffe
	s_sub_co_i32 s12, s10, s12
	s_wait_alu 0xfffe
	s_sub_co_i32 s13, s12, s48
	s_cmp_ge_u32 s12, s48
	s_wait_alu 0xfffe
	s_cselect_b32 s12, s13, s12
	s_wait_alu 0xfffe
	s_sub_co_i32 s13, s12, s48
	s_cmp_ge_u32 s12, s48
	s_wait_alu 0xfffe
	s_cselect_b32 s52, s13, s12
	s_wait_alu 0xfffe
	s_mov_b64 s[12:13], s[52:53]
.LBB143_259:                            ;   in Loop: Header=BB143_45 Depth=1
	s_wait_alu 0xfffe
	s_sub_nc_u64 s[10:11], s[10:11], s[12:13]
	s_mov_b32 s13, 0
	s_mov_b32 s12, 0
	s_mov_b32 s52, exec_lo
                                        ; implicit-def: $vgpr52
	s_wait_alu 0xfffe
	v_cmpx_gt_u64_e64 s[10:11], v[0:1]
	s_cbranch_execz .LBB143_270
; %bb.260:                              ;   in Loop: Header=BB143_45 Depth=1
	v_dual_mov_b32 v8, v42 :: v_dual_mov_b32 v5, v1
	v_mov_b32_e32 v4, v0
                                        ; implicit-def: $sgpr74
	s_branch .LBB143_263
.LBB143_261:                            ;   in Loop: Header=BB143_263 Depth=2
	s_wait_alu 0xfffe
	s_or_b32 exec_lo, exec_lo, s75
	s_wait_loadcnt_dscnt 0x0
	s_barrier_signal -1
	s_barrier_wait -1
	global_inv scope:SCOPE_SE
	ds_load_b32 v9, v3 offset:3072
	s_mov_b32 s75, -1
	s_mov_b32 s76, -1
	s_wait_loadcnt_dscnt 0x0
	s_barrier_signal -1
	s_barrier_wait -1
	global_inv scope:SCOPE_SE
	v_and_b32_e32 v10, 0x7fff, v9
	s_delay_alu instid0(VALU_DEP_1)
	v_cmp_ne_u32_e32 vcc_lo, 0, v10
	s_cbranch_vccz .LBB143_266
.LBB143_262:                            ;   in Loop: Header=BB143_263 Depth=2
	s_wait_alu 0xfffe
	s_and_b32 s75, exec_lo, s75
	s_wait_alu 0xfffe
	s_or_b32 s12, s75, s12
	s_and_not1_b32 s74, s74, exec_lo
	s_and_b32 s75, s76, exec_lo
	s_wait_alu 0xfffe
	s_or_b32 s74, s74, s75
	s_and_not1_b32 exec_lo, exec_lo, s12
	s_cbranch_execz .LBB143_269
.LBB143_263:                            ;   Parent Loop BB143_45 Depth=1
                                        ; =>  This Inner Loop Header: Depth=2
	s_mov_b32 s75, exec_lo
	s_delay_alu instid0(VALU_DEP_1)
	v_cmpx_gt_u64_e64 s[6:7], v[4:5]
	s_cbranch_execz .LBB143_261
; %bb.264:                              ;   in Loop: Header=BB143_263 Depth=2
	ds_load_u16 v9, v8
	s_wait_dscnt 0x0
	v_cmp_lt_i16_e32 vcc_lo, -1, v9
	s_wait_alu 0xfffd
	v_dual_cndmask_b32 v11, 0xffff, v50 :: v_dual_and_b32 v10, 0xffff, v9
	s_delay_alu instid0(VALU_DEP_1) | instskip(SKIP_1) | instid1(VALU_DEP_1)
	v_xor_b32_e32 v10, v11, v10
	v_lshlrev_b32_e32 v29, 16, v9
	v_cmp_o_f32_e32 vcc_lo, v29, v29
	s_wait_alu 0xfffd
	s_delay_alu instid0(VALU_DEP_3) | instskip(NEXT) | instid1(VALU_DEP_1)
	v_cndmask_b32_e32 v10, 0xffff, v10, vcc_lo
	v_and_b32_e32 v10, v10, v51
	s_delay_alu instid0(VALU_DEP_1)
	v_cmp_eq_u32_e32 vcc_lo, v10, v46
	s_and_b32 exec_lo, exec_lo, vcc_lo
	s_cbranch_execz .LBB143_261
; %bb.265:                              ;   in Loop: Header=BB143_263 Depth=2
	v_perm_b32 v9, v9, s94, 0x5040100
	ds_store_b32 v3, v9 offset:3072
	s_branch .LBB143_261
.LBB143_266:                            ;   in Loop: Header=BB143_263 Depth=2
	v_add_co_u32 v4, vcc_lo, v4, s48
	s_wait_alu 0xfffd
	v_add_co_ci_u32_e64 v5, null, 0, v5, vcc_lo
	v_add_nc_u32_e32 v8, s92, v8
	s_mov_b32 s76, 0
	s_delay_alu instid0(VALU_DEP_2)
	v_cmp_le_u64_e32 vcc_lo, s[10:11], v[4:5]
	s_or_not1_b32 s75, vcc_lo, exec_lo
	s_branch .LBB143_262
.LBB143_267:                            ;   in Loop: Header=BB143_45 Depth=1
                                        ; implicit-def: $sgpr14_sgpr15
	s_branch .LBB143_213
.LBB143_268:                            ;   in Loop: Header=BB143_45 Depth=1
                                        ; implicit-def: $sgpr6_sgpr7
	s_branch .LBB143_229
.LBB143_269:                            ;   in Loop: Header=BB143_45 Depth=1
	s_or_b32 exec_lo, exec_lo, s12
	v_lshrrev_b32_e32 v52, 16, v9
	s_wait_alu 0xfffe
	s_and_b32 s12, s74, exec_lo
.LBB143_270:                            ;   in Loop: Header=BB143_45 Depth=1
	s_or_b32 exec_lo, exec_lo, s52
.LBB143_271:                            ;   in Loop: Header=BB143_45 Depth=1
	s_wait_alu 0xfffe
	s_and_b32 vcc_lo, exec_lo, s13
	s_wait_alu 0xfffe
	s_cbranch_vccz .LBB143_285
; %bb.272:                              ;   in Loop: Header=BB143_45 Depth=1
	s_mov_b32 s6, s53
	s_mov_b32 s7, s61
	s_wait_alu 0xfffe
	s_cmp_lg_u64 s[6:7], 0
	s_cbranch_scc0 .LBB143_306
; %bb.273:                              ;   in Loop: Header=BB143_45 Depth=1
	s_cvt_f32_u32 s6, s48
	s_sub_nc_u64 s[10:11], 0, s[48:49]
	s_wait_alu 0xfffe
	s_delay_alu instid0(SALU_CYCLE_1) | instskip(SKIP_1) | instid1(SALU_CYCLE_2)
	s_fmamk_f32 s6, s93, 0x0, s6
	s_wait_alu 0xfffe
	v_s_rcp_f32 s6, s6
	s_delay_alu instid0(TRANS32_DEP_1) | instskip(SKIP_1) | instid1(SALU_CYCLE_2)
	s_mul_f32 s6, s6, 0x5f7ffffc
	s_wait_alu 0xfffe
	s_mul_f32 s7, s6, 0x2f800000
	s_wait_alu 0xfffe
	s_delay_alu instid0(SALU_CYCLE_2) | instskip(SKIP_1) | instid1(SALU_CYCLE_2)
	s_trunc_f32 s7, s7
	s_wait_alu 0xfffe
	s_fmamk_f32 s6, s7, 0xcf800000, s6
	s_cvt_u32_f32 s7, s7
	s_wait_alu 0xfffe
	s_delay_alu instid0(SALU_CYCLE_1) | instskip(SKIP_1) | instid1(SALU_CYCLE_2)
	s_cvt_u32_f32 s6, s6
	s_wait_alu 0xfffe
	s_mul_u64 s[72:73], s[10:11], s[6:7]
	s_wait_alu 0xfffe
	s_mul_hi_u32 s75, s6, s73
	s_mul_i32 s74, s6, s73
	s_mul_hi_u32 s52, s6, s72
	s_mul_i32 s76, s7, s72
	s_wait_alu 0xfffe
	s_add_nc_u64 s[74:75], s[52:53], s[74:75]
	s_mul_hi_u32 s13, s7, s72
	s_mul_hi_u32 s77, s7, s73
	s_wait_alu 0xfffe
	s_add_co_u32 s52, s74, s76
	s_add_co_ci_u32 s52, s75, s13
	s_mul_i32 s72, s7, s73
	s_add_co_ci_u32 s73, s77, 0
	s_wait_alu 0xfffe
	s_add_nc_u64 s[72:73], s[52:53], s[72:73]
	s_wait_alu 0xfffe
	s_add_co_u32 s6, s6, s72
	s_cselect_b32 s13, -1, 0
	s_wait_alu 0xfffe
	s_cmp_lg_u32 s13, 0
	s_add_co_ci_u32 s7, s7, s73
	s_wait_alu 0xfffe
	s_mul_u64 s[10:11], s[10:11], s[6:7]
	s_wait_alu 0xfffe
	s_mul_hi_u32 s73, s6, s11
	s_mul_i32 s72, s6, s11
	s_mul_hi_u32 s52, s6, s10
	s_mul_i32 s74, s7, s10
	s_wait_alu 0xfffe
	s_add_nc_u64 s[72:73], s[52:53], s[72:73]
	s_mul_hi_u32 s13, s7, s10
	s_mul_hi_u32 s75, s7, s11
	s_mul_i32 s10, s7, s11
	s_wait_alu 0xfffe
	s_add_co_u32 s11, s72, s74
	s_add_co_ci_u32 s52, s73, s13
	s_add_co_ci_u32 s11, s75, 0
	s_wait_alu 0xfffe
	s_add_nc_u64 s[10:11], s[52:53], s[10:11]
	s_wait_alu 0xfffe
	s_add_co_u32 s6, s6, s10
	s_cselect_b32 s10, -1, 0
	s_wait_alu 0xfffe
	s_mul_hi_u32 s52, s60, s6
	s_cmp_lg_u32 s10, 0
	s_mul_hi_u32 s13, s61, s6
	s_add_co_ci_u32 s10, s7, s11
	s_mul_i32 s11, s61, s6
	s_wait_alu 0xfffe
	s_mul_hi_u32 s7, s60, s10
	s_mul_i32 s6, s60, s10
	s_mul_hi_u32 s72, s61, s10
	s_wait_alu 0xfffe
	s_add_nc_u64 s[6:7], s[52:53], s[6:7]
	s_mul_i32 s10, s61, s10
	s_wait_alu 0xfffe
	s_add_co_u32 s6, s6, s11
	s_add_co_ci_u32 s52, s7, s13
	s_add_co_ci_u32 s11, s72, 0
	s_wait_alu 0xfffe
	s_add_nc_u64 s[6:7], s[52:53], s[10:11]
	s_wait_alu 0xfffe
	s_mul_u64 s[6:7], s[48:49], s[6:7]
	s_wait_alu 0xfffe
	s_sub_co_u32 s6, s60, s6
	s_cselect_b32 s10, -1, 0
	s_wait_alu 0xfffe
	s_cmp_lg_u32 s10, 0
	s_sub_co_ci_u32 s7, s61, s7
	s_sub_co_u32 s10, s6, s48
	s_cselect_b32 s11, -1, 0
	s_wait_alu 0xfffe
	s_cmp_lg_u32 s11, 0
	s_sub_co_ci_u32 s11, s7, 0
	;; [unrolled: 5-line block ×3, first 2 shown]
	s_cmp_ge_u32 s10, s48
	s_cselect_b32 s72, -1, 0
	s_cmp_eq_u32 s11, 0
	s_wait_alu 0xfffe
	s_cselect_b32 s72, s72, -1
	s_wait_alu 0xfffe
	s_cmp_lg_u32 s72, 0
	s_cselect_b32 s11, s52, s11
	s_cselect_b32 s10, s13, s10
	s_cmp_ge_u32 s6, s48
	s_cselect_b32 s13, -1, 0
	s_cmp_eq_u32 s7, 0
	s_wait_alu 0xfffe
	s_cselect_b32 s13, s13, -1
	s_wait_alu 0xfffe
	s_cmp_lg_u32 s13, 0
	s_cselect_b32 s7, s11, s7
	s_cselect_b32 s6, s10, s6
	s_cbranch_execnz .LBB143_275
.LBB143_274:                            ;   in Loop: Header=BB143_45 Depth=1
	v_cvt_f32_u32_e32 v4, s48
	s_sub_co_i32 s7, 0, s48
	s_delay_alu instid0(VALU_DEP_1) | instskip(NEXT) | instid1(TRANS32_DEP_1)
	v_rcp_iflag_f32_e32 v4, v4
	v_mul_f32_e32 v4, 0x4f7ffffe, v4
	s_delay_alu instid0(VALU_DEP_1) | instskip(NEXT) | instid1(VALU_DEP_1)
	v_cvt_u32_f32_e32 v4, v4
	v_readfirstlane_b32 s6, v4
	s_wait_alu 0xfffe
	s_mul_i32 s7, s7, s6
	s_wait_alu 0xfffe
	s_mul_hi_u32 s7, s6, s7
	s_wait_alu 0xfffe
	s_add_co_i32 s6, s6, s7
	s_wait_alu 0xfffe
	s_mul_hi_u32 s6, s60, s6
	s_wait_alu 0xfffe
	s_mul_i32 s6, s6, s48
	s_wait_alu 0xfffe
	s_sub_co_i32 s6, s60, s6
	s_wait_alu 0xfffe
	s_sub_co_i32 s7, s6, s48
	s_cmp_ge_u32 s6, s48
	s_wait_alu 0xfffe
	s_cselect_b32 s6, s7, s6
	s_wait_alu 0xfffe
	s_sub_co_i32 s7, s6, s48
	s_cmp_ge_u32 s6, s48
	s_wait_alu 0xfffe
	s_cselect_b32 s52, s7, s6
	s_wait_alu 0xfffe
	s_mov_b64 s[6:7], s[52:53]
.LBB143_275:                            ;   in Loop: Header=BB143_45 Depth=1
	s_wait_alu 0xfffe
	s_sub_nc_u64 s[10:11], s[60:61], s[6:7]
	s_mov_b32 s7, exec_lo
                                        ; implicit-def: $vgpr52
	s_wait_alu 0xfffe
	v_cmpx_gt_u64_e64 s[10:11], v[0:1]
	s_cbranch_execz .LBB143_284
; %bb.276:                              ;   in Loop: Header=BB143_45 Depth=1
	v_dual_mov_b32 v4, v12 :: v_dual_mov_b32 v5, v13
	v_dual_mov_b32 v9, v1 :: v_dual_mov_b32 v8, v0
	s_mov_b32 s13, 0
                                        ; implicit-def: $sgpr52
	s_branch .LBB143_279
.LBB143_277:                            ;   in Loop: Header=BB143_279 Depth=2
	s_wait_alu 0xfffe
	s_or_b32 exec_lo, exec_lo, s6
	s_wait_loadcnt_dscnt 0x0
	s_barrier_signal -1
	s_barrier_wait -1
	global_inv scope:SCOPE_SE
	ds_load_b32 v10, v3 offset:3072
	s_mov_b32 s6, -1
	s_mov_b32 s72, -1
	s_wait_loadcnt_dscnt 0x0
	s_barrier_signal -1
	s_barrier_wait -1
	global_inv scope:SCOPE_SE
	v_and_b32_e32 v11, 0x7fff, v10
	s_delay_alu instid0(VALU_DEP_1)
	v_cmp_eq_u32_e32 vcc_lo, 0, v11
	s_cbranch_vccnz .LBB143_282
.LBB143_278:                            ;   in Loop: Header=BB143_279 Depth=2
	s_wait_alu 0xfffe
	s_and_b32 s6, exec_lo, s6
	s_wait_alu 0xfffe
	s_or_b32 s13, s6, s13
	s_and_not1_b32 s6, s52, exec_lo
	s_and_b32 s52, s72, exec_lo
	s_wait_alu 0xfffe
	s_or_b32 s52, s6, s52
	s_and_not1_b32 exec_lo, exec_lo, s13
	s_cbranch_execz .LBB143_283
.LBB143_279:                            ;   Parent Loop BB143_45 Depth=1
                                        ; =>  This Inner Loop Header: Depth=2
	s_mov_b32 s6, exec_lo
	s_delay_alu instid0(VALU_DEP_1)
	v_cmpx_gt_u64_e64 s[28:29], v[8:9]
	s_cbranch_execz .LBB143_277
; %bb.280:                              ;   in Loop: Header=BB143_279 Depth=2
	global_load_u16 v10, v[4:5], off
	s_wait_loadcnt 0x0
	v_cmp_lt_i16_e32 vcc_lo, -1, v10
	v_and_b32_e32 v11, 0xffff, v10
	s_wait_alu 0xfffd
	v_cndmask_b32_e32 v29, 0xffff, v50, vcc_lo
	s_delay_alu instid0(VALU_DEP_1) | instskip(SKIP_1) | instid1(VALU_DEP_1)
	v_xor_b32_e32 v11, v29, v11
	v_lshlrev_b32_e32 v30, 16, v10
	v_cmp_o_f32_e32 vcc_lo, v30, v30
	s_wait_alu 0xfffd
	s_delay_alu instid0(VALU_DEP_3) | instskip(NEXT) | instid1(VALU_DEP_1)
	v_cndmask_b32_e32 v11, 0xffff, v11, vcc_lo
	v_and_b32_e32 v11, v11, v51
	s_delay_alu instid0(VALU_DEP_1)
	v_cmp_eq_u32_e32 vcc_lo, v11, v46
	s_and_b32 exec_lo, exec_lo, vcc_lo
	s_cbranch_execz .LBB143_277
; %bb.281:                              ;   in Loop: Header=BB143_279 Depth=2
	v_perm_b32 v10, v10, s94, 0x5040100
	ds_store_b32 v3, v10 offset:3072
	s_branch .LBB143_277
.LBB143_282:                            ;   in Loop: Header=BB143_279 Depth=2
	v_add_co_u32 v8, vcc_lo, v8, s48
	s_wait_alu 0xfffd
	v_add_co_ci_u32_e64 v9, null, 0, v9, vcc_lo
	v_add_co_u32 v4, s6, v4, s54
	s_wait_alu 0xf1fe
	v_add_co_ci_u32_e64 v5, null, s55, v5, s6
	s_delay_alu instid0(VALU_DEP_3)
	v_cmp_le_u64_e32 vcc_lo, s[10:11], v[8:9]
	s_mov_b32 s72, 0
	s_or_not1_b32 s6, vcc_lo, exec_lo
	s_branch .LBB143_278
.LBB143_283:                            ;   in Loop: Header=BB143_45 Depth=1
	s_or_b32 exec_lo, exec_lo, s13
	v_lshrrev_b32_e32 v52, 16, v10
	s_and_not1_b32 s6, s12, exec_lo
	s_wait_alu 0xfffe
	s_and_b32 s10, s52, exec_lo
	s_wait_alu 0xfffe
	s_or_b32 s12, s6, s10
.LBB143_284:                            ;   in Loop: Header=BB143_45 Depth=1
	s_or_b32 exec_lo, exec_lo, s7
	s_mov_b32 s72, 0
	s_mov_b32 s73, -1
.LBB143_285:                            ;   in Loop: Header=BB143_45 Depth=1
	s_wait_alu 0xfffe
	s_or_not1_b32 s7, s12, exec_lo
.LBB143_286:                            ;   in Loop: Header=BB143_45 Depth=1
	s_or_b32 exec_lo, exec_lo, s71
	s_mov_b32 s10, 0
	s_wait_alu 0xfffe
	s_and_saveexec_b32 s6, s7
	s_cbranch_execz .LBB143_297
; %bb.287:                              ;   in Loop: Header=BB143_45 Depth=1
	v_mov_b32_e32 v4, 1
	v_dual_mov_b32 v5, 0 :: v_dual_mov_b32 v2, 1
	s_xor_b32 s10, s20, -1
	s_wait_alu 0xfffe
	s_and_saveexec_b32 s7, s10
	s_cbranch_execz .LBB143_296
; %bb.288:                              ;   in Loop: Header=BB143_45 Depth=1
	s_mov_b32 s10, exec_lo
	v_cmpx_ge_u64_e64 s[8:9], v[6:7]
	s_wait_alu 0xfffe
	s_xor_b32 s10, exec_lo, s10
	s_cbranch_execz .LBB143_293
; %bb.289:                              ;   in Loop: Header=BB143_45 Depth=1
	ds_load_b64 v[4:5], v3 offset:5120
	v_or_b32_e32 v46, s16, v46
	v_or_b32_e32 v51, s16, v51
	s_wait_dscnt 0x0
	v_cmp_ne_u64_e32 vcc_lo, 0, v[4:5]
	s_cbranch_vccnz .LBB143_293
; %bb.290:                              ;   in Loop: Header=BB143_45 Depth=1
	s_and_saveexec_b32 s11, s3
; %bb.291:                              ;   in Loop: Header=BB143_45 Depth=1
	v_dual_mov_b32 v4, s8 :: v_dual_mov_b32 v5, s9
	ds_store_b64 v3, v[4:5] offset:5128
; %bb.292:                              ;   in Loop: Header=BB143_45 Depth=1
	s_wait_alu 0xfffe
	s_or_b32 exec_lo, exec_lo, s11
	s_wait_loadcnt_dscnt 0x0
	s_barrier_signal -1
	s_barrier_wait -1
	global_inv scope:SCOPE_SE
.LBB143_293:                            ;   in Loop: Header=BB143_45 Depth=1
	s_wait_alu 0xfffe
	s_and_not1_saveexec_b32 s10, s10
; %bb.294:                              ;   in Loop: Header=BB143_45 Depth=1
	v_sub_co_u32 v6, vcc_lo, v6, s8
	s_wait_alu 0xfffd
	v_subrev_co_ci_u32_e64 v7, null, s9, v7, vcc_lo
; %bb.295:                              ;   in Loop: Header=BB143_45 Depth=1
	s_wait_alu 0xfffe
	s_or_b32 exec_lo, exec_lo, s10
	v_mov_b32_e32 v4, v6
	s_delay_alu instid0(VALU_DEP_2)
	v_dual_mov_b32 v2, 8 :: v_dual_mov_b32 v5, v7
.LBB143_296:                            ;   in Loop: Header=BB143_45 Depth=1
	s_wait_alu 0xfffe
	s_or_b32 exec_lo, exec_lo, s7
	s_delay_alu instid0(VALU_DEP_1)
	v_dual_mov_b32 v7, v5 :: v_dual_mov_b32 v6, v4
	s_mov_b32 s10, exec_lo
.LBB143_297:                            ;   in Loop: Header=BB143_45 Depth=1
	s_wait_alu 0xfffe
	s_or_b32 exec_lo, exec_lo, s6
	s_delay_alu instid0(SALU_CYCLE_1)
	s_or_not1_b32 s6, s10, exec_lo
.LBB143_298:                            ;   in Loop: Header=BB143_45 Depth=1
	s_wait_alu 0xfffe
	s_or_b32 exec_lo, exec_lo, s15
	v_dual_mov_b32 v4, v6 :: v_dual_mov_b32 v5, v7
	s_and_not1_b32 s7, s70, exec_lo
	s_and_b32 s8, s73, exec_lo
	s_and_not1_b32 s9, s25, exec_lo
	s_and_b32 s10, s72, exec_lo
	s_wait_alu 0xfffe
	s_or_b32 s70, s7, s8
	s_or_b32 s25, s9, s10
	s_and_b32 s7, s6, exec_lo
.LBB143_299:                            ;   in Loop: Header=BB143_45 Depth=1
	s_wait_alu 0xfffe
	s_or_b32 exec_lo, exec_lo, s14
	s_delay_alu instid0(SALU_CYCLE_1)
	s_or_not1_b32 s6, s7, exec_lo
.LBB143_300:                            ;   in Loop: Header=BB143_45 Depth=1
	s_wait_alu 0xfffe
	s_or_b32 exec_lo, exec_lo, s24
	v_dual_mov_b32 v9, v5 :: v_dual_mov_b32 v8, v4
	s_and_not1_b32 s7, s22, exec_lo
	s_and_b32 s8, s70, exec_lo
	s_and_not1_b32 s9, s21, exec_lo
	s_and_b32 s10, s25, exec_lo
	s_wait_alu 0xfffe
	s_or_b32 s22, s7, s8
	s_or_b32 s21, s9, s10
	s_and_b32 s7, s6, exec_lo
.LBB143_301:                            ;   in Loop: Header=BB143_45 Depth=1
	s_wait_alu 0xfffe
	s_or_b32 exec_lo, exec_lo, s23
	s_delay_alu instid0(SALU_CYCLE_1)
	s_or_not1_b32 s6, s7, exec_lo
.LBB143_302:                            ;   in Loop: Header=BB143_45 Depth=1
	s_or_b32 exec_lo, exec_lo, s19
	s_mov_b32 s7, 0
	s_wait_alu 0xfffe
	s_and_saveexec_b32 s8, s6
	s_wait_alu 0xfffe
	s_xor_b32 s6, exec_lo, s8
	s_cbranch_execz .LBB143_43
; %bb.303:                              ;   in Loop: Header=BB143_45 Depth=1
	v_and_b32_e32 v2, 7, v2
	s_mov_b32 s8, -1
	s_mov_b32 s7, -1
	s_mov_b32 s9, exec_lo
	s_delay_alu instid0(VALU_DEP_1)
	v_cmpx_eq_u32_e32 0, v2
	s_cbranch_execz .LBB143_42
; %bb.304:                              ;   in Loop: Header=BB143_45 Depth=1
	s_xor_b32 s97, s97, 1
	s_add_co_i32 s10, s95, -2
	s_cmp_eq_u32 s95, 0
	s_wait_alu 0xfffe
	s_mov_b32 s95, s10
	s_cselect_b32 s8, -1, 0
	s_xor_b32 s7, exec_lo, -1
	s_wait_alu 0xfffe
	s_or_not1_b32 s8, s8, exec_lo
	s_branch .LBB143_42
.LBB143_305:                            ;   in Loop: Header=BB143_45 Depth=1
                                        ; implicit-def: $sgpr12_sgpr13
	s_branch .LBB143_258
.LBB143_306:                            ;   in Loop: Header=BB143_45 Depth=1
                                        ; implicit-def: $sgpr6_sgpr7
	s_branch .LBB143_274
.LBB143_307:
	s_or_b32 exec_lo, exec_lo, s96
	s_xor_b32 s3, s103, -1
	s_xor_b32 s1, s101, -1
	;; [unrolled: 1-line block ×3, first 2 shown]
	s_mov_b32 s0, 0
	s_and_saveexec_b32 s5, s1
	s_wait_alu 0xfffe
	s_xor_b32 s1, exec_lo, s5
	s_cbranch_execnz .LBB143_312
; %bb.308:
	s_and_not1_saveexec_b32 s1, s1
	s_cbranch_execnz .LBB143_325
.LBB143_309:
	s_wait_alu 0xfffe
	s_or_b32 exec_lo, exec_lo, s1
	s_and_saveexec_b32 s1, s0
.LBB143_310:
	; divergent unreachable
.LBB143_311:
	s_endpgm
.LBB143_312:
	s_and_saveexec_b32 s0, s3
	s_delay_alu instid0(SALU_CYCLE_1)
	s_xor_b32 s3, exec_lo, s0
	s_cbranch_execz .LBB143_323
; %bb.313:
	s_and_saveexec_b32 s0, s4
	s_delay_alu instid0(SALU_CYCLE_1)
	s_xor_b32 s0, exec_lo, s0
; %bb.314:
	v_and_b32_e32 v2, 0x8000, v46
	v_mov_b32_e32 v3, 0xffff
	s_delay_alu instid0(VALU_DEP_2) | instskip(SKIP_1) | instid1(VALU_DEP_2)
	v_cmp_eq_u32_e32 vcc_lo, 0, v2
	s_wait_alu 0xfffd
	v_cndmask_b32_e32 v2, 0x8000, v3, vcc_lo
	s_delay_alu instid0(VALU_DEP_1)
	v_xor_b32_e32 v52, v2, v46
; %bb.315:
	s_or_b32 exec_lo, exec_lo, s0
	s_mul_u64 s[4:5], s[40:41], s[36:37]
	v_mov_b32_e32 v2, 0
	s_wait_alu 0xfffe
	s_lshl_b64 s[4:5], s[4:5], 1
	s_lshl_b64 s[6:7], s[26:27], 1
	s_wait_alu 0xfffe
	s_add_nc_u64 s[4:5], s[46:47], s[4:5]
	s_wait_alu 0xfffe
	s_add_nc_u64 s[4:5], s[4:5], s[6:7]
	global_store_b16 v2, v52, s[4:5]
	s_and_saveexec_b32 s4, s2
	s_cbranch_execz .LBB143_322
; %bb.316:
	v_lshlrev_b32_e32 v4, 16, v52
	s_mov_b32 s2, 0
                                        ; implicit-def: $sgpr5
                                        ; implicit-def: $sgpr8
                                        ; implicit-def: $sgpr7
	s_delay_alu instid0(VALU_DEP_1)
	v_cmp_u_f32_e32 vcc_lo, v4, v4
	s_xor_b32 s6, vcc_lo, -1
	s_branch .LBB143_318
.LBB143_317:                            ;   in Loop: Header=BB143_318 Depth=1
	s_wait_alu 0xfffe
	s_or_b32 exec_lo, exec_lo, s9
	s_delay_alu instid0(SALU_CYCLE_1)
	s_and_b32 s0, exec_lo, s8
	s_wait_alu 0xfffe
	s_or_b32 s2, s0, s2
	s_and_not1_b32 s0, s5, exec_lo
	s_and_b32 s5, s7, exec_lo
	s_wait_alu 0xfffe
	s_or_b32 s5, s0, s5
	s_and_not1_b32 exec_lo, exec_lo, s2
	s_cbranch_execz .LBB143_320
.LBB143_318:                            ; =>This Inner Loop Header: Depth=1
	global_load_u16 v2, v[12:13], off
	s_or_b32 s7, s7, exec_lo
	s_or_b32 s8, s8, exec_lo
	s_wait_loadcnt 0x0
	v_lshlrev_b32_e32 v2, 16, v2
	s_delay_alu instid0(VALU_DEP_1)
	v_cmp_o_f32_e32 vcc_lo, v2, v2
	v_cmp_neq_f32_e64 s0, v2, v4
	v_dual_mov_b32 v3, v1 :: v_dual_mov_b32 v2, v0
                                        ; implicit-def: $vgpr0_vgpr1
	s_wait_alu 0xfffe
	s_or_b32 s9, s6, vcc_lo
	s_wait_alu 0xfffe
	s_and_b32 s0, s0, s9
	s_wait_alu 0xfffe
	s_and_saveexec_b32 s9, s0
	s_cbranch_execz .LBB143_317
; %bb.319:                              ;   in Loop: Header=BB143_318 Depth=1
	v_add_co_u32 v0, vcc_lo, v2, s48
	s_wait_alu 0xfffd
	v_add_co_ci_u32_e64 v1, null, 0, v3, vcc_lo
	v_add_co_u32 v12, s0, v12, s54
	s_wait_alu 0xf1ff
	v_add_co_ci_u32_e64 v13, null, s55, v13, s0
	s_delay_alu instid0(VALU_DEP_3)
	v_cmp_le_u64_e32 vcc_lo, s[28:29], v[0:1]
	s_and_not1_b32 s0, s8, exec_lo
	s_and_not1_b32 s7, s7, exec_lo
	s_and_b32 s8, vcc_lo, exec_lo
	s_wait_alu 0xfffe
	s_or_b32 s8, s0, s8
	s_branch .LBB143_317
.LBB143_320:
	s_or_b32 exec_lo, exec_lo, s2
	s_wait_alu 0xfffe
	s_and_saveexec_b32 s0, s5
	s_wait_alu 0xfffe
	s_xor_b32 s0, exec_lo, s0
	s_cbranch_execz .LBB143_322
; %bb.321:
	s_mul_u64 s[6:7], s[42:43], s[38:39]
	v_mov_b32_e32 v0, 0
	s_wait_alu 0xfffe
	s_lshl_b64 s[6:7], s[6:7], 3
	s_lshl_b64 s[8:9], s[34:35], 3
	s_wait_alu 0xfffe
	s_add_nc_u64 s[6:7], s[44:45], s[6:7]
	s_wait_alu 0xfffe
	s_add_nc_u64 s[6:7], s[6:7], s[8:9]
	global_store_b64 v0, v[2:3], s[6:7]
.LBB143_322:
	s_wait_alu 0xfffe
	s_or_b32 exec_lo, exec_lo, s4
.LBB143_323:
	s_wait_alu 0xfffe
	s_or_saveexec_b32 s0, s3
	s_mov_b32 s2, 0
	s_wait_alu 0xfffe
	s_xor_b32 exec_lo, exec_lo, s0
	s_cbranch_execnz .LBB143_326
.LBB143_324:
	s_or_b32 exec_lo, exec_lo, s0
	s_wait_alu 0xfffe
	s_and_b32 s0, s2, exec_lo
	s_and_not1_saveexec_b32 s1, s1
	s_cbranch_execz .LBB143_309
.LBB143_325:
	s_wait_alu 0xfffe
	s_or_b32 s0, s0, exec_lo
	s_trap 2
	s_or_b32 exec_lo, exec_lo, s1
	s_wait_alu 0xfffe
	s_and_saveexec_b32 s1, s0
	s_cbranch_execnz .LBB143_310
	s_branch .LBB143_311
.LBB143_326:
	s_mov_b32 s2, exec_lo
	s_trap 2
	s_branch .LBB143_324
	.section	.rodata,"a",@progbits
	.p2align	6, 0x0
	.amdhsa_kernel _ZN2at6native12_GLOBAL__N_112gatherMedianIN3c108BFloat16EmLin1EEEvNS_4cuda6detail10TensorInfoIT_T0_EENS7_IlS9_EENS7_IKS8_S9_EES9_S9_S9_b
		.amdhsa_group_segment_fixed_size 5152
		.amdhsa_private_segment_fixed_size 0
		.amdhsa_kernarg_size 1536
		.amdhsa_user_sgpr_count 2
		.amdhsa_user_sgpr_dispatch_ptr 0
		.amdhsa_user_sgpr_queue_ptr 0
		.amdhsa_user_sgpr_kernarg_segment_ptr 1
		.amdhsa_user_sgpr_dispatch_id 0
		.amdhsa_user_sgpr_private_segment_size 0
		.amdhsa_wavefront_size32 1
		.amdhsa_uses_dynamic_stack 0
		.amdhsa_enable_private_segment 0
		.amdhsa_system_sgpr_workgroup_id_x 1
		.amdhsa_system_sgpr_workgroup_id_y 1
		.amdhsa_system_sgpr_workgroup_id_z 1
		.amdhsa_system_sgpr_workgroup_info 0
		.amdhsa_system_vgpr_workitem_id 0
		.amdhsa_next_free_vgpr 63
		.amdhsa_next_free_sgpr 104
		.amdhsa_reserve_vcc 1
		.amdhsa_float_round_mode_32 0
		.amdhsa_float_round_mode_16_64 0
		.amdhsa_float_denorm_mode_32 3
		.amdhsa_float_denorm_mode_16_64 3
		.amdhsa_fp16_overflow 0
		.amdhsa_workgroup_processor_mode 1
		.amdhsa_memory_ordered 1
		.amdhsa_forward_progress 1
		.amdhsa_inst_pref_size 173
		.amdhsa_round_robin_scheduling 0
		.amdhsa_exception_fp_ieee_invalid_op 0
		.amdhsa_exception_fp_denorm_src 0
		.amdhsa_exception_fp_ieee_div_zero 0
		.amdhsa_exception_fp_ieee_overflow 0
		.amdhsa_exception_fp_ieee_underflow 0
		.amdhsa_exception_fp_ieee_inexact 0
		.amdhsa_exception_int_div_zero 0
	.end_amdhsa_kernel
	.section	.text._ZN2at6native12_GLOBAL__N_112gatherMedianIN3c108BFloat16EmLin1EEEvNS_4cuda6detail10TensorInfoIT_T0_EENS7_IlS9_EENS7_IKS8_S9_EES9_S9_S9_b,"axG",@progbits,_ZN2at6native12_GLOBAL__N_112gatherMedianIN3c108BFloat16EmLin1EEEvNS_4cuda6detail10TensorInfoIT_T0_EENS7_IlS9_EENS7_IKS8_S9_EES9_S9_S9_b,comdat
.Lfunc_end143:
	.size	_ZN2at6native12_GLOBAL__N_112gatherMedianIN3c108BFloat16EmLin1EEEvNS_4cuda6detail10TensorInfoIT_T0_EENS7_IlS9_EENS7_IKS8_S9_EES9_S9_S9_b, .Lfunc_end143-_ZN2at6native12_GLOBAL__N_112gatherMedianIN3c108BFloat16EmLin1EEEvNS_4cuda6detail10TensorInfoIT_T0_EENS7_IlS9_EENS7_IKS8_S9_EES9_S9_S9_b
                                        ; -- End function
	.set _ZN2at6native12_GLOBAL__N_112gatherMedianIN3c108BFloat16EmLin1EEEvNS_4cuda6detail10TensorInfoIT_T0_EENS7_IlS9_EENS7_IKS8_S9_EES9_S9_S9_b.num_vgpr, 63
	.set _ZN2at6native12_GLOBAL__N_112gatherMedianIN3c108BFloat16EmLin1EEEvNS_4cuda6detail10TensorInfoIT_T0_EENS7_IlS9_EENS7_IKS8_S9_EES9_S9_S9_b.num_agpr, 0
	.set _ZN2at6native12_GLOBAL__N_112gatherMedianIN3c108BFloat16EmLin1EEEvNS_4cuda6detail10TensorInfoIT_T0_EENS7_IlS9_EENS7_IKS8_S9_EES9_S9_S9_b.numbered_sgpr, 104
	.set _ZN2at6native12_GLOBAL__N_112gatherMedianIN3c108BFloat16EmLin1EEEvNS_4cuda6detail10TensorInfoIT_T0_EENS7_IlS9_EENS7_IKS8_S9_EES9_S9_S9_b.num_named_barrier, 0
	.set _ZN2at6native12_GLOBAL__N_112gatherMedianIN3c108BFloat16EmLin1EEEvNS_4cuda6detail10TensorInfoIT_T0_EENS7_IlS9_EENS7_IKS8_S9_EES9_S9_S9_b.private_seg_size, 0
	.set _ZN2at6native12_GLOBAL__N_112gatherMedianIN3c108BFloat16EmLin1EEEvNS_4cuda6detail10TensorInfoIT_T0_EENS7_IlS9_EENS7_IKS8_S9_EES9_S9_S9_b.uses_vcc, 1
	.set _ZN2at6native12_GLOBAL__N_112gatherMedianIN3c108BFloat16EmLin1EEEvNS_4cuda6detail10TensorInfoIT_T0_EENS7_IlS9_EENS7_IKS8_S9_EES9_S9_S9_b.uses_flat_scratch, 0
	.set _ZN2at6native12_GLOBAL__N_112gatherMedianIN3c108BFloat16EmLin1EEEvNS_4cuda6detail10TensorInfoIT_T0_EENS7_IlS9_EENS7_IKS8_S9_EES9_S9_S9_b.has_dyn_sized_stack, 0
	.set _ZN2at6native12_GLOBAL__N_112gatherMedianIN3c108BFloat16EmLin1EEEvNS_4cuda6detail10TensorInfoIT_T0_EENS7_IlS9_EENS7_IKS8_S9_EES9_S9_S9_b.has_recursion, 0
	.set _ZN2at6native12_GLOBAL__N_112gatherMedianIN3c108BFloat16EmLin1EEEvNS_4cuda6detail10TensorInfoIT_T0_EENS7_IlS9_EENS7_IKS8_S9_EES9_S9_S9_b.has_indirect_call, 0
	.section	.AMDGPU.csdata,"",@progbits
; Kernel info:
; codeLenInByte = 22096
; TotalNumSgprs: 106
; NumVgprs: 63
; ScratchSize: 0
; MemoryBound: 0
; FloatMode: 240
; IeeeMode: 1
; LDSByteSize: 5152 bytes/workgroup (compile time only)
; SGPRBlocks: 0
; VGPRBlocks: 7
; NumSGPRsForWavesPerEU: 106
; NumVGPRsForWavesPerEU: 63
; Occupancy: 16
; WaveLimiterHint : 1
; COMPUTE_PGM_RSRC2:SCRATCH_EN: 0
; COMPUTE_PGM_RSRC2:USER_SGPR: 2
; COMPUTE_PGM_RSRC2:TRAP_HANDLER: 0
; COMPUTE_PGM_RSRC2:TGID_X_EN: 1
; COMPUTE_PGM_RSRC2:TGID_Y_EN: 1
; COMPUTE_PGM_RSRC2:TGID_Z_EN: 1
; COMPUTE_PGM_RSRC2:TIDIG_COMP_CNT: 0
	.section	.AMDGPU.gpr_maximums,"",@progbits
	.set amdgpu.max_num_vgpr, 0
	.set amdgpu.max_num_agpr, 0
	.set amdgpu.max_num_sgpr, 0
	.section	.AMDGPU.csdata,"",@progbits
	.type	__hip_cuid_212ea2f128634248,@object ; @__hip_cuid_212ea2f128634248
	.section	.bss,"aw",@nobits
	.globl	__hip_cuid_212ea2f128634248
__hip_cuid_212ea2f128634248:
	.byte	0                               ; 0x0
	.size	__hip_cuid_212ea2f128634248, 1

	.ident	"AMD clang version 22.0.0git (https://github.com/RadeonOpenCompute/llvm-project roc-7.2.4 26084 f58b06dce1f9c15707c5f808fd002e18c2accf7e)"
	.section	".note.GNU-stack","",@progbits
	.addrsig
	.addrsig_sym __hip_cuid_212ea2f128634248
	.amdgpu_metadata
---
amdhsa.kernels:
  - .args:
      - .offset:         0
        .size:           216
        .value_kind:     by_value
      - .offset:         216
        .size:           4
        .value_kind:     by_value
      - .offset:         220
        .size:           4
        .value_kind:     by_value
      - .offset:         224
        .size:           4
        .value_kind:     by_value
      - .offset:         228
        .size:           4
        .value_kind:     by_value
      - .offset:         232
        .size:           216
        .value_kind:     by_value
      - .offset:         448
        .size:           216
        .value_kind:     by_value
      - .offset:         664
        .size:           4
        .value_kind:     hidden_block_count_x
      - .offset:         668
        .size:           4
        .value_kind:     hidden_block_count_y
      - .offset:         672
        .size:           4
        .value_kind:     hidden_block_count_z
      - .offset:         676
        .size:           2
        .value_kind:     hidden_group_size_x
      - .offset:         678
        .size:           2
        .value_kind:     hidden_group_size_y
      - .offset:         680
        .size:           2
        .value_kind:     hidden_group_size_z
      - .offset:         682
        .size:           2
        .value_kind:     hidden_remainder_x
      - .offset:         684
        .size:           2
        .value_kind:     hidden_remainder_y
      - .offset:         686
        .size:           2
        .value_kind:     hidden_remainder_z
      - .offset:         704
        .size:           8
        .value_kind:     hidden_global_offset_x
      - .offset:         712
        .size:           8
        .value_kind:     hidden_global_offset_y
      - .offset:         720
        .size:           8
        .value_kind:     hidden_global_offset_z
      - .offset:         728
        .size:           2
        .value_kind:     hidden_grid_dims
    .group_segment_fixed_size: 4112
    .kernarg_segment_align: 8
    .kernarg_segment_size: 920
    .language:       OpenCL C
    .language_version:
      - 2
      - 0
    .max_flat_workgroup_size: 1024
    .name:           _ZN2at6native12_GLOBAL__N_114gatherKthValueIhiLi1EEEvNS_4cuda6detail10TensorInfoIKT_T0_EES8_S8_S8_S8_NS5_IS6_S8_EENS5_IlS8_EE
    .private_segment_fixed_size: 0
    .sgpr_count:     80
    .sgpr_spill_count: 0
    .symbol:         _ZN2at6native12_GLOBAL__N_114gatherKthValueIhiLi1EEEvNS_4cuda6detail10TensorInfoIKT_T0_EES8_S8_S8_S8_NS5_IS6_S8_EENS5_IlS8_EE.kd
    .uniform_work_group_size: 1
    .uses_dynamic_stack: false
    .vgpr_count:     40
    .vgpr_spill_count: 0
    .wavefront_size: 32
    .workgroup_processor_mode: 1
  - .args:
      - .offset:         0
        .size:           216
        .value_kind:     by_value
      - .offset:         216
        .size:           4
        .value_kind:     by_value
      - .offset:         220
        .size:           4
        .value_kind:     by_value
      - .offset:         224
        .size:           4
        .value_kind:     by_value
      - .offset:         228
        .size:           4
        .value_kind:     by_value
      - .offset:         232
        .size:           216
        .value_kind:     by_value
      - .offset:         448
        .size:           216
        .value_kind:     by_value
      - .offset:         664
        .size:           4
        .value_kind:     hidden_block_count_x
      - .offset:         668
        .size:           4
        .value_kind:     hidden_block_count_y
      - .offset:         672
        .size:           4
        .value_kind:     hidden_block_count_z
      - .offset:         676
        .size:           2
        .value_kind:     hidden_group_size_x
      - .offset:         678
        .size:           2
        .value_kind:     hidden_group_size_y
      - .offset:         680
        .size:           2
        .value_kind:     hidden_group_size_z
      - .offset:         682
        .size:           2
        .value_kind:     hidden_remainder_x
      - .offset:         684
        .size:           2
        .value_kind:     hidden_remainder_y
      - .offset:         686
        .size:           2
        .value_kind:     hidden_remainder_z
      - .offset:         704
        .size:           8
        .value_kind:     hidden_global_offset_x
      - .offset:         712
        .size:           8
        .value_kind:     hidden_global_offset_y
      - .offset:         720
        .size:           8
        .value_kind:     hidden_global_offset_z
      - .offset:         728
        .size:           2
        .value_kind:     hidden_grid_dims
    .group_segment_fixed_size: 4112
    .kernarg_segment_align: 8
    .kernarg_segment_size: 920
    .language:       OpenCL C
    .language_version:
      - 2
      - 0
    .max_flat_workgroup_size: 1024
    .name:           _ZN2at6native12_GLOBAL__N_114gatherKthValueIhiLi2EEEvNS_4cuda6detail10TensorInfoIKT_T0_EES8_S8_S8_S8_NS5_IS6_S8_EENS5_IlS8_EE
    .private_segment_fixed_size: 0
    .sgpr_count:     92
    .sgpr_spill_count: 0
    .symbol:         _ZN2at6native12_GLOBAL__N_114gatherKthValueIhiLi2EEEvNS_4cuda6detail10TensorInfoIKT_T0_EES8_S8_S8_S8_NS5_IS6_S8_EENS5_IlS8_EE.kd
    .uniform_work_group_size: 1
    .uses_dynamic_stack: false
    .vgpr_count:     40
    .vgpr_spill_count: 0
    .wavefront_size: 32
    .workgroup_processor_mode: 1
  - .args:
      - .offset:         0
        .size:           216
        .value_kind:     by_value
      - .offset:         216
        .size:           4
        .value_kind:     by_value
      - .offset:         220
        .size:           4
        .value_kind:     by_value
      - .offset:         224
        .size:           4
        .value_kind:     by_value
      - .offset:         228
        .size:           4
        .value_kind:     by_value
      - .offset:         232
        .size:           216
        .value_kind:     by_value
      - .offset:         448
        .size:           216
        .value_kind:     by_value
      - .offset:         664
        .size:           4
        .value_kind:     hidden_block_count_x
      - .offset:         668
        .size:           4
        .value_kind:     hidden_block_count_y
      - .offset:         672
        .size:           4
        .value_kind:     hidden_block_count_z
      - .offset:         676
        .size:           2
        .value_kind:     hidden_group_size_x
      - .offset:         678
        .size:           2
        .value_kind:     hidden_group_size_y
      - .offset:         680
        .size:           2
        .value_kind:     hidden_group_size_z
      - .offset:         682
        .size:           2
        .value_kind:     hidden_remainder_x
      - .offset:         684
        .size:           2
        .value_kind:     hidden_remainder_y
      - .offset:         686
        .size:           2
        .value_kind:     hidden_remainder_z
      - .offset:         704
        .size:           8
        .value_kind:     hidden_global_offset_x
      - .offset:         712
        .size:           8
        .value_kind:     hidden_global_offset_y
      - .offset:         720
        .size:           8
        .value_kind:     hidden_global_offset_z
      - .offset:         728
        .size:           2
        .value_kind:     hidden_grid_dims
    .group_segment_fixed_size: 4112
    .kernarg_segment_align: 8
    .kernarg_segment_size: 920
    .language:       OpenCL C
    .language_version:
      - 2
      - 0
    .max_flat_workgroup_size: 1024
    .name:           _ZN2at6native12_GLOBAL__N_114gatherKthValueIhiLi3EEEvNS_4cuda6detail10TensorInfoIKT_T0_EES8_S8_S8_S8_NS5_IS6_S8_EENS5_IlS8_EE
    .private_segment_fixed_size: 0
    .sgpr_count:     100
    .sgpr_spill_count: 0
    .symbol:         _ZN2at6native12_GLOBAL__N_114gatherKthValueIhiLi3EEEvNS_4cuda6detail10TensorInfoIKT_T0_EES8_S8_S8_S8_NS5_IS6_S8_EENS5_IlS8_EE.kd
    .uniform_work_group_size: 1
    .uses_dynamic_stack: false
    .vgpr_count:     40
    .vgpr_spill_count: 0
    .wavefront_size: 32
    .workgroup_processor_mode: 1
  - .args:
      - .offset:         0
        .size:           216
        .value_kind:     by_value
      - .offset:         216
        .size:           4
        .value_kind:     by_value
      - .offset:         220
        .size:           4
        .value_kind:     by_value
      - .offset:         224
        .size:           4
        .value_kind:     by_value
      - .offset:         228
        .size:           4
        .value_kind:     by_value
      - .offset:         232
        .size:           216
        .value_kind:     by_value
      - .offset:         448
        .size:           216
        .value_kind:     by_value
      - .offset:         664
        .size:           4
        .value_kind:     hidden_block_count_x
      - .offset:         668
        .size:           4
        .value_kind:     hidden_block_count_y
      - .offset:         672
        .size:           4
        .value_kind:     hidden_block_count_z
      - .offset:         676
        .size:           2
        .value_kind:     hidden_group_size_x
      - .offset:         678
        .size:           2
        .value_kind:     hidden_group_size_y
      - .offset:         680
        .size:           2
        .value_kind:     hidden_group_size_z
      - .offset:         682
        .size:           2
        .value_kind:     hidden_remainder_x
      - .offset:         684
        .size:           2
        .value_kind:     hidden_remainder_y
      - .offset:         686
        .size:           2
        .value_kind:     hidden_remainder_z
      - .offset:         704
        .size:           8
        .value_kind:     hidden_global_offset_x
      - .offset:         712
        .size:           8
        .value_kind:     hidden_global_offset_y
      - .offset:         720
        .size:           8
        .value_kind:     hidden_global_offset_z
      - .offset:         728
        .size:           2
        .value_kind:     hidden_grid_dims
    .group_segment_fixed_size: 4112
    .kernarg_segment_align: 8
    .kernarg_segment_size: 920
    .language:       OpenCL C
    .language_version:
      - 2
      - 0
    .max_flat_workgroup_size: 1024
    .name:           _ZN2at6native12_GLOBAL__N_114gatherKthValueIhiLin1EEEvNS_4cuda6detail10TensorInfoIKT_T0_EES8_S8_S8_S8_NS5_IS6_S8_EENS5_IlS8_EE
    .private_segment_fixed_size: 0
    .sgpr_count:     83
    .sgpr_spill_count: 0
    .symbol:         _ZN2at6native12_GLOBAL__N_114gatherKthValueIhiLin1EEEvNS_4cuda6detail10TensorInfoIKT_T0_EES8_S8_S8_S8_NS5_IS6_S8_EENS5_IlS8_EE.kd
    .uniform_work_group_size: 1
    .uses_dynamic_stack: false
    .vgpr_count:     40
    .vgpr_spill_count: 0
    .wavefront_size: 32
    .workgroup_processor_mode: 1
  - .args:
      - .offset:         0
        .size:           416
        .value_kind:     by_value
      - .offset:         416
        .size:           8
        .value_kind:     by_value
      - .offset:         424
        .size:           8
        .value_kind:     by_value
      - .offset:         432
        .size:           8
        .value_kind:     by_value
      - .offset:         440
        .size:           8
        .value_kind:     by_value
      - .offset:         448
        .size:           416
        .value_kind:     by_value
      - .offset:         864
        .size:           416
        .value_kind:     by_value
      - .offset:         1280
        .size:           4
        .value_kind:     hidden_block_count_x
      - .offset:         1284
        .size:           4
        .value_kind:     hidden_block_count_y
      - .offset:         1288
        .size:           4
        .value_kind:     hidden_block_count_z
      - .offset:         1292
        .size:           2
        .value_kind:     hidden_group_size_x
      - .offset:         1294
        .size:           2
        .value_kind:     hidden_group_size_y
      - .offset:         1296
        .size:           2
        .value_kind:     hidden_group_size_z
      - .offset:         1298
        .size:           2
        .value_kind:     hidden_remainder_x
      - .offset:         1300
        .size:           2
        .value_kind:     hidden_remainder_y
      - .offset:         1302
        .size:           2
        .value_kind:     hidden_remainder_z
      - .offset:         1320
        .size:           8
        .value_kind:     hidden_global_offset_x
      - .offset:         1328
        .size:           8
        .value_kind:     hidden_global_offset_y
      - .offset:         1336
        .size:           8
        .value_kind:     hidden_global_offset_z
      - .offset:         1344
        .size:           2
        .value_kind:     hidden_grid_dims
    .group_segment_fixed_size: 5144
    .kernarg_segment_align: 8
    .kernarg_segment_size: 1536
    .language:       OpenCL C
    .language_version:
      - 2
      - 0
    .max_flat_workgroup_size: 1024
    .name:           _ZN2at6native12_GLOBAL__N_114gatherKthValueIhlLi1EEEvNS_4cuda6detail10TensorInfoIKT_T0_EES8_S8_S8_S8_NS5_IS6_S8_EENS5_IlS8_EE
    .private_segment_fixed_size: 0
    .sgpr_count:     105
    .sgpr_spill_count: 0
    .symbol:         _ZN2at6native12_GLOBAL__N_114gatherKthValueIhlLi1EEEvNS_4cuda6detail10TensorInfoIKT_T0_EES8_S8_S8_S8_NS5_IS6_S8_EENS5_IlS8_EE.kd
    .uniform_work_group_size: 1
    .uses_dynamic_stack: false
    .vgpr_count:     59
    .vgpr_spill_count: 0
    .wavefront_size: 32
    .workgroup_processor_mode: 1
  - .args:
      - .offset:         0
        .size:           416
        .value_kind:     by_value
      - .offset:         416
        .size:           8
        .value_kind:     by_value
      - .offset:         424
        .size:           8
        .value_kind:     by_value
      - .offset:         432
        .size:           8
        .value_kind:     by_value
      - .offset:         440
        .size:           8
        .value_kind:     by_value
      - .offset:         448
        .size:           416
        .value_kind:     by_value
      - .offset:         864
        .size:           416
        .value_kind:     by_value
      - .offset:         1280
        .size:           4
        .value_kind:     hidden_block_count_x
      - .offset:         1284
        .size:           4
        .value_kind:     hidden_block_count_y
      - .offset:         1288
        .size:           4
        .value_kind:     hidden_block_count_z
      - .offset:         1292
        .size:           2
        .value_kind:     hidden_group_size_x
      - .offset:         1294
        .size:           2
        .value_kind:     hidden_group_size_y
      - .offset:         1296
        .size:           2
        .value_kind:     hidden_group_size_z
      - .offset:         1298
        .size:           2
        .value_kind:     hidden_remainder_x
      - .offset:         1300
        .size:           2
        .value_kind:     hidden_remainder_y
      - .offset:         1302
        .size:           2
        .value_kind:     hidden_remainder_z
      - .offset:         1320
        .size:           8
        .value_kind:     hidden_global_offset_x
      - .offset:         1328
        .size:           8
        .value_kind:     hidden_global_offset_y
      - .offset:         1336
        .size:           8
        .value_kind:     hidden_global_offset_z
      - .offset:         1344
        .size:           2
        .value_kind:     hidden_grid_dims
    .group_segment_fixed_size: 5144
    .kernarg_segment_align: 8
    .kernarg_segment_size: 1536
    .language:       OpenCL C
    .language_version:
      - 2
      - 0
    .max_flat_workgroup_size: 1024
    .name:           _ZN2at6native12_GLOBAL__N_114gatherKthValueIhlLi2EEEvNS_4cuda6detail10TensorInfoIKT_T0_EES8_S8_S8_S8_NS5_IS6_S8_EENS5_IlS8_EE
    .private_segment_fixed_size: 0
    .sgpr_count:     107
    .sgpr_spill_count: 8
    .symbol:         _ZN2at6native12_GLOBAL__N_114gatherKthValueIhlLi2EEEvNS_4cuda6detail10TensorInfoIKT_T0_EES8_S8_S8_S8_NS5_IS6_S8_EENS5_IlS8_EE.kd
    .uniform_work_group_size: 1
    .uses_dynamic_stack: false
    .vgpr_count:     62
    .vgpr_spill_count: 0
    .wavefront_size: 32
    .workgroup_processor_mode: 1
  - .args:
      - .offset:         0
        .size:           416
        .value_kind:     by_value
      - .offset:         416
        .size:           8
        .value_kind:     by_value
      - .offset:         424
        .size:           8
        .value_kind:     by_value
      - .offset:         432
        .size:           8
        .value_kind:     by_value
      - .offset:         440
        .size:           8
        .value_kind:     by_value
      - .offset:         448
        .size:           416
        .value_kind:     by_value
      - .offset:         864
        .size:           416
        .value_kind:     by_value
      - .offset:         1280
        .size:           4
        .value_kind:     hidden_block_count_x
      - .offset:         1284
        .size:           4
        .value_kind:     hidden_block_count_y
      - .offset:         1288
        .size:           4
        .value_kind:     hidden_block_count_z
      - .offset:         1292
        .size:           2
        .value_kind:     hidden_group_size_x
      - .offset:         1294
        .size:           2
        .value_kind:     hidden_group_size_y
      - .offset:         1296
        .size:           2
        .value_kind:     hidden_group_size_z
      - .offset:         1298
        .size:           2
        .value_kind:     hidden_remainder_x
      - .offset:         1300
        .size:           2
        .value_kind:     hidden_remainder_y
      - .offset:         1302
        .size:           2
        .value_kind:     hidden_remainder_z
      - .offset:         1320
        .size:           8
        .value_kind:     hidden_global_offset_x
      - .offset:         1328
        .size:           8
        .value_kind:     hidden_global_offset_y
      - .offset:         1336
        .size:           8
        .value_kind:     hidden_global_offset_z
      - .offset:         1344
        .size:           2
        .value_kind:     hidden_grid_dims
    .group_segment_fixed_size: 5144
    .kernarg_segment_align: 8
    .kernarg_segment_size: 1536
    .language:       OpenCL C
    .language_version:
      - 2
      - 0
    .max_flat_workgroup_size: 1024
    .name:           _ZN2at6native12_GLOBAL__N_114gatherKthValueIhlLi3EEEvNS_4cuda6detail10TensorInfoIKT_T0_EES8_S8_S8_S8_NS5_IS6_S8_EENS5_IlS8_EE
    .private_segment_fixed_size: 0
    .sgpr_count:     107
    .sgpr_spill_count: 17
    .symbol:         _ZN2at6native12_GLOBAL__N_114gatherKthValueIhlLi3EEEvNS_4cuda6detail10TensorInfoIKT_T0_EES8_S8_S8_S8_NS5_IS6_S8_EENS5_IlS8_EE.kd
    .uniform_work_group_size: 1
    .uses_dynamic_stack: false
    .vgpr_count:     62
    .vgpr_spill_count: 0
    .wavefront_size: 32
    .workgroup_processor_mode: 1
  - .args:
      - .offset:         0
        .size:           416
        .value_kind:     by_value
      - .offset:         416
        .size:           8
        .value_kind:     by_value
      - .offset:         424
        .size:           8
        .value_kind:     by_value
      - .offset:         432
        .size:           8
        .value_kind:     by_value
      - .offset:         440
        .size:           8
        .value_kind:     by_value
      - .offset:         448
        .size:           416
        .value_kind:     by_value
      - .offset:         864
        .size:           416
        .value_kind:     by_value
      - .offset:         1280
        .size:           4
        .value_kind:     hidden_block_count_x
      - .offset:         1284
        .size:           4
        .value_kind:     hidden_block_count_y
      - .offset:         1288
        .size:           4
        .value_kind:     hidden_block_count_z
      - .offset:         1292
        .size:           2
        .value_kind:     hidden_group_size_x
      - .offset:         1294
        .size:           2
        .value_kind:     hidden_group_size_y
      - .offset:         1296
        .size:           2
        .value_kind:     hidden_group_size_z
      - .offset:         1298
        .size:           2
        .value_kind:     hidden_remainder_x
      - .offset:         1300
        .size:           2
        .value_kind:     hidden_remainder_y
      - .offset:         1302
        .size:           2
        .value_kind:     hidden_remainder_z
      - .offset:         1320
        .size:           8
        .value_kind:     hidden_global_offset_x
      - .offset:         1328
        .size:           8
        .value_kind:     hidden_global_offset_y
      - .offset:         1336
        .size:           8
        .value_kind:     hidden_global_offset_z
      - .offset:         1344
        .size:           2
        .value_kind:     hidden_grid_dims
    .group_segment_fixed_size: 5144
    .kernarg_segment_align: 8
    .kernarg_segment_size: 1536
    .language:       OpenCL C
    .language_version:
      - 2
      - 0
    .max_flat_workgroup_size: 1024
    .name:           _ZN2at6native12_GLOBAL__N_114gatherKthValueIhlLin1EEEvNS_4cuda6detail10TensorInfoIKT_T0_EES8_S8_S8_S8_NS5_IS6_S8_EENS5_IlS8_EE
    .private_segment_fixed_size: 0
    .sgpr_count:     107
    .sgpr_spill_count: 0
    .symbol:         _ZN2at6native12_GLOBAL__N_114gatherKthValueIhlLin1EEEvNS_4cuda6detail10TensorInfoIKT_T0_EES8_S8_S8_S8_NS5_IS6_S8_EENS5_IlS8_EE.kd
    .uniform_work_group_size: 1
    .uses_dynamic_stack: false
    .vgpr_count:     61
    .vgpr_spill_count: 0
    .wavefront_size: 32
    .workgroup_processor_mode: 1
  - .args:
      - .offset:         0
        .size:           216
        .value_kind:     by_value
      - .offset:         216
        .size:           4
        .value_kind:     by_value
      - .offset:         220
        .size:           4
        .value_kind:     by_value
      - .offset:         224
        .size:           4
        .value_kind:     by_value
      - .offset:         228
        .size:           4
        .value_kind:     by_value
      - .offset:         232
        .size:           216
        .value_kind:     by_value
      - .offset:         448
        .size:           216
        .value_kind:     by_value
      - .offset:         664
        .size:           4
        .value_kind:     hidden_block_count_x
      - .offset:         668
        .size:           4
        .value_kind:     hidden_block_count_y
      - .offset:         672
        .size:           4
        .value_kind:     hidden_block_count_z
      - .offset:         676
        .size:           2
        .value_kind:     hidden_group_size_x
      - .offset:         678
        .size:           2
        .value_kind:     hidden_group_size_y
      - .offset:         680
        .size:           2
        .value_kind:     hidden_group_size_z
      - .offset:         682
        .size:           2
        .value_kind:     hidden_remainder_x
      - .offset:         684
        .size:           2
        .value_kind:     hidden_remainder_y
      - .offset:         686
        .size:           2
        .value_kind:     hidden_remainder_z
      - .offset:         704
        .size:           8
        .value_kind:     hidden_global_offset_x
      - .offset:         712
        .size:           8
        .value_kind:     hidden_global_offset_y
      - .offset:         720
        .size:           8
        .value_kind:     hidden_global_offset_z
      - .offset:         728
        .size:           2
        .value_kind:     hidden_grid_dims
    .group_segment_fixed_size: 4112
    .kernarg_segment_align: 8
    .kernarg_segment_size: 920
    .language:       OpenCL C
    .language_version:
      - 2
      - 0
    .max_flat_workgroup_size: 1024
    .name:           _ZN2at6native12_GLOBAL__N_114gatherKthValueIaiLi1EEEvNS_4cuda6detail10TensorInfoIKT_T0_EES8_S8_S8_S8_NS5_IS6_S8_EENS5_IlS8_EE
    .private_segment_fixed_size: 0
    .sgpr_count:     80
    .sgpr_spill_count: 0
    .symbol:         _ZN2at6native12_GLOBAL__N_114gatherKthValueIaiLi1EEEvNS_4cuda6detail10TensorInfoIKT_T0_EES8_S8_S8_S8_NS5_IS6_S8_EENS5_IlS8_EE.kd
    .uniform_work_group_size: 1
    .uses_dynamic_stack: false
    .vgpr_count:     40
    .vgpr_spill_count: 0
    .wavefront_size: 32
    .workgroup_processor_mode: 1
  - .args:
      - .offset:         0
        .size:           216
        .value_kind:     by_value
      - .offset:         216
        .size:           4
        .value_kind:     by_value
      - .offset:         220
        .size:           4
        .value_kind:     by_value
      - .offset:         224
        .size:           4
        .value_kind:     by_value
      - .offset:         228
        .size:           4
        .value_kind:     by_value
      - .offset:         232
        .size:           216
        .value_kind:     by_value
      - .offset:         448
        .size:           216
        .value_kind:     by_value
      - .offset:         664
        .size:           4
        .value_kind:     hidden_block_count_x
      - .offset:         668
        .size:           4
        .value_kind:     hidden_block_count_y
      - .offset:         672
        .size:           4
        .value_kind:     hidden_block_count_z
      - .offset:         676
        .size:           2
        .value_kind:     hidden_group_size_x
      - .offset:         678
        .size:           2
        .value_kind:     hidden_group_size_y
      - .offset:         680
        .size:           2
        .value_kind:     hidden_group_size_z
      - .offset:         682
        .size:           2
        .value_kind:     hidden_remainder_x
      - .offset:         684
        .size:           2
        .value_kind:     hidden_remainder_y
      - .offset:         686
        .size:           2
        .value_kind:     hidden_remainder_z
      - .offset:         704
        .size:           8
        .value_kind:     hidden_global_offset_x
      - .offset:         712
        .size:           8
        .value_kind:     hidden_global_offset_y
      - .offset:         720
        .size:           8
        .value_kind:     hidden_global_offset_z
      - .offset:         728
        .size:           2
        .value_kind:     hidden_grid_dims
    .group_segment_fixed_size: 4112
    .kernarg_segment_align: 8
    .kernarg_segment_size: 920
    .language:       OpenCL C
    .language_version:
      - 2
      - 0
    .max_flat_workgroup_size: 1024
    .name:           _ZN2at6native12_GLOBAL__N_114gatherKthValueIaiLi2EEEvNS_4cuda6detail10TensorInfoIKT_T0_EES8_S8_S8_S8_NS5_IS6_S8_EENS5_IlS8_EE
    .private_segment_fixed_size: 0
    .sgpr_count:     92
    .sgpr_spill_count: 0
    .symbol:         _ZN2at6native12_GLOBAL__N_114gatherKthValueIaiLi2EEEvNS_4cuda6detail10TensorInfoIKT_T0_EES8_S8_S8_S8_NS5_IS6_S8_EENS5_IlS8_EE.kd
    .uniform_work_group_size: 1
    .uses_dynamic_stack: false
    .vgpr_count:     40
    .vgpr_spill_count: 0
    .wavefront_size: 32
    .workgroup_processor_mode: 1
  - .args:
      - .offset:         0
        .size:           216
        .value_kind:     by_value
      - .offset:         216
        .size:           4
        .value_kind:     by_value
      - .offset:         220
        .size:           4
        .value_kind:     by_value
      - .offset:         224
        .size:           4
        .value_kind:     by_value
      - .offset:         228
        .size:           4
        .value_kind:     by_value
      - .offset:         232
        .size:           216
        .value_kind:     by_value
      - .offset:         448
        .size:           216
        .value_kind:     by_value
      - .offset:         664
        .size:           4
        .value_kind:     hidden_block_count_x
      - .offset:         668
        .size:           4
        .value_kind:     hidden_block_count_y
      - .offset:         672
        .size:           4
        .value_kind:     hidden_block_count_z
      - .offset:         676
        .size:           2
        .value_kind:     hidden_group_size_x
      - .offset:         678
        .size:           2
        .value_kind:     hidden_group_size_y
      - .offset:         680
        .size:           2
        .value_kind:     hidden_group_size_z
      - .offset:         682
        .size:           2
        .value_kind:     hidden_remainder_x
      - .offset:         684
        .size:           2
        .value_kind:     hidden_remainder_y
      - .offset:         686
        .size:           2
        .value_kind:     hidden_remainder_z
      - .offset:         704
        .size:           8
        .value_kind:     hidden_global_offset_x
      - .offset:         712
        .size:           8
        .value_kind:     hidden_global_offset_y
      - .offset:         720
        .size:           8
        .value_kind:     hidden_global_offset_z
      - .offset:         728
        .size:           2
        .value_kind:     hidden_grid_dims
    .group_segment_fixed_size: 4112
    .kernarg_segment_align: 8
    .kernarg_segment_size: 920
    .language:       OpenCL C
    .language_version:
      - 2
      - 0
    .max_flat_workgroup_size: 1024
    .name:           _ZN2at6native12_GLOBAL__N_114gatherKthValueIaiLi3EEEvNS_4cuda6detail10TensorInfoIKT_T0_EES8_S8_S8_S8_NS5_IS6_S8_EENS5_IlS8_EE
    .private_segment_fixed_size: 0
    .sgpr_count:     100
    .sgpr_spill_count: 0
    .symbol:         _ZN2at6native12_GLOBAL__N_114gatherKthValueIaiLi3EEEvNS_4cuda6detail10TensorInfoIKT_T0_EES8_S8_S8_S8_NS5_IS6_S8_EENS5_IlS8_EE.kd
    .uniform_work_group_size: 1
    .uses_dynamic_stack: false
    .vgpr_count:     40
    .vgpr_spill_count: 0
    .wavefront_size: 32
    .workgroup_processor_mode: 1
  - .args:
      - .offset:         0
        .size:           216
        .value_kind:     by_value
      - .offset:         216
        .size:           4
        .value_kind:     by_value
      - .offset:         220
        .size:           4
        .value_kind:     by_value
      - .offset:         224
        .size:           4
        .value_kind:     by_value
      - .offset:         228
        .size:           4
        .value_kind:     by_value
      - .offset:         232
        .size:           216
        .value_kind:     by_value
      - .offset:         448
        .size:           216
        .value_kind:     by_value
      - .offset:         664
        .size:           4
        .value_kind:     hidden_block_count_x
      - .offset:         668
        .size:           4
        .value_kind:     hidden_block_count_y
      - .offset:         672
        .size:           4
        .value_kind:     hidden_block_count_z
      - .offset:         676
        .size:           2
        .value_kind:     hidden_group_size_x
      - .offset:         678
        .size:           2
        .value_kind:     hidden_group_size_y
      - .offset:         680
        .size:           2
        .value_kind:     hidden_group_size_z
      - .offset:         682
        .size:           2
        .value_kind:     hidden_remainder_x
      - .offset:         684
        .size:           2
        .value_kind:     hidden_remainder_y
      - .offset:         686
        .size:           2
        .value_kind:     hidden_remainder_z
      - .offset:         704
        .size:           8
        .value_kind:     hidden_global_offset_x
      - .offset:         712
        .size:           8
        .value_kind:     hidden_global_offset_y
      - .offset:         720
        .size:           8
        .value_kind:     hidden_global_offset_z
      - .offset:         728
        .size:           2
        .value_kind:     hidden_grid_dims
    .group_segment_fixed_size: 4112
    .kernarg_segment_align: 8
    .kernarg_segment_size: 920
    .language:       OpenCL C
    .language_version:
      - 2
      - 0
    .max_flat_workgroup_size: 1024
    .name:           _ZN2at6native12_GLOBAL__N_114gatherKthValueIaiLin1EEEvNS_4cuda6detail10TensorInfoIKT_T0_EES8_S8_S8_S8_NS5_IS6_S8_EENS5_IlS8_EE
    .private_segment_fixed_size: 0
    .sgpr_count:     83
    .sgpr_spill_count: 0
    .symbol:         _ZN2at6native12_GLOBAL__N_114gatherKthValueIaiLin1EEEvNS_4cuda6detail10TensorInfoIKT_T0_EES8_S8_S8_S8_NS5_IS6_S8_EENS5_IlS8_EE.kd
    .uniform_work_group_size: 1
    .uses_dynamic_stack: false
    .vgpr_count:     40
    .vgpr_spill_count: 0
    .wavefront_size: 32
    .workgroup_processor_mode: 1
  - .args:
      - .offset:         0
        .size:           416
        .value_kind:     by_value
      - .offset:         416
        .size:           8
        .value_kind:     by_value
      - .offset:         424
        .size:           8
        .value_kind:     by_value
      - .offset:         432
        .size:           8
        .value_kind:     by_value
      - .offset:         440
        .size:           8
        .value_kind:     by_value
      - .offset:         448
        .size:           416
        .value_kind:     by_value
      - .offset:         864
        .size:           416
        .value_kind:     by_value
      - .offset:         1280
        .size:           4
        .value_kind:     hidden_block_count_x
      - .offset:         1284
        .size:           4
        .value_kind:     hidden_block_count_y
      - .offset:         1288
        .size:           4
        .value_kind:     hidden_block_count_z
      - .offset:         1292
        .size:           2
        .value_kind:     hidden_group_size_x
      - .offset:         1294
        .size:           2
        .value_kind:     hidden_group_size_y
      - .offset:         1296
        .size:           2
        .value_kind:     hidden_group_size_z
      - .offset:         1298
        .size:           2
        .value_kind:     hidden_remainder_x
      - .offset:         1300
        .size:           2
        .value_kind:     hidden_remainder_y
      - .offset:         1302
        .size:           2
        .value_kind:     hidden_remainder_z
      - .offset:         1320
        .size:           8
        .value_kind:     hidden_global_offset_x
      - .offset:         1328
        .size:           8
        .value_kind:     hidden_global_offset_y
      - .offset:         1336
        .size:           8
        .value_kind:     hidden_global_offset_z
      - .offset:         1344
        .size:           2
        .value_kind:     hidden_grid_dims
    .group_segment_fixed_size: 5144
    .kernarg_segment_align: 8
    .kernarg_segment_size: 1536
    .language:       OpenCL C
    .language_version:
      - 2
      - 0
    .max_flat_workgroup_size: 1024
    .name:           _ZN2at6native12_GLOBAL__N_114gatherKthValueIalLi1EEEvNS_4cuda6detail10TensorInfoIKT_T0_EES8_S8_S8_S8_NS5_IS6_S8_EENS5_IlS8_EE
    .private_segment_fixed_size: 0
    .sgpr_count:     105
    .sgpr_spill_count: 0
    .symbol:         _ZN2at6native12_GLOBAL__N_114gatherKthValueIalLi1EEEvNS_4cuda6detail10TensorInfoIKT_T0_EES8_S8_S8_S8_NS5_IS6_S8_EENS5_IlS8_EE.kd
    .uniform_work_group_size: 1
    .uses_dynamic_stack: false
    .vgpr_count:     59
    .vgpr_spill_count: 0
    .wavefront_size: 32
    .workgroup_processor_mode: 1
  - .args:
      - .offset:         0
        .size:           416
        .value_kind:     by_value
      - .offset:         416
        .size:           8
        .value_kind:     by_value
      - .offset:         424
        .size:           8
        .value_kind:     by_value
      - .offset:         432
        .size:           8
        .value_kind:     by_value
      - .offset:         440
        .size:           8
        .value_kind:     by_value
      - .offset:         448
        .size:           416
        .value_kind:     by_value
      - .offset:         864
        .size:           416
        .value_kind:     by_value
      - .offset:         1280
        .size:           4
        .value_kind:     hidden_block_count_x
      - .offset:         1284
        .size:           4
        .value_kind:     hidden_block_count_y
      - .offset:         1288
        .size:           4
        .value_kind:     hidden_block_count_z
      - .offset:         1292
        .size:           2
        .value_kind:     hidden_group_size_x
      - .offset:         1294
        .size:           2
        .value_kind:     hidden_group_size_y
      - .offset:         1296
        .size:           2
        .value_kind:     hidden_group_size_z
      - .offset:         1298
        .size:           2
        .value_kind:     hidden_remainder_x
      - .offset:         1300
        .size:           2
        .value_kind:     hidden_remainder_y
      - .offset:         1302
        .size:           2
        .value_kind:     hidden_remainder_z
      - .offset:         1320
        .size:           8
        .value_kind:     hidden_global_offset_x
      - .offset:         1328
        .size:           8
        .value_kind:     hidden_global_offset_y
      - .offset:         1336
        .size:           8
        .value_kind:     hidden_global_offset_z
      - .offset:         1344
        .size:           2
        .value_kind:     hidden_grid_dims
    .group_segment_fixed_size: 5144
    .kernarg_segment_align: 8
    .kernarg_segment_size: 1536
    .language:       OpenCL C
    .language_version:
      - 2
      - 0
    .max_flat_workgroup_size: 1024
    .name:           _ZN2at6native12_GLOBAL__N_114gatherKthValueIalLi2EEEvNS_4cuda6detail10TensorInfoIKT_T0_EES8_S8_S8_S8_NS5_IS6_S8_EENS5_IlS8_EE
    .private_segment_fixed_size: 0
    .sgpr_count:     107
    .sgpr_spill_count: 8
    .symbol:         _ZN2at6native12_GLOBAL__N_114gatherKthValueIalLi2EEEvNS_4cuda6detail10TensorInfoIKT_T0_EES8_S8_S8_S8_NS5_IS6_S8_EENS5_IlS8_EE.kd
    .uniform_work_group_size: 1
    .uses_dynamic_stack: false
    .vgpr_count:     62
    .vgpr_spill_count: 0
    .wavefront_size: 32
    .workgroup_processor_mode: 1
  - .args:
      - .offset:         0
        .size:           416
        .value_kind:     by_value
      - .offset:         416
        .size:           8
        .value_kind:     by_value
      - .offset:         424
        .size:           8
        .value_kind:     by_value
      - .offset:         432
        .size:           8
        .value_kind:     by_value
      - .offset:         440
        .size:           8
        .value_kind:     by_value
      - .offset:         448
        .size:           416
        .value_kind:     by_value
      - .offset:         864
        .size:           416
        .value_kind:     by_value
      - .offset:         1280
        .size:           4
        .value_kind:     hidden_block_count_x
      - .offset:         1284
        .size:           4
        .value_kind:     hidden_block_count_y
      - .offset:         1288
        .size:           4
        .value_kind:     hidden_block_count_z
      - .offset:         1292
        .size:           2
        .value_kind:     hidden_group_size_x
      - .offset:         1294
        .size:           2
        .value_kind:     hidden_group_size_y
      - .offset:         1296
        .size:           2
        .value_kind:     hidden_group_size_z
      - .offset:         1298
        .size:           2
        .value_kind:     hidden_remainder_x
      - .offset:         1300
        .size:           2
        .value_kind:     hidden_remainder_y
      - .offset:         1302
        .size:           2
        .value_kind:     hidden_remainder_z
      - .offset:         1320
        .size:           8
        .value_kind:     hidden_global_offset_x
      - .offset:         1328
        .size:           8
        .value_kind:     hidden_global_offset_y
      - .offset:         1336
        .size:           8
        .value_kind:     hidden_global_offset_z
      - .offset:         1344
        .size:           2
        .value_kind:     hidden_grid_dims
    .group_segment_fixed_size: 5144
    .kernarg_segment_align: 8
    .kernarg_segment_size: 1536
    .language:       OpenCL C
    .language_version:
      - 2
      - 0
    .max_flat_workgroup_size: 1024
    .name:           _ZN2at6native12_GLOBAL__N_114gatherKthValueIalLi3EEEvNS_4cuda6detail10TensorInfoIKT_T0_EES8_S8_S8_S8_NS5_IS6_S8_EENS5_IlS8_EE
    .private_segment_fixed_size: 0
    .sgpr_count:     107
    .sgpr_spill_count: 17
    .symbol:         _ZN2at6native12_GLOBAL__N_114gatherKthValueIalLi3EEEvNS_4cuda6detail10TensorInfoIKT_T0_EES8_S8_S8_S8_NS5_IS6_S8_EENS5_IlS8_EE.kd
    .uniform_work_group_size: 1
    .uses_dynamic_stack: false
    .vgpr_count:     62
    .vgpr_spill_count: 0
    .wavefront_size: 32
    .workgroup_processor_mode: 1
  - .args:
      - .offset:         0
        .size:           416
        .value_kind:     by_value
      - .offset:         416
        .size:           8
        .value_kind:     by_value
      - .offset:         424
        .size:           8
        .value_kind:     by_value
      - .offset:         432
        .size:           8
        .value_kind:     by_value
      - .offset:         440
        .size:           8
        .value_kind:     by_value
      - .offset:         448
        .size:           416
        .value_kind:     by_value
      - .offset:         864
        .size:           416
        .value_kind:     by_value
      - .offset:         1280
        .size:           4
        .value_kind:     hidden_block_count_x
      - .offset:         1284
        .size:           4
        .value_kind:     hidden_block_count_y
      - .offset:         1288
        .size:           4
        .value_kind:     hidden_block_count_z
      - .offset:         1292
        .size:           2
        .value_kind:     hidden_group_size_x
      - .offset:         1294
        .size:           2
        .value_kind:     hidden_group_size_y
      - .offset:         1296
        .size:           2
        .value_kind:     hidden_group_size_z
      - .offset:         1298
        .size:           2
        .value_kind:     hidden_remainder_x
      - .offset:         1300
        .size:           2
        .value_kind:     hidden_remainder_y
      - .offset:         1302
        .size:           2
        .value_kind:     hidden_remainder_z
      - .offset:         1320
        .size:           8
        .value_kind:     hidden_global_offset_x
      - .offset:         1328
        .size:           8
        .value_kind:     hidden_global_offset_y
      - .offset:         1336
        .size:           8
        .value_kind:     hidden_global_offset_z
      - .offset:         1344
        .size:           2
        .value_kind:     hidden_grid_dims
    .group_segment_fixed_size: 5144
    .kernarg_segment_align: 8
    .kernarg_segment_size: 1536
    .language:       OpenCL C
    .language_version:
      - 2
      - 0
    .max_flat_workgroup_size: 1024
    .name:           _ZN2at6native12_GLOBAL__N_114gatherKthValueIalLin1EEEvNS_4cuda6detail10TensorInfoIKT_T0_EES8_S8_S8_S8_NS5_IS6_S8_EENS5_IlS8_EE
    .private_segment_fixed_size: 0
    .sgpr_count:     107
    .sgpr_spill_count: 0
    .symbol:         _ZN2at6native12_GLOBAL__N_114gatherKthValueIalLin1EEEvNS_4cuda6detail10TensorInfoIKT_T0_EES8_S8_S8_S8_NS5_IS6_S8_EENS5_IlS8_EE.kd
    .uniform_work_group_size: 1
    .uses_dynamic_stack: false
    .vgpr_count:     61
    .vgpr_spill_count: 0
    .wavefront_size: 32
    .workgroup_processor_mode: 1
  - .args:
      - .offset:         0
        .size:           216
        .value_kind:     by_value
      - .offset:         216
        .size:           4
        .value_kind:     by_value
      - .offset:         220
        .size:           4
        .value_kind:     by_value
      - .offset:         224
        .size:           4
        .value_kind:     by_value
      - .offset:         228
        .size:           4
        .value_kind:     by_value
      - .offset:         232
        .size:           216
        .value_kind:     by_value
      - .offset:         448
        .size:           216
        .value_kind:     by_value
      - .offset:         664
        .size:           4
        .value_kind:     hidden_block_count_x
      - .offset:         668
        .size:           4
        .value_kind:     hidden_block_count_y
      - .offset:         672
        .size:           4
        .value_kind:     hidden_block_count_z
      - .offset:         676
        .size:           2
        .value_kind:     hidden_group_size_x
      - .offset:         678
        .size:           2
        .value_kind:     hidden_group_size_y
      - .offset:         680
        .size:           2
        .value_kind:     hidden_group_size_z
      - .offset:         682
        .size:           2
        .value_kind:     hidden_remainder_x
      - .offset:         684
        .size:           2
        .value_kind:     hidden_remainder_y
      - .offset:         686
        .size:           2
        .value_kind:     hidden_remainder_z
      - .offset:         704
        .size:           8
        .value_kind:     hidden_global_offset_x
      - .offset:         712
        .size:           8
        .value_kind:     hidden_global_offset_y
      - .offset:         720
        .size:           8
        .value_kind:     hidden_global_offset_z
      - .offset:         728
        .size:           2
        .value_kind:     hidden_grid_dims
    .group_segment_fixed_size: 4112
    .kernarg_segment_align: 8
    .kernarg_segment_size: 920
    .language:       OpenCL C
    .language_version:
      - 2
      - 0
    .max_flat_workgroup_size: 1024
    .name:           _ZN2at6native12_GLOBAL__N_114gatherKthValueIiiLi1EEEvNS_4cuda6detail10TensorInfoIKT_T0_EES8_S8_S8_S8_NS5_IS6_S8_EENS5_IlS8_EE
    .private_segment_fixed_size: 0
    .sgpr_count:     81
    .sgpr_spill_count: 0
    .symbol:         _ZN2at6native12_GLOBAL__N_114gatherKthValueIiiLi1EEEvNS_4cuda6detail10TensorInfoIKT_T0_EES8_S8_S8_S8_NS5_IS6_S8_EENS5_IlS8_EE.kd
    .uniform_work_group_size: 1
    .uses_dynamic_stack: false
    .vgpr_count:     44
    .vgpr_spill_count: 0
    .wavefront_size: 32
    .workgroup_processor_mode: 1
  - .args:
      - .offset:         0
        .size:           216
        .value_kind:     by_value
      - .offset:         216
        .size:           4
        .value_kind:     by_value
      - .offset:         220
        .size:           4
        .value_kind:     by_value
      - .offset:         224
        .size:           4
        .value_kind:     by_value
      - .offset:         228
        .size:           4
        .value_kind:     by_value
      - .offset:         232
        .size:           216
        .value_kind:     by_value
      - .offset:         448
        .size:           216
        .value_kind:     by_value
      - .offset:         664
        .size:           4
        .value_kind:     hidden_block_count_x
      - .offset:         668
        .size:           4
        .value_kind:     hidden_block_count_y
      - .offset:         672
        .size:           4
        .value_kind:     hidden_block_count_z
      - .offset:         676
        .size:           2
        .value_kind:     hidden_group_size_x
      - .offset:         678
        .size:           2
        .value_kind:     hidden_group_size_y
      - .offset:         680
        .size:           2
        .value_kind:     hidden_group_size_z
      - .offset:         682
        .size:           2
        .value_kind:     hidden_remainder_x
      - .offset:         684
        .size:           2
        .value_kind:     hidden_remainder_y
      - .offset:         686
        .size:           2
        .value_kind:     hidden_remainder_z
      - .offset:         704
        .size:           8
        .value_kind:     hidden_global_offset_x
      - .offset:         712
        .size:           8
        .value_kind:     hidden_global_offset_y
      - .offset:         720
        .size:           8
        .value_kind:     hidden_global_offset_z
      - .offset:         728
        .size:           2
        .value_kind:     hidden_grid_dims
    .group_segment_fixed_size: 4112
    .kernarg_segment_align: 8
    .kernarg_segment_size: 920
    .language:       OpenCL C
    .language_version:
      - 2
      - 0
    .max_flat_workgroup_size: 1024
    .name:           _ZN2at6native12_GLOBAL__N_114gatherKthValueIiiLi2EEEvNS_4cuda6detail10TensorInfoIKT_T0_EES8_S8_S8_S8_NS5_IS6_S8_EENS5_IlS8_EE
    .private_segment_fixed_size: 0
    .sgpr_count:     93
    .sgpr_spill_count: 0
    .symbol:         _ZN2at6native12_GLOBAL__N_114gatherKthValueIiiLi2EEEvNS_4cuda6detail10TensorInfoIKT_T0_EES8_S8_S8_S8_NS5_IS6_S8_EENS5_IlS8_EE.kd
    .uniform_work_group_size: 1
    .uses_dynamic_stack: false
    .vgpr_count:     44
    .vgpr_spill_count: 0
    .wavefront_size: 32
    .workgroup_processor_mode: 1
  - .args:
      - .offset:         0
        .size:           216
        .value_kind:     by_value
      - .offset:         216
        .size:           4
        .value_kind:     by_value
      - .offset:         220
        .size:           4
        .value_kind:     by_value
      - .offset:         224
        .size:           4
        .value_kind:     by_value
      - .offset:         228
        .size:           4
        .value_kind:     by_value
      - .offset:         232
        .size:           216
        .value_kind:     by_value
      - .offset:         448
        .size:           216
        .value_kind:     by_value
      - .offset:         664
        .size:           4
        .value_kind:     hidden_block_count_x
      - .offset:         668
        .size:           4
        .value_kind:     hidden_block_count_y
      - .offset:         672
        .size:           4
        .value_kind:     hidden_block_count_z
      - .offset:         676
        .size:           2
        .value_kind:     hidden_group_size_x
      - .offset:         678
        .size:           2
        .value_kind:     hidden_group_size_y
      - .offset:         680
        .size:           2
        .value_kind:     hidden_group_size_z
      - .offset:         682
        .size:           2
        .value_kind:     hidden_remainder_x
      - .offset:         684
        .size:           2
        .value_kind:     hidden_remainder_y
      - .offset:         686
        .size:           2
        .value_kind:     hidden_remainder_z
      - .offset:         704
        .size:           8
        .value_kind:     hidden_global_offset_x
      - .offset:         712
        .size:           8
        .value_kind:     hidden_global_offset_y
      - .offset:         720
        .size:           8
        .value_kind:     hidden_global_offset_z
      - .offset:         728
        .size:           2
        .value_kind:     hidden_grid_dims
    .group_segment_fixed_size: 4112
    .kernarg_segment_align: 8
    .kernarg_segment_size: 920
    .language:       OpenCL C
    .language_version:
      - 2
      - 0
    .max_flat_workgroup_size: 1024
    .name:           _ZN2at6native12_GLOBAL__N_114gatherKthValueIiiLi3EEEvNS_4cuda6detail10TensorInfoIKT_T0_EES8_S8_S8_S8_NS5_IS6_S8_EENS5_IlS8_EE
    .private_segment_fixed_size: 0
    .sgpr_count:     101
    .sgpr_spill_count: 0
    .symbol:         _ZN2at6native12_GLOBAL__N_114gatherKthValueIiiLi3EEEvNS_4cuda6detail10TensorInfoIKT_T0_EES8_S8_S8_S8_NS5_IS6_S8_EENS5_IlS8_EE.kd
    .uniform_work_group_size: 1
    .uses_dynamic_stack: false
    .vgpr_count:     44
    .vgpr_spill_count: 0
    .wavefront_size: 32
    .workgroup_processor_mode: 1
  - .args:
      - .offset:         0
        .size:           216
        .value_kind:     by_value
      - .offset:         216
        .size:           4
        .value_kind:     by_value
      - .offset:         220
        .size:           4
        .value_kind:     by_value
      - .offset:         224
        .size:           4
        .value_kind:     by_value
      - .offset:         228
        .size:           4
        .value_kind:     by_value
      - .offset:         232
        .size:           216
        .value_kind:     by_value
      - .offset:         448
        .size:           216
        .value_kind:     by_value
      - .offset:         664
        .size:           4
        .value_kind:     hidden_block_count_x
      - .offset:         668
        .size:           4
        .value_kind:     hidden_block_count_y
      - .offset:         672
        .size:           4
        .value_kind:     hidden_block_count_z
      - .offset:         676
        .size:           2
        .value_kind:     hidden_group_size_x
      - .offset:         678
        .size:           2
        .value_kind:     hidden_group_size_y
      - .offset:         680
        .size:           2
        .value_kind:     hidden_group_size_z
      - .offset:         682
        .size:           2
        .value_kind:     hidden_remainder_x
      - .offset:         684
        .size:           2
        .value_kind:     hidden_remainder_y
      - .offset:         686
        .size:           2
        .value_kind:     hidden_remainder_z
      - .offset:         704
        .size:           8
        .value_kind:     hidden_global_offset_x
      - .offset:         712
        .size:           8
        .value_kind:     hidden_global_offset_y
      - .offset:         720
        .size:           8
        .value_kind:     hidden_global_offset_z
      - .offset:         728
        .size:           2
        .value_kind:     hidden_grid_dims
    .group_segment_fixed_size: 4112
    .kernarg_segment_align: 8
    .kernarg_segment_size: 920
    .language:       OpenCL C
    .language_version:
      - 2
      - 0
    .max_flat_workgroup_size: 1024
    .name:           _ZN2at6native12_GLOBAL__N_114gatherKthValueIiiLin1EEEvNS_4cuda6detail10TensorInfoIKT_T0_EES8_S8_S8_S8_NS5_IS6_S8_EENS5_IlS8_EE
    .private_segment_fixed_size: 0
    .sgpr_count:     84
    .sgpr_spill_count: 0
    .symbol:         _ZN2at6native12_GLOBAL__N_114gatherKthValueIiiLin1EEEvNS_4cuda6detail10TensorInfoIKT_T0_EES8_S8_S8_S8_NS5_IS6_S8_EENS5_IlS8_EE.kd
    .uniform_work_group_size: 1
    .uses_dynamic_stack: false
    .vgpr_count:     44
    .vgpr_spill_count: 0
    .wavefront_size: 32
    .workgroup_processor_mode: 1
  - .args:
      - .offset:         0
        .size:           416
        .value_kind:     by_value
      - .offset:         416
        .size:           8
        .value_kind:     by_value
      - .offset:         424
        .size:           8
        .value_kind:     by_value
      - .offset:         432
        .size:           8
        .value_kind:     by_value
      - .offset:         440
        .size:           8
        .value_kind:     by_value
      - .offset:         448
        .size:           416
        .value_kind:     by_value
      - .offset:         864
        .size:           416
        .value_kind:     by_value
      - .offset:         1280
        .size:           4
        .value_kind:     hidden_block_count_x
      - .offset:         1284
        .size:           4
        .value_kind:     hidden_block_count_y
      - .offset:         1288
        .size:           4
        .value_kind:     hidden_block_count_z
      - .offset:         1292
        .size:           2
        .value_kind:     hidden_group_size_x
      - .offset:         1294
        .size:           2
        .value_kind:     hidden_group_size_y
      - .offset:         1296
        .size:           2
        .value_kind:     hidden_group_size_z
      - .offset:         1298
        .size:           2
        .value_kind:     hidden_remainder_x
      - .offset:         1300
        .size:           2
        .value_kind:     hidden_remainder_y
      - .offset:         1302
        .size:           2
        .value_kind:     hidden_remainder_z
      - .offset:         1320
        .size:           8
        .value_kind:     hidden_global_offset_x
      - .offset:         1328
        .size:           8
        .value_kind:     hidden_global_offset_y
      - .offset:         1336
        .size:           8
        .value_kind:     hidden_global_offset_z
      - .offset:         1344
        .size:           2
        .value_kind:     hidden_grid_dims
    .group_segment_fixed_size: 5144
    .kernarg_segment_align: 8
    .kernarg_segment_size: 1536
    .language:       OpenCL C
    .language_version:
      - 2
      - 0
    .max_flat_workgroup_size: 1024
    .name:           _ZN2at6native12_GLOBAL__N_114gatherKthValueIilLi1EEEvNS_4cuda6detail10TensorInfoIKT_T0_EES8_S8_S8_S8_NS5_IS6_S8_EENS5_IlS8_EE
    .private_segment_fixed_size: 0
    .sgpr_count:     98
    .sgpr_spill_count: 0
    .symbol:         _ZN2at6native12_GLOBAL__N_114gatherKthValueIilLi1EEEvNS_4cuda6detail10TensorInfoIKT_T0_EES8_S8_S8_S8_NS5_IS6_S8_EENS5_IlS8_EE.kd
    .uniform_work_group_size: 1
    .uses_dynamic_stack: false
    .vgpr_count:     52
    .vgpr_spill_count: 0
    .wavefront_size: 32
    .workgroup_processor_mode: 1
  - .args:
      - .offset:         0
        .size:           416
        .value_kind:     by_value
      - .offset:         416
        .size:           8
        .value_kind:     by_value
      - .offset:         424
        .size:           8
        .value_kind:     by_value
      - .offset:         432
        .size:           8
        .value_kind:     by_value
      - .offset:         440
        .size:           8
        .value_kind:     by_value
      - .offset:         448
        .size:           416
        .value_kind:     by_value
      - .offset:         864
        .size:           416
        .value_kind:     by_value
      - .offset:         1280
        .size:           4
        .value_kind:     hidden_block_count_x
      - .offset:         1284
        .size:           4
        .value_kind:     hidden_block_count_y
      - .offset:         1288
        .size:           4
        .value_kind:     hidden_block_count_z
      - .offset:         1292
        .size:           2
        .value_kind:     hidden_group_size_x
      - .offset:         1294
        .size:           2
        .value_kind:     hidden_group_size_y
      - .offset:         1296
        .size:           2
        .value_kind:     hidden_group_size_z
      - .offset:         1298
        .size:           2
        .value_kind:     hidden_remainder_x
      - .offset:         1300
        .size:           2
        .value_kind:     hidden_remainder_y
      - .offset:         1302
        .size:           2
        .value_kind:     hidden_remainder_z
      - .offset:         1320
        .size:           8
        .value_kind:     hidden_global_offset_x
      - .offset:         1328
        .size:           8
        .value_kind:     hidden_global_offset_y
      - .offset:         1336
        .size:           8
        .value_kind:     hidden_global_offset_z
      - .offset:         1344
        .size:           2
        .value_kind:     hidden_grid_dims
    .group_segment_fixed_size: 5144
    .kernarg_segment_align: 8
    .kernarg_segment_size: 1536
    .language:       OpenCL C
    .language_version:
      - 2
      - 0
    .max_flat_workgroup_size: 1024
    .name:           _ZN2at6native12_GLOBAL__N_114gatherKthValueIilLi2EEEvNS_4cuda6detail10TensorInfoIKT_T0_EES8_S8_S8_S8_NS5_IS6_S8_EENS5_IlS8_EE
    .private_segment_fixed_size: 0
    .sgpr_count:     106
    .sgpr_spill_count: 0
    .symbol:         _ZN2at6native12_GLOBAL__N_114gatherKthValueIilLi2EEEvNS_4cuda6detail10TensorInfoIKT_T0_EES8_S8_S8_S8_NS5_IS6_S8_EENS5_IlS8_EE.kd
    .uniform_work_group_size: 1
    .uses_dynamic_stack: false
    .vgpr_count:     56
    .vgpr_spill_count: 0
    .wavefront_size: 32
    .workgroup_processor_mode: 1
  - .args:
      - .offset:         0
        .size:           416
        .value_kind:     by_value
      - .offset:         416
        .size:           8
        .value_kind:     by_value
      - .offset:         424
        .size:           8
        .value_kind:     by_value
      - .offset:         432
        .size:           8
        .value_kind:     by_value
      - .offset:         440
        .size:           8
        .value_kind:     by_value
      - .offset:         448
        .size:           416
        .value_kind:     by_value
      - .offset:         864
        .size:           416
        .value_kind:     by_value
      - .offset:         1280
        .size:           4
        .value_kind:     hidden_block_count_x
      - .offset:         1284
        .size:           4
        .value_kind:     hidden_block_count_y
      - .offset:         1288
        .size:           4
        .value_kind:     hidden_block_count_z
      - .offset:         1292
        .size:           2
        .value_kind:     hidden_group_size_x
      - .offset:         1294
        .size:           2
        .value_kind:     hidden_group_size_y
      - .offset:         1296
        .size:           2
        .value_kind:     hidden_group_size_z
      - .offset:         1298
        .size:           2
        .value_kind:     hidden_remainder_x
      - .offset:         1300
        .size:           2
        .value_kind:     hidden_remainder_y
      - .offset:         1302
        .size:           2
        .value_kind:     hidden_remainder_z
      - .offset:         1320
        .size:           8
        .value_kind:     hidden_global_offset_x
      - .offset:         1328
        .size:           8
        .value_kind:     hidden_global_offset_y
      - .offset:         1336
        .size:           8
        .value_kind:     hidden_global_offset_z
      - .offset:         1344
        .size:           2
        .value_kind:     hidden_grid_dims
    .group_segment_fixed_size: 5144
    .kernarg_segment_align: 8
    .kernarg_segment_size: 1536
    .language:       OpenCL C
    .language_version:
      - 2
      - 0
    .max_flat_workgroup_size: 1024
    .name:           _ZN2at6native12_GLOBAL__N_114gatherKthValueIilLi3EEEvNS_4cuda6detail10TensorInfoIKT_T0_EES8_S8_S8_S8_NS5_IS6_S8_EENS5_IlS8_EE
    .private_segment_fixed_size: 0
    .sgpr_count:     107
    .sgpr_spill_count: 12
    .symbol:         _ZN2at6native12_GLOBAL__N_114gatherKthValueIilLi3EEEvNS_4cuda6detail10TensorInfoIKT_T0_EES8_S8_S8_S8_NS5_IS6_S8_EENS5_IlS8_EE.kd
    .uniform_work_group_size: 1
    .uses_dynamic_stack: false
    .vgpr_count:     53
    .vgpr_spill_count: 0
    .wavefront_size: 32
    .workgroup_processor_mode: 1
  - .args:
      - .offset:         0
        .size:           416
        .value_kind:     by_value
      - .offset:         416
        .size:           8
        .value_kind:     by_value
      - .offset:         424
        .size:           8
        .value_kind:     by_value
      - .offset:         432
        .size:           8
        .value_kind:     by_value
      - .offset:         440
        .size:           8
        .value_kind:     by_value
      - .offset:         448
        .size:           416
        .value_kind:     by_value
      - .offset:         864
        .size:           416
        .value_kind:     by_value
      - .offset:         1280
        .size:           4
        .value_kind:     hidden_block_count_x
      - .offset:         1284
        .size:           4
        .value_kind:     hidden_block_count_y
      - .offset:         1288
        .size:           4
        .value_kind:     hidden_block_count_z
      - .offset:         1292
        .size:           2
        .value_kind:     hidden_group_size_x
      - .offset:         1294
        .size:           2
        .value_kind:     hidden_group_size_y
      - .offset:         1296
        .size:           2
        .value_kind:     hidden_group_size_z
      - .offset:         1298
        .size:           2
        .value_kind:     hidden_remainder_x
      - .offset:         1300
        .size:           2
        .value_kind:     hidden_remainder_y
      - .offset:         1302
        .size:           2
        .value_kind:     hidden_remainder_z
      - .offset:         1320
        .size:           8
        .value_kind:     hidden_global_offset_x
      - .offset:         1328
        .size:           8
        .value_kind:     hidden_global_offset_y
      - .offset:         1336
        .size:           8
        .value_kind:     hidden_global_offset_z
      - .offset:         1344
        .size:           2
        .value_kind:     hidden_grid_dims
    .group_segment_fixed_size: 5144
    .kernarg_segment_align: 8
    .kernarg_segment_size: 1536
    .language:       OpenCL C
    .language_version:
      - 2
      - 0
    .max_flat_workgroup_size: 1024
    .name:           _ZN2at6native12_GLOBAL__N_114gatherKthValueIilLin1EEEvNS_4cuda6detail10TensorInfoIKT_T0_EES8_S8_S8_S8_NS5_IS6_S8_EENS5_IlS8_EE
    .private_segment_fixed_size: 0
    .sgpr_count:     102
    .sgpr_spill_count: 0
    .symbol:         _ZN2at6native12_GLOBAL__N_114gatherKthValueIilLin1EEEvNS_4cuda6detail10TensorInfoIKT_T0_EES8_S8_S8_S8_NS5_IS6_S8_EENS5_IlS8_EE.kd
    .uniform_work_group_size: 1
    .uses_dynamic_stack: false
    .vgpr_count:     62
    .vgpr_spill_count: 0
    .wavefront_size: 32
    .workgroup_processor_mode: 1
  - .args:
      - .offset:         0
        .size:           216
        .value_kind:     by_value
      - .offset:         216
        .size:           4
        .value_kind:     by_value
      - .offset:         220
        .size:           4
        .value_kind:     by_value
      - .offset:         224
        .size:           4
        .value_kind:     by_value
      - .offset:         228
        .size:           4
        .value_kind:     by_value
      - .offset:         232
        .size:           216
        .value_kind:     by_value
      - .offset:         448
        .size:           216
        .value_kind:     by_value
      - .offset:         664
        .size:           4
        .value_kind:     hidden_block_count_x
      - .offset:         668
        .size:           4
        .value_kind:     hidden_block_count_y
      - .offset:         672
        .size:           4
        .value_kind:     hidden_block_count_z
      - .offset:         676
        .size:           2
        .value_kind:     hidden_group_size_x
      - .offset:         678
        .size:           2
        .value_kind:     hidden_group_size_y
      - .offset:         680
        .size:           2
        .value_kind:     hidden_group_size_z
      - .offset:         682
        .size:           2
        .value_kind:     hidden_remainder_x
      - .offset:         684
        .size:           2
        .value_kind:     hidden_remainder_y
      - .offset:         686
        .size:           2
        .value_kind:     hidden_remainder_z
      - .offset:         704
        .size:           8
        .value_kind:     hidden_global_offset_x
      - .offset:         712
        .size:           8
        .value_kind:     hidden_global_offset_y
      - .offset:         720
        .size:           8
        .value_kind:     hidden_global_offset_z
      - .offset:         728
        .size:           2
        .value_kind:     hidden_grid_dims
    .group_segment_fixed_size: 4112
    .kernarg_segment_align: 8
    .kernarg_segment_size: 920
    .language:       OpenCL C
    .language_version:
      - 2
      - 0
    .max_flat_workgroup_size: 1024
    .name:           _ZN2at6native12_GLOBAL__N_114gatherKthValueIliLi1EEEvNS_4cuda6detail10TensorInfoIKT_T0_EES8_S8_S8_S8_NS5_IS6_S8_EENS5_IlS8_EE
    .private_segment_fixed_size: 0
    .sgpr_count:     82
    .sgpr_spill_count: 0
    .symbol:         _ZN2at6native12_GLOBAL__N_114gatherKthValueIliLi1EEEvNS_4cuda6detail10TensorInfoIKT_T0_EES8_S8_S8_S8_NS5_IS6_S8_EENS5_IlS8_EE.kd
    .uniform_work_group_size: 1
    .uses_dynamic_stack: false
    .vgpr_count:     55
    .vgpr_spill_count: 0
    .wavefront_size: 32
    .workgroup_processor_mode: 1
  - .args:
      - .offset:         0
        .size:           216
        .value_kind:     by_value
      - .offset:         216
        .size:           4
        .value_kind:     by_value
      - .offset:         220
        .size:           4
        .value_kind:     by_value
      - .offset:         224
        .size:           4
        .value_kind:     by_value
      - .offset:         228
        .size:           4
        .value_kind:     by_value
      - .offset:         232
        .size:           216
        .value_kind:     by_value
      - .offset:         448
        .size:           216
        .value_kind:     by_value
      - .offset:         664
        .size:           4
        .value_kind:     hidden_block_count_x
      - .offset:         668
        .size:           4
        .value_kind:     hidden_block_count_y
      - .offset:         672
        .size:           4
        .value_kind:     hidden_block_count_z
      - .offset:         676
        .size:           2
        .value_kind:     hidden_group_size_x
      - .offset:         678
        .size:           2
        .value_kind:     hidden_group_size_y
      - .offset:         680
        .size:           2
        .value_kind:     hidden_group_size_z
      - .offset:         682
        .size:           2
        .value_kind:     hidden_remainder_x
      - .offset:         684
        .size:           2
        .value_kind:     hidden_remainder_y
      - .offset:         686
        .size:           2
        .value_kind:     hidden_remainder_z
      - .offset:         704
        .size:           8
        .value_kind:     hidden_global_offset_x
      - .offset:         712
        .size:           8
        .value_kind:     hidden_global_offset_y
      - .offset:         720
        .size:           8
        .value_kind:     hidden_global_offset_z
      - .offset:         728
        .size:           2
        .value_kind:     hidden_grid_dims
    .group_segment_fixed_size: 4112
    .kernarg_segment_align: 8
    .kernarg_segment_size: 920
    .language:       OpenCL C
    .language_version:
      - 2
      - 0
    .max_flat_workgroup_size: 1024
    .name:           _ZN2at6native12_GLOBAL__N_114gatherKthValueIliLi2EEEvNS_4cuda6detail10TensorInfoIKT_T0_EES8_S8_S8_S8_NS5_IS6_S8_EENS5_IlS8_EE
    .private_segment_fixed_size: 0
    .sgpr_count:     94
    .sgpr_spill_count: 0
    .symbol:         _ZN2at6native12_GLOBAL__N_114gatherKthValueIliLi2EEEvNS_4cuda6detail10TensorInfoIKT_T0_EES8_S8_S8_S8_NS5_IS6_S8_EENS5_IlS8_EE.kd
    .uniform_work_group_size: 1
    .uses_dynamic_stack: false
    .vgpr_count:     55
    .vgpr_spill_count: 0
    .wavefront_size: 32
    .workgroup_processor_mode: 1
  - .args:
      - .offset:         0
        .size:           216
        .value_kind:     by_value
      - .offset:         216
        .size:           4
        .value_kind:     by_value
      - .offset:         220
        .size:           4
        .value_kind:     by_value
      - .offset:         224
        .size:           4
        .value_kind:     by_value
      - .offset:         228
        .size:           4
        .value_kind:     by_value
      - .offset:         232
        .size:           216
        .value_kind:     by_value
      - .offset:         448
        .size:           216
        .value_kind:     by_value
      - .offset:         664
        .size:           4
        .value_kind:     hidden_block_count_x
      - .offset:         668
        .size:           4
        .value_kind:     hidden_block_count_y
      - .offset:         672
        .size:           4
        .value_kind:     hidden_block_count_z
      - .offset:         676
        .size:           2
        .value_kind:     hidden_group_size_x
      - .offset:         678
        .size:           2
        .value_kind:     hidden_group_size_y
      - .offset:         680
        .size:           2
        .value_kind:     hidden_group_size_z
      - .offset:         682
        .size:           2
        .value_kind:     hidden_remainder_x
      - .offset:         684
        .size:           2
        .value_kind:     hidden_remainder_y
      - .offset:         686
        .size:           2
        .value_kind:     hidden_remainder_z
      - .offset:         704
        .size:           8
        .value_kind:     hidden_global_offset_x
      - .offset:         712
        .size:           8
        .value_kind:     hidden_global_offset_y
      - .offset:         720
        .size:           8
        .value_kind:     hidden_global_offset_z
      - .offset:         728
        .size:           2
        .value_kind:     hidden_grid_dims
    .group_segment_fixed_size: 4112
    .kernarg_segment_align: 8
    .kernarg_segment_size: 920
    .language:       OpenCL C
    .language_version:
      - 2
      - 0
    .max_flat_workgroup_size: 1024
    .name:           _ZN2at6native12_GLOBAL__N_114gatherKthValueIliLi3EEEvNS_4cuda6detail10TensorInfoIKT_T0_EES8_S8_S8_S8_NS5_IS6_S8_EENS5_IlS8_EE
    .private_segment_fixed_size: 0
    .sgpr_count:     102
    .sgpr_spill_count: 0
    .symbol:         _ZN2at6native12_GLOBAL__N_114gatherKthValueIliLi3EEEvNS_4cuda6detail10TensorInfoIKT_T0_EES8_S8_S8_S8_NS5_IS6_S8_EENS5_IlS8_EE.kd
    .uniform_work_group_size: 1
    .uses_dynamic_stack: false
    .vgpr_count:     55
    .vgpr_spill_count: 0
    .wavefront_size: 32
    .workgroup_processor_mode: 1
  - .args:
      - .offset:         0
        .size:           216
        .value_kind:     by_value
      - .offset:         216
        .size:           4
        .value_kind:     by_value
      - .offset:         220
        .size:           4
        .value_kind:     by_value
      - .offset:         224
        .size:           4
        .value_kind:     by_value
      - .offset:         228
        .size:           4
        .value_kind:     by_value
      - .offset:         232
        .size:           216
        .value_kind:     by_value
      - .offset:         448
        .size:           216
        .value_kind:     by_value
      - .offset:         664
        .size:           4
        .value_kind:     hidden_block_count_x
      - .offset:         668
        .size:           4
        .value_kind:     hidden_block_count_y
      - .offset:         672
        .size:           4
        .value_kind:     hidden_block_count_z
      - .offset:         676
        .size:           2
        .value_kind:     hidden_group_size_x
      - .offset:         678
        .size:           2
        .value_kind:     hidden_group_size_y
      - .offset:         680
        .size:           2
        .value_kind:     hidden_group_size_z
      - .offset:         682
        .size:           2
        .value_kind:     hidden_remainder_x
      - .offset:         684
        .size:           2
        .value_kind:     hidden_remainder_y
      - .offset:         686
        .size:           2
        .value_kind:     hidden_remainder_z
      - .offset:         704
        .size:           8
        .value_kind:     hidden_global_offset_x
      - .offset:         712
        .size:           8
        .value_kind:     hidden_global_offset_y
      - .offset:         720
        .size:           8
        .value_kind:     hidden_global_offset_z
      - .offset:         728
        .size:           2
        .value_kind:     hidden_grid_dims
    .group_segment_fixed_size: 4112
    .kernarg_segment_align: 8
    .kernarg_segment_size: 920
    .language:       OpenCL C
    .language_version:
      - 2
      - 0
    .max_flat_workgroup_size: 1024
    .name:           _ZN2at6native12_GLOBAL__N_114gatherKthValueIliLin1EEEvNS_4cuda6detail10TensorInfoIKT_T0_EES8_S8_S8_S8_NS5_IS6_S8_EENS5_IlS8_EE
    .private_segment_fixed_size: 0
    .sgpr_count:     85
    .sgpr_spill_count: 0
    .symbol:         _ZN2at6native12_GLOBAL__N_114gatherKthValueIliLin1EEEvNS_4cuda6detail10TensorInfoIKT_T0_EES8_S8_S8_S8_NS5_IS6_S8_EENS5_IlS8_EE.kd
    .uniform_work_group_size: 1
    .uses_dynamic_stack: false
    .vgpr_count:     55
    .vgpr_spill_count: 0
    .wavefront_size: 32
    .workgroup_processor_mode: 1
  - .args:
      - .offset:         0
        .size:           416
        .value_kind:     by_value
      - .offset:         416
        .size:           8
        .value_kind:     by_value
      - .offset:         424
        .size:           8
        .value_kind:     by_value
      - .offset:         432
        .size:           8
        .value_kind:     by_value
      - .offset:         440
        .size:           8
        .value_kind:     by_value
      - .offset:         448
        .size:           416
        .value_kind:     by_value
      - .offset:         864
        .size:           416
        .value_kind:     by_value
      - .offset:         1280
        .size:           4
        .value_kind:     hidden_block_count_x
      - .offset:         1284
        .size:           4
        .value_kind:     hidden_block_count_y
      - .offset:         1288
        .size:           4
        .value_kind:     hidden_block_count_z
      - .offset:         1292
        .size:           2
        .value_kind:     hidden_group_size_x
      - .offset:         1294
        .size:           2
        .value_kind:     hidden_group_size_y
      - .offset:         1296
        .size:           2
        .value_kind:     hidden_group_size_z
      - .offset:         1298
        .size:           2
        .value_kind:     hidden_remainder_x
      - .offset:         1300
        .size:           2
        .value_kind:     hidden_remainder_y
      - .offset:         1302
        .size:           2
        .value_kind:     hidden_remainder_z
      - .offset:         1320
        .size:           8
        .value_kind:     hidden_global_offset_x
      - .offset:         1328
        .size:           8
        .value_kind:     hidden_global_offset_y
      - .offset:         1336
        .size:           8
        .value_kind:     hidden_global_offset_z
      - .offset:         1344
        .size:           2
        .value_kind:     hidden_grid_dims
    .group_segment_fixed_size: 5144
    .kernarg_segment_align: 8
    .kernarg_segment_size: 1536
    .language:       OpenCL C
    .language_version:
      - 2
      - 0
    .max_flat_workgroup_size: 1024
    .name:           _ZN2at6native12_GLOBAL__N_114gatherKthValueIllLi1EEEvNS_4cuda6detail10TensorInfoIKT_T0_EES8_S8_S8_S8_NS5_IS6_S8_EENS5_IlS8_EE
    .private_segment_fixed_size: 0
    .sgpr_count:     98
    .sgpr_spill_count: 0
    .symbol:         _ZN2at6native12_GLOBAL__N_114gatherKthValueIllLi1EEEvNS_4cuda6detail10TensorInfoIKT_T0_EES8_S8_S8_S8_NS5_IS6_S8_EENS5_IlS8_EE.kd
    .uniform_work_group_size: 1
    .uses_dynamic_stack: false
    .vgpr_count:     63
    .vgpr_spill_count: 0
    .wavefront_size: 32
    .workgroup_processor_mode: 1
  - .args:
      - .offset:         0
        .size:           416
        .value_kind:     by_value
      - .offset:         416
        .size:           8
        .value_kind:     by_value
      - .offset:         424
        .size:           8
        .value_kind:     by_value
      - .offset:         432
        .size:           8
        .value_kind:     by_value
      - .offset:         440
        .size:           8
        .value_kind:     by_value
      - .offset:         448
        .size:           416
        .value_kind:     by_value
      - .offset:         864
        .size:           416
        .value_kind:     by_value
      - .offset:         1280
        .size:           4
        .value_kind:     hidden_block_count_x
      - .offset:         1284
        .size:           4
        .value_kind:     hidden_block_count_y
      - .offset:         1288
        .size:           4
        .value_kind:     hidden_block_count_z
      - .offset:         1292
        .size:           2
        .value_kind:     hidden_group_size_x
      - .offset:         1294
        .size:           2
        .value_kind:     hidden_group_size_y
      - .offset:         1296
        .size:           2
        .value_kind:     hidden_group_size_z
      - .offset:         1298
        .size:           2
        .value_kind:     hidden_remainder_x
      - .offset:         1300
        .size:           2
        .value_kind:     hidden_remainder_y
      - .offset:         1302
        .size:           2
        .value_kind:     hidden_remainder_z
      - .offset:         1320
        .size:           8
        .value_kind:     hidden_global_offset_x
      - .offset:         1328
        .size:           8
        .value_kind:     hidden_global_offset_y
      - .offset:         1336
        .size:           8
        .value_kind:     hidden_global_offset_z
      - .offset:         1344
        .size:           2
        .value_kind:     hidden_grid_dims
    .group_segment_fixed_size: 5144
    .kernarg_segment_align: 8
    .kernarg_segment_size: 1536
    .language:       OpenCL C
    .language_version:
      - 2
      - 0
    .max_flat_workgroup_size: 1024
    .name:           _ZN2at6native12_GLOBAL__N_114gatherKthValueIllLi2EEEvNS_4cuda6detail10TensorInfoIKT_T0_EES8_S8_S8_S8_NS5_IS6_S8_EENS5_IlS8_EE
    .private_segment_fixed_size: 0
    .sgpr_count:     106
    .sgpr_spill_count: 0
    .symbol:         _ZN2at6native12_GLOBAL__N_114gatherKthValueIllLi2EEEvNS_4cuda6detail10TensorInfoIKT_T0_EES8_S8_S8_S8_NS5_IS6_S8_EENS5_IlS8_EE.kd
    .uniform_work_group_size: 1
    .uses_dynamic_stack: false
    .vgpr_count:     67
    .vgpr_spill_count: 0
    .wavefront_size: 32
    .workgroup_processor_mode: 1
  - .args:
      - .offset:         0
        .size:           416
        .value_kind:     by_value
      - .offset:         416
        .size:           8
        .value_kind:     by_value
      - .offset:         424
        .size:           8
        .value_kind:     by_value
      - .offset:         432
        .size:           8
        .value_kind:     by_value
      - .offset:         440
        .size:           8
        .value_kind:     by_value
      - .offset:         448
        .size:           416
        .value_kind:     by_value
      - .offset:         864
        .size:           416
        .value_kind:     by_value
      - .offset:         1280
        .size:           4
        .value_kind:     hidden_block_count_x
      - .offset:         1284
        .size:           4
        .value_kind:     hidden_block_count_y
      - .offset:         1288
        .size:           4
        .value_kind:     hidden_block_count_z
      - .offset:         1292
        .size:           2
        .value_kind:     hidden_group_size_x
      - .offset:         1294
        .size:           2
        .value_kind:     hidden_group_size_y
      - .offset:         1296
        .size:           2
        .value_kind:     hidden_group_size_z
      - .offset:         1298
        .size:           2
        .value_kind:     hidden_remainder_x
      - .offset:         1300
        .size:           2
        .value_kind:     hidden_remainder_y
      - .offset:         1302
        .size:           2
        .value_kind:     hidden_remainder_z
      - .offset:         1320
        .size:           8
        .value_kind:     hidden_global_offset_x
      - .offset:         1328
        .size:           8
        .value_kind:     hidden_global_offset_y
      - .offset:         1336
        .size:           8
        .value_kind:     hidden_global_offset_z
      - .offset:         1344
        .size:           2
        .value_kind:     hidden_grid_dims
    .group_segment_fixed_size: 5144
    .kernarg_segment_align: 8
    .kernarg_segment_size: 1536
    .language:       OpenCL C
    .language_version:
      - 2
      - 0
    .max_flat_workgroup_size: 1024
    .name:           _ZN2at6native12_GLOBAL__N_114gatherKthValueIllLi3EEEvNS_4cuda6detail10TensorInfoIKT_T0_EES8_S8_S8_S8_NS5_IS6_S8_EENS5_IlS8_EE
    .private_segment_fixed_size: 0
    .sgpr_count:     107
    .sgpr_spill_count: 12
    .symbol:         _ZN2at6native12_GLOBAL__N_114gatherKthValueIllLi3EEEvNS_4cuda6detail10TensorInfoIKT_T0_EES8_S8_S8_S8_NS5_IS6_S8_EENS5_IlS8_EE.kd
    .uniform_work_group_size: 1
    .uses_dynamic_stack: false
    .vgpr_count:     60
    .vgpr_spill_count: 0
    .wavefront_size: 32
    .workgroup_processor_mode: 1
  - .args:
      - .offset:         0
        .size:           416
        .value_kind:     by_value
      - .offset:         416
        .size:           8
        .value_kind:     by_value
      - .offset:         424
        .size:           8
        .value_kind:     by_value
      - .offset:         432
        .size:           8
        .value_kind:     by_value
      - .offset:         440
        .size:           8
        .value_kind:     by_value
      - .offset:         448
        .size:           416
        .value_kind:     by_value
      - .offset:         864
        .size:           416
        .value_kind:     by_value
      - .offset:         1280
        .size:           4
        .value_kind:     hidden_block_count_x
      - .offset:         1284
        .size:           4
        .value_kind:     hidden_block_count_y
      - .offset:         1288
        .size:           4
        .value_kind:     hidden_block_count_z
      - .offset:         1292
        .size:           2
        .value_kind:     hidden_group_size_x
      - .offset:         1294
        .size:           2
        .value_kind:     hidden_group_size_y
      - .offset:         1296
        .size:           2
        .value_kind:     hidden_group_size_z
      - .offset:         1298
        .size:           2
        .value_kind:     hidden_remainder_x
      - .offset:         1300
        .size:           2
        .value_kind:     hidden_remainder_y
      - .offset:         1302
        .size:           2
        .value_kind:     hidden_remainder_z
      - .offset:         1320
        .size:           8
        .value_kind:     hidden_global_offset_x
      - .offset:         1328
        .size:           8
        .value_kind:     hidden_global_offset_y
      - .offset:         1336
        .size:           8
        .value_kind:     hidden_global_offset_z
      - .offset:         1344
        .size:           2
        .value_kind:     hidden_grid_dims
    .group_segment_fixed_size: 5144
    .kernarg_segment_align: 8
    .kernarg_segment_size: 1536
    .language:       OpenCL C
    .language_version:
      - 2
      - 0
    .max_flat_workgroup_size: 1024
    .name:           _ZN2at6native12_GLOBAL__N_114gatherKthValueIllLin1EEEvNS_4cuda6detail10TensorInfoIKT_T0_EES8_S8_S8_S8_NS5_IS6_S8_EENS5_IlS8_EE
    .private_segment_fixed_size: 0
    .sgpr_count:     102
    .sgpr_spill_count: 0
    .symbol:         _ZN2at6native12_GLOBAL__N_114gatherKthValueIllLin1EEEvNS_4cuda6detail10TensorInfoIKT_T0_EES8_S8_S8_S8_NS5_IS6_S8_EENS5_IlS8_EE.kd
    .uniform_work_group_size: 1
    .uses_dynamic_stack: false
    .vgpr_count:     73
    .vgpr_spill_count: 0
    .wavefront_size: 32
    .workgroup_processor_mode: 1
  - .args:
      - .offset:         0
        .size:           216
        .value_kind:     by_value
      - .offset:         216
        .size:           4
        .value_kind:     by_value
      - .offset:         220
        .size:           4
        .value_kind:     by_value
      - .offset:         224
        .size:           4
        .value_kind:     by_value
      - .offset:         228
        .size:           4
        .value_kind:     by_value
      - .offset:         232
        .size:           216
        .value_kind:     by_value
      - .offset:         448
        .size:           216
        .value_kind:     by_value
      - .offset:         664
        .size:           4
        .value_kind:     hidden_block_count_x
      - .offset:         668
        .size:           4
        .value_kind:     hidden_block_count_y
      - .offset:         672
        .size:           4
        .value_kind:     hidden_block_count_z
      - .offset:         676
        .size:           2
        .value_kind:     hidden_group_size_x
      - .offset:         678
        .size:           2
        .value_kind:     hidden_group_size_y
      - .offset:         680
        .size:           2
        .value_kind:     hidden_group_size_z
      - .offset:         682
        .size:           2
        .value_kind:     hidden_remainder_x
      - .offset:         684
        .size:           2
        .value_kind:     hidden_remainder_y
      - .offset:         686
        .size:           2
        .value_kind:     hidden_remainder_z
      - .offset:         704
        .size:           8
        .value_kind:     hidden_global_offset_x
      - .offset:         712
        .size:           8
        .value_kind:     hidden_global_offset_y
      - .offset:         720
        .size:           8
        .value_kind:     hidden_global_offset_z
      - .offset:         728
        .size:           2
        .value_kind:     hidden_grid_dims
    .group_segment_fixed_size: 4112
    .kernarg_segment_align: 8
    .kernarg_segment_size: 920
    .language:       OpenCL C
    .language_version:
      - 2
      - 0
    .max_flat_workgroup_size: 1024
    .name:           _ZN2at6native12_GLOBAL__N_114gatherKthValueIsiLi1EEEvNS_4cuda6detail10TensorInfoIKT_T0_EES8_S8_S8_S8_NS5_IS6_S8_EENS5_IlS8_EE
    .private_segment_fixed_size: 0
    .sgpr_count:     82
    .sgpr_spill_count: 0
    .symbol:         _ZN2at6native12_GLOBAL__N_114gatherKthValueIsiLi1EEEvNS_4cuda6detail10TensorInfoIKT_T0_EES8_S8_S8_S8_NS5_IS6_S8_EENS5_IlS8_EE.kd
    .uniform_work_group_size: 1
    .uses_dynamic_stack: false
    .vgpr_count:     44
    .vgpr_spill_count: 0
    .wavefront_size: 32
    .workgroup_processor_mode: 1
  - .args:
      - .offset:         0
        .size:           216
        .value_kind:     by_value
      - .offset:         216
        .size:           4
        .value_kind:     by_value
      - .offset:         220
        .size:           4
        .value_kind:     by_value
      - .offset:         224
        .size:           4
        .value_kind:     by_value
      - .offset:         228
        .size:           4
        .value_kind:     by_value
      - .offset:         232
        .size:           216
        .value_kind:     by_value
      - .offset:         448
        .size:           216
        .value_kind:     by_value
      - .offset:         664
        .size:           4
        .value_kind:     hidden_block_count_x
      - .offset:         668
        .size:           4
        .value_kind:     hidden_block_count_y
      - .offset:         672
        .size:           4
        .value_kind:     hidden_block_count_z
      - .offset:         676
        .size:           2
        .value_kind:     hidden_group_size_x
      - .offset:         678
        .size:           2
        .value_kind:     hidden_group_size_y
      - .offset:         680
        .size:           2
        .value_kind:     hidden_group_size_z
      - .offset:         682
        .size:           2
        .value_kind:     hidden_remainder_x
      - .offset:         684
        .size:           2
        .value_kind:     hidden_remainder_y
      - .offset:         686
        .size:           2
        .value_kind:     hidden_remainder_z
      - .offset:         704
        .size:           8
        .value_kind:     hidden_global_offset_x
      - .offset:         712
        .size:           8
        .value_kind:     hidden_global_offset_y
      - .offset:         720
        .size:           8
        .value_kind:     hidden_global_offset_z
      - .offset:         728
        .size:           2
        .value_kind:     hidden_grid_dims
    .group_segment_fixed_size: 4112
    .kernarg_segment_align: 8
    .kernarg_segment_size: 920
    .language:       OpenCL C
    .language_version:
      - 2
      - 0
    .max_flat_workgroup_size: 1024
    .name:           _ZN2at6native12_GLOBAL__N_114gatherKthValueIsiLi2EEEvNS_4cuda6detail10TensorInfoIKT_T0_EES8_S8_S8_S8_NS5_IS6_S8_EENS5_IlS8_EE
    .private_segment_fixed_size: 0
    .sgpr_count:     94
    .sgpr_spill_count: 0
    .symbol:         _ZN2at6native12_GLOBAL__N_114gatherKthValueIsiLi2EEEvNS_4cuda6detail10TensorInfoIKT_T0_EES8_S8_S8_S8_NS5_IS6_S8_EENS5_IlS8_EE.kd
    .uniform_work_group_size: 1
    .uses_dynamic_stack: false
    .vgpr_count:     44
    .vgpr_spill_count: 0
    .wavefront_size: 32
    .workgroup_processor_mode: 1
  - .args:
      - .offset:         0
        .size:           216
        .value_kind:     by_value
      - .offset:         216
        .size:           4
        .value_kind:     by_value
      - .offset:         220
        .size:           4
        .value_kind:     by_value
      - .offset:         224
        .size:           4
        .value_kind:     by_value
      - .offset:         228
        .size:           4
        .value_kind:     by_value
      - .offset:         232
        .size:           216
        .value_kind:     by_value
      - .offset:         448
        .size:           216
        .value_kind:     by_value
      - .offset:         664
        .size:           4
        .value_kind:     hidden_block_count_x
      - .offset:         668
        .size:           4
        .value_kind:     hidden_block_count_y
      - .offset:         672
        .size:           4
        .value_kind:     hidden_block_count_z
      - .offset:         676
        .size:           2
        .value_kind:     hidden_group_size_x
      - .offset:         678
        .size:           2
        .value_kind:     hidden_group_size_y
      - .offset:         680
        .size:           2
        .value_kind:     hidden_group_size_z
      - .offset:         682
        .size:           2
        .value_kind:     hidden_remainder_x
      - .offset:         684
        .size:           2
        .value_kind:     hidden_remainder_y
      - .offset:         686
        .size:           2
        .value_kind:     hidden_remainder_z
      - .offset:         704
        .size:           8
        .value_kind:     hidden_global_offset_x
      - .offset:         712
        .size:           8
        .value_kind:     hidden_global_offset_y
      - .offset:         720
        .size:           8
        .value_kind:     hidden_global_offset_z
      - .offset:         728
        .size:           2
        .value_kind:     hidden_grid_dims
    .group_segment_fixed_size: 4112
    .kernarg_segment_align: 8
    .kernarg_segment_size: 920
    .language:       OpenCL C
    .language_version:
      - 2
      - 0
    .max_flat_workgroup_size: 1024
    .name:           _ZN2at6native12_GLOBAL__N_114gatherKthValueIsiLi3EEEvNS_4cuda6detail10TensorInfoIKT_T0_EES8_S8_S8_S8_NS5_IS6_S8_EENS5_IlS8_EE
    .private_segment_fixed_size: 0
    .sgpr_count:     102
    .sgpr_spill_count: 0
    .symbol:         _ZN2at6native12_GLOBAL__N_114gatherKthValueIsiLi3EEEvNS_4cuda6detail10TensorInfoIKT_T0_EES8_S8_S8_S8_NS5_IS6_S8_EENS5_IlS8_EE.kd
    .uniform_work_group_size: 1
    .uses_dynamic_stack: false
    .vgpr_count:     44
    .vgpr_spill_count: 0
    .wavefront_size: 32
    .workgroup_processor_mode: 1
  - .args:
      - .offset:         0
        .size:           216
        .value_kind:     by_value
      - .offset:         216
        .size:           4
        .value_kind:     by_value
      - .offset:         220
        .size:           4
        .value_kind:     by_value
      - .offset:         224
        .size:           4
        .value_kind:     by_value
      - .offset:         228
        .size:           4
        .value_kind:     by_value
      - .offset:         232
        .size:           216
        .value_kind:     by_value
      - .offset:         448
        .size:           216
        .value_kind:     by_value
      - .offset:         664
        .size:           4
        .value_kind:     hidden_block_count_x
      - .offset:         668
        .size:           4
        .value_kind:     hidden_block_count_y
      - .offset:         672
        .size:           4
        .value_kind:     hidden_block_count_z
      - .offset:         676
        .size:           2
        .value_kind:     hidden_group_size_x
      - .offset:         678
        .size:           2
        .value_kind:     hidden_group_size_y
      - .offset:         680
        .size:           2
        .value_kind:     hidden_group_size_z
      - .offset:         682
        .size:           2
        .value_kind:     hidden_remainder_x
      - .offset:         684
        .size:           2
        .value_kind:     hidden_remainder_y
      - .offset:         686
        .size:           2
        .value_kind:     hidden_remainder_z
      - .offset:         704
        .size:           8
        .value_kind:     hidden_global_offset_x
      - .offset:         712
        .size:           8
        .value_kind:     hidden_global_offset_y
      - .offset:         720
        .size:           8
        .value_kind:     hidden_global_offset_z
      - .offset:         728
        .size:           2
        .value_kind:     hidden_grid_dims
    .group_segment_fixed_size: 4112
    .kernarg_segment_align: 8
    .kernarg_segment_size: 920
    .language:       OpenCL C
    .language_version:
      - 2
      - 0
    .max_flat_workgroup_size: 1024
    .name:           _ZN2at6native12_GLOBAL__N_114gatherKthValueIsiLin1EEEvNS_4cuda6detail10TensorInfoIKT_T0_EES8_S8_S8_S8_NS5_IS6_S8_EENS5_IlS8_EE
    .private_segment_fixed_size: 0
    .sgpr_count:     85
    .sgpr_spill_count: 0
    .symbol:         _ZN2at6native12_GLOBAL__N_114gatherKthValueIsiLin1EEEvNS_4cuda6detail10TensorInfoIKT_T0_EES8_S8_S8_S8_NS5_IS6_S8_EENS5_IlS8_EE.kd
    .uniform_work_group_size: 1
    .uses_dynamic_stack: false
    .vgpr_count:     44
    .vgpr_spill_count: 0
    .wavefront_size: 32
    .workgroup_processor_mode: 1
  - .args:
      - .offset:         0
        .size:           416
        .value_kind:     by_value
      - .offset:         416
        .size:           8
        .value_kind:     by_value
      - .offset:         424
        .size:           8
        .value_kind:     by_value
      - .offset:         432
        .size:           8
        .value_kind:     by_value
      - .offset:         440
        .size:           8
        .value_kind:     by_value
      - .offset:         448
        .size:           416
        .value_kind:     by_value
      - .offset:         864
        .size:           416
        .value_kind:     by_value
      - .offset:         1280
        .size:           4
        .value_kind:     hidden_block_count_x
      - .offset:         1284
        .size:           4
        .value_kind:     hidden_block_count_y
      - .offset:         1288
        .size:           4
        .value_kind:     hidden_block_count_z
      - .offset:         1292
        .size:           2
        .value_kind:     hidden_group_size_x
      - .offset:         1294
        .size:           2
        .value_kind:     hidden_group_size_y
      - .offset:         1296
        .size:           2
        .value_kind:     hidden_group_size_z
      - .offset:         1298
        .size:           2
        .value_kind:     hidden_remainder_x
      - .offset:         1300
        .size:           2
        .value_kind:     hidden_remainder_y
      - .offset:         1302
        .size:           2
        .value_kind:     hidden_remainder_z
      - .offset:         1320
        .size:           8
        .value_kind:     hidden_global_offset_x
      - .offset:         1328
        .size:           8
        .value_kind:     hidden_global_offset_y
      - .offset:         1336
        .size:           8
        .value_kind:     hidden_global_offset_z
      - .offset:         1344
        .size:           2
        .value_kind:     hidden_grid_dims
    .group_segment_fixed_size: 5144
    .kernarg_segment_align: 8
    .kernarg_segment_size: 1536
    .language:       OpenCL C
    .language_version:
      - 2
      - 0
    .max_flat_workgroup_size: 1024
    .name:           _ZN2at6native12_GLOBAL__N_114gatherKthValueIslLi1EEEvNS_4cuda6detail10TensorInfoIKT_T0_EES8_S8_S8_S8_NS5_IS6_S8_EENS5_IlS8_EE
    .private_segment_fixed_size: 0
    .sgpr_count:     102
    .sgpr_spill_count: 0
    .symbol:         _ZN2at6native12_GLOBAL__N_114gatherKthValueIslLi1EEEvNS_4cuda6detail10TensorInfoIKT_T0_EES8_S8_S8_S8_NS5_IS6_S8_EENS5_IlS8_EE.kd
    .uniform_work_group_size: 1
    .uses_dynamic_stack: false
    .vgpr_count:     55
    .vgpr_spill_count: 0
    .wavefront_size: 32
    .workgroup_processor_mode: 1
  - .args:
      - .offset:         0
        .size:           416
        .value_kind:     by_value
      - .offset:         416
        .size:           8
        .value_kind:     by_value
      - .offset:         424
        .size:           8
        .value_kind:     by_value
      - .offset:         432
        .size:           8
        .value_kind:     by_value
      - .offset:         440
        .size:           8
        .value_kind:     by_value
      - .offset:         448
        .size:           416
        .value_kind:     by_value
      - .offset:         864
        .size:           416
        .value_kind:     by_value
      - .offset:         1280
        .size:           4
        .value_kind:     hidden_block_count_x
      - .offset:         1284
        .size:           4
        .value_kind:     hidden_block_count_y
      - .offset:         1288
        .size:           4
        .value_kind:     hidden_block_count_z
      - .offset:         1292
        .size:           2
        .value_kind:     hidden_group_size_x
      - .offset:         1294
        .size:           2
        .value_kind:     hidden_group_size_y
      - .offset:         1296
        .size:           2
        .value_kind:     hidden_group_size_z
      - .offset:         1298
        .size:           2
        .value_kind:     hidden_remainder_x
      - .offset:         1300
        .size:           2
        .value_kind:     hidden_remainder_y
      - .offset:         1302
        .size:           2
        .value_kind:     hidden_remainder_z
      - .offset:         1320
        .size:           8
        .value_kind:     hidden_global_offset_x
      - .offset:         1328
        .size:           8
        .value_kind:     hidden_global_offset_y
      - .offset:         1336
        .size:           8
        .value_kind:     hidden_global_offset_z
      - .offset:         1344
        .size:           2
        .value_kind:     hidden_grid_dims
    .group_segment_fixed_size: 5144
    .kernarg_segment_align: 8
    .kernarg_segment_size: 1536
    .language:       OpenCL C
    .language_version:
      - 2
      - 0
    .max_flat_workgroup_size: 1024
    .name:           _ZN2at6native12_GLOBAL__N_114gatherKthValueIslLi2EEEvNS_4cuda6detail10TensorInfoIKT_T0_EES8_S8_S8_S8_NS5_IS6_S8_EENS5_IlS8_EE
    .private_segment_fixed_size: 0
    .sgpr_count:     107
    .sgpr_spill_count: 2
    .symbol:         _ZN2at6native12_GLOBAL__N_114gatherKthValueIslLi2EEEvNS_4cuda6detail10TensorInfoIKT_T0_EES8_S8_S8_S8_NS5_IS6_S8_EENS5_IlS8_EE.kd
    .uniform_work_group_size: 1
    .uses_dynamic_stack: false
    .vgpr_count:     56
    .vgpr_spill_count: 0
    .wavefront_size: 32
    .workgroup_processor_mode: 1
  - .args:
      - .offset:         0
        .size:           416
        .value_kind:     by_value
      - .offset:         416
        .size:           8
        .value_kind:     by_value
      - .offset:         424
        .size:           8
        .value_kind:     by_value
      - .offset:         432
        .size:           8
        .value_kind:     by_value
      - .offset:         440
        .size:           8
        .value_kind:     by_value
      - .offset:         448
        .size:           416
        .value_kind:     by_value
      - .offset:         864
        .size:           416
        .value_kind:     by_value
      - .offset:         1280
        .size:           4
        .value_kind:     hidden_block_count_x
      - .offset:         1284
        .size:           4
        .value_kind:     hidden_block_count_y
      - .offset:         1288
        .size:           4
        .value_kind:     hidden_block_count_z
      - .offset:         1292
        .size:           2
        .value_kind:     hidden_group_size_x
      - .offset:         1294
        .size:           2
        .value_kind:     hidden_group_size_y
      - .offset:         1296
        .size:           2
        .value_kind:     hidden_group_size_z
      - .offset:         1298
        .size:           2
        .value_kind:     hidden_remainder_x
      - .offset:         1300
        .size:           2
        .value_kind:     hidden_remainder_y
      - .offset:         1302
        .size:           2
        .value_kind:     hidden_remainder_z
      - .offset:         1320
        .size:           8
        .value_kind:     hidden_global_offset_x
      - .offset:         1328
        .size:           8
        .value_kind:     hidden_global_offset_y
      - .offset:         1336
        .size:           8
        .value_kind:     hidden_global_offset_z
      - .offset:         1344
        .size:           2
        .value_kind:     hidden_grid_dims
    .group_segment_fixed_size: 5144
    .kernarg_segment_align: 8
    .kernarg_segment_size: 1536
    .language:       OpenCL C
    .language_version:
      - 2
      - 0
    .max_flat_workgroup_size: 1024
    .name:           _ZN2at6native12_GLOBAL__N_114gatherKthValueIslLi3EEEvNS_4cuda6detail10TensorInfoIKT_T0_EES8_S8_S8_S8_NS5_IS6_S8_EENS5_IlS8_EE
    .private_segment_fixed_size: 0
    .sgpr_count:     107
    .sgpr_spill_count: 16
    .symbol:         _ZN2at6native12_GLOBAL__N_114gatherKthValueIslLi3EEEvNS_4cuda6detail10TensorInfoIKT_T0_EES8_S8_S8_S8_NS5_IS6_S8_EENS5_IlS8_EE.kd
    .uniform_work_group_size: 1
    .uses_dynamic_stack: false
    .vgpr_count:     56
    .vgpr_spill_count: 0
    .wavefront_size: 32
    .workgroup_processor_mode: 1
  - .args:
      - .offset:         0
        .size:           416
        .value_kind:     by_value
      - .offset:         416
        .size:           8
        .value_kind:     by_value
      - .offset:         424
        .size:           8
        .value_kind:     by_value
      - .offset:         432
        .size:           8
        .value_kind:     by_value
      - .offset:         440
        .size:           8
        .value_kind:     by_value
      - .offset:         448
        .size:           416
        .value_kind:     by_value
      - .offset:         864
        .size:           416
        .value_kind:     by_value
      - .offset:         1280
        .size:           4
        .value_kind:     hidden_block_count_x
      - .offset:         1284
        .size:           4
        .value_kind:     hidden_block_count_y
      - .offset:         1288
        .size:           4
        .value_kind:     hidden_block_count_z
      - .offset:         1292
        .size:           2
        .value_kind:     hidden_group_size_x
      - .offset:         1294
        .size:           2
        .value_kind:     hidden_group_size_y
      - .offset:         1296
        .size:           2
        .value_kind:     hidden_group_size_z
      - .offset:         1298
        .size:           2
        .value_kind:     hidden_remainder_x
      - .offset:         1300
        .size:           2
        .value_kind:     hidden_remainder_y
      - .offset:         1302
        .size:           2
        .value_kind:     hidden_remainder_z
      - .offset:         1320
        .size:           8
        .value_kind:     hidden_global_offset_x
      - .offset:         1328
        .size:           8
        .value_kind:     hidden_global_offset_y
      - .offset:         1336
        .size:           8
        .value_kind:     hidden_global_offset_z
      - .offset:         1344
        .size:           2
        .value_kind:     hidden_grid_dims
    .group_segment_fixed_size: 5144
    .kernarg_segment_align: 8
    .kernarg_segment_size: 1536
    .language:       OpenCL C
    .language_version:
      - 2
      - 0
    .max_flat_workgroup_size: 1024
    .name:           _ZN2at6native12_GLOBAL__N_114gatherKthValueIslLin1EEEvNS_4cuda6detail10TensorInfoIKT_T0_EES8_S8_S8_S8_NS5_IS6_S8_EENS5_IlS8_EE
    .private_segment_fixed_size: 0
    .sgpr_count:     106
    .sgpr_spill_count: 0
    .symbol:         _ZN2at6native12_GLOBAL__N_114gatherKthValueIslLin1EEEvNS_4cuda6detail10TensorInfoIKT_T0_EES8_S8_S8_S8_NS5_IS6_S8_EENS5_IlS8_EE.kd
    .uniform_work_group_size: 1
    .uses_dynamic_stack: false
    .vgpr_count:     64
    .vgpr_spill_count: 0
    .wavefront_size: 32
    .workgroup_processor_mode: 1
  - .args:
      - .offset:         0
        .size:           216
        .value_kind:     by_value
      - .offset:         216
        .size:           4
        .value_kind:     by_value
      - .offset:         220
        .size:           4
        .value_kind:     by_value
      - .offset:         224
        .size:           4
        .value_kind:     by_value
      - .offset:         228
        .size:           4
        .value_kind:     by_value
      - .offset:         232
        .size:           216
        .value_kind:     by_value
      - .offset:         448
        .size:           216
        .value_kind:     by_value
      - .offset:         664
        .size:           4
        .value_kind:     hidden_block_count_x
      - .offset:         668
        .size:           4
        .value_kind:     hidden_block_count_y
      - .offset:         672
        .size:           4
        .value_kind:     hidden_block_count_z
      - .offset:         676
        .size:           2
        .value_kind:     hidden_group_size_x
      - .offset:         678
        .size:           2
        .value_kind:     hidden_group_size_y
      - .offset:         680
        .size:           2
        .value_kind:     hidden_group_size_z
      - .offset:         682
        .size:           2
        .value_kind:     hidden_remainder_x
      - .offset:         684
        .size:           2
        .value_kind:     hidden_remainder_y
      - .offset:         686
        .size:           2
        .value_kind:     hidden_remainder_z
      - .offset:         704
        .size:           8
        .value_kind:     hidden_global_offset_x
      - .offset:         712
        .size:           8
        .value_kind:     hidden_global_offset_y
      - .offset:         720
        .size:           8
        .value_kind:     hidden_global_offset_z
      - .offset:         728
        .size:           2
        .value_kind:     hidden_grid_dims
    .group_segment_fixed_size: 4112
    .kernarg_segment_align: 8
    .kernarg_segment_size: 920
    .language:       OpenCL C
    .language_version:
      - 2
      - 0
    .max_flat_workgroup_size: 1024
    .name:           _ZN2at6native12_GLOBAL__N_114gatherKthValueIdiLi1EEEvNS_4cuda6detail10TensorInfoIKT_T0_EES8_S8_S8_S8_NS5_IS6_S8_EENS5_IlS8_EE
    .private_segment_fixed_size: 0
    .sgpr_count:     82
    .sgpr_spill_count: 0
    .symbol:         _ZN2at6native12_GLOBAL__N_114gatherKthValueIdiLi1EEEvNS_4cuda6detail10TensorInfoIKT_T0_EES8_S8_S8_S8_NS5_IS6_S8_EENS5_IlS8_EE.kd
    .uniform_work_group_size: 1
    .uses_dynamic_stack: false
    .vgpr_count:     56
    .vgpr_spill_count: 0
    .wavefront_size: 32
    .workgroup_processor_mode: 1
  - .args:
      - .offset:         0
        .size:           216
        .value_kind:     by_value
      - .offset:         216
        .size:           4
        .value_kind:     by_value
      - .offset:         220
        .size:           4
        .value_kind:     by_value
      - .offset:         224
        .size:           4
        .value_kind:     by_value
      - .offset:         228
        .size:           4
        .value_kind:     by_value
      - .offset:         232
        .size:           216
        .value_kind:     by_value
      - .offset:         448
        .size:           216
        .value_kind:     by_value
      - .offset:         664
        .size:           4
        .value_kind:     hidden_block_count_x
      - .offset:         668
        .size:           4
        .value_kind:     hidden_block_count_y
      - .offset:         672
        .size:           4
        .value_kind:     hidden_block_count_z
      - .offset:         676
        .size:           2
        .value_kind:     hidden_group_size_x
      - .offset:         678
        .size:           2
        .value_kind:     hidden_group_size_y
      - .offset:         680
        .size:           2
        .value_kind:     hidden_group_size_z
      - .offset:         682
        .size:           2
        .value_kind:     hidden_remainder_x
      - .offset:         684
        .size:           2
        .value_kind:     hidden_remainder_y
      - .offset:         686
        .size:           2
        .value_kind:     hidden_remainder_z
      - .offset:         704
        .size:           8
        .value_kind:     hidden_global_offset_x
      - .offset:         712
        .size:           8
        .value_kind:     hidden_global_offset_y
      - .offset:         720
        .size:           8
        .value_kind:     hidden_global_offset_z
      - .offset:         728
        .size:           2
        .value_kind:     hidden_grid_dims
    .group_segment_fixed_size: 4112
    .kernarg_segment_align: 8
    .kernarg_segment_size: 920
    .language:       OpenCL C
    .language_version:
      - 2
      - 0
    .max_flat_workgroup_size: 1024
    .name:           _ZN2at6native12_GLOBAL__N_114gatherKthValueIdiLi2EEEvNS_4cuda6detail10TensorInfoIKT_T0_EES8_S8_S8_S8_NS5_IS6_S8_EENS5_IlS8_EE
    .private_segment_fixed_size: 0
    .sgpr_count:     94
    .sgpr_spill_count: 0
    .symbol:         _ZN2at6native12_GLOBAL__N_114gatherKthValueIdiLi2EEEvNS_4cuda6detail10TensorInfoIKT_T0_EES8_S8_S8_S8_NS5_IS6_S8_EENS5_IlS8_EE.kd
    .uniform_work_group_size: 1
    .uses_dynamic_stack: false
    .vgpr_count:     56
    .vgpr_spill_count: 0
    .wavefront_size: 32
    .workgroup_processor_mode: 1
  - .args:
      - .offset:         0
        .size:           216
        .value_kind:     by_value
      - .offset:         216
        .size:           4
        .value_kind:     by_value
      - .offset:         220
        .size:           4
        .value_kind:     by_value
      - .offset:         224
        .size:           4
        .value_kind:     by_value
      - .offset:         228
        .size:           4
        .value_kind:     by_value
      - .offset:         232
        .size:           216
        .value_kind:     by_value
      - .offset:         448
        .size:           216
        .value_kind:     by_value
      - .offset:         664
        .size:           4
        .value_kind:     hidden_block_count_x
      - .offset:         668
        .size:           4
        .value_kind:     hidden_block_count_y
      - .offset:         672
        .size:           4
        .value_kind:     hidden_block_count_z
      - .offset:         676
        .size:           2
        .value_kind:     hidden_group_size_x
      - .offset:         678
        .size:           2
        .value_kind:     hidden_group_size_y
      - .offset:         680
        .size:           2
        .value_kind:     hidden_group_size_z
      - .offset:         682
        .size:           2
        .value_kind:     hidden_remainder_x
      - .offset:         684
        .size:           2
        .value_kind:     hidden_remainder_y
      - .offset:         686
        .size:           2
        .value_kind:     hidden_remainder_z
      - .offset:         704
        .size:           8
        .value_kind:     hidden_global_offset_x
      - .offset:         712
        .size:           8
        .value_kind:     hidden_global_offset_y
      - .offset:         720
        .size:           8
        .value_kind:     hidden_global_offset_z
      - .offset:         728
        .size:           2
        .value_kind:     hidden_grid_dims
    .group_segment_fixed_size: 4112
    .kernarg_segment_align: 8
    .kernarg_segment_size: 920
    .language:       OpenCL C
    .language_version:
      - 2
      - 0
    .max_flat_workgroup_size: 1024
    .name:           _ZN2at6native12_GLOBAL__N_114gatherKthValueIdiLi3EEEvNS_4cuda6detail10TensorInfoIKT_T0_EES8_S8_S8_S8_NS5_IS6_S8_EENS5_IlS8_EE
    .private_segment_fixed_size: 0
    .sgpr_count:     102
    .sgpr_spill_count: 0
    .symbol:         _ZN2at6native12_GLOBAL__N_114gatherKthValueIdiLi3EEEvNS_4cuda6detail10TensorInfoIKT_T0_EES8_S8_S8_S8_NS5_IS6_S8_EENS5_IlS8_EE.kd
    .uniform_work_group_size: 1
    .uses_dynamic_stack: false
    .vgpr_count:     56
    .vgpr_spill_count: 0
    .wavefront_size: 32
    .workgroup_processor_mode: 1
  - .args:
      - .offset:         0
        .size:           216
        .value_kind:     by_value
      - .offset:         216
        .size:           4
        .value_kind:     by_value
      - .offset:         220
        .size:           4
        .value_kind:     by_value
      - .offset:         224
        .size:           4
        .value_kind:     by_value
      - .offset:         228
        .size:           4
        .value_kind:     by_value
      - .offset:         232
        .size:           216
        .value_kind:     by_value
      - .offset:         448
        .size:           216
        .value_kind:     by_value
      - .offset:         664
        .size:           4
        .value_kind:     hidden_block_count_x
      - .offset:         668
        .size:           4
        .value_kind:     hidden_block_count_y
      - .offset:         672
        .size:           4
        .value_kind:     hidden_block_count_z
      - .offset:         676
        .size:           2
        .value_kind:     hidden_group_size_x
      - .offset:         678
        .size:           2
        .value_kind:     hidden_group_size_y
      - .offset:         680
        .size:           2
        .value_kind:     hidden_group_size_z
      - .offset:         682
        .size:           2
        .value_kind:     hidden_remainder_x
      - .offset:         684
        .size:           2
        .value_kind:     hidden_remainder_y
      - .offset:         686
        .size:           2
        .value_kind:     hidden_remainder_z
      - .offset:         704
        .size:           8
        .value_kind:     hidden_global_offset_x
      - .offset:         712
        .size:           8
        .value_kind:     hidden_global_offset_y
      - .offset:         720
        .size:           8
        .value_kind:     hidden_global_offset_z
      - .offset:         728
        .size:           2
        .value_kind:     hidden_grid_dims
    .group_segment_fixed_size: 4112
    .kernarg_segment_align: 8
    .kernarg_segment_size: 920
    .language:       OpenCL C
    .language_version:
      - 2
      - 0
    .max_flat_workgroup_size: 1024
    .name:           _ZN2at6native12_GLOBAL__N_114gatherKthValueIdiLin1EEEvNS_4cuda6detail10TensorInfoIKT_T0_EES8_S8_S8_S8_NS5_IS6_S8_EENS5_IlS8_EE
    .private_segment_fixed_size: 0
    .sgpr_count:     85
    .sgpr_spill_count: 0
    .symbol:         _ZN2at6native12_GLOBAL__N_114gatherKthValueIdiLin1EEEvNS_4cuda6detail10TensorInfoIKT_T0_EES8_S8_S8_S8_NS5_IS6_S8_EENS5_IlS8_EE.kd
    .uniform_work_group_size: 1
    .uses_dynamic_stack: false
    .vgpr_count:     56
    .vgpr_spill_count: 0
    .wavefront_size: 32
    .workgroup_processor_mode: 1
  - .args:
      - .offset:         0
        .size:           416
        .value_kind:     by_value
      - .offset:         416
        .size:           8
        .value_kind:     by_value
      - .offset:         424
        .size:           8
        .value_kind:     by_value
      - .offset:         432
        .size:           8
        .value_kind:     by_value
      - .offset:         440
        .size:           8
        .value_kind:     by_value
      - .offset:         448
        .size:           416
        .value_kind:     by_value
      - .offset:         864
        .size:           416
        .value_kind:     by_value
      - .offset:         1280
        .size:           4
        .value_kind:     hidden_block_count_x
      - .offset:         1284
        .size:           4
        .value_kind:     hidden_block_count_y
      - .offset:         1288
        .size:           4
        .value_kind:     hidden_block_count_z
      - .offset:         1292
        .size:           2
        .value_kind:     hidden_group_size_x
      - .offset:         1294
        .size:           2
        .value_kind:     hidden_group_size_y
      - .offset:         1296
        .size:           2
        .value_kind:     hidden_group_size_z
      - .offset:         1298
        .size:           2
        .value_kind:     hidden_remainder_x
      - .offset:         1300
        .size:           2
        .value_kind:     hidden_remainder_y
      - .offset:         1302
        .size:           2
        .value_kind:     hidden_remainder_z
      - .offset:         1320
        .size:           8
        .value_kind:     hidden_global_offset_x
      - .offset:         1328
        .size:           8
        .value_kind:     hidden_global_offset_y
      - .offset:         1336
        .size:           8
        .value_kind:     hidden_global_offset_z
      - .offset:         1344
        .size:           2
        .value_kind:     hidden_grid_dims
    .group_segment_fixed_size: 5144
    .kernarg_segment_align: 8
    .kernarg_segment_size: 1536
    .language:       OpenCL C
    .language_version:
      - 2
      - 0
    .max_flat_workgroup_size: 1024
    .name:           _ZN2at6native12_GLOBAL__N_114gatherKthValueIdlLi1EEEvNS_4cuda6detail10TensorInfoIKT_T0_EES8_S8_S8_S8_NS5_IS6_S8_EENS5_IlS8_EE
    .private_segment_fixed_size: 0
    .sgpr_count:     98
    .sgpr_spill_count: 0
    .symbol:         _ZN2at6native12_GLOBAL__N_114gatherKthValueIdlLi1EEEvNS_4cuda6detail10TensorInfoIKT_T0_EES8_S8_S8_S8_NS5_IS6_S8_EENS5_IlS8_EE.kd
    .uniform_work_group_size: 1
    .uses_dynamic_stack: false
    .vgpr_count:     64
    .vgpr_spill_count: 0
    .wavefront_size: 32
    .workgroup_processor_mode: 1
  - .args:
      - .offset:         0
        .size:           416
        .value_kind:     by_value
      - .offset:         416
        .size:           8
        .value_kind:     by_value
      - .offset:         424
        .size:           8
        .value_kind:     by_value
      - .offset:         432
        .size:           8
        .value_kind:     by_value
      - .offset:         440
        .size:           8
        .value_kind:     by_value
      - .offset:         448
        .size:           416
        .value_kind:     by_value
      - .offset:         864
        .size:           416
        .value_kind:     by_value
      - .offset:         1280
        .size:           4
        .value_kind:     hidden_block_count_x
      - .offset:         1284
        .size:           4
        .value_kind:     hidden_block_count_y
      - .offset:         1288
        .size:           4
        .value_kind:     hidden_block_count_z
      - .offset:         1292
        .size:           2
        .value_kind:     hidden_group_size_x
      - .offset:         1294
        .size:           2
        .value_kind:     hidden_group_size_y
      - .offset:         1296
        .size:           2
        .value_kind:     hidden_group_size_z
      - .offset:         1298
        .size:           2
        .value_kind:     hidden_remainder_x
      - .offset:         1300
        .size:           2
        .value_kind:     hidden_remainder_y
      - .offset:         1302
        .size:           2
        .value_kind:     hidden_remainder_z
      - .offset:         1320
        .size:           8
        .value_kind:     hidden_global_offset_x
      - .offset:         1328
        .size:           8
        .value_kind:     hidden_global_offset_y
      - .offset:         1336
        .size:           8
        .value_kind:     hidden_global_offset_z
      - .offset:         1344
        .size:           2
        .value_kind:     hidden_grid_dims
    .group_segment_fixed_size: 5144
    .kernarg_segment_align: 8
    .kernarg_segment_size: 1536
    .language:       OpenCL C
    .language_version:
      - 2
      - 0
    .max_flat_workgroup_size: 1024
    .name:           _ZN2at6native12_GLOBAL__N_114gatherKthValueIdlLi2EEEvNS_4cuda6detail10TensorInfoIKT_T0_EES8_S8_S8_S8_NS5_IS6_S8_EENS5_IlS8_EE
    .private_segment_fixed_size: 0
    .sgpr_count:     106
    .sgpr_spill_count: 0
    .symbol:         _ZN2at6native12_GLOBAL__N_114gatherKthValueIdlLi2EEEvNS_4cuda6detail10TensorInfoIKT_T0_EES8_S8_S8_S8_NS5_IS6_S8_EENS5_IlS8_EE.kd
    .uniform_work_group_size: 1
    .uses_dynamic_stack: false
    .vgpr_count:     67
    .vgpr_spill_count: 0
    .wavefront_size: 32
    .workgroup_processor_mode: 1
  - .args:
      - .offset:         0
        .size:           416
        .value_kind:     by_value
      - .offset:         416
        .size:           8
        .value_kind:     by_value
      - .offset:         424
        .size:           8
        .value_kind:     by_value
      - .offset:         432
        .size:           8
        .value_kind:     by_value
      - .offset:         440
        .size:           8
        .value_kind:     by_value
      - .offset:         448
        .size:           416
        .value_kind:     by_value
      - .offset:         864
        .size:           416
        .value_kind:     by_value
      - .offset:         1280
        .size:           4
        .value_kind:     hidden_block_count_x
      - .offset:         1284
        .size:           4
        .value_kind:     hidden_block_count_y
      - .offset:         1288
        .size:           4
        .value_kind:     hidden_block_count_z
      - .offset:         1292
        .size:           2
        .value_kind:     hidden_group_size_x
      - .offset:         1294
        .size:           2
        .value_kind:     hidden_group_size_y
      - .offset:         1296
        .size:           2
        .value_kind:     hidden_group_size_z
      - .offset:         1298
        .size:           2
        .value_kind:     hidden_remainder_x
      - .offset:         1300
        .size:           2
        .value_kind:     hidden_remainder_y
      - .offset:         1302
        .size:           2
        .value_kind:     hidden_remainder_z
      - .offset:         1320
        .size:           8
        .value_kind:     hidden_global_offset_x
      - .offset:         1328
        .size:           8
        .value_kind:     hidden_global_offset_y
      - .offset:         1336
        .size:           8
        .value_kind:     hidden_global_offset_z
      - .offset:         1344
        .size:           2
        .value_kind:     hidden_grid_dims
    .group_segment_fixed_size: 5144
    .kernarg_segment_align: 8
    .kernarg_segment_size: 1536
    .language:       OpenCL C
    .language_version:
      - 2
      - 0
    .max_flat_workgroup_size: 1024
    .name:           _ZN2at6native12_GLOBAL__N_114gatherKthValueIdlLi3EEEvNS_4cuda6detail10TensorInfoIKT_T0_EES8_S8_S8_S8_NS5_IS6_S8_EENS5_IlS8_EE
    .private_segment_fixed_size: 0
    .sgpr_count:     107
    .sgpr_spill_count: 12
    .symbol:         _ZN2at6native12_GLOBAL__N_114gatherKthValueIdlLi3EEEvNS_4cuda6detail10TensorInfoIKT_T0_EES8_S8_S8_S8_NS5_IS6_S8_EENS5_IlS8_EE.kd
    .uniform_work_group_size: 1
    .uses_dynamic_stack: false
    .vgpr_count:     60
    .vgpr_spill_count: 0
    .wavefront_size: 32
    .workgroup_processor_mode: 1
  - .args:
      - .offset:         0
        .size:           416
        .value_kind:     by_value
      - .offset:         416
        .size:           8
        .value_kind:     by_value
      - .offset:         424
        .size:           8
        .value_kind:     by_value
      - .offset:         432
        .size:           8
        .value_kind:     by_value
      - .offset:         440
        .size:           8
        .value_kind:     by_value
      - .offset:         448
        .size:           416
        .value_kind:     by_value
      - .offset:         864
        .size:           416
        .value_kind:     by_value
      - .offset:         1280
        .size:           4
        .value_kind:     hidden_block_count_x
      - .offset:         1284
        .size:           4
        .value_kind:     hidden_block_count_y
      - .offset:         1288
        .size:           4
        .value_kind:     hidden_block_count_z
      - .offset:         1292
        .size:           2
        .value_kind:     hidden_group_size_x
      - .offset:         1294
        .size:           2
        .value_kind:     hidden_group_size_y
      - .offset:         1296
        .size:           2
        .value_kind:     hidden_group_size_z
      - .offset:         1298
        .size:           2
        .value_kind:     hidden_remainder_x
      - .offset:         1300
        .size:           2
        .value_kind:     hidden_remainder_y
      - .offset:         1302
        .size:           2
        .value_kind:     hidden_remainder_z
      - .offset:         1320
        .size:           8
        .value_kind:     hidden_global_offset_x
      - .offset:         1328
        .size:           8
        .value_kind:     hidden_global_offset_y
      - .offset:         1336
        .size:           8
        .value_kind:     hidden_global_offset_z
      - .offset:         1344
        .size:           2
        .value_kind:     hidden_grid_dims
    .group_segment_fixed_size: 5144
    .kernarg_segment_align: 8
    .kernarg_segment_size: 1536
    .language:       OpenCL C
    .language_version:
      - 2
      - 0
    .max_flat_workgroup_size: 1024
    .name:           _ZN2at6native12_GLOBAL__N_114gatherKthValueIdlLin1EEEvNS_4cuda6detail10TensorInfoIKT_T0_EES8_S8_S8_S8_NS5_IS6_S8_EENS5_IlS8_EE
    .private_segment_fixed_size: 0
    .sgpr_count:     102
    .sgpr_spill_count: 0
    .symbol:         _ZN2at6native12_GLOBAL__N_114gatherKthValueIdlLin1EEEvNS_4cuda6detail10TensorInfoIKT_T0_EES8_S8_S8_S8_NS5_IS6_S8_EENS5_IlS8_EE.kd
    .uniform_work_group_size: 1
    .uses_dynamic_stack: false
    .vgpr_count:     73
    .vgpr_spill_count: 0
    .wavefront_size: 32
    .workgroup_processor_mode: 1
  - .args:
      - .offset:         0
        .size:           216
        .value_kind:     by_value
      - .offset:         216
        .size:           4
        .value_kind:     by_value
      - .offset:         220
        .size:           4
        .value_kind:     by_value
      - .offset:         224
        .size:           4
        .value_kind:     by_value
      - .offset:         228
        .size:           4
        .value_kind:     by_value
      - .offset:         232
        .size:           216
        .value_kind:     by_value
      - .offset:         448
        .size:           216
        .value_kind:     by_value
      - .offset:         664
        .size:           4
        .value_kind:     hidden_block_count_x
      - .offset:         668
        .size:           4
        .value_kind:     hidden_block_count_y
      - .offset:         672
        .size:           4
        .value_kind:     hidden_block_count_z
      - .offset:         676
        .size:           2
        .value_kind:     hidden_group_size_x
      - .offset:         678
        .size:           2
        .value_kind:     hidden_group_size_y
      - .offset:         680
        .size:           2
        .value_kind:     hidden_group_size_z
      - .offset:         682
        .size:           2
        .value_kind:     hidden_remainder_x
      - .offset:         684
        .size:           2
        .value_kind:     hidden_remainder_y
      - .offset:         686
        .size:           2
        .value_kind:     hidden_remainder_z
      - .offset:         704
        .size:           8
        .value_kind:     hidden_global_offset_x
      - .offset:         712
        .size:           8
        .value_kind:     hidden_global_offset_y
      - .offset:         720
        .size:           8
        .value_kind:     hidden_global_offset_z
      - .offset:         728
        .size:           2
        .value_kind:     hidden_grid_dims
    .group_segment_fixed_size: 4112
    .kernarg_segment_align: 8
    .kernarg_segment_size: 920
    .language:       OpenCL C
    .language_version:
      - 2
      - 0
    .max_flat_workgroup_size: 1024
    .name:           _ZN2at6native12_GLOBAL__N_114gatherKthValueIfiLi1EEEvNS_4cuda6detail10TensorInfoIKT_T0_EES8_S8_S8_S8_NS5_IS6_S8_EENS5_IlS8_EE
    .private_segment_fixed_size: 0
    .sgpr_count:     81
    .sgpr_spill_count: 0
    .symbol:         _ZN2at6native12_GLOBAL__N_114gatherKthValueIfiLi1EEEvNS_4cuda6detail10TensorInfoIKT_T0_EES8_S8_S8_S8_NS5_IS6_S8_EENS5_IlS8_EE.kd
    .uniform_work_group_size: 1
    .uses_dynamic_stack: false
    .vgpr_count:     44
    .vgpr_spill_count: 0
    .wavefront_size: 32
    .workgroup_processor_mode: 1
  - .args:
      - .offset:         0
        .size:           216
        .value_kind:     by_value
      - .offset:         216
        .size:           4
        .value_kind:     by_value
      - .offset:         220
        .size:           4
        .value_kind:     by_value
      - .offset:         224
        .size:           4
        .value_kind:     by_value
      - .offset:         228
        .size:           4
        .value_kind:     by_value
      - .offset:         232
        .size:           216
        .value_kind:     by_value
      - .offset:         448
        .size:           216
        .value_kind:     by_value
      - .offset:         664
        .size:           4
        .value_kind:     hidden_block_count_x
      - .offset:         668
        .size:           4
        .value_kind:     hidden_block_count_y
      - .offset:         672
        .size:           4
        .value_kind:     hidden_block_count_z
      - .offset:         676
        .size:           2
        .value_kind:     hidden_group_size_x
      - .offset:         678
        .size:           2
        .value_kind:     hidden_group_size_y
      - .offset:         680
        .size:           2
        .value_kind:     hidden_group_size_z
      - .offset:         682
        .size:           2
        .value_kind:     hidden_remainder_x
      - .offset:         684
        .size:           2
        .value_kind:     hidden_remainder_y
      - .offset:         686
        .size:           2
        .value_kind:     hidden_remainder_z
      - .offset:         704
        .size:           8
        .value_kind:     hidden_global_offset_x
      - .offset:         712
        .size:           8
        .value_kind:     hidden_global_offset_y
      - .offset:         720
        .size:           8
        .value_kind:     hidden_global_offset_z
      - .offset:         728
        .size:           2
        .value_kind:     hidden_grid_dims
    .group_segment_fixed_size: 4112
    .kernarg_segment_align: 8
    .kernarg_segment_size: 920
    .language:       OpenCL C
    .language_version:
      - 2
      - 0
    .max_flat_workgroup_size: 1024
    .name:           _ZN2at6native12_GLOBAL__N_114gatherKthValueIfiLi2EEEvNS_4cuda6detail10TensorInfoIKT_T0_EES8_S8_S8_S8_NS5_IS6_S8_EENS5_IlS8_EE
    .private_segment_fixed_size: 0
    .sgpr_count:     93
    .sgpr_spill_count: 0
    .symbol:         _ZN2at6native12_GLOBAL__N_114gatherKthValueIfiLi2EEEvNS_4cuda6detail10TensorInfoIKT_T0_EES8_S8_S8_S8_NS5_IS6_S8_EENS5_IlS8_EE.kd
    .uniform_work_group_size: 1
    .uses_dynamic_stack: false
    .vgpr_count:     44
    .vgpr_spill_count: 0
    .wavefront_size: 32
    .workgroup_processor_mode: 1
  - .args:
      - .offset:         0
        .size:           216
        .value_kind:     by_value
      - .offset:         216
        .size:           4
        .value_kind:     by_value
      - .offset:         220
        .size:           4
        .value_kind:     by_value
      - .offset:         224
        .size:           4
        .value_kind:     by_value
      - .offset:         228
        .size:           4
        .value_kind:     by_value
      - .offset:         232
        .size:           216
        .value_kind:     by_value
      - .offset:         448
        .size:           216
        .value_kind:     by_value
      - .offset:         664
        .size:           4
        .value_kind:     hidden_block_count_x
      - .offset:         668
        .size:           4
        .value_kind:     hidden_block_count_y
      - .offset:         672
        .size:           4
        .value_kind:     hidden_block_count_z
      - .offset:         676
        .size:           2
        .value_kind:     hidden_group_size_x
      - .offset:         678
        .size:           2
        .value_kind:     hidden_group_size_y
      - .offset:         680
        .size:           2
        .value_kind:     hidden_group_size_z
      - .offset:         682
        .size:           2
        .value_kind:     hidden_remainder_x
      - .offset:         684
        .size:           2
        .value_kind:     hidden_remainder_y
      - .offset:         686
        .size:           2
        .value_kind:     hidden_remainder_z
      - .offset:         704
        .size:           8
        .value_kind:     hidden_global_offset_x
      - .offset:         712
        .size:           8
        .value_kind:     hidden_global_offset_y
      - .offset:         720
        .size:           8
        .value_kind:     hidden_global_offset_z
      - .offset:         728
        .size:           2
        .value_kind:     hidden_grid_dims
    .group_segment_fixed_size: 4112
    .kernarg_segment_align: 8
    .kernarg_segment_size: 920
    .language:       OpenCL C
    .language_version:
      - 2
      - 0
    .max_flat_workgroup_size: 1024
    .name:           _ZN2at6native12_GLOBAL__N_114gatherKthValueIfiLi3EEEvNS_4cuda6detail10TensorInfoIKT_T0_EES8_S8_S8_S8_NS5_IS6_S8_EENS5_IlS8_EE
    .private_segment_fixed_size: 0
    .sgpr_count:     101
    .sgpr_spill_count: 0
    .symbol:         _ZN2at6native12_GLOBAL__N_114gatherKthValueIfiLi3EEEvNS_4cuda6detail10TensorInfoIKT_T0_EES8_S8_S8_S8_NS5_IS6_S8_EENS5_IlS8_EE.kd
    .uniform_work_group_size: 1
    .uses_dynamic_stack: false
    .vgpr_count:     44
    .vgpr_spill_count: 0
    .wavefront_size: 32
    .workgroup_processor_mode: 1
  - .args:
      - .offset:         0
        .size:           216
        .value_kind:     by_value
      - .offset:         216
        .size:           4
        .value_kind:     by_value
      - .offset:         220
        .size:           4
        .value_kind:     by_value
      - .offset:         224
        .size:           4
        .value_kind:     by_value
      - .offset:         228
        .size:           4
        .value_kind:     by_value
      - .offset:         232
        .size:           216
        .value_kind:     by_value
      - .offset:         448
        .size:           216
        .value_kind:     by_value
      - .offset:         664
        .size:           4
        .value_kind:     hidden_block_count_x
      - .offset:         668
        .size:           4
        .value_kind:     hidden_block_count_y
      - .offset:         672
        .size:           4
        .value_kind:     hidden_block_count_z
      - .offset:         676
        .size:           2
        .value_kind:     hidden_group_size_x
      - .offset:         678
        .size:           2
        .value_kind:     hidden_group_size_y
      - .offset:         680
        .size:           2
        .value_kind:     hidden_group_size_z
      - .offset:         682
        .size:           2
        .value_kind:     hidden_remainder_x
      - .offset:         684
        .size:           2
        .value_kind:     hidden_remainder_y
      - .offset:         686
        .size:           2
        .value_kind:     hidden_remainder_z
      - .offset:         704
        .size:           8
        .value_kind:     hidden_global_offset_x
      - .offset:         712
        .size:           8
        .value_kind:     hidden_global_offset_y
      - .offset:         720
        .size:           8
        .value_kind:     hidden_global_offset_z
      - .offset:         728
        .size:           2
        .value_kind:     hidden_grid_dims
    .group_segment_fixed_size: 4112
    .kernarg_segment_align: 8
    .kernarg_segment_size: 920
    .language:       OpenCL C
    .language_version:
      - 2
      - 0
    .max_flat_workgroup_size: 1024
    .name:           _ZN2at6native12_GLOBAL__N_114gatherKthValueIfiLin1EEEvNS_4cuda6detail10TensorInfoIKT_T0_EES8_S8_S8_S8_NS5_IS6_S8_EENS5_IlS8_EE
    .private_segment_fixed_size: 0
    .sgpr_count:     84
    .sgpr_spill_count: 0
    .symbol:         _ZN2at6native12_GLOBAL__N_114gatherKthValueIfiLin1EEEvNS_4cuda6detail10TensorInfoIKT_T0_EES8_S8_S8_S8_NS5_IS6_S8_EENS5_IlS8_EE.kd
    .uniform_work_group_size: 1
    .uses_dynamic_stack: false
    .vgpr_count:     44
    .vgpr_spill_count: 0
    .wavefront_size: 32
    .workgroup_processor_mode: 1
  - .args:
      - .offset:         0
        .size:           416
        .value_kind:     by_value
      - .offset:         416
        .size:           8
        .value_kind:     by_value
      - .offset:         424
        .size:           8
        .value_kind:     by_value
      - .offset:         432
        .size:           8
        .value_kind:     by_value
      - .offset:         440
        .size:           8
        .value_kind:     by_value
      - .offset:         448
        .size:           416
        .value_kind:     by_value
      - .offset:         864
        .size:           416
        .value_kind:     by_value
      - .offset:         1280
        .size:           4
        .value_kind:     hidden_block_count_x
      - .offset:         1284
        .size:           4
        .value_kind:     hidden_block_count_y
      - .offset:         1288
        .size:           4
        .value_kind:     hidden_block_count_z
      - .offset:         1292
        .size:           2
        .value_kind:     hidden_group_size_x
      - .offset:         1294
        .size:           2
        .value_kind:     hidden_group_size_y
      - .offset:         1296
        .size:           2
        .value_kind:     hidden_group_size_z
      - .offset:         1298
        .size:           2
        .value_kind:     hidden_remainder_x
      - .offset:         1300
        .size:           2
        .value_kind:     hidden_remainder_y
      - .offset:         1302
        .size:           2
        .value_kind:     hidden_remainder_z
      - .offset:         1320
        .size:           8
        .value_kind:     hidden_global_offset_x
      - .offset:         1328
        .size:           8
        .value_kind:     hidden_global_offset_y
      - .offset:         1336
        .size:           8
        .value_kind:     hidden_global_offset_z
      - .offset:         1344
        .size:           2
        .value_kind:     hidden_grid_dims
    .group_segment_fixed_size: 5144
    .kernarg_segment_align: 8
    .kernarg_segment_size: 1536
    .language:       OpenCL C
    .language_version:
      - 2
      - 0
    .max_flat_workgroup_size: 1024
    .name:           _ZN2at6native12_GLOBAL__N_114gatherKthValueIflLi1EEEvNS_4cuda6detail10TensorInfoIKT_T0_EES8_S8_S8_S8_NS5_IS6_S8_EENS5_IlS8_EE
    .private_segment_fixed_size: 0
    .sgpr_count:     98
    .sgpr_spill_count: 0
    .symbol:         _ZN2at6native12_GLOBAL__N_114gatherKthValueIflLi1EEEvNS_4cuda6detail10TensorInfoIKT_T0_EES8_S8_S8_S8_NS5_IS6_S8_EENS5_IlS8_EE.kd
    .uniform_work_group_size: 1
    .uses_dynamic_stack: false
    .vgpr_count:     52
    .vgpr_spill_count: 0
    .wavefront_size: 32
    .workgroup_processor_mode: 1
  - .args:
      - .offset:         0
        .size:           416
        .value_kind:     by_value
      - .offset:         416
        .size:           8
        .value_kind:     by_value
      - .offset:         424
        .size:           8
        .value_kind:     by_value
      - .offset:         432
        .size:           8
        .value_kind:     by_value
      - .offset:         440
        .size:           8
        .value_kind:     by_value
      - .offset:         448
        .size:           416
        .value_kind:     by_value
      - .offset:         864
        .size:           416
        .value_kind:     by_value
      - .offset:         1280
        .size:           4
        .value_kind:     hidden_block_count_x
      - .offset:         1284
        .size:           4
        .value_kind:     hidden_block_count_y
      - .offset:         1288
        .size:           4
        .value_kind:     hidden_block_count_z
      - .offset:         1292
        .size:           2
        .value_kind:     hidden_group_size_x
      - .offset:         1294
        .size:           2
        .value_kind:     hidden_group_size_y
      - .offset:         1296
        .size:           2
        .value_kind:     hidden_group_size_z
      - .offset:         1298
        .size:           2
        .value_kind:     hidden_remainder_x
      - .offset:         1300
        .size:           2
        .value_kind:     hidden_remainder_y
      - .offset:         1302
        .size:           2
        .value_kind:     hidden_remainder_z
      - .offset:         1320
        .size:           8
        .value_kind:     hidden_global_offset_x
      - .offset:         1328
        .size:           8
        .value_kind:     hidden_global_offset_y
      - .offset:         1336
        .size:           8
        .value_kind:     hidden_global_offset_z
      - .offset:         1344
        .size:           2
        .value_kind:     hidden_grid_dims
    .group_segment_fixed_size: 5144
    .kernarg_segment_align: 8
    .kernarg_segment_size: 1536
    .language:       OpenCL C
    .language_version:
      - 2
      - 0
    .max_flat_workgroup_size: 1024
    .name:           _ZN2at6native12_GLOBAL__N_114gatherKthValueIflLi2EEEvNS_4cuda6detail10TensorInfoIKT_T0_EES8_S8_S8_S8_NS5_IS6_S8_EENS5_IlS8_EE
    .private_segment_fixed_size: 0
    .sgpr_count:     106
    .sgpr_spill_count: 0
    .symbol:         _ZN2at6native12_GLOBAL__N_114gatherKthValueIflLi2EEEvNS_4cuda6detail10TensorInfoIKT_T0_EES8_S8_S8_S8_NS5_IS6_S8_EENS5_IlS8_EE.kd
    .uniform_work_group_size: 1
    .uses_dynamic_stack: false
    .vgpr_count:     56
    .vgpr_spill_count: 0
    .wavefront_size: 32
    .workgroup_processor_mode: 1
  - .args:
      - .offset:         0
        .size:           416
        .value_kind:     by_value
      - .offset:         416
        .size:           8
        .value_kind:     by_value
      - .offset:         424
        .size:           8
        .value_kind:     by_value
      - .offset:         432
        .size:           8
        .value_kind:     by_value
      - .offset:         440
        .size:           8
        .value_kind:     by_value
      - .offset:         448
        .size:           416
        .value_kind:     by_value
      - .offset:         864
        .size:           416
        .value_kind:     by_value
      - .offset:         1280
        .size:           4
        .value_kind:     hidden_block_count_x
      - .offset:         1284
        .size:           4
        .value_kind:     hidden_block_count_y
      - .offset:         1288
        .size:           4
        .value_kind:     hidden_block_count_z
      - .offset:         1292
        .size:           2
        .value_kind:     hidden_group_size_x
      - .offset:         1294
        .size:           2
        .value_kind:     hidden_group_size_y
      - .offset:         1296
        .size:           2
        .value_kind:     hidden_group_size_z
      - .offset:         1298
        .size:           2
        .value_kind:     hidden_remainder_x
      - .offset:         1300
        .size:           2
        .value_kind:     hidden_remainder_y
      - .offset:         1302
        .size:           2
        .value_kind:     hidden_remainder_z
      - .offset:         1320
        .size:           8
        .value_kind:     hidden_global_offset_x
      - .offset:         1328
        .size:           8
        .value_kind:     hidden_global_offset_y
      - .offset:         1336
        .size:           8
        .value_kind:     hidden_global_offset_z
      - .offset:         1344
        .size:           2
        .value_kind:     hidden_grid_dims
    .group_segment_fixed_size: 5144
    .kernarg_segment_align: 8
    .kernarg_segment_size: 1536
    .language:       OpenCL C
    .language_version:
      - 2
      - 0
    .max_flat_workgroup_size: 1024
    .name:           _ZN2at6native12_GLOBAL__N_114gatherKthValueIflLi3EEEvNS_4cuda6detail10TensorInfoIKT_T0_EES8_S8_S8_S8_NS5_IS6_S8_EENS5_IlS8_EE
    .private_segment_fixed_size: 0
    .sgpr_count:     107
    .sgpr_spill_count: 12
    .symbol:         _ZN2at6native12_GLOBAL__N_114gatherKthValueIflLi3EEEvNS_4cuda6detail10TensorInfoIKT_T0_EES8_S8_S8_S8_NS5_IS6_S8_EENS5_IlS8_EE.kd
    .uniform_work_group_size: 1
    .uses_dynamic_stack: false
    .vgpr_count:     54
    .vgpr_spill_count: 0
    .wavefront_size: 32
    .workgroup_processor_mode: 1
  - .args:
      - .offset:         0
        .size:           416
        .value_kind:     by_value
      - .offset:         416
        .size:           8
        .value_kind:     by_value
      - .offset:         424
        .size:           8
        .value_kind:     by_value
      - .offset:         432
        .size:           8
        .value_kind:     by_value
      - .offset:         440
        .size:           8
        .value_kind:     by_value
      - .offset:         448
        .size:           416
        .value_kind:     by_value
      - .offset:         864
        .size:           416
        .value_kind:     by_value
      - .offset:         1280
        .size:           4
        .value_kind:     hidden_block_count_x
      - .offset:         1284
        .size:           4
        .value_kind:     hidden_block_count_y
      - .offset:         1288
        .size:           4
        .value_kind:     hidden_block_count_z
      - .offset:         1292
        .size:           2
        .value_kind:     hidden_group_size_x
      - .offset:         1294
        .size:           2
        .value_kind:     hidden_group_size_y
      - .offset:         1296
        .size:           2
        .value_kind:     hidden_group_size_z
      - .offset:         1298
        .size:           2
        .value_kind:     hidden_remainder_x
      - .offset:         1300
        .size:           2
        .value_kind:     hidden_remainder_y
      - .offset:         1302
        .size:           2
        .value_kind:     hidden_remainder_z
      - .offset:         1320
        .size:           8
        .value_kind:     hidden_global_offset_x
      - .offset:         1328
        .size:           8
        .value_kind:     hidden_global_offset_y
      - .offset:         1336
        .size:           8
        .value_kind:     hidden_global_offset_z
      - .offset:         1344
        .size:           2
        .value_kind:     hidden_grid_dims
    .group_segment_fixed_size: 5144
    .kernarg_segment_align: 8
    .kernarg_segment_size: 1536
    .language:       OpenCL C
    .language_version:
      - 2
      - 0
    .max_flat_workgroup_size: 1024
    .name:           _ZN2at6native12_GLOBAL__N_114gatherKthValueIflLin1EEEvNS_4cuda6detail10TensorInfoIKT_T0_EES8_S8_S8_S8_NS5_IS6_S8_EENS5_IlS8_EE
    .private_segment_fixed_size: 0
    .sgpr_count:     102
    .sgpr_spill_count: 0
    .symbol:         _ZN2at6native12_GLOBAL__N_114gatherKthValueIflLin1EEEvNS_4cuda6detail10TensorInfoIKT_T0_EES8_S8_S8_S8_NS5_IS6_S8_EENS5_IlS8_EE.kd
    .uniform_work_group_size: 1
    .uses_dynamic_stack: false
    .vgpr_count:     62
    .vgpr_spill_count: 0
    .wavefront_size: 32
    .workgroup_processor_mode: 1
  - .args:
      - .offset:         0
        .size:           216
        .value_kind:     by_value
      - .offset:         216
        .size:           4
        .value_kind:     by_value
      - .offset:         220
        .size:           4
        .value_kind:     by_value
      - .offset:         224
        .size:           4
        .value_kind:     by_value
      - .offset:         228
        .size:           4
        .value_kind:     by_value
      - .offset:         232
        .size:           216
        .value_kind:     by_value
      - .offset:         448
        .size:           216
        .value_kind:     by_value
      - .offset:         664
        .size:           4
        .value_kind:     hidden_block_count_x
      - .offset:         668
        .size:           4
        .value_kind:     hidden_block_count_y
      - .offset:         672
        .size:           4
        .value_kind:     hidden_block_count_z
      - .offset:         676
        .size:           2
        .value_kind:     hidden_group_size_x
      - .offset:         678
        .size:           2
        .value_kind:     hidden_group_size_y
      - .offset:         680
        .size:           2
        .value_kind:     hidden_group_size_z
      - .offset:         682
        .size:           2
        .value_kind:     hidden_remainder_x
      - .offset:         684
        .size:           2
        .value_kind:     hidden_remainder_y
      - .offset:         686
        .size:           2
        .value_kind:     hidden_remainder_z
      - .offset:         704
        .size:           8
        .value_kind:     hidden_global_offset_x
      - .offset:         712
        .size:           8
        .value_kind:     hidden_global_offset_y
      - .offset:         720
        .size:           8
        .value_kind:     hidden_global_offset_z
      - .offset:         728
        .size:           2
        .value_kind:     hidden_grid_dims
    .group_segment_fixed_size: 4112
    .kernarg_segment_align: 8
    .kernarg_segment_size: 920
    .language:       OpenCL C
    .language_version:
      - 2
      - 0
    .max_flat_workgroup_size: 1024
    .name:           _ZN2at6native12_GLOBAL__N_114gatherKthValueIN3c104HalfEiLi1EEEvNS_4cuda6detail10TensorInfoIKT_T0_EESA_SA_SA_SA_NS7_IS8_SA_EENS7_IlSA_EE
    .private_segment_fixed_size: 0
    .sgpr_count:     83
    .sgpr_spill_count: 0
    .symbol:         _ZN2at6native12_GLOBAL__N_114gatherKthValueIN3c104HalfEiLi1EEEvNS_4cuda6detail10TensorInfoIKT_T0_EESA_SA_SA_SA_NS7_IS8_SA_EENS7_IlSA_EE.kd
    .uniform_work_group_size: 1
    .uses_dynamic_stack: false
    .vgpr_count:     44
    .vgpr_spill_count: 0
    .wavefront_size: 32
    .workgroup_processor_mode: 1
  - .args:
      - .offset:         0
        .size:           216
        .value_kind:     by_value
      - .offset:         216
        .size:           4
        .value_kind:     by_value
      - .offset:         220
        .size:           4
        .value_kind:     by_value
      - .offset:         224
        .size:           4
        .value_kind:     by_value
      - .offset:         228
        .size:           4
        .value_kind:     by_value
      - .offset:         232
        .size:           216
        .value_kind:     by_value
      - .offset:         448
        .size:           216
        .value_kind:     by_value
      - .offset:         664
        .size:           4
        .value_kind:     hidden_block_count_x
      - .offset:         668
        .size:           4
        .value_kind:     hidden_block_count_y
      - .offset:         672
        .size:           4
        .value_kind:     hidden_block_count_z
      - .offset:         676
        .size:           2
        .value_kind:     hidden_group_size_x
      - .offset:         678
        .size:           2
        .value_kind:     hidden_group_size_y
      - .offset:         680
        .size:           2
        .value_kind:     hidden_group_size_z
      - .offset:         682
        .size:           2
        .value_kind:     hidden_remainder_x
      - .offset:         684
        .size:           2
        .value_kind:     hidden_remainder_y
      - .offset:         686
        .size:           2
        .value_kind:     hidden_remainder_z
      - .offset:         704
        .size:           8
        .value_kind:     hidden_global_offset_x
      - .offset:         712
        .size:           8
        .value_kind:     hidden_global_offset_y
      - .offset:         720
        .size:           8
        .value_kind:     hidden_global_offset_z
      - .offset:         728
        .size:           2
        .value_kind:     hidden_grid_dims
    .group_segment_fixed_size: 4112
    .kernarg_segment_align: 8
    .kernarg_segment_size: 920
    .language:       OpenCL C
    .language_version:
      - 2
      - 0
    .max_flat_workgroup_size: 1024
    .name:           _ZN2at6native12_GLOBAL__N_114gatherKthValueIN3c104HalfEiLi2EEEvNS_4cuda6detail10TensorInfoIKT_T0_EESA_SA_SA_SA_NS7_IS8_SA_EENS7_IlSA_EE
    .private_segment_fixed_size: 0
    .sgpr_count:     95
    .sgpr_spill_count: 0
    .symbol:         _ZN2at6native12_GLOBAL__N_114gatherKthValueIN3c104HalfEiLi2EEEvNS_4cuda6detail10TensorInfoIKT_T0_EESA_SA_SA_SA_NS7_IS8_SA_EENS7_IlSA_EE.kd
    .uniform_work_group_size: 1
    .uses_dynamic_stack: false
    .vgpr_count:     44
    .vgpr_spill_count: 0
    .wavefront_size: 32
    .workgroup_processor_mode: 1
  - .args:
      - .offset:         0
        .size:           216
        .value_kind:     by_value
      - .offset:         216
        .size:           4
        .value_kind:     by_value
      - .offset:         220
        .size:           4
        .value_kind:     by_value
      - .offset:         224
        .size:           4
        .value_kind:     by_value
      - .offset:         228
        .size:           4
        .value_kind:     by_value
      - .offset:         232
        .size:           216
        .value_kind:     by_value
      - .offset:         448
        .size:           216
        .value_kind:     by_value
      - .offset:         664
        .size:           4
        .value_kind:     hidden_block_count_x
      - .offset:         668
        .size:           4
        .value_kind:     hidden_block_count_y
      - .offset:         672
        .size:           4
        .value_kind:     hidden_block_count_z
      - .offset:         676
        .size:           2
        .value_kind:     hidden_group_size_x
      - .offset:         678
        .size:           2
        .value_kind:     hidden_group_size_y
      - .offset:         680
        .size:           2
        .value_kind:     hidden_group_size_z
      - .offset:         682
        .size:           2
        .value_kind:     hidden_remainder_x
      - .offset:         684
        .size:           2
        .value_kind:     hidden_remainder_y
      - .offset:         686
        .size:           2
        .value_kind:     hidden_remainder_z
      - .offset:         704
        .size:           8
        .value_kind:     hidden_global_offset_x
      - .offset:         712
        .size:           8
        .value_kind:     hidden_global_offset_y
      - .offset:         720
        .size:           8
        .value_kind:     hidden_global_offset_z
      - .offset:         728
        .size:           2
        .value_kind:     hidden_grid_dims
    .group_segment_fixed_size: 4112
    .kernarg_segment_align: 8
    .kernarg_segment_size: 920
    .language:       OpenCL C
    .language_version:
      - 2
      - 0
    .max_flat_workgroup_size: 1024
    .name:           _ZN2at6native12_GLOBAL__N_114gatherKthValueIN3c104HalfEiLi3EEEvNS_4cuda6detail10TensorInfoIKT_T0_EESA_SA_SA_SA_NS7_IS8_SA_EENS7_IlSA_EE
    .private_segment_fixed_size: 0
    .sgpr_count:     103
    .sgpr_spill_count: 0
    .symbol:         _ZN2at6native12_GLOBAL__N_114gatherKthValueIN3c104HalfEiLi3EEEvNS_4cuda6detail10TensorInfoIKT_T0_EESA_SA_SA_SA_NS7_IS8_SA_EENS7_IlSA_EE.kd
    .uniform_work_group_size: 1
    .uses_dynamic_stack: false
    .vgpr_count:     44
    .vgpr_spill_count: 0
    .wavefront_size: 32
    .workgroup_processor_mode: 1
  - .args:
      - .offset:         0
        .size:           216
        .value_kind:     by_value
      - .offset:         216
        .size:           4
        .value_kind:     by_value
      - .offset:         220
        .size:           4
        .value_kind:     by_value
      - .offset:         224
        .size:           4
        .value_kind:     by_value
      - .offset:         228
        .size:           4
        .value_kind:     by_value
      - .offset:         232
        .size:           216
        .value_kind:     by_value
      - .offset:         448
        .size:           216
        .value_kind:     by_value
      - .offset:         664
        .size:           4
        .value_kind:     hidden_block_count_x
      - .offset:         668
        .size:           4
        .value_kind:     hidden_block_count_y
      - .offset:         672
        .size:           4
        .value_kind:     hidden_block_count_z
      - .offset:         676
        .size:           2
        .value_kind:     hidden_group_size_x
      - .offset:         678
        .size:           2
        .value_kind:     hidden_group_size_y
      - .offset:         680
        .size:           2
        .value_kind:     hidden_group_size_z
      - .offset:         682
        .size:           2
        .value_kind:     hidden_remainder_x
      - .offset:         684
        .size:           2
        .value_kind:     hidden_remainder_y
      - .offset:         686
        .size:           2
        .value_kind:     hidden_remainder_z
      - .offset:         704
        .size:           8
        .value_kind:     hidden_global_offset_x
      - .offset:         712
        .size:           8
        .value_kind:     hidden_global_offset_y
      - .offset:         720
        .size:           8
        .value_kind:     hidden_global_offset_z
      - .offset:         728
        .size:           2
        .value_kind:     hidden_grid_dims
    .group_segment_fixed_size: 4112
    .kernarg_segment_align: 8
    .kernarg_segment_size: 920
    .language:       OpenCL C
    .language_version:
      - 2
      - 0
    .max_flat_workgroup_size: 1024
    .name:           _ZN2at6native12_GLOBAL__N_114gatherKthValueIN3c104HalfEiLin1EEEvNS_4cuda6detail10TensorInfoIKT_T0_EESA_SA_SA_SA_NS7_IS8_SA_EENS7_IlSA_EE
    .private_segment_fixed_size: 0
    .sgpr_count:     86
    .sgpr_spill_count: 0
    .symbol:         _ZN2at6native12_GLOBAL__N_114gatherKthValueIN3c104HalfEiLin1EEEvNS_4cuda6detail10TensorInfoIKT_T0_EESA_SA_SA_SA_NS7_IS8_SA_EENS7_IlSA_EE.kd
    .uniform_work_group_size: 1
    .uses_dynamic_stack: false
    .vgpr_count:     44
    .vgpr_spill_count: 0
    .wavefront_size: 32
    .workgroup_processor_mode: 1
  - .args:
      - .offset:         0
        .size:           416
        .value_kind:     by_value
      - .offset:         416
        .size:           8
        .value_kind:     by_value
      - .offset:         424
        .size:           8
        .value_kind:     by_value
      - .offset:         432
        .size:           8
        .value_kind:     by_value
      - .offset:         440
        .size:           8
        .value_kind:     by_value
      - .offset:         448
        .size:           416
        .value_kind:     by_value
      - .offset:         864
        .size:           416
        .value_kind:     by_value
      - .offset:         1280
        .size:           4
        .value_kind:     hidden_block_count_x
      - .offset:         1284
        .size:           4
        .value_kind:     hidden_block_count_y
      - .offset:         1288
        .size:           4
        .value_kind:     hidden_block_count_z
      - .offset:         1292
        .size:           2
        .value_kind:     hidden_group_size_x
      - .offset:         1294
        .size:           2
        .value_kind:     hidden_group_size_y
      - .offset:         1296
        .size:           2
        .value_kind:     hidden_group_size_z
      - .offset:         1298
        .size:           2
        .value_kind:     hidden_remainder_x
      - .offset:         1300
        .size:           2
        .value_kind:     hidden_remainder_y
      - .offset:         1302
        .size:           2
        .value_kind:     hidden_remainder_z
      - .offset:         1320
        .size:           8
        .value_kind:     hidden_global_offset_x
      - .offset:         1328
        .size:           8
        .value_kind:     hidden_global_offset_y
      - .offset:         1336
        .size:           8
        .value_kind:     hidden_global_offset_z
      - .offset:         1344
        .size:           2
        .value_kind:     hidden_grid_dims
    .group_segment_fixed_size: 5144
    .kernarg_segment_align: 8
    .kernarg_segment_size: 1536
    .language:       OpenCL C
    .language_version:
      - 2
      - 0
    .max_flat_workgroup_size: 1024
    .name:           _ZN2at6native12_GLOBAL__N_114gatherKthValueIN3c104HalfElLi1EEEvNS_4cuda6detail10TensorInfoIKT_T0_EESA_SA_SA_SA_NS7_IS8_SA_EENS7_IlSA_EE
    .private_segment_fixed_size: 0
    .sgpr_count:     103
    .sgpr_spill_count: 0
    .symbol:         _ZN2at6native12_GLOBAL__N_114gatherKthValueIN3c104HalfElLi1EEEvNS_4cuda6detail10TensorInfoIKT_T0_EESA_SA_SA_SA_NS7_IS8_SA_EENS7_IlSA_EE.kd
    .uniform_work_group_size: 1
    .uses_dynamic_stack: false
    .vgpr_count:     52
    .vgpr_spill_count: 0
    .wavefront_size: 32
    .workgroup_processor_mode: 1
  - .args:
      - .offset:         0
        .size:           416
        .value_kind:     by_value
      - .offset:         416
        .size:           8
        .value_kind:     by_value
      - .offset:         424
        .size:           8
        .value_kind:     by_value
      - .offset:         432
        .size:           8
        .value_kind:     by_value
      - .offset:         440
        .size:           8
        .value_kind:     by_value
      - .offset:         448
        .size:           416
        .value_kind:     by_value
      - .offset:         864
        .size:           416
        .value_kind:     by_value
      - .offset:         1280
        .size:           4
        .value_kind:     hidden_block_count_x
      - .offset:         1284
        .size:           4
        .value_kind:     hidden_block_count_y
      - .offset:         1288
        .size:           4
        .value_kind:     hidden_block_count_z
      - .offset:         1292
        .size:           2
        .value_kind:     hidden_group_size_x
      - .offset:         1294
        .size:           2
        .value_kind:     hidden_group_size_y
      - .offset:         1296
        .size:           2
        .value_kind:     hidden_group_size_z
      - .offset:         1298
        .size:           2
        .value_kind:     hidden_remainder_x
      - .offset:         1300
        .size:           2
        .value_kind:     hidden_remainder_y
      - .offset:         1302
        .size:           2
        .value_kind:     hidden_remainder_z
      - .offset:         1320
        .size:           8
        .value_kind:     hidden_global_offset_x
      - .offset:         1328
        .size:           8
        .value_kind:     hidden_global_offset_y
      - .offset:         1336
        .size:           8
        .value_kind:     hidden_global_offset_z
      - .offset:         1344
        .size:           2
        .value_kind:     hidden_grid_dims
    .group_segment_fixed_size: 5144
    .kernarg_segment_align: 8
    .kernarg_segment_size: 1536
    .language:       OpenCL C
    .language_version:
      - 2
      - 0
    .max_flat_workgroup_size: 1024
    .name:           _ZN2at6native12_GLOBAL__N_114gatherKthValueIN3c104HalfElLi2EEEvNS_4cuda6detail10TensorInfoIKT_T0_EESA_SA_SA_SA_NS7_IS8_SA_EENS7_IlSA_EE
    .private_segment_fixed_size: 0
    .sgpr_count:     107
    .sgpr_spill_count: 2
    .symbol:         _ZN2at6native12_GLOBAL__N_114gatherKthValueIN3c104HalfElLi2EEEvNS_4cuda6detail10TensorInfoIKT_T0_EESA_SA_SA_SA_NS7_IS8_SA_EENS7_IlSA_EE.kd
    .uniform_work_group_size: 1
    .uses_dynamic_stack: false
    .vgpr_count:     57
    .vgpr_spill_count: 0
    .wavefront_size: 32
    .workgroup_processor_mode: 1
  - .args:
      - .offset:         0
        .size:           416
        .value_kind:     by_value
      - .offset:         416
        .size:           8
        .value_kind:     by_value
      - .offset:         424
        .size:           8
        .value_kind:     by_value
      - .offset:         432
        .size:           8
        .value_kind:     by_value
      - .offset:         440
        .size:           8
        .value_kind:     by_value
      - .offset:         448
        .size:           416
        .value_kind:     by_value
      - .offset:         864
        .size:           416
        .value_kind:     by_value
      - .offset:         1280
        .size:           4
        .value_kind:     hidden_block_count_x
      - .offset:         1284
        .size:           4
        .value_kind:     hidden_block_count_y
      - .offset:         1288
        .size:           4
        .value_kind:     hidden_block_count_z
      - .offset:         1292
        .size:           2
        .value_kind:     hidden_group_size_x
      - .offset:         1294
        .size:           2
        .value_kind:     hidden_group_size_y
      - .offset:         1296
        .size:           2
        .value_kind:     hidden_group_size_z
      - .offset:         1298
        .size:           2
        .value_kind:     hidden_remainder_x
      - .offset:         1300
        .size:           2
        .value_kind:     hidden_remainder_y
      - .offset:         1302
        .size:           2
        .value_kind:     hidden_remainder_z
      - .offset:         1320
        .size:           8
        .value_kind:     hidden_global_offset_x
      - .offset:         1328
        .size:           8
        .value_kind:     hidden_global_offset_y
      - .offset:         1336
        .size:           8
        .value_kind:     hidden_global_offset_z
      - .offset:         1344
        .size:           2
        .value_kind:     hidden_grid_dims
    .group_segment_fixed_size: 5144
    .kernarg_segment_align: 8
    .kernarg_segment_size: 1536
    .language:       OpenCL C
    .language_version:
      - 2
      - 0
    .max_flat_workgroup_size: 1024
    .name:           _ZN2at6native12_GLOBAL__N_114gatherKthValueIN3c104HalfElLi3EEEvNS_4cuda6detail10TensorInfoIKT_T0_EESA_SA_SA_SA_NS7_IS8_SA_EENS7_IlSA_EE
    .private_segment_fixed_size: 0
    .sgpr_count:     107
    .sgpr_spill_count: 16
    .symbol:         _ZN2at6native12_GLOBAL__N_114gatherKthValueIN3c104HalfElLi3EEEvNS_4cuda6detail10TensorInfoIKT_T0_EESA_SA_SA_SA_NS7_IS8_SA_EENS7_IlSA_EE.kd
    .uniform_work_group_size: 1
    .uses_dynamic_stack: false
    .vgpr_count:     57
    .vgpr_spill_count: 0
    .wavefront_size: 32
    .workgroup_processor_mode: 1
  - .args:
      - .offset:         0
        .size:           416
        .value_kind:     by_value
      - .offset:         416
        .size:           8
        .value_kind:     by_value
      - .offset:         424
        .size:           8
        .value_kind:     by_value
      - .offset:         432
        .size:           8
        .value_kind:     by_value
      - .offset:         440
        .size:           8
        .value_kind:     by_value
      - .offset:         448
        .size:           416
        .value_kind:     by_value
      - .offset:         864
        .size:           416
        .value_kind:     by_value
      - .offset:         1280
        .size:           4
        .value_kind:     hidden_block_count_x
      - .offset:         1284
        .size:           4
        .value_kind:     hidden_block_count_y
      - .offset:         1288
        .size:           4
        .value_kind:     hidden_block_count_z
      - .offset:         1292
        .size:           2
        .value_kind:     hidden_group_size_x
      - .offset:         1294
        .size:           2
        .value_kind:     hidden_group_size_y
      - .offset:         1296
        .size:           2
        .value_kind:     hidden_group_size_z
      - .offset:         1298
        .size:           2
        .value_kind:     hidden_remainder_x
      - .offset:         1300
        .size:           2
        .value_kind:     hidden_remainder_y
      - .offset:         1302
        .size:           2
        .value_kind:     hidden_remainder_z
      - .offset:         1320
        .size:           8
        .value_kind:     hidden_global_offset_x
      - .offset:         1328
        .size:           8
        .value_kind:     hidden_global_offset_y
      - .offset:         1336
        .size:           8
        .value_kind:     hidden_global_offset_z
      - .offset:         1344
        .size:           2
        .value_kind:     hidden_grid_dims
    .group_segment_fixed_size: 5144
    .kernarg_segment_align: 8
    .kernarg_segment_size: 1536
    .language:       OpenCL C
    .language_version:
      - 2
      - 0
    .max_flat_workgroup_size: 1024
    .name:           _ZN2at6native12_GLOBAL__N_114gatherKthValueIN3c104HalfElLin1EEEvNS_4cuda6detail10TensorInfoIKT_T0_EESA_SA_SA_SA_NS7_IS8_SA_EENS7_IlSA_EE
    .private_segment_fixed_size: 0
    .sgpr_count:     107
    .sgpr_spill_count: 0
    .symbol:         _ZN2at6native12_GLOBAL__N_114gatherKthValueIN3c104HalfElLin1EEEvNS_4cuda6detail10TensorInfoIKT_T0_EESA_SA_SA_SA_NS7_IS8_SA_EENS7_IlSA_EE.kd
    .uniform_work_group_size: 1
    .uses_dynamic_stack: false
    .vgpr_count:     65
    .vgpr_spill_count: 0
    .wavefront_size: 32
    .workgroup_processor_mode: 1
  - .args:
      - .offset:         0
        .size:           216
        .value_kind:     by_value
      - .offset:         216
        .size:           4
        .value_kind:     by_value
      - .offset:         220
        .size:           4
        .value_kind:     by_value
      - .offset:         224
        .size:           4
        .value_kind:     by_value
      - .offset:         228
        .size:           4
        .value_kind:     by_value
      - .offset:         232
        .size:           216
        .value_kind:     by_value
      - .offset:         448
        .size:           216
        .value_kind:     by_value
      - .offset:         664
        .size:           4
        .value_kind:     hidden_block_count_x
      - .offset:         668
        .size:           4
        .value_kind:     hidden_block_count_y
      - .offset:         672
        .size:           4
        .value_kind:     hidden_block_count_z
      - .offset:         676
        .size:           2
        .value_kind:     hidden_group_size_x
      - .offset:         678
        .size:           2
        .value_kind:     hidden_group_size_y
      - .offset:         680
        .size:           2
        .value_kind:     hidden_group_size_z
      - .offset:         682
        .size:           2
        .value_kind:     hidden_remainder_x
      - .offset:         684
        .size:           2
        .value_kind:     hidden_remainder_y
      - .offset:         686
        .size:           2
        .value_kind:     hidden_remainder_z
      - .offset:         704
        .size:           8
        .value_kind:     hidden_global_offset_x
      - .offset:         712
        .size:           8
        .value_kind:     hidden_global_offset_y
      - .offset:         720
        .size:           8
        .value_kind:     hidden_global_offset_z
      - .offset:         728
        .size:           2
        .value_kind:     hidden_grid_dims
    .group_segment_fixed_size: 4112
    .kernarg_segment_align: 8
    .kernarg_segment_size: 920
    .language:       OpenCL C
    .language_version:
      - 2
      - 0
    .max_flat_workgroup_size: 1024
    .name:           _ZN2at6native12_GLOBAL__N_114gatherKthValueIN3c108BFloat16EiLi1EEEvNS_4cuda6detail10TensorInfoIKT_T0_EESA_SA_SA_SA_NS7_IS8_SA_EENS7_IlSA_EE
    .private_segment_fixed_size: 0
    .sgpr_count:     83
    .sgpr_spill_count: 0
    .symbol:         _ZN2at6native12_GLOBAL__N_114gatherKthValueIN3c108BFloat16EiLi1EEEvNS_4cuda6detail10TensorInfoIKT_T0_EESA_SA_SA_SA_NS7_IS8_SA_EENS7_IlSA_EE.kd
    .uniform_work_group_size: 1
    .uses_dynamic_stack: false
    .vgpr_count:     44
    .vgpr_spill_count: 0
    .wavefront_size: 32
    .workgroup_processor_mode: 1
  - .args:
      - .offset:         0
        .size:           216
        .value_kind:     by_value
      - .offset:         216
        .size:           4
        .value_kind:     by_value
      - .offset:         220
        .size:           4
        .value_kind:     by_value
      - .offset:         224
        .size:           4
        .value_kind:     by_value
      - .offset:         228
        .size:           4
        .value_kind:     by_value
      - .offset:         232
        .size:           216
        .value_kind:     by_value
      - .offset:         448
        .size:           216
        .value_kind:     by_value
      - .offset:         664
        .size:           4
        .value_kind:     hidden_block_count_x
      - .offset:         668
        .size:           4
        .value_kind:     hidden_block_count_y
      - .offset:         672
        .size:           4
        .value_kind:     hidden_block_count_z
      - .offset:         676
        .size:           2
        .value_kind:     hidden_group_size_x
      - .offset:         678
        .size:           2
        .value_kind:     hidden_group_size_y
      - .offset:         680
        .size:           2
        .value_kind:     hidden_group_size_z
      - .offset:         682
        .size:           2
        .value_kind:     hidden_remainder_x
      - .offset:         684
        .size:           2
        .value_kind:     hidden_remainder_y
      - .offset:         686
        .size:           2
        .value_kind:     hidden_remainder_z
      - .offset:         704
        .size:           8
        .value_kind:     hidden_global_offset_x
      - .offset:         712
        .size:           8
        .value_kind:     hidden_global_offset_y
      - .offset:         720
        .size:           8
        .value_kind:     hidden_global_offset_z
      - .offset:         728
        .size:           2
        .value_kind:     hidden_grid_dims
    .group_segment_fixed_size: 4112
    .kernarg_segment_align: 8
    .kernarg_segment_size: 920
    .language:       OpenCL C
    .language_version:
      - 2
      - 0
    .max_flat_workgroup_size: 1024
    .name:           _ZN2at6native12_GLOBAL__N_114gatherKthValueIN3c108BFloat16EiLi2EEEvNS_4cuda6detail10TensorInfoIKT_T0_EESA_SA_SA_SA_NS7_IS8_SA_EENS7_IlSA_EE
    .private_segment_fixed_size: 0
    .sgpr_count:     95
    .sgpr_spill_count: 0
    .symbol:         _ZN2at6native12_GLOBAL__N_114gatherKthValueIN3c108BFloat16EiLi2EEEvNS_4cuda6detail10TensorInfoIKT_T0_EESA_SA_SA_SA_NS7_IS8_SA_EENS7_IlSA_EE.kd
    .uniform_work_group_size: 1
    .uses_dynamic_stack: false
    .vgpr_count:     44
    .vgpr_spill_count: 0
    .wavefront_size: 32
    .workgroup_processor_mode: 1
  - .args:
      - .offset:         0
        .size:           216
        .value_kind:     by_value
      - .offset:         216
        .size:           4
        .value_kind:     by_value
      - .offset:         220
        .size:           4
        .value_kind:     by_value
      - .offset:         224
        .size:           4
        .value_kind:     by_value
      - .offset:         228
        .size:           4
        .value_kind:     by_value
      - .offset:         232
        .size:           216
        .value_kind:     by_value
      - .offset:         448
        .size:           216
        .value_kind:     by_value
      - .offset:         664
        .size:           4
        .value_kind:     hidden_block_count_x
      - .offset:         668
        .size:           4
        .value_kind:     hidden_block_count_y
      - .offset:         672
        .size:           4
        .value_kind:     hidden_block_count_z
      - .offset:         676
        .size:           2
        .value_kind:     hidden_group_size_x
      - .offset:         678
        .size:           2
        .value_kind:     hidden_group_size_y
      - .offset:         680
        .size:           2
        .value_kind:     hidden_group_size_z
      - .offset:         682
        .size:           2
        .value_kind:     hidden_remainder_x
      - .offset:         684
        .size:           2
        .value_kind:     hidden_remainder_y
      - .offset:         686
        .size:           2
        .value_kind:     hidden_remainder_z
      - .offset:         704
        .size:           8
        .value_kind:     hidden_global_offset_x
      - .offset:         712
        .size:           8
        .value_kind:     hidden_global_offset_y
      - .offset:         720
        .size:           8
        .value_kind:     hidden_global_offset_z
      - .offset:         728
        .size:           2
        .value_kind:     hidden_grid_dims
    .group_segment_fixed_size: 4112
    .kernarg_segment_align: 8
    .kernarg_segment_size: 920
    .language:       OpenCL C
    .language_version:
      - 2
      - 0
    .max_flat_workgroup_size: 1024
    .name:           _ZN2at6native12_GLOBAL__N_114gatherKthValueIN3c108BFloat16EiLi3EEEvNS_4cuda6detail10TensorInfoIKT_T0_EESA_SA_SA_SA_NS7_IS8_SA_EENS7_IlSA_EE
    .private_segment_fixed_size: 0
    .sgpr_count:     103
    .sgpr_spill_count: 0
    .symbol:         _ZN2at6native12_GLOBAL__N_114gatherKthValueIN3c108BFloat16EiLi3EEEvNS_4cuda6detail10TensorInfoIKT_T0_EESA_SA_SA_SA_NS7_IS8_SA_EENS7_IlSA_EE.kd
    .uniform_work_group_size: 1
    .uses_dynamic_stack: false
    .vgpr_count:     44
    .vgpr_spill_count: 0
    .wavefront_size: 32
    .workgroup_processor_mode: 1
  - .args:
      - .offset:         0
        .size:           216
        .value_kind:     by_value
      - .offset:         216
        .size:           4
        .value_kind:     by_value
      - .offset:         220
        .size:           4
        .value_kind:     by_value
      - .offset:         224
        .size:           4
        .value_kind:     by_value
      - .offset:         228
        .size:           4
        .value_kind:     by_value
      - .offset:         232
        .size:           216
        .value_kind:     by_value
      - .offset:         448
        .size:           216
        .value_kind:     by_value
      - .offset:         664
        .size:           4
        .value_kind:     hidden_block_count_x
      - .offset:         668
        .size:           4
        .value_kind:     hidden_block_count_y
      - .offset:         672
        .size:           4
        .value_kind:     hidden_block_count_z
      - .offset:         676
        .size:           2
        .value_kind:     hidden_group_size_x
      - .offset:         678
        .size:           2
        .value_kind:     hidden_group_size_y
      - .offset:         680
        .size:           2
        .value_kind:     hidden_group_size_z
      - .offset:         682
        .size:           2
        .value_kind:     hidden_remainder_x
      - .offset:         684
        .size:           2
        .value_kind:     hidden_remainder_y
      - .offset:         686
        .size:           2
        .value_kind:     hidden_remainder_z
      - .offset:         704
        .size:           8
        .value_kind:     hidden_global_offset_x
      - .offset:         712
        .size:           8
        .value_kind:     hidden_global_offset_y
      - .offset:         720
        .size:           8
        .value_kind:     hidden_global_offset_z
      - .offset:         728
        .size:           2
        .value_kind:     hidden_grid_dims
    .group_segment_fixed_size: 4112
    .kernarg_segment_align: 8
    .kernarg_segment_size: 920
    .language:       OpenCL C
    .language_version:
      - 2
      - 0
    .max_flat_workgroup_size: 1024
    .name:           _ZN2at6native12_GLOBAL__N_114gatherKthValueIN3c108BFloat16EiLin1EEEvNS_4cuda6detail10TensorInfoIKT_T0_EESA_SA_SA_SA_NS7_IS8_SA_EENS7_IlSA_EE
    .private_segment_fixed_size: 0
    .sgpr_count:     86
    .sgpr_spill_count: 0
    .symbol:         _ZN2at6native12_GLOBAL__N_114gatherKthValueIN3c108BFloat16EiLin1EEEvNS_4cuda6detail10TensorInfoIKT_T0_EESA_SA_SA_SA_NS7_IS8_SA_EENS7_IlSA_EE.kd
    .uniform_work_group_size: 1
    .uses_dynamic_stack: false
    .vgpr_count:     44
    .vgpr_spill_count: 0
    .wavefront_size: 32
    .workgroup_processor_mode: 1
  - .args:
      - .offset:         0
        .size:           416
        .value_kind:     by_value
      - .offset:         416
        .size:           8
        .value_kind:     by_value
      - .offset:         424
        .size:           8
        .value_kind:     by_value
      - .offset:         432
        .size:           8
        .value_kind:     by_value
      - .offset:         440
        .size:           8
        .value_kind:     by_value
      - .offset:         448
        .size:           416
        .value_kind:     by_value
      - .offset:         864
        .size:           416
        .value_kind:     by_value
      - .offset:         1280
        .size:           4
        .value_kind:     hidden_block_count_x
      - .offset:         1284
        .size:           4
        .value_kind:     hidden_block_count_y
      - .offset:         1288
        .size:           4
        .value_kind:     hidden_block_count_z
      - .offset:         1292
        .size:           2
        .value_kind:     hidden_group_size_x
      - .offset:         1294
        .size:           2
        .value_kind:     hidden_group_size_y
      - .offset:         1296
        .size:           2
        .value_kind:     hidden_group_size_z
      - .offset:         1298
        .size:           2
        .value_kind:     hidden_remainder_x
      - .offset:         1300
        .size:           2
        .value_kind:     hidden_remainder_y
      - .offset:         1302
        .size:           2
        .value_kind:     hidden_remainder_z
      - .offset:         1320
        .size:           8
        .value_kind:     hidden_global_offset_x
      - .offset:         1328
        .size:           8
        .value_kind:     hidden_global_offset_y
      - .offset:         1336
        .size:           8
        .value_kind:     hidden_global_offset_z
      - .offset:         1344
        .size:           2
        .value_kind:     hidden_grid_dims
    .group_segment_fixed_size: 5144
    .kernarg_segment_align: 8
    .kernarg_segment_size: 1536
    .language:       OpenCL C
    .language_version:
      - 2
      - 0
    .max_flat_workgroup_size: 1024
    .name:           _ZN2at6native12_GLOBAL__N_114gatherKthValueIN3c108BFloat16ElLi1EEEvNS_4cuda6detail10TensorInfoIKT_T0_EESA_SA_SA_SA_NS7_IS8_SA_EENS7_IlSA_EE
    .private_segment_fixed_size: 0
    .sgpr_count:     103
    .sgpr_spill_count: 0
    .symbol:         _ZN2at6native12_GLOBAL__N_114gatherKthValueIN3c108BFloat16ElLi1EEEvNS_4cuda6detail10TensorInfoIKT_T0_EESA_SA_SA_SA_NS7_IS8_SA_EENS7_IlSA_EE.kd
    .uniform_work_group_size: 1
    .uses_dynamic_stack: false
    .vgpr_count:     52
    .vgpr_spill_count: 0
    .wavefront_size: 32
    .workgroup_processor_mode: 1
  - .args:
      - .offset:         0
        .size:           416
        .value_kind:     by_value
      - .offset:         416
        .size:           8
        .value_kind:     by_value
      - .offset:         424
        .size:           8
        .value_kind:     by_value
      - .offset:         432
        .size:           8
        .value_kind:     by_value
      - .offset:         440
        .size:           8
        .value_kind:     by_value
      - .offset:         448
        .size:           416
        .value_kind:     by_value
      - .offset:         864
        .size:           416
        .value_kind:     by_value
      - .offset:         1280
        .size:           4
        .value_kind:     hidden_block_count_x
      - .offset:         1284
        .size:           4
        .value_kind:     hidden_block_count_y
      - .offset:         1288
        .size:           4
        .value_kind:     hidden_block_count_z
      - .offset:         1292
        .size:           2
        .value_kind:     hidden_group_size_x
      - .offset:         1294
        .size:           2
        .value_kind:     hidden_group_size_y
      - .offset:         1296
        .size:           2
        .value_kind:     hidden_group_size_z
      - .offset:         1298
        .size:           2
        .value_kind:     hidden_remainder_x
      - .offset:         1300
        .size:           2
        .value_kind:     hidden_remainder_y
      - .offset:         1302
        .size:           2
        .value_kind:     hidden_remainder_z
      - .offset:         1320
        .size:           8
        .value_kind:     hidden_global_offset_x
      - .offset:         1328
        .size:           8
        .value_kind:     hidden_global_offset_y
      - .offset:         1336
        .size:           8
        .value_kind:     hidden_global_offset_z
      - .offset:         1344
        .size:           2
        .value_kind:     hidden_grid_dims
    .group_segment_fixed_size: 5144
    .kernarg_segment_align: 8
    .kernarg_segment_size: 1536
    .language:       OpenCL C
    .language_version:
      - 2
      - 0
    .max_flat_workgroup_size: 1024
    .name:           _ZN2at6native12_GLOBAL__N_114gatherKthValueIN3c108BFloat16ElLi2EEEvNS_4cuda6detail10TensorInfoIKT_T0_EESA_SA_SA_SA_NS7_IS8_SA_EENS7_IlSA_EE
    .private_segment_fixed_size: 0
    .sgpr_count:     107
    .sgpr_spill_count: 2
    .symbol:         _ZN2at6native12_GLOBAL__N_114gatherKthValueIN3c108BFloat16ElLi2EEEvNS_4cuda6detail10TensorInfoIKT_T0_EESA_SA_SA_SA_NS7_IS8_SA_EENS7_IlSA_EE.kd
    .uniform_work_group_size: 1
    .uses_dynamic_stack: false
    .vgpr_count:     57
    .vgpr_spill_count: 0
    .wavefront_size: 32
    .workgroup_processor_mode: 1
  - .args:
      - .offset:         0
        .size:           416
        .value_kind:     by_value
      - .offset:         416
        .size:           8
        .value_kind:     by_value
      - .offset:         424
        .size:           8
        .value_kind:     by_value
      - .offset:         432
        .size:           8
        .value_kind:     by_value
      - .offset:         440
        .size:           8
        .value_kind:     by_value
      - .offset:         448
        .size:           416
        .value_kind:     by_value
      - .offset:         864
        .size:           416
        .value_kind:     by_value
      - .offset:         1280
        .size:           4
        .value_kind:     hidden_block_count_x
      - .offset:         1284
        .size:           4
        .value_kind:     hidden_block_count_y
      - .offset:         1288
        .size:           4
        .value_kind:     hidden_block_count_z
      - .offset:         1292
        .size:           2
        .value_kind:     hidden_group_size_x
      - .offset:         1294
        .size:           2
        .value_kind:     hidden_group_size_y
      - .offset:         1296
        .size:           2
        .value_kind:     hidden_group_size_z
      - .offset:         1298
        .size:           2
        .value_kind:     hidden_remainder_x
      - .offset:         1300
        .size:           2
        .value_kind:     hidden_remainder_y
      - .offset:         1302
        .size:           2
        .value_kind:     hidden_remainder_z
      - .offset:         1320
        .size:           8
        .value_kind:     hidden_global_offset_x
      - .offset:         1328
        .size:           8
        .value_kind:     hidden_global_offset_y
      - .offset:         1336
        .size:           8
        .value_kind:     hidden_global_offset_z
      - .offset:         1344
        .size:           2
        .value_kind:     hidden_grid_dims
    .group_segment_fixed_size: 5144
    .kernarg_segment_align: 8
    .kernarg_segment_size: 1536
    .language:       OpenCL C
    .language_version:
      - 2
      - 0
    .max_flat_workgroup_size: 1024
    .name:           _ZN2at6native12_GLOBAL__N_114gatherKthValueIN3c108BFloat16ElLi3EEEvNS_4cuda6detail10TensorInfoIKT_T0_EESA_SA_SA_SA_NS7_IS8_SA_EENS7_IlSA_EE
    .private_segment_fixed_size: 0
    .sgpr_count:     107
    .sgpr_spill_count: 16
    .symbol:         _ZN2at6native12_GLOBAL__N_114gatherKthValueIN3c108BFloat16ElLi3EEEvNS_4cuda6detail10TensorInfoIKT_T0_EESA_SA_SA_SA_NS7_IS8_SA_EENS7_IlSA_EE.kd
    .uniform_work_group_size: 1
    .uses_dynamic_stack: false
    .vgpr_count:     57
    .vgpr_spill_count: 0
    .wavefront_size: 32
    .workgroup_processor_mode: 1
  - .args:
      - .offset:         0
        .size:           416
        .value_kind:     by_value
      - .offset:         416
        .size:           8
        .value_kind:     by_value
      - .offset:         424
        .size:           8
        .value_kind:     by_value
      - .offset:         432
        .size:           8
        .value_kind:     by_value
      - .offset:         440
        .size:           8
        .value_kind:     by_value
      - .offset:         448
        .size:           416
        .value_kind:     by_value
      - .offset:         864
        .size:           416
        .value_kind:     by_value
      - .offset:         1280
        .size:           4
        .value_kind:     hidden_block_count_x
      - .offset:         1284
        .size:           4
        .value_kind:     hidden_block_count_y
      - .offset:         1288
        .size:           4
        .value_kind:     hidden_block_count_z
      - .offset:         1292
        .size:           2
        .value_kind:     hidden_group_size_x
      - .offset:         1294
        .size:           2
        .value_kind:     hidden_group_size_y
      - .offset:         1296
        .size:           2
        .value_kind:     hidden_group_size_z
      - .offset:         1298
        .size:           2
        .value_kind:     hidden_remainder_x
      - .offset:         1300
        .size:           2
        .value_kind:     hidden_remainder_y
      - .offset:         1302
        .size:           2
        .value_kind:     hidden_remainder_z
      - .offset:         1320
        .size:           8
        .value_kind:     hidden_global_offset_x
      - .offset:         1328
        .size:           8
        .value_kind:     hidden_global_offset_y
      - .offset:         1336
        .size:           8
        .value_kind:     hidden_global_offset_z
      - .offset:         1344
        .size:           2
        .value_kind:     hidden_grid_dims
    .group_segment_fixed_size: 5144
    .kernarg_segment_align: 8
    .kernarg_segment_size: 1536
    .language:       OpenCL C
    .language_version:
      - 2
      - 0
    .max_flat_workgroup_size: 1024
    .name:           _ZN2at6native12_GLOBAL__N_114gatherKthValueIN3c108BFloat16ElLin1EEEvNS_4cuda6detail10TensorInfoIKT_T0_EESA_SA_SA_SA_NS7_IS8_SA_EENS7_IlSA_EE
    .private_segment_fixed_size: 0
    .sgpr_count:     107
    .sgpr_spill_count: 0
    .symbol:         _ZN2at6native12_GLOBAL__N_114gatherKthValueIN3c108BFloat16ElLin1EEEvNS_4cuda6detail10TensorInfoIKT_T0_EESA_SA_SA_SA_NS7_IS8_SA_EENS7_IlSA_EE.kd
    .uniform_work_group_size: 1
    .uses_dynamic_stack: false
    .vgpr_count:     65
    .vgpr_spill_count: 0
    .wavefront_size: 32
    .workgroup_processor_mode: 1
  - .args:
      - .offset:         0
        .size:           216
        .value_kind:     by_value
      - .offset:         216
        .size:           216
        .value_kind:     by_value
      - .offset:         432
        .size:           216
        .value_kind:     by_value
      - .offset:         648
        .size:           4
        .value_kind:     by_value
      - .offset:         652
        .size:           4
        .value_kind:     by_value
      - .offset:         656
        .size:           4
        .value_kind:     by_value
      - .offset:         660
        .size:           1
        .value_kind:     by_value
      - .offset:         664
        .size:           4
        .value_kind:     hidden_block_count_x
      - .offset:         668
        .size:           4
        .value_kind:     hidden_block_count_y
      - .offset:         672
        .size:           4
        .value_kind:     hidden_block_count_z
      - .offset:         676
        .size:           2
        .value_kind:     hidden_group_size_x
      - .offset:         678
        .size:           2
        .value_kind:     hidden_group_size_y
      - .offset:         680
        .size:           2
        .value_kind:     hidden_group_size_z
      - .offset:         682
        .size:           2
        .value_kind:     hidden_remainder_x
      - .offset:         684
        .size:           2
        .value_kind:     hidden_remainder_y
      - .offset:         686
        .size:           2
        .value_kind:     hidden_remainder_z
      - .offset:         704
        .size:           8
        .value_kind:     hidden_global_offset_x
      - .offset:         712
        .size:           8
        .value_kind:     hidden_global_offset_y
      - .offset:         720
        .size:           8
        .value_kind:     hidden_global_offset_z
      - .offset:         728
        .size:           2
        .value_kind:     hidden_grid_dims
    .group_segment_fixed_size: 4120
    .kernarg_segment_align: 8
    .kernarg_segment_size: 920
    .language:       OpenCL C
    .language_version:
      - 2
      - 0
    .max_flat_workgroup_size: 1024
    .name:           _ZN2at6native12_GLOBAL__N_112gatherMedianIhjLi1EEEvNS_4cuda6detail10TensorInfoIT_T0_EENS5_IlS7_EENS5_IKS6_S7_EES7_S7_S7_b
    .private_segment_fixed_size: 0
    .sgpr_count:     86
    .sgpr_spill_count: 0
    .symbol:         _ZN2at6native12_GLOBAL__N_112gatherMedianIhjLi1EEEvNS_4cuda6detail10TensorInfoIT_T0_EENS5_IlS7_EENS5_IKS6_S7_EES7_S7_S7_b.kd
    .uniform_work_group_size: 1
    .uses_dynamic_stack: false
    .vgpr_count:     68
    .vgpr_spill_count: 0
    .wavefront_size: 32
    .workgroup_processor_mode: 1
  - .args:
      - .offset:         0
        .size:           216
        .value_kind:     by_value
      - .offset:         216
        .size:           216
        .value_kind:     by_value
      - .offset:         432
        .size:           216
        .value_kind:     by_value
      - .offset:         648
        .size:           4
        .value_kind:     by_value
      - .offset:         652
        .size:           4
        .value_kind:     by_value
      - .offset:         656
        .size:           4
        .value_kind:     by_value
      - .offset:         660
        .size:           1
        .value_kind:     by_value
      - .offset:         664
        .size:           4
        .value_kind:     hidden_block_count_x
      - .offset:         668
        .size:           4
        .value_kind:     hidden_block_count_y
      - .offset:         672
        .size:           4
        .value_kind:     hidden_block_count_z
      - .offset:         676
        .size:           2
        .value_kind:     hidden_group_size_x
      - .offset:         678
        .size:           2
        .value_kind:     hidden_group_size_y
      - .offset:         680
        .size:           2
        .value_kind:     hidden_group_size_z
      - .offset:         682
        .size:           2
        .value_kind:     hidden_remainder_x
      - .offset:         684
        .size:           2
        .value_kind:     hidden_remainder_y
      - .offset:         686
        .size:           2
        .value_kind:     hidden_remainder_z
      - .offset:         704
        .size:           8
        .value_kind:     hidden_global_offset_x
      - .offset:         712
        .size:           8
        .value_kind:     hidden_global_offset_y
      - .offset:         720
        .size:           8
        .value_kind:     hidden_global_offset_z
      - .offset:         728
        .size:           2
        .value_kind:     hidden_grid_dims
    .group_segment_fixed_size: 4120
    .kernarg_segment_align: 8
    .kernarg_segment_size: 920
    .language:       OpenCL C
    .language_version:
      - 2
      - 0
    .max_flat_workgroup_size: 1024
    .name:           _ZN2at6native12_GLOBAL__N_112gatherMedianIhjLi2EEEvNS_4cuda6detail10TensorInfoIT_T0_EENS5_IlS7_EENS5_IKS6_S7_EES7_S7_S7_b
    .private_segment_fixed_size: 0
    .sgpr_count:     92
    .sgpr_spill_count: 0
    .symbol:         _ZN2at6native12_GLOBAL__N_112gatherMedianIhjLi2EEEvNS_4cuda6detail10TensorInfoIT_T0_EENS5_IlS7_EENS5_IKS6_S7_EES7_S7_S7_b.kd
    .uniform_work_group_size: 1
    .uses_dynamic_stack: false
    .vgpr_count:     68
    .vgpr_spill_count: 0
    .wavefront_size: 32
    .workgroup_processor_mode: 1
  - .args:
      - .offset:         0
        .size:           216
        .value_kind:     by_value
      - .offset:         216
        .size:           216
        .value_kind:     by_value
      - .offset:         432
        .size:           216
        .value_kind:     by_value
      - .offset:         648
        .size:           4
        .value_kind:     by_value
      - .offset:         652
        .size:           4
        .value_kind:     by_value
      - .offset:         656
        .size:           4
        .value_kind:     by_value
      - .offset:         660
        .size:           1
        .value_kind:     by_value
      - .offset:         664
        .size:           4
        .value_kind:     hidden_block_count_x
      - .offset:         668
        .size:           4
        .value_kind:     hidden_block_count_y
      - .offset:         672
        .size:           4
        .value_kind:     hidden_block_count_z
      - .offset:         676
        .size:           2
        .value_kind:     hidden_group_size_x
      - .offset:         678
        .size:           2
        .value_kind:     hidden_group_size_y
      - .offset:         680
        .size:           2
        .value_kind:     hidden_group_size_z
      - .offset:         682
        .size:           2
        .value_kind:     hidden_remainder_x
      - .offset:         684
        .size:           2
        .value_kind:     hidden_remainder_y
      - .offset:         686
        .size:           2
        .value_kind:     hidden_remainder_z
      - .offset:         704
        .size:           8
        .value_kind:     hidden_global_offset_x
      - .offset:         712
        .size:           8
        .value_kind:     hidden_global_offset_y
      - .offset:         720
        .size:           8
        .value_kind:     hidden_global_offset_z
      - .offset:         728
        .size:           2
        .value_kind:     hidden_grid_dims
    .group_segment_fixed_size: 4120
    .kernarg_segment_align: 8
    .kernarg_segment_size: 920
    .language:       OpenCL C
    .language_version:
      - 2
      - 0
    .max_flat_workgroup_size: 1024
    .name:           _ZN2at6native12_GLOBAL__N_112gatherMedianIhjLi3EEEvNS_4cuda6detail10TensorInfoIT_T0_EENS5_IlS7_EENS5_IKS6_S7_EES7_S7_S7_b
    .private_segment_fixed_size: 0
    .sgpr_count:     98
    .sgpr_spill_count: 0
    .symbol:         _ZN2at6native12_GLOBAL__N_112gatherMedianIhjLi3EEEvNS_4cuda6detail10TensorInfoIT_T0_EENS5_IlS7_EENS5_IKS6_S7_EES7_S7_S7_b.kd
    .uniform_work_group_size: 1
    .uses_dynamic_stack: false
    .vgpr_count:     68
    .vgpr_spill_count: 0
    .wavefront_size: 32
    .workgroup_processor_mode: 1
  - .args:
      - .offset:         0
        .size:           216
        .value_kind:     by_value
      - .offset:         216
        .size:           216
        .value_kind:     by_value
      - .offset:         432
        .size:           216
        .value_kind:     by_value
      - .offset:         648
        .size:           4
        .value_kind:     by_value
      - .offset:         652
        .size:           4
        .value_kind:     by_value
      - .offset:         656
        .size:           4
        .value_kind:     by_value
      - .offset:         660
        .size:           1
        .value_kind:     by_value
      - .offset:         664
        .size:           4
        .value_kind:     hidden_block_count_x
      - .offset:         668
        .size:           4
        .value_kind:     hidden_block_count_y
      - .offset:         672
        .size:           4
        .value_kind:     hidden_block_count_z
      - .offset:         676
        .size:           2
        .value_kind:     hidden_group_size_x
      - .offset:         678
        .size:           2
        .value_kind:     hidden_group_size_y
      - .offset:         680
        .size:           2
        .value_kind:     hidden_group_size_z
      - .offset:         682
        .size:           2
        .value_kind:     hidden_remainder_x
      - .offset:         684
        .size:           2
        .value_kind:     hidden_remainder_y
      - .offset:         686
        .size:           2
        .value_kind:     hidden_remainder_z
      - .offset:         704
        .size:           8
        .value_kind:     hidden_global_offset_x
      - .offset:         712
        .size:           8
        .value_kind:     hidden_global_offset_y
      - .offset:         720
        .size:           8
        .value_kind:     hidden_global_offset_z
      - .offset:         728
        .size:           2
        .value_kind:     hidden_grid_dims
    .group_segment_fixed_size: 4120
    .kernarg_segment_align: 8
    .kernarg_segment_size: 920
    .language:       OpenCL C
    .language_version:
      - 2
      - 0
    .max_flat_workgroup_size: 1024
    .name:           _ZN2at6native12_GLOBAL__N_112gatherMedianIhjLin1EEEvNS_4cuda6detail10TensorInfoIT_T0_EENS5_IlS7_EENS5_IKS6_S7_EES7_S7_S7_b
    .private_segment_fixed_size: 0
    .sgpr_count:     89
    .sgpr_spill_count: 0
    .symbol:         _ZN2at6native12_GLOBAL__N_112gatherMedianIhjLin1EEEvNS_4cuda6detail10TensorInfoIT_T0_EENS5_IlS7_EENS5_IKS6_S7_EES7_S7_S7_b.kd
    .uniform_work_group_size: 1
    .uses_dynamic_stack: false
    .vgpr_count:     68
    .vgpr_spill_count: 0
    .wavefront_size: 32
    .workgroup_processor_mode: 1
  - .args:
      - .offset:         0
        .size:           416
        .value_kind:     by_value
      - .offset:         416
        .size:           416
        .value_kind:     by_value
      - .offset:         832
        .size:           416
        .value_kind:     by_value
      - .offset:         1248
        .size:           8
        .value_kind:     by_value
      - .offset:         1256
        .size:           8
        .value_kind:     by_value
      - .offset:         1264
        .size:           8
        .value_kind:     by_value
      - .offset:         1272
        .size:           1
        .value_kind:     by_value
      - .offset:         1280
        .size:           4
        .value_kind:     hidden_block_count_x
      - .offset:         1284
        .size:           4
        .value_kind:     hidden_block_count_y
      - .offset:         1288
        .size:           4
        .value_kind:     hidden_block_count_z
      - .offset:         1292
        .size:           2
        .value_kind:     hidden_group_size_x
      - .offset:         1294
        .size:           2
        .value_kind:     hidden_group_size_y
      - .offset:         1296
        .size:           2
        .value_kind:     hidden_group_size_z
      - .offset:         1298
        .size:           2
        .value_kind:     hidden_remainder_x
      - .offset:         1300
        .size:           2
        .value_kind:     hidden_remainder_y
      - .offset:         1302
        .size:           2
        .value_kind:     hidden_remainder_z
      - .offset:         1320
        .size:           8
        .value_kind:     hidden_global_offset_x
      - .offset:         1328
        .size:           8
        .value_kind:     hidden_global_offset_y
      - .offset:         1336
        .size:           8
        .value_kind:     hidden_global_offset_z
      - .offset:         1344
        .size:           2
        .value_kind:     hidden_grid_dims
    .group_segment_fixed_size: 5152
    .kernarg_segment_align: 8
    .kernarg_segment_size: 1536
    .language:       OpenCL C
    .language_version:
      - 2
      - 0
    .max_flat_workgroup_size: 1024
    .name:           _ZN2at6native12_GLOBAL__N_112gatherMedianIhmLi1EEEvNS_4cuda6detail10TensorInfoIT_T0_EENS5_IlS7_EENS5_IKS6_S7_EES7_S7_S7_b
    .private_segment_fixed_size: 0
    .sgpr_count:     96
    .sgpr_spill_count: 0
    .symbol:         _ZN2at6native12_GLOBAL__N_112gatherMedianIhmLi1EEEvNS_4cuda6detail10TensorInfoIT_T0_EENS5_IlS7_EENS5_IKS6_S7_EES7_S7_S7_b.kd
    .uniform_work_group_size: 1
    .uses_dynamic_stack: false
    .vgpr_count:     57
    .vgpr_spill_count: 0
    .wavefront_size: 32
    .workgroup_processor_mode: 1
  - .args:
      - .offset:         0
        .size:           416
        .value_kind:     by_value
      - .offset:         416
        .size:           416
        .value_kind:     by_value
      - .offset:         832
        .size:           416
        .value_kind:     by_value
      - .offset:         1248
        .size:           8
        .value_kind:     by_value
      - .offset:         1256
        .size:           8
        .value_kind:     by_value
      - .offset:         1264
        .size:           8
        .value_kind:     by_value
      - .offset:         1272
        .size:           1
        .value_kind:     by_value
      - .offset:         1280
        .size:           4
        .value_kind:     hidden_block_count_x
      - .offset:         1284
        .size:           4
        .value_kind:     hidden_block_count_y
      - .offset:         1288
        .size:           4
        .value_kind:     hidden_block_count_z
      - .offset:         1292
        .size:           2
        .value_kind:     hidden_group_size_x
      - .offset:         1294
        .size:           2
        .value_kind:     hidden_group_size_y
      - .offset:         1296
        .size:           2
        .value_kind:     hidden_group_size_z
      - .offset:         1298
        .size:           2
        .value_kind:     hidden_remainder_x
      - .offset:         1300
        .size:           2
        .value_kind:     hidden_remainder_y
      - .offset:         1302
        .size:           2
        .value_kind:     hidden_remainder_z
      - .offset:         1320
        .size:           8
        .value_kind:     hidden_global_offset_x
      - .offset:         1328
        .size:           8
        .value_kind:     hidden_global_offset_y
      - .offset:         1336
        .size:           8
        .value_kind:     hidden_global_offset_z
      - .offset:         1344
        .size:           2
        .value_kind:     hidden_grid_dims
    .group_segment_fixed_size: 5152
    .kernarg_segment_align: 8
    .kernarg_segment_size: 1536
    .language:       OpenCL C
    .language_version:
      - 2
      - 0
    .max_flat_workgroup_size: 1024
    .name:           _ZN2at6native12_GLOBAL__N_112gatherMedianIhmLi2EEEvNS_4cuda6detail10TensorInfoIT_T0_EENS5_IlS7_EENS5_IKS6_S7_EES7_S7_S7_b
    .private_segment_fixed_size: 0
    .sgpr_count:     104
    .sgpr_spill_count: 0
    .symbol:         _ZN2at6native12_GLOBAL__N_112gatherMedianIhmLi2EEEvNS_4cuda6detail10TensorInfoIT_T0_EENS5_IlS7_EENS5_IKS6_S7_EES7_S7_S7_b.kd
    .uniform_work_group_size: 1
    .uses_dynamic_stack: false
    .vgpr_count:     48
    .vgpr_spill_count: 0
    .wavefront_size: 32
    .workgroup_processor_mode: 1
  - .args:
      - .offset:         0
        .size:           416
        .value_kind:     by_value
      - .offset:         416
        .size:           416
        .value_kind:     by_value
      - .offset:         832
        .size:           416
        .value_kind:     by_value
      - .offset:         1248
        .size:           8
        .value_kind:     by_value
      - .offset:         1256
        .size:           8
        .value_kind:     by_value
      - .offset:         1264
        .size:           8
        .value_kind:     by_value
      - .offset:         1272
        .size:           1
        .value_kind:     by_value
      - .offset:         1280
        .size:           4
        .value_kind:     hidden_block_count_x
      - .offset:         1284
        .size:           4
        .value_kind:     hidden_block_count_y
      - .offset:         1288
        .size:           4
        .value_kind:     hidden_block_count_z
      - .offset:         1292
        .size:           2
        .value_kind:     hidden_group_size_x
      - .offset:         1294
        .size:           2
        .value_kind:     hidden_group_size_y
      - .offset:         1296
        .size:           2
        .value_kind:     hidden_group_size_z
      - .offset:         1298
        .size:           2
        .value_kind:     hidden_remainder_x
      - .offset:         1300
        .size:           2
        .value_kind:     hidden_remainder_y
      - .offset:         1302
        .size:           2
        .value_kind:     hidden_remainder_z
      - .offset:         1320
        .size:           8
        .value_kind:     hidden_global_offset_x
      - .offset:         1328
        .size:           8
        .value_kind:     hidden_global_offset_y
      - .offset:         1336
        .size:           8
        .value_kind:     hidden_global_offset_z
      - .offset:         1344
        .size:           2
        .value_kind:     hidden_grid_dims
    .group_segment_fixed_size: 5152
    .kernarg_segment_align: 8
    .kernarg_segment_size: 1536
    .language:       OpenCL C
    .language_version:
      - 2
      - 0
    .max_flat_workgroup_size: 1024
    .name:           _ZN2at6native12_GLOBAL__N_112gatherMedianIhmLi3EEEvNS_4cuda6detail10TensorInfoIT_T0_EENS5_IlS7_EENS5_IKS6_S7_EES7_S7_S7_b
    .private_segment_fixed_size: 0
    .sgpr_count:     107
    .sgpr_spill_count: 8
    .symbol:         _ZN2at6native12_GLOBAL__N_112gatherMedianIhmLi3EEEvNS_4cuda6detail10TensorInfoIT_T0_EENS5_IlS7_EENS5_IKS6_S7_EES7_S7_S7_b.kd
    .uniform_work_group_size: 1
    .uses_dynamic_stack: false
    .vgpr_count:     49
    .vgpr_spill_count: 0
    .wavefront_size: 32
    .workgroup_processor_mode: 1
  - .args:
      - .offset:         0
        .size:           416
        .value_kind:     by_value
      - .offset:         416
        .size:           416
        .value_kind:     by_value
      - .offset:         832
        .size:           416
        .value_kind:     by_value
      - .offset:         1248
        .size:           8
        .value_kind:     by_value
      - .offset:         1256
        .size:           8
        .value_kind:     by_value
      - .offset:         1264
        .size:           8
        .value_kind:     by_value
      - .offset:         1272
        .size:           1
        .value_kind:     by_value
      - .offset:         1280
        .size:           4
        .value_kind:     hidden_block_count_x
      - .offset:         1284
        .size:           4
        .value_kind:     hidden_block_count_y
      - .offset:         1288
        .size:           4
        .value_kind:     hidden_block_count_z
      - .offset:         1292
        .size:           2
        .value_kind:     hidden_group_size_x
      - .offset:         1294
        .size:           2
        .value_kind:     hidden_group_size_y
      - .offset:         1296
        .size:           2
        .value_kind:     hidden_group_size_z
      - .offset:         1298
        .size:           2
        .value_kind:     hidden_remainder_x
      - .offset:         1300
        .size:           2
        .value_kind:     hidden_remainder_y
      - .offset:         1302
        .size:           2
        .value_kind:     hidden_remainder_z
      - .offset:         1320
        .size:           8
        .value_kind:     hidden_global_offset_x
      - .offset:         1328
        .size:           8
        .value_kind:     hidden_global_offset_y
      - .offset:         1336
        .size:           8
        .value_kind:     hidden_global_offset_z
      - .offset:         1344
        .size:           2
        .value_kind:     hidden_grid_dims
    .group_segment_fixed_size: 5152
    .kernarg_segment_align: 8
    .kernarg_segment_size: 1536
    .language:       OpenCL C
    .language_version:
      - 2
      - 0
    .max_flat_workgroup_size: 1024
    .name:           _ZN2at6native12_GLOBAL__N_112gatherMedianIhmLin1EEEvNS_4cuda6detail10TensorInfoIT_T0_EENS5_IlS7_EENS5_IKS6_S7_EES7_S7_S7_b
    .private_segment_fixed_size: 0
    .sgpr_count:     104
    .sgpr_spill_count: 0
    .symbol:         _ZN2at6native12_GLOBAL__N_112gatherMedianIhmLin1EEEvNS_4cuda6detail10TensorInfoIT_T0_EENS5_IlS7_EENS5_IKS6_S7_EES7_S7_S7_b.kd
    .uniform_work_group_size: 1
    .uses_dynamic_stack: false
    .vgpr_count:     59
    .vgpr_spill_count: 0
    .wavefront_size: 32
    .workgroup_processor_mode: 1
  - .args:
      - .offset:         0
        .size:           216
        .value_kind:     by_value
      - .offset:         216
        .size:           216
        .value_kind:     by_value
      - .offset:         432
        .size:           216
        .value_kind:     by_value
      - .offset:         648
        .size:           4
        .value_kind:     by_value
      - .offset:         652
        .size:           4
        .value_kind:     by_value
      - .offset:         656
        .size:           4
        .value_kind:     by_value
      - .offset:         660
        .size:           1
        .value_kind:     by_value
      - .offset:         664
        .size:           4
        .value_kind:     hidden_block_count_x
      - .offset:         668
        .size:           4
        .value_kind:     hidden_block_count_y
      - .offset:         672
        .size:           4
        .value_kind:     hidden_block_count_z
      - .offset:         676
        .size:           2
        .value_kind:     hidden_group_size_x
      - .offset:         678
        .size:           2
        .value_kind:     hidden_group_size_y
      - .offset:         680
        .size:           2
        .value_kind:     hidden_group_size_z
      - .offset:         682
        .size:           2
        .value_kind:     hidden_remainder_x
      - .offset:         684
        .size:           2
        .value_kind:     hidden_remainder_y
      - .offset:         686
        .size:           2
        .value_kind:     hidden_remainder_z
      - .offset:         704
        .size:           8
        .value_kind:     hidden_global_offset_x
      - .offset:         712
        .size:           8
        .value_kind:     hidden_global_offset_y
      - .offset:         720
        .size:           8
        .value_kind:     hidden_global_offset_z
      - .offset:         728
        .size:           2
        .value_kind:     hidden_grid_dims
    .group_segment_fixed_size: 4120
    .kernarg_segment_align: 8
    .kernarg_segment_size: 920
    .language:       OpenCL C
    .language_version:
      - 2
      - 0
    .max_flat_workgroup_size: 1024
    .name:           _ZN2at6native12_GLOBAL__N_112gatherMedianIajLi1EEEvNS_4cuda6detail10TensorInfoIT_T0_EENS5_IlS7_EENS5_IKS6_S7_EES7_S7_S7_b
    .private_segment_fixed_size: 0
    .sgpr_count:     86
    .sgpr_spill_count: 0
    .symbol:         _ZN2at6native12_GLOBAL__N_112gatherMedianIajLi1EEEvNS_4cuda6detail10TensorInfoIT_T0_EENS5_IlS7_EENS5_IKS6_S7_EES7_S7_S7_b.kd
    .uniform_work_group_size: 1
    .uses_dynamic_stack: false
    .vgpr_count:     68
    .vgpr_spill_count: 0
    .wavefront_size: 32
    .workgroup_processor_mode: 1
  - .args:
      - .offset:         0
        .size:           216
        .value_kind:     by_value
      - .offset:         216
        .size:           216
        .value_kind:     by_value
      - .offset:         432
        .size:           216
        .value_kind:     by_value
      - .offset:         648
        .size:           4
        .value_kind:     by_value
      - .offset:         652
        .size:           4
        .value_kind:     by_value
      - .offset:         656
        .size:           4
        .value_kind:     by_value
      - .offset:         660
        .size:           1
        .value_kind:     by_value
      - .offset:         664
        .size:           4
        .value_kind:     hidden_block_count_x
      - .offset:         668
        .size:           4
        .value_kind:     hidden_block_count_y
      - .offset:         672
        .size:           4
        .value_kind:     hidden_block_count_z
      - .offset:         676
        .size:           2
        .value_kind:     hidden_group_size_x
      - .offset:         678
        .size:           2
        .value_kind:     hidden_group_size_y
      - .offset:         680
        .size:           2
        .value_kind:     hidden_group_size_z
      - .offset:         682
        .size:           2
        .value_kind:     hidden_remainder_x
      - .offset:         684
        .size:           2
        .value_kind:     hidden_remainder_y
      - .offset:         686
        .size:           2
        .value_kind:     hidden_remainder_z
      - .offset:         704
        .size:           8
        .value_kind:     hidden_global_offset_x
      - .offset:         712
        .size:           8
        .value_kind:     hidden_global_offset_y
      - .offset:         720
        .size:           8
        .value_kind:     hidden_global_offset_z
      - .offset:         728
        .size:           2
        .value_kind:     hidden_grid_dims
    .group_segment_fixed_size: 4120
    .kernarg_segment_align: 8
    .kernarg_segment_size: 920
    .language:       OpenCL C
    .language_version:
      - 2
      - 0
    .max_flat_workgroup_size: 1024
    .name:           _ZN2at6native12_GLOBAL__N_112gatherMedianIajLi2EEEvNS_4cuda6detail10TensorInfoIT_T0_EENS5_IlS7_EENS5_IKS6_S7_EES7_S7_S7_b
    .private_segment_fixed_size: 0
    .sgpr_count:     92
    .sgpr_spill_count: 0
    .symbol:         _ZN2at6native12_GLOBAL__N_112gatherMedianIajLi2EEEvNS_4cuda6detail10TensorInfoIT_T0_EENS5_IlS7_EENS5_IKS6_S7_EES7_S7_S7_b.kd
    .uniform_work_group_size: 1
    .uses_dynamic_stack: false
    .vgpr_count:     68
    .vgpr_spill_count: 0
    .wavefront_size: 32
    .workgroup_processor_mode: 1
  - .args:
      - .offset:         0
        .size:           216
        .value_kind:     by_value
      - .offset:         216
        .size:           216
        .value_kind:     by_value
      - .offset:         432
        .size:           216
        .value_kind:     by_value
      - .offset:         648
        .size:           4
        .value_kind:     by_value
      - .offset:         652
        .size:           4
        .value_kind:     by_value
      - .offset:         656
        .size:           4
        .value_kind:     by_value
      - .offset:         660
        .size:           1
        .value_kind:     by_value
      - .offset:         664
        .size:           4
        .value_kind:     hidden_block_count_x
      - .offset:         668
        .size:           4
        .value_kind:     hidden_block_count_y
      - .offset:         672
        .size:           4
        .value_kind:     hidden_block_count_z
      - .offset:         676
        .size:           2
        .value_kind:     hidden_group_size_x
      - .offset:         678
        .size:           2
        .value_kind:     hidden_group_size_y
      - .offset:         680
        .size:           2
        .value_kind:     hidden_group_size_z
      - .offset:         682
        .size:           2
        .value_kind:     hidden_remainder_x
      - .offset:         684
        .size:           2
        .value_kind:     hidden_remainder_y
      - .offset:         686
        .size:           2
        .value_kind:     hidden_remainder_z
      - .offset:         704
        .size:           8
        .value_kind:     hidden_global_offset_x
      - .offset:         712
        .size:           8
        .value_kind:     hidden_global_offset_y
      - .offset:         720
        .size:           8
        .value_kind:     hidden_global_offset_z
      - .offset:         728
        .size:           2
        .value_kind:     hidden_grid_dims
    .group_segment_fixed_size: 4120
    .kernarg_segment_align: 8
    .kernarg_segment_size: 920
    .language:       OpenCL C
    .language_version:
      - 2
      - 0
    .max_flat_workgroup_size: 1024
    .name:           _ZN2at6native12_GLOBAL__N_112gatherMedianIajLi3EEEvNS_4cuda6detail10TensorInfoIT_T0_EENS5_IlS7_EENS5_IKS6_S7_EES7_S7_S7_b
    .private_segment_fixed_size: 0
    .sgpr_count:     98
    .sgpr_spill_count: 0
    .symbol:         _ZN2at6native12_GLOBAL__N_112gatherMedianIajLi3EEEvNS_4cuda6detail10TensorInfoIT_T0_EENS5_IlS7_EENS5_IKS6_S7_EES7_S7_S7_b.kd
    .uniform_work_group_size: 1
    .uses_dynamic_stack: false
    .vgpr_count:     68
    .vgpr_spill_count: 0
    .wavefront_size: 32
    .workgroup_processor_mode: 1
  - .args:
      - .offset:         0
        .size:           216
        .value_kind:     by_value
      - .offset:         216
        .size:           216
        .value_kind:     by_value
      - .offset:         432
        .size:           216
        .value_kind:     by_value
      - .offset:         648
        .size:           4
        .value_kind:     by_value
      - .offset:         652
        .size:           4
        .value_kind:     by_value
      - .offset:         656
        .size:           4
        .value_kind:     by_value
      - .offset:         660
        .size:           1
        .value_kind:     by_value
      - .offset:         664
        .size:           4
        .value_kind:     hidden_block_count_x
      - .offset:         668
        .size:           4
        .value_kind:     hidden_block_count_y
      - .offset:         672
        .size:           4
        .value_kind:     hidden_block_count_z
      - .offset:         676
        .size:           2
        .value_kind:     hidden_group_size_x
      - .offset:         678
        .size:           2
        .value_kind:     hidden_group_size_y
      - .offset:         680
        .size:           2
        .value_kind:     hidden_group_size_z
      - .offset:         682
        .size:           2
        .value_kind:     hidden_remainder_x
      - .offset:         684
        .size:           2
        .value_kind:     hidden_remainder_y
      - .offset:         686
        .size:           2
        .value_kind:     hidden_remainder_z
      - .offset:         704
        .size:           8
        .value_kind:     hidden_global_offset_x
      - .offset:         712
        .size:           8
        .value_kind:     hidden_global_offset_y
      - .offset:         720
        .size:           8
        .value_kind:     hidden_global_offset_z
      - .offset:         728
        .size:           2
        .value_kind:     hidden_grid_dims
    .group_segment_fixed_size: 4120
    .kernarg_segment_align: 8
    .kernarg_segment_size: 920
    .language:       OpenCL C
    .language_version:
      - 2
      - 0
    .max_flat_workgroup_size: 1024
    .name:           _ZN2at6native12_GLOBAL__N_112gatherMedianIajLin1EEEvNS_4cuda6detail10TensorInfoIT_T0_EENS5_IlS7_EENS5_IKS6_S7_EES7_S7_S7_b
    .private_segment_fixed_size: 0
    .sgpr_count:     89
    .sgpr_spill_count: 0
    .symbol:         _ZN2at6native12_GLOBAL__N_112gatherMedianIajLin1EEEvNS_4cuda6detail10TensorInfoIT_T0_EENS5_IlS7_EENS5_IKS6_S7_EES7_S7_S7_b.kd
    .uniform_work_group_size: 1
    .uses_dynamic_stack: false
    .vgpr_count:     68
    .vgpr_spill_count: 0
    .wavefront_size: 32
    .workgroup_processor_mode: 1
  - .args:
      - .offset:         0
        .size:           416
        .value_kind:     by_value
      - .offset:         416
        .size:           416
        .value_kind:     by_value
      - .offset:         832
        .size:           416
        .value_kind:     by_value
      - .offset:         1248
        .size:           8
        .value_kind:     by_value
      - .offset:         1256
        .size:           8
        .value_kind:     by_value
      - .offset:         1264
        .size:           8
        .value_kind:     by_value
      - .offset:         1272
        .size:           1
        .value_kind:     by_value
      - .offset:         1280
        .size:           4
        .value_kind:     hidden_block_count_x
      - .offset:         1284
        .size:           4
        .value_kind:     hidden_block_count_y
      - .offset:         1288
        .size:           4
        .value_kind:     hidden_block_count_z
      - .offset:         1292
        .size:           2
        .value_kind:     hidden_group_size_x
      - .offset:         1294
        .size:           2
        .value_kind:     hidden_group_size_y
      - .offset:         1296
        .size:           2
        .value_kind:     hidden_group_size_z
      - .offset:         1298
        .size:           2
        .value_kind:     hidden_remainder_x
      - .offset:         1300
        .size:           2
        .value_kind:     hidden_remainder_y
      - .offset:         1302
        .size:           2
        .value_kind:     hidden_remainder_z
      - .offset:         1320
        .size:           8
        .value_kind:     hidden_global_offset_x
      - .offset:         1328
        .size:           8
        .value_kind:     hidden_global_offset_y
      - .offset:         1336
        .size:           8
        .value_kind:     hidden_global_offset_z
      - .offset:         1344
        .size:           2
        .value_kind:     hidden_grid_dims
    .group_segment_fixed_size: 5152
    .kernarg_segment_align: 8
    .kernarg_segment_size: 1536
    .language:       OpenCL C
    .language_version:
      - 2
      - 0
    .max_flat_workgroup_size: 1024
    .name:           _ZN2at6native12_GLOBAL__N_112gatherMedianIamLi1EEEvNS_4cuda6detail10TensorInfoIT_T0_EENS5_IlS7_EENS5_IKS6_S7_EES7_S7_S7_b
    .private_segment_fixed_size: 0
    .sgpr_count:     96
    .sgpr_spill_count: 0
    .symbol:         _ZN2at6native12_GLOBAL__N_112gatherMedianIamLi1EEEvNS_4cuda6detail10TensorInfoIT_T0_EENS5_IlS7_EENS5_IKS6_S7_EES7_S7_S7_b.kd
    .uniform_work_group_size: 1
    .uses_dynamic_stack: false
    .vgpr_count:     57
    .vgpr_spill_count: 0
    .wavefront_size: 32
    .workgroup_processor_mode: 1
  - .args:
      - .offset:         0
        .size:           416
        .value_kind:     by_value
      - .offset:         416
        .size:           416
        .value_kind:     by_value
      - .offset:         832
        .size:           416
        .value_kind:     by_value
      - .offset:         1248
        .size:           8
        .value_kind:     by_value
      - .offset:         1256
        .size:           8
        .value_kind:     by_value
      - .offset:         1264
        .size:           8
        .value_kind:     by_value
      - .offset:         1272
        .size:           1
        .value_kind:     by_value
      - .offset:         1280
        .size:           4
        .value_kind:     hidden_block_count_x
      - .offset:         1284
        .size:           4
        .value_kind:     hidden_block_count_y
      - .offset:         1288
        .size:           4
        .value_kind:     hidden_block_count_z
      - .offset:         1292
        .size:           2
        .value_kind:     hidden_group_size_x
      - .offset:         1294
        .size:           2
        .value_kind:     hidden_group_size_y
      - .offset:         1296
        .size:           2
        .value_kind:     hidden_group_size_z
      - .offset:         1298
        .size:           2
        .value_kind:     hidden_remainder_x
      - .offset:         1300
        .size:           2
        .value_kind:     hidden_remainder_y
      - .offset:         1302
        .size:           2
        .value_kind:     hidden_remainder_z
      - .offset:         1320
        .size:           8
        .value_kind:     hidden_global_offset_x
      - .offset:         1328
        .size:           8
        .value_kind:     hidden_global_offset_y
      - .offset:         1336
        .size:           8
        .value_kind:     hidden_global_offset_z
      - .offset:         1344
        .size:           2
        .value_kind:     hidden_grid_dims
    .group_segment_fixed_size: 5152
    .kernarg_segment_align: 8
    .kernarg_segment_size: 1536
    .language:       OpenCL C
    .language_version:
      - 2
      - 0
    .max_flat_workgroup_size: 1024
    .name:           _ZN2at6native12_GLOBAL__N_112gatherMedianIamLi2EEEvNS_4cuda6detail10TensorInfoIT_T0_EENS5_IlS7_EENS5_IKS6_S7_EES7_S7_S7_b
    .private_segment_fixed_size: 0
    .sgpr_count:     104
    .sgpr_spill_count: 0
    .symbol:         _ZN2at6native12_GLOBAL__N_112gatherMedianIamLi2EEEvNS_4cuda6detail10TensorInfoIT_T0_EENS5_IlS7_EENS5_IKS6_S7_EES7_S7_S7_b.kd
    .uniform_work_group_size: 1
    .uses_dynamic_stack: false
    .vgpr_count:     48
    .vgpr_spill_count: 0
    .wavefront_size: 32
    .workgroup_processor_mode: 1
  - .args:
      - .offset:         0
        .size:           416
        .value_kind:     by_value
      - .offset:         416
        .size:           416
        .value_kind:     by_value
      - .offset:         832
        .size:           416
        .value_kind:     by_value
      - .offset:         1248
        .size:           8
        .value_kind:     by_value
      - .offset:         1256
        .size:           8
        .value_kind:     by_value
      - .offset:         1264
        .size:           8
        .value_kind:     by_value
      - .offset:         1272
        .size:           1
        .value_kind:     by_value
      - .offset:         1280
        .size:           4
        .value_kind:     hidden_block_count_x
      - .offset:         1284
        .size:           4
        .value_kind:     hidden_block_count_y
      - .offset:         1288
        .size:           4
        .value_kind:     hidden_block_count_z
      - .offset:         1292
        .size:           2
        .value_kind:     hidden_group_size_x
      - .offset:         1294
        .size:           2
        .value_kind:     hidden_group_size_y
      - .offset:         1296
        .size:           2
        .value_kind:     hidden_group_size_z
      - .offset:         1298
        .size:           2
        .value_kind:     hidden_remainder_x
      - .offset:         1300
        .size:           2
        .value_kind:     hidden_remainder_y
      - .offset:         1302
        .size:           2
        .value_kind:     hidden_remainder_z
      - .offset:         1320
        .size:           8
        .value_kind:     hidden_global_offset_x
      - .offset:         1328
        .size:           8
        .value_kind:     hidden_global_offset_y
      - .offset:         1336
        .size:           8
        .value_kind:     hidden_global_offset_z
      - .offset:         1344
        .size:           2
        .value_kind:     hidden_grid_dims
    .group_segment_fixed_size: 5152
    .kernarg_segment_align: 8
    .kernarg_segment_size: 1536
    .language:       OpenCL C
    .language_version:
      - 2
      - 0
    .max_flat_workgroup_size: 1024
    .name:           _ZN2at6native12_GLOBAL__N_112gatherMedianIamLi3EEEvNS_4cuda6detail10TensorInfoIT_T0_EENS5_IlS7_EENS5_IKS6_S7_EES7_S7_S7_b
    .private_segment_fixed_size: 0
    .sgpr_count:     107
    .sgpr_spill_count: 8
    .symbol:         _ZN2at6native12_GLOBAL__N_112gatherMedianIamLi3EEEvNS_4cuda6detail10TensorInfoIT_T0_EENS5_IlS7_EENS5_IKS6_S7_EES7_S7_S7_b.kd
    .uniform_work_group_size: 1
    .uses_dynamic_stack: false
    .vgpr_count:     49
    .vgpr_spill_count: 0
    .wavefront_size: 32
    .workgroup_processor_mode: 1
  - .args:
      - .offset:         0
        .size:           416
        .value_kind:     by_value
      - .offset:         416
        .size:           416
        .value_kind:     by_value
      - .offset:         832
        .size:           416
        .value_kind:     by_value
      - .offset:         1248
        .size:           8
        .value_kind:     by_value
      - .offset:         1256
        .size:           8
        .value_kind:     by_value
      - .offset:         1264
        .size:           8
        .value_kind:     by_value
      - .offset:         1272
        .size:           1
        .value_kind:     by_value
      - .offset:         1280
        .size:           4
        .value_kind:     hidden_block_count_x
      - .offset:         1284
        .size:           4
        .value_kind:     hidden_block_count_y
      - .offset:         1288
        .size:           4
        .value_kind:     hidden_block_count_z
      - .offset:         1292
        .size:           2
        .value_kind:     hidden_group_size_x
      - .offset:         1294
        .size:           2
        .value_kind:     hidden_group_size_y
      - .offset:         1296
        .size:           2
        .value_kind:     hidden_group_size_z
      - .offset:         1298
        .size:           2
        .value_kind:     hidden_remainder_x
      - .offset:         1300
        .size:           2
        .value_kind:     hidden_remainder_y
      - .offset:         1302
        .size:           2
        .value_kind:     hidden_remainder_z
      - .offset:         1320
        .size:           8
        .value_kind:     hidden_global_offset_x
      - .offset:         1328
        .size:           8
        .value_kind:     hidden_global_offset_y
      - .offset:         1336
        .size:           8
        .value_kind:     hidden_global_offset_z
      - .offset:         1344
        .size:           2
        .value_kind:     hidden_grid_dims
    .group_segment_fixed_size: 5152
    .kernarg_segment_align: 8
    .kernarg_segment_size: 1536
    .language:       OpenCL C
    .language_version:
      - 2
      - 0
    .max_flat_workgroup_size: 1024
    .name:           _ZN2at6native12_GLOBAL__N_112gatherMedianIamLin1EEEvNS_4cuda6detail10TensorInfoIT_T0_EENS5_IlS7_EENS5_IKS6_S7_EES7_S7_S7_b
    .private_segment_fixed_size: 0
    .sgpr_count:     104
    .sgpr_spill_count: 0
    .symbol:         _ZN2at6native12_GLOBAL__N_112gatherMedianIamLin1EEEvNS_4cuda6detail10TensorInfoIT_T0_EENS5_IlS7_EENS5_IKS6_S7_EES7_S7_S7_b.kd
    .uniform_work_group_size: 1
    .uses_dynamic_stack: false
    .vgpr_count:     59
    .vgpr_spill_count: 0
    .wavefront_size: 32
    .workgroup_processor_mode: 1
  - .args:
      - .offset:         0
        .size:           216
        .value_kind:     by_value
      - .offset:         216
        .size:           216
        .value_kind:     by_value
      - .offset:         432
        .size:           216
        .value_kind:     by_value
      - .offset:         648
        .size:           4
        .value_kind:     by_value
      - .offset:         652
        .size:           4
        .value_kind:     by_value
      - .offset:         656
        .size:           4
        .value_kind:     by_value
      - .offset:         660
        .size:           1
        .value_kind:     by_value
      - .offset:         664
        .size:           4
        .value_kind:     hidden_block_count_x
      - .offset:         668
        .size:           4
        .value_kind:     hidden_block_count_y
      - .offset:         672
        .size:           4
        .value_kind:     hidden_block_count_z
      - .offset:         676
        .size:           2
        .value_kind:     hidden_group_size_x
      - .offset:         678
        .size:           2
        .value_kind:     hidden_group_size_y
      - .offset:         680
        .size:           2
        .value_kind:     hidden_group_size_z
      - .offset:         682
        .size:           2
        .value_kind:     hidden_remainder_x
      - .offset:         684
        .size:           2
        .value_kind:     hidden_remainder_y
      - .offset:         686
        .size:           2
        .value_kind:     hidden_remainder_z
      - .offset:         704
        .size:           8
        .value_kind:     hidden_global_offset_x
      - .offset:         712
        .size:           8
        .value_kind:     hidden_global_offset_y
      - .offset:         720
        .size:           8
        .value_kind:     hidden_global_offset_z
      - .offset:         728
        .size:           2
        .value_kind:     hidden_grid_dims
    .group_segment_fixed_size: 4120
    .kernarg_segment_align: 8
    .kernarg_segment_size: 920
    .language:       OpenCL C
    .language_version:
      - 2
      - 0
    .max_flat_workgroup_size: 1024
    .name:           _ZN2at6native12_GLOBAL__N_112gatherMedianIijLi1EEEvNS_4cuda6detail10TensorInfoIT_T0_EENS5_IlS7_EENS5_IKS6_S7_EES7_S7_S7_b
    .private_segment_fixed_size: 0
    .sgpr_count:     79
    .sgpr_spill_count: 0
    .symbol:         _ZN2at6native12_GLOBAL__N_112gatherMedianIijLi1EEEvNS_4cuda6detail10TensorInfoIT_T0_EENS5_IlS7_EENS5_IKS6_S7_EES7_S7_S7_b.kd
    .uniform_work_group_size: 1
    .uses_dynamic_stack: false
    .vgpr_count:     44
    .vgpr_spill_count: 0
    .wavefront_size: 32
    .workgroup_processor_mode: 1
  - .args:
      - .offset:         0
        .size:           216
        .value_kind:     by_value
      - .offset:         216
        .size:           216
        .value_kind:     by_value
      - .offset:         432
        .size:           216
        .value_kind:     by_value
      - .offset:         648
        .size:           4
        .value_kind:     by_value
      - .offset:         652
        .size:           4
        .value_kind:     by_value
      - .offset:         656
        .size:           4
        .value_kind:     by_value
      - .offset:         660
        .size:           1
        .value_kind:     by_value
      - .offset:         664
        .size:           4
        .value_kind:     hidden_block_count_x
      - .offset:         668
        .size:           4
        .value_kind:     hidden_block_count_y
      - .offset:         672
        .size:           4
        .value_kind:     hidden_block_count_z
      - .offset:         676
        .size:           2
        .value_kind:     hidden_group_size_x
      - .offset:         678
        .size:           2
        .value_kind:     hidden_group_size_y
      - .offset:         680
        .size:           2
        .value_kind:     hidden_group_size_z
      - .offset:         682
        .size:           2
        .value_kind:     hidden_remainder_x
      - .offset:         684
        .size:           2
        .value_kind:     hidden_remainder_y
      - .offset:         686
        .size:           2
        .value_kind:     hidden_remainder_z
      - .offset:         704
        .size:           8
        .value_kind:     hidden_global_offset_x
      - .offset:         712
        .size:           8
        .value_kind:     hidden_global_offset_y
      - .offset:         720
        .size:           8
        .value_kind:     hidden_global_offset_z
      - .offset:         728
        .size:           2
        .value_kind:     hidden_grid_dims
    .group_segment_fixed_size: 4120
    .kernarg_segment_align: 8
    .kernarg_segment_size: 920
    .language:       OpenCL C
    .language_version:
      - 2
      - 0
    .max_flat_workgroup_size: 1024
    .name:           _ZN2at6native12_GLOBAL__N_112gatherMedianIijLi2EEEvNS_4cuda6detail10TensorInfoIT_T0_EENS5_IlS7_EENS5_IKS6_S7_EES7_S7_S7_b
    .private_segment_fixed_size: 0
    .sgpr_count:     85
    .sgpr_spill_count: 0
    .symbol:         _ZN2at6native12_GLOBAL__N_112gatherMedianIijLi2EEEvNS_4cuda6detail10TensorInfoIT_T0_EENS5_IlS7_EENS5_IKS6_S7_EES7_S7_S7_b.kd
    .uniform_work_group_size: 1
    .uses_dynamic_stack: false
    .vgpr_count:     44
    .vgpr_spill_count: 0
    .wavefront_size: 32
    .workgroup_processor_mode: 1
  - .args:
      - .offset:         0
        .size:           216
        .value_kind:     by_value
      - .offset:         216
        .size:           216
        .value_kind:     by_value
      - .offset:         432
        .size:           216
        .value_kind:     by_value
      - .offset:         648
        .size:           4
        .value_kind:     by_value
      - .offset:         652
        .size:           4
        .value_kind:     by_value
      - .offset:         656
        .size:           4
        .value_kind:     by_value
      - .offset:         660
        .size:           1
        .value_kind:     by_value
      - .offset:         664
        .size:           4
        .value_kind:     hidden_block_count_x
      - .offset:         668
        .size:           4
        .value_kind:     hidden_block_count_y
      - .offset:         672
        .size:           4
        .value_kind:     hidden_block_count_z
      - .offset:         676
        .size:           2
        .value_kind:     hidden_group_size_x
      - .offset:         678
        .size:           2
        .value_kind:     hidden_group_size_y
      - .offset:         680
        .size:           2
        .value_kind:     hidden_group_size_z
      - .offset:         682
        .size:           2
        .value_kind:     hidden_remainder_x
      - .offset:         684
        .size:           2
        .value_kind:     hidden_remainder_y
      - .offset:         686
        .size:           2
        .value_kind:     hidden_remainder_z
      - .offset:         704
        .size:           8
        .value_kind:     hidden_global_offset_x
      - .offset:         712
        .size:           8
        .value_kind:     hidden_global_offset_y
      - .offset:         720
        .size:           8
        .value_kind:     hidden_global_offset_z
      - .offset:         728
        .size:           2
        .value_kind:     hidden_grid_dims
    .group_segment_fixed_size: 4120
    .kernarg_segment_align: 8
    .kernarg_segment_size: 920
    .language:       OpenCL C
    .language_version:
      - 2
      - 0
    .max_flat_workgroup_size: 1024
    .name:           _ZN2at6native12_GLOBAL__N_112gatherMedianIijLi3EEEvNS_4cuda6detail10TensorInfoIT_T0_EENS5_IlS7_EENS5_IKS6_S7_EES7_S7_S7_b
    .private_segment_fixed_size: 0
    .sgpr_count:     91
    .sgpr_spill_count: 0
    .symbol:         _ZN2at6native12_GLOBAL__N_112gatherMedianIijLi3EEEvNS_4cuda6detail10TensorInfoIT_T0_EENS5_IlS7_EENS5_IKS6_S7_EES7_S7_S7_b.kd
    .uniform_work_group_size: 1
    .uses_dynamic_stack: false
    .vgpr_count:     44
    .vgpr_spill_count: 0
    .wavefront_size: 32
    .workgroup_processor_mode: 1
  - .args:
      - .offset:         0
        .size:           216
        .value_kind:     by_value
      - .offset:         216
        .size:           216
        .value_kind:     by_value
      - .offset:         432
        .size:           216
        .value_kind:     by_value
      - .offset:         648
        .size:           4
        .value_kind:     by_value
      - .offset:         652
        .size:           4
        .value_kind:     by_value
      - .offset:         656
        .size:           4
        .value_kind:     by_value
      - .offset:         660
        .size:           1
        .value_kind:     by_value
      - .offset:         664
        .size:           4
        .value_kind:     hidden_block_count_x
      - .offset:         668
        .size:           4
        .value_kind:     hidden_block_count_y
      - .offset:         672
        .size:           4
        .value_kind:     hidden_block_count_z
      - .offset:         676
        .size:           2
        .value_kind:     hidden_group_size_x
      - .offset:         678
        .size:           2
        .value_kind:     hidden_group_size_y
      - .offset:         680
        .size:           2
        .value_kind:     hidden_group_size_z
      - .offset:         682
        .size:           2
        .value_kind:     hidden_remainder_x
      - .offset:         684
        .size:           2
        .value_kind:     hidden_remainder_y
      - .offset:         686
        .size:           2
        .value_kind:     hidden_remainder_z
      - .offset:         704
        .size:           8
        .value_kind:     hidden_global_offset_x
      - .offset:         712
        .size:           8
        .value_kind:     hidden_global_offset_y
      - .offset:         720
        .size:           8
        .value_kind:     hidden_global_offset_z
      - .offset:         728
        .size:           2
        .value_kind:     hidden_grid_dims
    .group_segment_fixed_size: 4120
    .kernarg_segment_align: 8
    .kernarg_segment_size: 920
    .language:       OpenCL C
    .language_version:
      - 2
      - 0
    .max_flat_workgroup_size: 1024
    .name:           _ZN2at6native12_GLOBAL__N_112gatherMedianIijLin1EEEvNS_4cuda6detail10TensorInfoIT_T0_EENS5_IlS7_EENS5_IKS6_S7_EES7_S7_S7_b
    .private_segment_fixed_size: 0
    .sgpr_count:     82
    .sgpr_spill_count: 0
    .symbol:         _ZN2at6native12_GLOBAL__N_112gatherMedianIijLin1EEEvNS_4cuda6detail10TensorInfoIT_T0_EENS5_IlS7_EENS5_IKS6_S7_EES7_S7_S7_b.kd
    .uniform_work_group_size: 1
    .uses_dynamic_stack: false
    .vgpr_count:     44
    .vgpr_spill_count: 0
    .wavefront_size: 32
    .workgroup_processor_mode: 1
  - .args:
      - .offset:         0
        .size:           416
        .value_kind:     by_value
      - .offset:         416
        .size:           416
        .value_kind:     by_value
      - .offset:         832
        .size:           416
        .value_kind:     by_value
      - .offset:         1248
        .size:           8
        .value_kind:     by_value
      - .offset:         1256
        .size:           8
        .value_kind:     by_value
      - .offset:         1264
        .size:           8
        .value_kind:     by_value
      - .offset:         1272
        .size:           1
        .value_kind:     by_value
      - .offset:         1280
        .size:           4
        .value_kind:     hidden_block_count_x
      - .offset:         1284
        .size:           4
        .value_kind:     hidden_block_count_y
      - .offset:         1288
        .size:           4
        .value_kind:     hidden_block_count_z
      - .offset:         1292
        .size:           2
        .value_kind:     hidden_group_size_x
      - .offset:         1294
        .size:           2
        .value_kind:     hidden_group_size_y
      - .offset:         1296
        .size:           2
        .value_kind:     hidden_group_size_z
      - .offset:         1298
        .size:           2
        .value_kind:     hidden_remainder_x
      - .offset:         1300
        .size:           2
        .value_kind:     hidden_remainder_y
      - .offset:         1302
        .size:           2
        .value_kind:     hidden_remainder_z
      - .offset:         1320
        .size:           8
        .value_kind:     hidden_global_offset_x
      - .offset:         1328
        .size:           8
        .value_kind:     hidden_global_offset_y
      - .offset:         1336
        .size:           8
        .value_kind:     hidden_global_offset_z
      - .offset:         1344
        .size:           2
        .value_kind:     hidden_grid_dims
    .group_segment_fixed_size: 5152
    .kernarg_segment_align: 8
    .kernarg_segment_size: 1536
    .language:       OpenCL C
    .language_version:
      - 2
      - 0
    .max_flat_workgroup_size: 1024
    .name:           _ZN2at6native12_GLOBAL__N_112gatherMedianIimLi1EEEvNS_4cuda6detail10TensorInfoIT_T0_EENS5_IlS7_EENS5_IKS6_S7_EES7_S7_S7_b
    .private_segment_fixed_size: 0
    .sgpr_count:     92
    .sgpr_spill_count: 0
    .symbol:         _ZN2at6native12_GLOBAL__N_112gatherMedianIimLi1EEEvNS_4cuda6detail10TensorInfoIT_T0_EENS5_IlS7_EENS5_IKS6_S7_EES7_S7_S7_b.kd
    .uniform_work_group_size: 1
    .uses_dynamic_stack: false
    .vgpr_count:     52
    .vgpr_spill_count: 0
    .wavefront_size: 32
    .workgroup_processor_mode: 1
  - .args:
      - .offset:         0
        .size:           416
        .value_kind:     by_value
      - .offset:         416
        .size:           416
        .value_kind:     by_value
      - .offset:         832
        .size:           416
        .value_kind:     by_value
      - .offset:         1248
        .size:           8
        .value_kind:     by_value
      - .offset:         1256
        .size:           8
        .value_kind:     by_value
      - .offset:         1264
        .size:           8
        .value_kind:     by_value
      - .offset:         1272
        .size:           1
        .value_kind:     by_value
      - .offset:         1280
        .size:           4
        .value_kind:     hidden_block_count_x
      - .offset:         1284
        .size:           4
        .value_kind:     hidden_block_count_y
      - .offset:         1288
        .size:           4
        .value_kind:     hidden_block_count_z
      - .offset:         1292
        .size:           2
        .value_kind:     hidden_group_size_x
      - .offset:         1294
        .size:           2
        .value_kind:     hidden_group_size_y
      - .offset:         1296
        .size:           2
        .value_kind:     hidden_group_size_z
      - .offset:         1298
        .size:           2
        .value_kind:     hidden_remainder_x
      - .offset:         1300
        .size:           2
        .value_kind:     hidden_remainder_y
      - .offset:         1302
        .size:           2
        .value_kind:     hidden_remainder_z
      - .offset:         1320
        .size:           8
        .value_kind:     hidden_global_offset_x
      - .offset:         1328
        .size:           8
        .value_kind:     hidden_global_offset_y
      - .offset:         1336
        .size:           8
        .value_kind:     hidden_global_offset_z
      - .offset:         1344
        .size:           2
        .value_kind:     hidden_grid_dims
    .group_segment_fixed_size: 5152
    .kernarg_segment_align: 8
    .kernarg_segment_size: 1536
    .language:       OpenCL C
    .language_version:
      - 2
      - 0
    .max_flat_workgroup_size: 1024
    .name:           _ZN2at6native12_GLOBAL__N_112gatherMedianIimLi2EEEvNS_4cuda6detail10TensorInfoIT_T0_EENS5_IlS7_EENS5_IKS6_S7_EES7_S7_S7_b
    .private_segment_fixed_size: 0
    .sgpr_count:     98
    .sgpr_spill_count: 0
    .symbol:         _ZN2at6native12_GLOBAL__N_112gatherMedianIimLi2EEEvNS_4cuda6detail10TensorInfoIT_T0_EENS5_IlS7_EENS5_IKS6_S7_EES7_S7_S7_b.kd
    .uniform_work_group_size: 1
    .uses_dynamic_stack: false
    .vgpr_count:     41
    .vgpr_spill_count: 0
    .wavefront_size: 32
    .workgroup_processor_mode: 1
  - .args:
      - .offset:         0
        .size:           416
        .value_kind:     by_value
      - .offset:         416
        .size:           416
        .value_kind:     by_value
      - .offset:         832
        .size:           416
        .value_kind:     by_value
      - .offset:         1248
        .size:           8
        .value_kind:     by_value
      - .offset:         1256
        .size:           8
        .value_kind:     by_value
      - .offset:         1264
        .size:           8
        .value_kind:     by_value
      - .offset:         1272
        .size:           1
        .value_kind:     by_value
      - .offset:         1280
        .size:           4
        .value_kind:     hidden_block_count_x
      - .offset:         1284
        .size:           4
        .value_kind:     hidden_block_count_y
      - .offset:         1288
        .size:           4
        .value_kind:     hidden_block_count_z
      - .offset:         1292
        .size:           2
        .value_kind:     hidden_group_size_x
      - .offset:         1294
        .size:           2
        .value_kind:     hidden_group_size_y
      - .offset:         1296
        .size:           2
        .value_kind:     hidden_group_size_z
      - .offset:         1298
        .size:           2
        .value_kind:     hidden_remainder_x
      - .offset:         1300
        .size:           2
        .value_kind:     hidden_remainder_y
      - .offset:         1302
        .size:           2
        .value_kind:     hidden_remainder_z
      - .offset:         1320
        .size:           8
        .value_kind:     hidden_global_offset_x
      - .offset:         1328
        .size:           8
        .value_kind:     hidden_global_offset_y
      - .offset:         1336
        .size:           8
        .value_kind:     hidden_global_offset_z
      - .offset:         1344
        .size:           2
        .value_kind:     hidden_grid_dims
    .group_segment_fixed_size: 5152
    .kernarg_segment_align: 8
    .kernarg_segment_size: 1536
    .language:       OpenCL C
    .language_version:
      - 2
      - 0
    .max_flat_workgroup_size: 1024
    .name:           _ZN2at6native12_GLOBAL__N_112gatherMedianIimLi3EEEvNS_4cuda6detail10TensorInfoIT_T0_EENS5_IlS7_EENS5_IKS6_S7_EES7_S7_S7_b
    .private_segment_fixed_size: 0
    .sgpr_count:     107
    .sgpr_spill_count: 2
    .symbol:         _ZN2at6native12_GLOBAL__N_112gatherMedianIimLi3EEEvNS_4cuda6detail10TensorInfoIT_T0_EENS5_IlS7_EENS5_IKS6_S7_EES7_S7_S7_b.kd
    .uniform_work_group_size: 1
    .uses_dynamic_stack: false
    .vgpr_count:     37
    .vgpr_spill_count: 0
    .wavefront_size: 32
    .workgroup_processor_mode: 1
  - .args:
      - .offset:         0
        .size:           416
        .value_kind:     by_value
      - .offset:         416
        .size:           416
        .value_kind:     by_value
      - .offset:         832
        .size:           416
        .value_kind:     by_value
      - .offset:         1248
        .size:           8
        .value_kind:     by_value
      - .offset:         1256
        .size:           8
        .value_kind:     by_value
      - .offset:         1264
        .size:           8
        .value_kind:     by_value
      - .offset:         1272
        .size:           1
        .value_kind:     by_value
      - .offset:         1280
        .size:           4
        .value_kind:     hidden_block_count_x
      - .offset:         1284
        .size:           4
        .value_kind:     hidden_block_count_y
      - .offset:         1288
        .size:           4
        .value_kind:     hidden_block_count_z
      - .offset:         1292
        .size:           2
        .value_kind:     hidden_group_size_x
      - .offset:         1294
        .size:           2
        .value_kind:     hidden_group_size_y
      - .offset:         1296
        .size:           2
        .value_kind:     hidden_group_size_z
      - .offset:         1298
        .size:           2
        .value_kind:     hidden_remainder_x
      - .offset:         1300
        .size:           2
        .value_kind:     hidden_remainder_y
      - .offset:         1302
        .size:           2
        .value_kind:     hidden_remainder_z
      - .offset:         1320
        .size:           8
        .value_kind:     hidden_global_offset_x
      - .offset:         1328
        .size:           8
        .value_kind:     hidden_global_offset_y
      - .offset:         1336
        .size:           8
        .value_kind:     hidden_global_offset_z
      - .offset:         1344
        .size:           2
        .value_kind:     hidden_grid_dims
    .group_segment_fixed_size: 5152
    .kernarg_segment_align: 8
    .kernarg_segment_size: 1536
    .language:       OpenCL C
    .language_version:
      - 2
      - 0
    .max_flat_workgroup_size: 1024
    .name:           _ZN2at6native12_GLOBAL__N_112gatherMedianIimLin1EEEvNS_4cuda6detail10TensorInfoIT_T0_EENS5_IlS7_EENS5_IKS6_S7_EES7_S7_S7_b
    .private_segment_fixed_size: 0
    .sgpr_count:     102
    .sgpr_spill_count: 0
    .symbol:         _ZN2at6native12_GLOBAL__N_112gatherMedianIimLin1EEEvNS_4cuda6detail10TensorInfoIT_T0_EENS5_IlS7_EENS5_IKS6_S7_EES7_S7_S7_b.kd
    .uniform_work_group_size: 1
    .uses_dynamic_stack: false
    .vgpr_count:     60
    .vgpr_spill_count: 0
    .wavefront_size: 32
    .workgroup_processor_mode: 1
  - .args:
      - .offset:         0
        .size:           216
        .value_kind:     by_value
      - .offset:         216
        .size:           216
        .value_kind:     by_value
      - .offset:         432
        .size:           216
        .value_kind:     by_value
      - .offset:         648
        .size:           4
        .value_kind:     by_value
      - .offset:         652
        .size:           4
        .value_kind:     by_value
      - .offset:         656
        .size:           4
        .value_kind:     by_value
      - .offset:         660
        .size:           1
        .value_kind:     by_value
      - .offset:         664
        .size:           4
        .value_kind:     hidden_block_count_x
      - .offset:         668
        .size:           4
        .value_kind:     hidden_block_count_y
      - .offset:         672
        .size:           4
        .value_kind:     hidden_block_count_z
      - .offset:         676
        .size:           2
        .value_kind:     hidden_group_size_x
      - .offset:         678
        .size:           2
        .value_kind:     hidden_group_size_y
      - .offset:         680
        .size:           2
        .value_kind:     hidden_group_size_z
      - .offset:         682
        .size:           2
        .value_kind:     hidden_remainder_x
      - .offset:         684
        .size:           2
        .value_kind:     hidden_remainder_y
      - .offset:         686
        .size:           2
        .value_kind:     hidden_remainder_z
      - .offset:         704
        .size:           8
        .value_kind:     hidden_global_offset_x
      - .offset:         712
        .size:           8
        .value_kind:     hidden_global_offset_y
      - .offset:         720
        .size:           8
        .value_kind:     hidden_global_offset_z
      - .offset:         728
        .size:           2
        .value_kind:     hidden_grid_dims
    .group_segment_fixed_size: 4120
    .kernarg_segment_align: 8
    .kernarg_segment_size: 920
    .language:       OpenCL C
    .language_version:
      - 2
      - 0
    .max_flat_workgroup_size: 1024
    .name:           _ZN2at6native12_GLOBAL__N_112gatherMedianIljLi1EEEvNS_4cuda6detail10TensorInfoIT_T0_EENS5_IlS7_EENS5_IKS6_S7_EES7_S7_S7_b
    .private_segment_fixed_size: 0
    .sgpr_count:     80
    .sgpr_spill_count: 0
    .symbol:         _ZN2at6native12_GLOBAL__N_112gatherMedianIljLi1EEEvNS_4cuda6detail10TensorInfoIT_T0_EENS5_IlS7_EENS5_IKS6_S7_EES7_S7_S7_b.kd
    .uniform_work_group_size: 1
    .uses_dynamic_stack: false
    .vgpr_count:     55
    .vgpr_spill_count: 0
    .wavefront_size: 32
    .workgroup_processor_mode: 1
  - .args:
      - .offset:         0
        .size:           216
        .value_kind:     by_value
      - .offset:         216
        .size:           216
        .value_kind:     by_value
      - .offset:         432
        .size:           216
        .value_kind:     by_value
      - .offset:         648
        .size:           4
        .value_kind:     by_value
      - .offset:         652
        .size:           4
        .value_kind:     by_value
      - .offset:         656
        .size:           4
        .value_kind:     by_value
      - .offset:         660
        .size:           1
        .value_kind:     by_value
      - .offset:         664
        .size:           4
        .value_kind:     hidden_block_count_x
      - .offset:         668
        .size:           4
        .value_kind:     hidden_block_count_y
      - .offset:         672
        .size:           4
        .value_kind:     hidden_block_count_z
      - .offset:         676
        .size:           2
        .value_kind:     hidden_group_size_x
      - .offset:         678
        .size:           2
        .value_kind:     hidden_group_size_y
      - .offset:         680
        .size:           2
        .value_kind:     hidden_group_size_z
      - .offset:         682
        .size:           2
        .value_kind:     hidden_remainder_x
      - .offset:         684
        .size:           2
        .value_kind:     hidden_remainder_y
      - .offset:         686
        .size:           2
        .value_kind:     hidden_remainder_z
      - .offset:         704
        .size:           8
        .value_kind:     hidden_global_offset_x
      - .offset:         712
        .size:           8
        .value_kind:     hidden_global_offset_y
      - .offset:         720
        .size:           8
        .value_kind:     hidden_global_offset_z
      - .offset:         728
        .size:           2
        .value_kind:     hidden_grid_dims
    .group_segment_fixed_size: 4120
    .kernarg_segment_align: 8
    .kernarg_segment_size: 920
    .language:       OpenCL C
    .language_version:
      - 2
      - 0
    .max_flat_workgroup_size: 1024
    .name:           _ZN2at6native12_GLOBAL__N_112gatherMedianIljLi2EEEvNS_4cuda6detail10TensorInfoIT_T0_EENS5_IlS7_EENS5_IKS6_S7_EES7_S7_S7_b
    .private_segment_fixed_size: 0
    .sgpr_count:     86
    .sgpr_spill_count: 0
    .symbol:         _ZN2at6native12_GLOBAL__N_112gatherMedianIljLi2EEEvNS_4cuda6detail10TensorInfoIT_T0_EENS5_IlS7_EENS5_IKS6_S7_EES7_S7_S7_b.kd
    .uniform_work_group_size: 1
    .uses_dynamic_stack: false
    .vgpr_count:     55
    .vgpr_spill_count: 0
    .wavefront_size: 32
    .workgroup_processor_mode: 1
  - .args:
      - .offset:         0
        .size:           216
        .value_kind:     by_value
      - .offset:         216
        .size:           216
        .value_kind:     by_value
      - .offset:         432
        .size:           216
        .value_kind:     by_value
      - .offset:         648
        .size:           4
        .value_kind:     by_value
      - .offset:         652
        .size:           4
        .value_kind:     by_value
      - .offset:         656
        .size:           4
        .value_kind:     by_value
      - .offset:         660
        .size:           1
        .value_kind:     by_value
      - .offset:         664
        .size:           4
        .value_kind:     hidden_block_count_x
      - .offset:         668
        .size:           4
        .value_kind:     hidden_block_count_y
      - .offset:         672
        .size:           4
        .value_kind:     hidden_block_count_z
      - .offset:         676
        .size:           2
        .value_kind:     hidden_group_size_x
      - .offset:         678
        .size:           2
        .value_kind:     hidden_group_size_y
      - .offset:         680
        .size:           2
        .value_kind:     hidden_group_size_z
      - .offset:         682
        .size:           2
        .value_kind:     hidden_remainder_x
      - .offset:         684
        .size:           2
        .value_kind:     hidden_remainder_y
      - .offset:         686
        .size:           2
        .value_kind:     hidden_remainder_z
      - .offset:         704
        .size:           8
        .value_kind:     hidden_global_offset_x
      - .offset:         712
        .size:           8
        .value_kind:     hidden_global_offset_y
      - .offset:         720
        .size:           8
        .value_kind:     hidden_global_offset_z
      - .offset:         728
        .size:           2
        .value_kind:     hidden_grid_dims
    .group_segment_fixed_size: 4120
    .kernarg_segment_align: 8
    .kernarg_segment_size: 920
    .language:       OpenCL C
    .language_version:
      - 2
      - 0
    .max_flat_workgroup_size: 1024
    .name:           _ZN2at6native12_GLOBAL__N_112gatherMedianIljLi3EEEvNS_4cuda6detail10TensorInfoIT_T0_EENS5_IlS7_EENS5_IKS6_S7_EES7_S7_S7_b
    .private_segment_fixed_size: 0
    .sgpr_count:     92
    .sgpr_spill_count: 0
    .symbol:         _ZN2at6native12_GLOBAL__N_112gatherMedianIljLi3EEEvNS_4cuda6detail10TensorInfoIT_T0_EENS5_IlS7_EENS5_IKS6_S7_EES7_S7_S7_b.kd
    .uniform_work_group_size: 1
    .uses_dynamic_stack: false
    .vgpr_count:     55
    .vgpr_spill_count: 0
    .wavefront_size: 32
    .workgroup_processor_mode: 1
  - .args:
      - .offset:         0
        .size:           216
        .value_kind:     by_value
      - .offset:         216
        .size:           216
        .value_kind:     by_value
      - .offset:         432
        .size:           216
        .value_kind:     by_value
      - .offset:         648
        .size:           4
        .value_kind:     by_value
      - .offset:         652
        .size:           4
        .value_kind:     by_value
      - .offset:         656
        .size:           4
        .value_kind:     by_value
      - .offset:         660
        .size:           1
        .value_kind:     by_value
      - .offset:         664
        .size:           4
        .value_kind:     hidden_block_count_x
      - .offset:         668
        .size:           4
        .value_kind:     hidden_block_count_y
      - .offset:         672
        .size:           4
        .value_kind:     hidden_block_count_z
      - .offset:         676
        .size:           2
        .value_kind:     hidden_group_size_x
      - .offset:         678
        .size:           2
        .value_kind:     hidden_group_size_y
      - .offset:         680
        .size:           2
        .value_kind:     hidden_group_size_z
      - .offset:         682
        .size:           2
        .value_kind:     hidden_remainder_x
      - .offset:         684
        .size:           2
        .value_kind:     hidden_remainder_y
      - .offset:         686
        .size:           2
        .value_kind:     hidden_remainder_z
      - .offset:         704
        .size:           8
        .value_kind:     hidden_global_offset_x
      - .offset:         712
        .size:           8
        .value_kind:     hidden_global_offset_y
      - .offset:         720
        .size:           8
        .value_kind:     hidden_global_offset_z
      - .offset:         728
        .size:           2
        .value_kind:     hidden_grid_dims
    .group_segment_fixed_size: 4120
    .kernarg_segment_align: 8
    .kernarg_segment_size: 920
    .language:       OpenCL C
    .language_version:
      - 2
      - 0
    .max_flat_workgroup_size: 1024
    .name:           _ZN2at6native12_GLOBAL__N_112gatherMedianIljLin1EEEvNS_4cuda6detail10TensorInfoIT_T0_EENS5_IlS7_EENS5_IKS6_S7_EES7_S7_S7_b
    .private_segment_fixed_size: 0
    .sgpr_count:     83
    .sgpr_spill_count: 0
    .symbol:         _ZN2at6native12_GLOBAL__N_112gatherMedianIljLin1EEEvNS_4cuda6detail10TensorInfoIT_T0_EENS5_IlS7_EENS5_IKS6_S7_EES7_S7_S7_b.kd
    .uniform_work_group_size: 1
    .uses_dynamic_stack: false
    .vgpr_count:     55
    .vgpr_spill_count: 0
    .wavefront_size: 32
    .workgroup_processor_mode: 1
  - .args:
      - .offset:         0
        .size:           416
        .value_kind:     by_value
      - .offset:         416
        .size:           416
        .value_kind:     by_value
      - .offset:         832
        .size:           416
        .value_kind:     by_value
      - .offset:         1248
        .size:           8
        .value_kind:     by_value
      - .offset:         1256
        .size:           8
        .value_kind:     by_value
      - .offset:         1264
        .size:           8
        .value_kind:     by_value
      - .offset:         1272
        .size:           1
        .value_kind:     by_value
      - .offset:         1280
        .size:           4
        .value_kind:     hidden_block_count_x
      - .offset:         1284
        .size:           4
        .value_kind:     hidden_block_count_y
      - .offset:         1288
        .size:           4
        .value_kind:     hidden_block_count_z
      - .offset:         1292
        .size:           2
        .value_kind:     hidden_group_size_x
      - .offset:         1294
        .size:           2
        .value_kind:     hidden_group_size_y
      - .offset:         1296
        .size:           2
        .value_kind:     hidden_group_size_z
      - .offset:         1298
        .size:           2
        .value_kind:     hidden_remainder_x
      - .offset:         1300
        .size:           2
        .value_kind:     hidden_remainder_y
      - .offset:         1302
        .size:           2
        .value_kind:     hidden_remainder_z
      - .offset:         1320
        .size:           8
        .value_kind:     hidden_global_offset_x
      - .offset:         1328
        .size:           8
        .value_kind:     hidden_global_offset_y
      - .offset:         1336
        .size:           8
        .value_kind:     hidden_global_offset_z
      - .offset:         1344
        .size:           2
        .value_kind:     hidden_grid_dims
    .group_segment_fixed_size: 5152
    .kernarg_segment_align: 8
    .kernarg_segment_size: 1536
    .language:       OpenCL C
    .language_version:
      - 2
      - 0
    .max_flat_workgroup_size: 1024
    .name:           _ZN2at6native12_GLOBAL__N_112gatherMedianIlmLi1EEEvNS_4cuda6detail10TensorInfoIT_T0_EENS5_IlS7_EENS5_IKS6_S7_EES7_S7_S7_b
    .private_segment_fixed_size: 0
    .sgpr_count:     92
    .sgpr_spill_count: 0
    .symbol:         _ZN2at6native12_GLOBAL__N_112gatherMedianIlmLi1EEEvNS_4cuda6detail10TensorInfoIT_T0_EENS5_IlS7_EENS5_IKS6_S7_EES7_S7_S7_b.kd
    .uniform_work_group_size: 1
    .uses_dynamic_stack: false
    .vgpr_count:     63
    .vgpr_spill_count: 0
    .wavefront_size: 32
    .workgroup_processor_mode: 1
  - .args:
      - .offset:         0
        .size:           416
        .value_kind:     by_value
      - .offset:         416
        .size:           416
        .value_kind:     by_value
      - .offset:         832
        .size:           416
        .value_kind:     by_value
      - .offset:         1248
        .size:           8
        .value_kind:     by_value
      - .offset:         1256
        .size:           8
        .value_kind:     by_value
      - .offset:         1264
        .size:           8
        .value_kind:     by_value
      - .offset:         1272
        .size:           1
        .value_kind:     by_value
      - .offset:         1280
        .size:           4
        .value_kind:     hidden_block_count_x
      - .offset:         1284
        .size:           4
        .value_kind:     hidden_block_count_y
      - .offset:         1288
        .size:           4
        .value_kind:     hidden_block_count_z
      - .offset:         1292
        .size:           2
        .value_kind:     hidden_group_size_x
      - .offset:         1294
        .size:           2
        .value_kind:     hidden_group_size_y
      - .offset:         1296
        .size:           2
        .value_kind:     hidden_group_size_z
      - .offset:         1298
        .size:           2
        .value_kind:     hidden_remainder_x
      - .offset:         1300
        .size:           2
        .value_kind:     hidden_remainder_y
      - .offset:         1302
        .size:           2
        .value_kind:     hidden_remainder_z
      - .offset:         1320
        .size:           8
        .value_kind:     hidden_global_offset_x
      - .offset:         1328
        .size:           8
        .value_kind:     hidden_global_offset_y
      - .offset:         1336
        .size:           8
        .value_kind:     hidden_global_offset_z
      - .offset:         1344
        .size:           2
        .value_kind:     hidden_grid_dims
    .group_segment_fixed_size: 5152
    .kernarg_segment_align: 8
    .kernarg_segment_size: 1536
    .language:       OpenCL C
    .language_version:
      - 2
      - 0
    .max_flat_workgroup_size: 1024
    .name:           _ZN2at6native12_GLOBAL__N_112gatherMedianIlmLi2EEEvNS_4cuda6detail10TensorInfoIT_T0_EENS5_IlS7_EENS5_IKS6_S7_EES7_S7_S7_b
    .private_segment_fixed_size: 0
    .sgpr_count:     98
    .sgpr_spill_count: 0
    .symbol:         _ZN2at6native12_GLOBAL__N_112gatherMedianIlmLi2EEEvNS_4cuda6detail10TensorInfoIT_T0_EENS5_IlS7_EENS5_IKS6_S7_EES7_S7_S7_b.kd
    .uniform_work_group_size: 1
    .uses_dynamic_stack: false
    .vgpr_count:     52
    .vgpr_spill_count: 0
    .wavefront_size: 32
    .workgroup_processor_mode: 1
  - .args:
      - .offset:         0
        .size:           416
        .value_kind:     by_value
      - .offset:         416
        .size:           416
        .value_kind:     by_value
      - .offset:         832
        .size:           416
        .value_kind:     by_value
      - .offset:         1248
        .size:           8
        .value_kind:     by_value
      - .offset:         1256
        .size:           8
        .value_kind:     by_value
      - .offset:         1264
        .size:           8
        .value_kind:     by_value
      - .offset:         1272
        .size:           1
        .value_kind:     by_value
      - .offset:         1280
        .size:           4
        .value_kind:     hidden_block_count_x
      - .offset:         1284
        .size:           4
        .value_kind:     hidden_block_count_y
      - .offset:         1288
        .size:           4
        .value_kind:     hidden_block_count_z
      - .offset:         1292
        .size:           2
        .value_kind:     hidden_group_size_x
      - .offset:         1294
        .size:           2
        .value_kind:     hidden_group_size_y
      - .offset:         1296
        .size:           2
        .value_kind:     hidden_group_size_z
      - .offset:         1298
        .size:           2
        .value_kind:     hidden_remainder_x
      - .offset:         1300
        .size:           2
        .value_kind:     hidden_remainder_y
      - .offset:         1302
        .size:           2
        .value_kind:     hidden_remainder_z
      - .offset:         1320
        .size:           8
        .value_kind:     hidden_global_offset_x
      - .offset:         1328
        .size:           8
        .value_kind:     hidden_global_offset_y
      - .offset:         1336
        .size:           8
        .value_kind:     hidden_global_offset_z
      - .offset:         1344
        .size:           2
        .value_kind:     hidden_grid_dims
    .group_segment_fixed_size: 5152
    .kernarg_segment_align: 8
    .kernarg_segment_size: 1536
    .language:       OpenCL C
    .language_version:
      - 2
      - 0
    .max_flat_workgroup_size: 1024
    .name:           _ZN2at6native12_GLOBAL__N_112gatherMedianIlmLi3EEEvNS_4cuda6detail10TensorInfoIT_T0_EENS5_IlS7_EENS5_IKS6_S7_EES7_S7_S7_b
    .private_segment_fixed_size: 0
    .sgpr_count:     107
    .sgpr_spill_count: 4
    .symbol:         _ZN2at6native12_GLOBAL__N_112gatherMedianIlmLi3EEEvNS_4cuda6detail10TensorInfoIT_T0_EENS5_IlS7_EENS5_IKS6_S7_EES7_S7_S7_b.kd
    .uniform_work_group_size: 1
    .uses_dynamic_stack: false
    .vgpr_count:     45
    .vgpr_spill_count: 0
    .wavefront_size: 32
    .workgroup_processor_mode: 1
  - .args:
      - .offset:         0
        .size:           416
        .value_kind:     by_value
      - .offset:         416
        .size:           416
        .value_kind:     by_value
      - .offset:         832
        .size:           416
        .value_kind:     by_value
      - .offset:         1248
        .size:           8
        .value_kind:     by_value
      - .offset:         1256
        .size:           8
        .value_kind:     by_value
      - .offset:         1264
        .size:           8
        .value_kind:     by_value
      - .offset:         1272
        .size:           1
        .value_kind:     by_value
      - .offset:         1280
        .size:           4
        .value_kind:     hidden_block_count_x
      - .offset:         1284
        .size:           4
        .value_kind:     hidden_block_count_y
      - .offset:         1288
        .size:           4
        .value_kind:     hidden_block_count_z
      - .offset:         1292
        .size:           2
        .value_kind:     hidden_group_size_x
      - .offset:         1294
        .size:           2
        .value_kind:     hidden_group_size_y
      - .offset:         1296
        .size:           2
        .value_kind:     hidden_group_size_z
      - .offset:         1298
        .size:           2
        .value_kind:     hidden_remainder_x
      - .offset:         1300
        .size:           2
        .value_kind:     hidden_remainder_y
      - .offset:         1302
        .size:           2
        .value_kind:     hidden_remainder_z
      - .offset:         1320
        .size:           8
        .value_kind:     hidden_global_offset_x
      - .offset:         1328
        .size:           8
        .value_kind:     hidden_global_offset_y
      - .offset:         1336
        .size:           8
        .value_kind:     hidden_global_offset_z
      - .offset:         1344
        .size:           2
        .value_kind:     hidden_grid_dims
    .group_segment_fixed_size: 5152
    .kernarg_segment_align: 8
    .kernarg_segment_size: 1536
    .language:       OpenCL C
    .language_version:
      - 2
      - 0
    .max_flat_workgroup_size: 1024
    .name:           _ZN2at6native12_GLOBAL__N_112gatherMedianIlmLin1EEEvNS_4cuda6detail10TensorInfoIT_T0_EENS5_IlS7_EENS5_IKS6_S7_EES7_S7_S7_b
    .private_segment_fixed_size: 0
    .sgpr_count:     102
    .sgpr_spill_count: 0
    .symbol:         _ZN2at6native12_GLOBAL__N_112gatherMedianIlmLin1EEEvNS_4cuda6detail10TensorInfoIT_T0_EENS5_IlS7_EENS5_IKS6_S7_EES7_S7_S7_b.kd
    .uniform_work_group_size: 1
    .uses_dynamic_stack: false
    .vgpr_count:     71
    .vgpr_spill_count: 0
    .wavefront_size: 32
    .workgroup_processor_mode: 1
  - .args:
      - .offset:         0
        .size:           216
        .value_kind:     by_value
      - .offset:         216
        .size:           216
        .value_kind:     by_value
      - .offset:         432
        .size:           216
        .value_kind:     by_value
      - .offset:         648
        .size:           4
        .value_kind:     by_value
      - .offset:         652
        .size:           4
        .value_kind:     by_value
      - .offset:         656
        .size:           4
        .value_kind:     by_value
      - .offset:         660
        .size:           1
        .value_kind:     by_value
      - .offset:         664
        .size:           4
        .value_kind:     hidden_block_count_x
      - .offset:         668
        .size:           4
        .value_kind:     hidden_block_count_y
      - .offset:         672
        .size:           4
        .value_kind:     hidden_block_count_z
      - .offset:         676
        .size:           2
        .value_kind:     hidden_group_size_x
      - .offset:         678
        .size:           2
        .value_kind:     hidden_group_size_y
      - .offset:         680
        .size:           2
        .value_kind:     hidden_group_size_z
      - .offset:         682
        .size:           2
        .value_kind:     hidden_remainder_x
      - .offset:         684
        .size:           2
        .value_kind:     hidden_remainder_y
      - .offset:         686
        .size:           2
        .value_kind:     hidden_remainder_z
      - .offset:         704
        .size:           8
        .value_kind:     hidden_global_offset_x
      - .offset:         712
        .size:           8
        .value_kind:     hidden_global_offset_y
      - .offset:         720
        .size:           8
        .value_kind:     hidden_global_offset_z
      - .offset:         728
        .size:           2
        .value_kind:     hidden_grid_dims
    .group_segment_fixed_size: 4120
    .kernarg_segment_align: 8
    .kernarg_segment_size: 920
    .language:       OpenCL C
    .language_version:
      - 2
      - 0
    .max_flat_workgroup_size: 1024
    .name:           _ZN2at6native12_GLOBAL__N_112gatherMedianIsjLi1EEEvNS_4cuda6detail10TensorInfoIT_T0_EENS5_IlS7_EENS5_IKS6_S7_EES7_S7_S7_b
    .private_segment_fixed_size: 0
    .sgpr_count:     85
    .sgpr_spill_count: 0
    .symbol:         _ZN2at6native12_GLOBAL__N_112gatherMedianIsjLi1EEEvNS_4cuda6detail10TensorInfoIT_T0_EENS5_IlS7_EENS5_IKS6_S7_EES7_S7_S7_b.kd
    .uniform_work_group_size: 1
    .uses_dynamic_stack: false
    .vgpr_count:     62
    .vgpr_spill_count: 0
    .wavefront_size: 32
    .workgroup_processor_mode: 1
  - .args:
      - .offset:         0
        .size:           216
        .value_kind:     by_value
      - .offset:         216
        .size:           216
        .value_kind:     by_value
      - .offset:         432
        .size:           216
        .value_kind:     by_value
      - .offset:         648
        .size:           4
        .value_kind:     by_value
      - .offset:         652
        .size:           4
        .value_kind:     by_value
      - .offset:         656
        .size:           4
        .value_kind:     by_value
      - .offset:         660
        .size:           1
        .value_kind:     by_value
      - .offset:         664
        .size:           4
        .value_kind:     hidden_block_count_x
      - .offset:         668
        .size:           4
        .value_kind:     hidden_block_count_y
      - .offset:         672
        .size:           4
        .value_kind:     hidden_block_count_z
      - .offset:         676
        .size:           2
        .value_kind:     hidden_group_size_x
      - .offset:         678
        .size:           2
        .value_kind:     hidden_group_size_y
      - .offset:         680
        .size:           2
        .value_kind:     hidden_group_size_z
      - .offset:         682
        .size:           2
        .value_kind:     hidden_remainder_x
      - .offset:         684
        .size:           2
        .value_kind:     hidden_remainder_y
      - .offset:         686
        .size:           2
        .value_kind:     hidden_remainder_z
      - .offset:         704
        .size:           8
        .value_kind:     hidden_global_offset_x
      - .offset:         712
        .size:           8
        .value_kind:     hidden_global_offset_y
      - .offset:         720
        .size:           8
        .value_kind:     hidden_global_offset_z
      - .offset:         728
        .size:           2
        .value_kind:     hidden_grid_dims
    .group_segment_fixed_size: 4120
    .kernarg_segment_align: 8
    .kernarg_segment_size: 920
    .language:       OpenCL C
    .language_version:
      - 2
      - 0
    .max_flat_workgroup_size: 1024
    .name:           _ZN2at6native12_GLOBAL__N_112gatherMedianIsjLi2EEEvNS_4cuda6detail10TensorInfoIT_T0_EENS5_IlS7_EENS5_IKS6_S7_EES7_S7_S7_b
    .private_segment_fixed_size: 0
    .sgpr_count:     91
    .sgpr_spill_count: 0
    .symbol:         _ZN2at6native12_GLOBAL__N_112gatherMedianIsjLi2EEEvNS_4cuda6detail10TensorInfoIT_T0_EENS5_IlS7_EENS5_IKS6_S7_EES7_S7_S7_b.kd
    .uniform_work_group_size: 1
    .uses_dynamic_stack: false
    .vgpr_count:     62
    .vgpr_spill_count: 0
    .wavefront_size: 32
    .workgroup_processor_mode: 1
  - .args:
      - .offset:         0
        .size:           216
        .value_kind:     by_value
      - .offset:         216
        .size:           216
        .value_kind:     by_value
      - .offset:         432
        .size:           216
        .value_kind:     by_value
      - .offset:         648
        .size:           4
        .value_kind:     by_value
      - .offset:         652
        .size:           4
        .value_kind:     by_value
      - .offset:         656
        .size:           4
        .value_kind:     by_value
      - .offset:         660
        .size:           1
        .value_kind:     by_value
      - .offset:         664
        .size:           4
        .value_kind:     hidden_block_count_x
      - .offset:         668
        .size:           4
        .value_kind:     hidden_block_count_y
      - .offset:         672
        .size:           4
        .value_kind:     hidden_block_count_z
      - .offset:         676
        .size:           2
        .value_kind:     hidden_group_size_x
      - .offset:         678
        .size:           2
        .value_kind:     hidden_group_size_y
      - .offset:         680
        .size:           2
        .value_kind:     hidden_group_size_z
      - .offset:         682
        .size:           2
        .value_kind:     hidden_remainder_x
      - .offset:         684
        .size:           2
        .value_kind:     hidden_remainder_y
      - .offset:         686
        .size:           2
        .value_kind:     hidden_remainder_z
      - .offset:         704
        .size:           8
        .value_kind:     hidden_global_offset_x
      - .offset:         712
        .size:           8
        .value_kind:     hidden_global_offset_y
      - .offset:         720
        .size:           8
        .value_kind:     hidden_global_offset_z
      - .offset:         728
        .size:           2
        .value_kind:     hidden_grid_dims
    .group_segment_fixed_size: 4120
    .kernarg_segment_align: 8
    .kernarg_segment_size: 920
    .language:       OpenCL C
    .language_version:
      - 2
      - 0
    .max_flat_workgroup_size: 1024
    .name:           _ZN2at6native12_GLOBAL__N_112gatherMedianIsjLi3EEEvNS_4cuda6detail10TensorInfoIT_T0_EENS5_IlS7_EENS5_IKS6_S7_EES7_S7_S7_b
    .private_segment_fixed_size: 0
    .sgpr_count:     97
    .sgpr_spill_count: 0
    .symbol:         _ZN2at6native12_GLOBAL__N_112gatherMedianIsjLi3EEEvNS_4cuda6detail10TensorInfoIT_T0_EENS5_IlS7_EENS5_IKS6_S7_EES7_S7_S7_b.kd
    .uniform_work_group_size: 1
    .uses_dynamic_stack: false
    .vgpr_count:     62
    .vgpr_spill_count: 0
    .wavefront_size: 32
    .workgroup_processor_mode: 1
  - .args:
      - .offset:         0
        .size:           216
        .value_kind:     by_value
      - .offset:         216
        .size:           216
        .value_kind:     by_value
      - .offset:         432
        .size:           216
        .value_kind:     by_value
      - .offset:         648
        .size:           4
        .value_kind:     by_value
      - .offset:         652
        .size:           4
        .value_kind:     by_value
      - .offset:         656
        .size:           4
        .value_kind:     by_value
      - .offset:         660
        .size:           1
        .value_kind:     by_value
      - .offset:         664
        .size:           4
        .value_kind:     hidden_block_count_x
      - .offset:         668
        .size:           4
        .value_kind:     hidden_block_count_y
      - .offset:         672
        .size:           4
        .value_kind:     hidden_block_count_z
      - .offset:         676
        .size:           2
        .value_kind:     hidden_group_size_x
      - .offset:         678
        .size:           2
        .value_kind:     hidden_group_size_y
      - .offset:         680
        .size:           2
        .value_kind:     hidden_group_size_z
      - .offset:         682
        .size:           2
        .value_kind:     hidden_remainder_x
      - .offset:         684
        .size:           2
        .value_kind:     hidden_remainder_y
      - .offset:         686
        .size:           2
        .value_kind:     hidden_remainder_z
      - .offset:         704
        .size:           8
        .value_kind:     hidden_global_offset_x
      - .offset:         712
        .size:           8
        .value_kind:     hidden_global_offset_y
      - .offset:         720
        .size:           8
        .value_kind:     hidden_global_offset_z
      - .offset:         728
        .size:           2
        .value_kind:     hidden_grid_dims
    .group_segment_fixed_size: 4120
    .kernarg_segment_align: 8
    .kernarg_segment_size: 920
    .language:       OpenCL C
    .language_version:
      - 2
      - 0
    .max_flat_workgroup_size: 1024
    .name:           _ZN2at6native12_GLOBAL__N_112gatherMedianIsjLin1EEEvNS_4cuda6detail10TensorInfoIT_T0_EENS5_IlS7_EENS5_IKS6_S7_EES7_S7_S7_b
    .private_segment_fixed_size: 0
    .sgpr_count:     88
    .sgpr_spill_count: 0
    .symbol:         _ZN2at6native12_GLOBAL__N_112gatherMedianIsjLin1EEEvNS_4cuda6detail10TensorInfoIT_T0_EENS5_IlS7_EENS5_IKS6_S7_EES7_S7_S7_b.kd
    .uniform_work_group_size: 1
    .uses_dynamic_stack: false
    .vgpr_count:     62
    .vgpr_spill_count: 0
    .wavefront_size: 32
    .workgroup_processor_mode: 1
  - .args:
      - .offset:         0
        .size:           416
        .value_kind:     by_value
      - .offset:         416
        .size:           416
        .value_kind:     by_value
      - .offset:         832
        .size:           416
        .value_kind:     by_value
      - .offset:         1248
        .size:           8
        .value_kind:     by_value
      - .offset:         1256
        .size:           8
        .value_kind:     by_value
      - .offset:         1264
        .size:           8
        .value_kind:     by_value
      - .offset:         1272
        .size:           1
        .value_kind:     by_value
      - .offset:         1280
        .size:           4
        .value_kind:     hidden_block_count_x
      - .offset:         1284
        .size:           4
        .value_kind:     hidden_block_count_y
      - .offset:         1288
        .size:           4
        .value_kind:     hidden_block_count_z
      - .offset:         1292
        .size:           2
        .value_kind:     hidden_group_size_x
      - .offset:         1294
        .size:           2
        .value_kind:     hidden_group_size_y
      - .offset:         1296
        .size:           2
        .value_kind:     hidden_group_size_z
      - .offset:         1298
        .size:           2
        .value_kind:     hidden_remainder_x
      - .offset:         1300
        .size:           2
        .value_kind:     hidden_remainder_y
      - .offset:         1302
        .size:           2
        .value_kind:     hidden_remainder_z
      - .offset:         1320
        .size:           8
        .value_kind:     hidden_global_offset_x
      - .offset:         1328
        .size:           8
        .value_kind:     hidden_global_offset_y
      - .offset:         1336
        .size:           8
        .value_kind:     hidden_global_offset_z
      - .offset:         1344
        .size:           2
        .value_kind:     hidden_grid_dims
    .group_segment_fixed_size: 5152
    .kernarg_segment_align: 8
    .kernarg_segment_size: 1536
    .language:       OpenCL C
    .language_version:
      - 2
      - 0
    .max_flat_workgroup_size: 1024
    .name:           _ZN2at6native12_GLOBAL__N_112gatherMedianIsmLi1EEEvNS_4cuda6detail10TensorInfoIT_T0_EENS5_IlS7_EENS5_IKS6_S7_EES7_S7_S7_b
    .private_segment_fixed_size: 0
    .sgpr_count:     96
    .sgpr_spill_count: 0
    .symbol:         _ZN2at6native12_GLOBAL__N_112gatherMedianIsmLi1EEEvNS_4cuda6detail10TensorInfoIT_T0_EENS5_IlS7_EENS5_IKS6_S7_EES7_S7_S7_b.kd
    .uniform_work_group_size: 1
    .uses_dynamic_stack: false
    .vgpr_count:     54
    .vgpr_spill_count: 0
    .wavefront_size: 32
    .workgroup_processor_mode: 1
  - .args:
      - .offset:         0
        .size:           416
        .value_kind:     by_value
      - .offset:         416
        .size:           416
        .value_kind:     by_value
      - .offset:         832
        .size:           416
        .value_kind:     by_value
      - .offset:         1248
        .size:           8
        .value_kind:     by_value
      - .offset:         1256
        .size:           8
        .value_kind:     by_value
      - .offset:         1264
        .size:           8
        .value_kind:     by_value
      - .offset:         1272
        .size:           1
        .value_kind:     by_value
      - .offset:         1280
        .size:           4
        .value_kind:     hidden_block_count_x
      - .offset:         1284
        .size:           4
        .value_kind:     hidden_block_count_y
      - .offset:         1288
        .size:           4
        .value_kind:     hidden_block_count_z
      - .offset:         1292
        .size:           2
        .value_kind:     hidden_group_size_x
      - .offset:         1294
        .size:           2
        .value_kind:     hidden_group_size_y
      - .offset:         1296
        .size:           2
        .value_kind:     hidden_group_size_z
      - .offset:         1298
        .size:           2
        .value_kind:     hidden_remainder_x
      - .offset:         1300
        .size:           2
        .value_kind:     hidden_remainder_y
      - .offset:         1302
        .size:           2
        .value_kind:     hidden_remainder_z
      - .offset:         1320
        .size:           8
        .value_kind:     hidden_global_offset_x
      - .offset:         1328
        .size:           8
        .value_kind:     hidden_global_offset_y
      - .offset:         1336
        .size:           8
        .value_kind:     hidden_global_offset_z
      - .offset:         1344
        .size:           2
        .value_kind:     hidden_grid_dims
    .group_segment_fixed_size: 5152
    .kernarg_segment_align: 8
    .kernarg_segment_size: 1536
    .language:       OpenCL C
    .language_version:
      - 2
      - 0
    .max_flat_workgroup_size: 1024
    .name:           _ZN2at6native12_GLOBAL__N_112gatherMedianIsmLi2EEEvNS_4cuda6detail10TensorInfoIT_T0_EENS5_IlS7_EENS5_IKS6_S7_EES7_S7_S7_b
    .private_segment_fixed_size: 0
    .sgpr_count:     102
    .sgpr_spill_count: 0
    .symbol:         _ZN2at6native12_GLOBAL__N_112gatherMedianIsmLi2EEEvNS_4cuda6detail10TensorInfoIT_T0_EENS5_IlS7_EENS5_IKS6_S7_EES7_S7_S7_b.kd
    .uniform_work_group_size: 1
    .uses_dynamic_stack: false
    .vgpr_count:     44
    .vgpr_spill_count: 0
    .wavefront_size: 32
    .workgroup_processor_mode: 1
  - .args:
      - .offset:         0
        .size:           416
        .value_kind:     by_value
      - .offset:         416
        .size:           416
        .value_kind:     by_value
      - .offset:         832
        .size:           416
        .value_kind:     by_value
      - .offset:         1248
        .size:           8
        .value_kind:     by_value
      - .offset:         1256
        .size:           8
        .value_kind:     by_value
      - .offset:         1264
        .size:           8
        .value_kind:     by_value
      - .offset:         1272
        .size:           1
        .value_kind:     by_value
      - .offset:         1280
        .size:           4
        .value_kind:     hidden_block_count_x
      - .offset:         1284
        .size:           4
        .value_kind:     hidden_block_count_y
      - .offset:         1288
        .size:           4
        .value_kind:     hidden_block_count_z
      - .offset:         1292
        .size:           2
        .value_kind:     hidden_group_size_x
      - .offset:         1294
        .size:           2
        .value_kind:     hidden_group_size_y
      - .offset:         1296
        .size:           2
        .value_kind:     hidden_group_size_z
      - .offset:         1298
        .size:           2
        .value_kind:     hidden_remainder_x
      - .offset:         1300
        .size:           2
        .value_kind:     hidden_remainder_y
      - .offset:         1302
        .size:           2
        .value_kind:     hidden_remainder_z
      - .offset:         1320
        .size:           8
        .value_kind:     hidden_global_offset_x
      - .offset:         1328
        .size:           8
        .value_kind:     hidden_global_offset_y
      - .offset:         1336
        .size:           8
        .value_kind:     hidden_global_offset_z
      - .offset:         1344
        .size:           2
        .value_kind:     hidden_grid_dims
    .group_segment_fixed_size: 5152
    .kernarg_segment_align: 8
    .kernarg_segment_size: 1536
    .language:       OpenCL C
    .language_version:
      - 2
      - 0
    .max_flat_workgroup_size: 1024
    .name:           _ZN2at6native12_GLOBAL__N_112gatherMedianIsmLi3EEEvNS_4cuda6detail10TensorInfoIT_T0_EENS5_IlS7_EENS5_IKS6_S7_EES7_S7_S7_b
    .private_segment_fixed_size: 0
    .sgpr_count:     107
    .sgpr_spill_count: 8
    .symbol:         _ZN2at6native12_GLOBAL__N_112gatherMedianIsmLi3EEEvNS_4cuda6detail10TensorInfoIT_T0_EENS5_IlS7_EENS5_IKS6_S7_EES7_S7_S7_b.kd
    .uniform_work_group_size: 1
    .uses_dynamic_stack: false
    .vgpr_count:     40
    .vgpr_spill_count: 0
    .wavefront_size: 32
    .workgroup_processor_mode: 1
  - .args:
      - .offset:         0
        .size:           416
        .value_kind:     by_value
      - .offset:         416
        .size:           416
        .value_kind:     by_value
      - .offset:         832
        .size:           416
        .value_kind:     by_value
      - .offset:         1248
        .size:           8
        .value_kind:     by_value
      - .offset:         1256
        .size:           8
        .value_kind:     by_value
      - .offset:         1264
        .size:           8
        .value_kind:     by_value
      - .offset:         1272
        .size:           1
        .value_kind:     by_value
      - .offset:         1280
        .size:           4
        .value_kind:     hidden_block_count_x
      - .offset:         1284
        .size:           4
        .value_kind:     hidden_block_count_y
      - .offset:         1288
        .size:           4
        .value_kind:     hidden_block_count_z
      - .offset:         1292
        .size:           2
        .value_kind:     hidden_group_size_x
      - .offset:         1294
        .size:           2
        .value_kind:     hidden_group_size_y
      - .offset:         1296
        .size:           2
        .value_kind:     hidden_group_size_z
      - .offset:         1298
        .size:           2
        .value_kind:     hidden_remainder_x
      - .offset:         1300
        .size:           2
        .value_kind:     hidden_remainder_y
      - .offset:         1302
        .size:           2
        .value_kind:     hidden_remainder_z
      - .offset:         1320
        .size:           8
        .value_kind:     hidden_global_offset_x
      - .offset:         1328
        .size:           8
        .value_kind:     hidden_global_offset_y
      - .offset:         1336
        .size:           8
        .value_kind:     hidden_global_offset_z
      - .offset:         1344
        .size:           2
        .value_kind:     hidden_grid_dims
    .group_segment_fixed_size: 5152
    .kernarg_segment_align: 8
    .kernarg_segment_size: 1536
    .language:       OpenCL C
    .language_version:
      - 2
      - 0
    .max_flat_workgroup_size: 1024
    .name:           _ZN2at6native12_GLOBAL__N_112gatherMedianIsmLin1EEEvNS_4cuda6detail10TensorInfoIT_T0_EENS5_IlS7_EENS5_IKS6_S7_EES7_S7_S7_b
    .private_segment_fixed_size: 0
    .sgpr_count:     106
    .sgpr_spill_count: 0
    .symbol:         _ZN2at6native12_GLOBAL__N_112gatherMedianIsmLin1EEEvNS_4cuda6detail10TensorInfoIT_T0_EENS5_IlS7_EENS5_IKS6_S7_EES7_S7_S7_b.kd
    .uniform_work_group_size: 1
    .uses_dynamic_stack: false
    .vgpr_count:     62
    .vgpr_spill_count: 0
    .wavefront_size: 32
    .workgroup_processor_mode: 1
  - .args:
      - .offset:         0
        .size:           216
        .value_kind:     by_value
      - .offset:         216
        .size:           216
        .value_kind:     by_value
      - .offset:         432
        .size:           216
        .value_kind:     by_value
      - .offset:         648
        .size:           4
        .value_kind:     by_value
      - .offset:         652
        .size:           4
        .value_kind:     by_value
      - .offset:         656
        .size:           4
        .value_kind:     by_value
      - .offset:         660
        .size:           1
        .value_kind:     by_value
      - .offset:         664
        .size:           4
        .value_kind:     hidden_block_count_x
      - .offset:         668
        .size:           4
        .value_kind:     hidden_block_count_y
      - .offset:         672
        .size:           4
        .value_kind:     hidden_block_count_z
      - .offset:         676
        .size:           2
        .value_kind:     hidden_group_size_x
      - .offset:         678
        .size:           2
        .value_kind:     hidden_group_size_y
      - .offset:         680
        .size:           2
        .value_kind:     hidden_group_size_z
      - .offset:         682
        .size:           2
        .value_kind:     hidden_remainder_x
      - .offset:         684
        .size:           2
        .value_kind:     hidden_remainder_y
      - .offset:         686
        .size:           2
        .value_kind:     hidden_remainder_z
      - .offset:         704
        .size:           8
        .value_kind:     hidden_global_offset_x
      - .offset:         712
        .size:           8
        .value_kind:     hidden_global_offset_y
      - .offset:         720
        .size:           8
        .value_kind:     hidden_global_offset_z
      - .offset:         728
        .size:           2
        .value_kind:     hidden_grid_dims
    .group_segment_fixed_size: 4120
    .kernarg_segment_align: 8
    .kernarg_segment_size: 920
    .language:       OpenCL C
    .language_version:
      - 2
      - 0
    .max_flat_workgroup_size: 1024
    .name:           _ZN2at6native12_GLOBAL__N_112gatherMedianIdjLi1EEEvNS_4cuda6detail10TensorInfoIT_T0_EENS5_IlS7_EENS5_IKS6_S7_EES7_S7_S7_b
    .private_segment_fixed_size: 0
    .sgpr_count:     80
    .sgpr_spill_count: 0
    .symbol:         _ZN2at6native12_GLOBAL__N_112gatherMedianIdjLi1EEEvNS_4cuda6detail10TensorInfoIT_T0_EENS5_IlS7_EENS5_IKS6_S7_EES7_S7_S7_b.kd
    .uniform_work_group_size: 1
    .uses_dynamic_stack: false
    .vgpr_count:     56
    .vgpr_spill_count: 0
    .wavefront_size: 32
    .workgroup_processor_mode: 1
  - .args:
      - .offset:         0
        .size:           216
        .value_kind:     by_value
      - .offset:         216
        .size:           216
        .value_kind:     by_value
      - .offset:         432
        .size:           216
        .value_kind:     by_value
      - .offset:         648
        .size:           4
        .value_kind:     by_value
      - .offset:         652
        .size:           4
        .value_kind:     by_value
      - .offset:         656
        .size:           4
        .value_kind:     by_value
      - .offset:         660
        .size:           1
        .value_kind:     by_value
      - .offset:         664
        .size:           4
        .value_kind:     hidden_block_count_x
      - .offset:         668
        .size:           4
        .value_kind:     hidden_block_count_y
      - .offset:         672
        .size:           4
        .value_kind:     hidden_block_count_z
      - .offset:         676
        .size:           2
        .value_kind:     hidden_group_size_x
      - .offset:         678
        .size:           2
        .value_kind:     hidden_group_size_y
      - .offset:         680
        .size:           2
        .value_kind:     hidden_group_size_z
      - .offset:         682
        .size:           2
        .value_kind:     hidden_remainder_x
      - .offset:         684
        .size:           2
        .value_kind:     hidden_remainder_y
      - .offset:         686
        .size:           2
        .value_kind:     hidden_remainder_z
      - .offset:         704
        .size:           8
        .value_kind:     hidden_global_offset_x
      - .offset:         712
        .size:           8
        .value_kind:     hidden_global_offset_y
      - .offset:         720
        .size:           8
        .value_kind:     hidden_global_offset_z
      - .offset:         728
        .size:           2
        .value_kind:     hidden_grid_dims
    .group_segment_fixed_size: 4120
    .kernarg_segment_align: 8
    .kernarg_segment_size: 920
    .language:       OpenCL C
    .language_version:
      - 2
      - 0
    .max_flat_workgroup_size: 1024
    .name:           _ZN2at6native12_GLOBAL__N_112gatherMedianIdjLi2EEEvNS_4cuda6detail10TensorInfoIT_T0_EENS5_IlS7_EENS5_IKS6_S7_EES7_S7_S7_b
    .private_segment_fixed_size: 0
    .sgpr_count:     86
    .sgpr_spill_count: 0
    .symbol:         _ZN2at6native12_GLOBAL__N_112gatherMedianIdjLi2EEEvNS_4cuda6detail10TensorInfoIT_T0_EENS5_IlS7_EENS5_IKS6_S7_EES7_S7_S7_b.kd
    .uniform_work_group_size: 1
    .uses_dynamic_stack: false
    .vgpr_count:     56
    .vgpr_spill_count: 0
    .wavefront_size: 32
    .workgroup_processor_mode: 1
  - .args:
      - .offset:         0
        .size:           216
        .value_kind:     by_value
      - .offset:         216
        .size:           216
        .value_kind:     by_value
      - .offset:         432
        .size:           216
        .value_kind:     by_value
      - .offset:         648
        .size:           4
        .value_kind:     by_value
      - .offset:         652
        .size:           4
        .value_kind:     by_value
      - .offset:         656
        .size:           4
        .value_kind:     by_value
      - .offset:         660
        .size:           1
        .value_kind:     by_value
      - .offset:         664
        .size:           4
        .value_kind:     hidden_block_count_x
      - .offset:         668
        .size:           4
        .value_kind:     hidden_block_count_y
      - .offset:         672
        .size:           4
        .value_kind:     hidden_block_count_z
      - .offset:         676
        .size:           2
        .value_kind:     hidden_group_size_x
      - .offset:         678
        .size:           2
        .value_kind:     hidden_group_size_y
      - .offset:         680
        .size:           2
        .value_kind:     hidden_group_size_z
      - .offset:         682
        .size:           2
        .value_kind:     hidden_remainder_x
      - .offset:         684
        .size:           2
        .value_kind:     hidden_remainder_y
      - .offset:         686
        .size:           2
        .value_kind:     hidden_remainder_z
      - .offset:         704
        .size:           8
        .value_kind:     hidden_global_offset_x
      - .offset:         712
        .size:           8
        .value_kind:     hidden_global_offset_y
      - .offset:         720
        .size:           8
        .value_kind:     hidden_global_offset_z
      - .offset:         728
        .size:           2
        .value_kind:     hidden_grid_dims
    .group_segment_fixed_size: 4120
    .kernarg_segment_align: 8
    .kernarg_segment_size: 920
    .language:       OpenCL C
    .language_version:
      - 2
      - 0
    .max_flat_workgroup_size: 1024
    .name:           _ZN2at6native12_GLOBAL__N_112gatherMedianIdjLi3EEEvNS_4cuda6detail10TensorInfoIT_T0_EENS5_IlS7_EENS5_IKS6_S7_EES7_S7_S7_b
    .private_segment_fixed_size: 0
    .sgpr_count:     92
    .sgpr_spill_count: 0
    .symbol:         _ZN2at6native12_GLOBAL__N_112gatherMedianIdjLi3EEEvNS_4cuda6detail10TensorInfoIT_T0_EENS5_IlS7_EENS5_IKS6_S7_EES7_S7_S7_b.kd
    .uniform_work_group_size: 1
    .uses_dynamic_stack: false
    .vgpr_count:     56
    .vgpr_spill_count: 0
    .wavefront_size: 32
    .workgroup_processor_mode: 1
  - .args:
      - .offset:         0
        .size:           216
        .value_kind:     by_value
      - .offset:         216
        .size:           216
        .value_kind:     by_value
      - .offset:         432
        .size:           216
        .value_kind:     by_value
      - .offset:         648
        .size:           4
        .value_kind:     by_value
      - .offset:         652
        .size:           4
        .value_kind:     by_value
      - .offset:         656
        .size:           4
        .value_kind:     by_value
      - .offset:         660
        .size:           1
        .value_kind:     by_value
      - .offset:         664
        .size:           4
        .value_kind:     hidden_block_count_x
      - .offset:         668
        .size:           4
        .value_kind:     hidden_block_count_y
      - .offset:         672
        .size:           4
        .value_kind:     hidden_block_count_z
      - .offset:         676
        .size:           2
        .value_kind:     hidden_group_size_x
      - .offset:         678
        .size:           2
        .value_kind:     hidden_group_size_y
      - .offset:         680
        .size:           2
        .value_kind:     hidden_group_size_z
      - .offset:         682
        .size:           2
        .value_kind:     hidden_remainder_x
      - .offset:         684
        .size:           2
        .value_kind:     hidden_remainder_y
      - .offset:         686
        .size:           2
        .value_kind:     hidden_remainder_z
      - .offset:         704
        .size:           8
        .value_kind:     hidden_global_offset_x
      - .offset:         712
        .size:           8
        .value_kind:     hidden_global_offset_y
      - .offset:         720
        .size:           8
        .value_kind:     hidden_global_offset_z
      - .offset:         728
        .size:           2
        .value_kind:     hidden_grid_dims
    .group_segment_fixed_size: 4120
    .kernarg_segment_align: 8
    .kernarg_segment_size: 920
    .language:       OpenCL C
    .language_version:
      - 2
      - 0
    .max_flat_workgroup_size: 1024
    .name:           _ZN2at6native12_GLOBAL__N_112gatherMedianIdjLin1EEEvNS_4cuda6detail10TensorInfoIT_T0_EENS5_IlS7_EENS5_IKS6_S7_EES7_S7_S7_b
    .private_segment_fixed_size: 0
    .sgpr_count:     83
    .sgpr_spill_count: 0
    .symbol:         _ZN2at6native12_GLOBAL__N_112gatherMedianIdjLin1EEEvNS_4cuda6detail10TensorInfoIT_T0_EENS5_IlS7_EENS5_IKS6_S7_EES7_S7_S7_b.kd
    .uniform_work_group_size: 1
    .uses_dynamic_stack: false
    .vgpr_count:     56
    .vgpr_spill_count: 0
    .wavefront_size: 32
    .workgroup_processor_mode: 1
  - .args:
      - .offset:         0
        .size:           416
        .value_kind:     by_value
      - .offset:         416
        .size:           416
        .value_kind:     by_value
      - .offset:         832
        .size:           416
        .value_kind:     by_value
      - .offset:         1248
        .size:           8
        .value_kind:     by_value
      - .offset:         1256
        .size:           8
        .value_kind:     by_value
      - .offset:         1264
        .size:           8
        .value_kind:     by_value
      - .offset:         1272
        .size:           1
        .value_kind:     by_value
      - .offset:         1280
        .size:           4
        .value_kind:     hidden_block_count_x
      - .offset:         1284
        .size:           4
        .value_kind:     hidden_block_count_y
      - .offset:         1288
        .size:           4
        .value_kind:     hidden_block_count_z
      - .offset:         1292
        .size:           2
        .value_kind:     hidden_group_size_x
      - .offset:         1294
        .size:           2
        .value_kind:     hidden_group_size_y
      - .offset:         1296
        .size:           2
        .value_kind:     hidden_group_size_z
      - .offset:         1298
        .size:           2
        .value_kind:     hidden_remainder_x
      - .offset:         1300
        .size:           2
        .value_kind:     hidden_remainder_y
      - .offset:         1302
        .size:           2
        .value_kind:     hidden_remainder_z
      - .offset:         1320
        .size:           8
        .value_kind:     hidden_global_offset_x
      - .offset:         1328
        .size:           8
        .value_kind:     hidden_global_offset_y
      - .offset:         1336
        .size:           8
        .value_kind:     hidden_global_offset_z
      - .offset:         1344
        .size:           2
        .value_kind:     hidden_grid_dims
    .group_segment_fixed_size: 5152
    .kernarg_segment_align: 8
    .kernarg_segment_size: 1536
    .language:       OpenCL C
    .language_version:
      - 2
      - 0
    .max_flat_workgroup_size: 1024
    .name:           _ZN2at6native12_GLOBAL__N_112gatherMedianIdmLi1EEEvNS_4cuda6detail10TensorInfoIT_T0_EENS5_IlS7_EENS5_IKS6_S7_EES7_S7_S7_b
    .private_segment_fixed_size: 0
    .sgpr_count:     92
    .sgpr_spill_count: 0
    .symbol:         _ZN2at6native12_GLOBAL__N_112gatherMedianIdmLi1EEEvNS_4cuda6detail10TensorInfoIT_T0_EENS5_IlS7_EENS5_IKS6_S7_EES7_S7_S7_b.kd
    .uniform_work_group_size: 1
    .uses_dynamic_stack: false
    .vgpr_count:     63
    .vgpr_spill_count: 0
    .wavefront_size: 32
    .workgroup_processor_mode: 1
  - .args:
      - .offset:         0
        .size:           416
        .value_kind:     by_value
      - .offset:         416
        .size:           416
        .value_kind:     by_value
      - .offset:         832
        .size:           416
        .value_kind:     by_value
      - .offset:         1248
        .size:           8
        .value_kind:     by_value
      - .offset:         1256
        .size:           8
        .value_kind:     by_value
      - .offset:         1264
        .size:           8
        .value_kind:     by_value
      - .offset:         1272
        .size:           1
        .value_kind:     by_value
      - .offset:         1280
        .size:           4
        .value_kind:     hidden_block_count_x
      - .offset:         1284
        .size:           4
        .value_kind:     hidden_block_count_y
      - .offset:         1288
        .size:           4
        .value_kind:     hidden_block_count_z
      - .offset:         1292
        .size:           2
        .value_kind:     hidden_group_size_x
      - .offset:         1294
        .size:           2
        .value_kind:     hidden_group_size_y
      - .offset:         1296
        .size:           2
        .value_kind:     hidden_group_size_z
      - .offset:         1298
        .size:           2
        .value_kind:     hidden_remainder_x
      - .offset:         1300
        .size:           2
        .value_kind:     hidden_remainder_y
      - .offset:         1302
        .size:           2
        .value_kind:     hidden_remainder_z
      - .offset:         1320
        .size:           8
        .value_kind:     hidden_global_offset_x
      - .offset:         1328
        .size:           8
        .value_kind:     hidden_global_offset_y
      - .offset:         1336
        .size:           8
        .value_kind:     hidden_global_offset_z
      - .offset:         1344
        .size:           2
        .value_kind:     hidden_grid_dims
    .group_segment_fixed_size: 5152
    .kernarg_segment_align: 8
    .kernarg_segment_size: 1536
    .language:       OpenCL C
    .language_version:
      - 2
      - 0
    .max_flat_workgroup_size: 1024
    .name:           _ZN2at6native12_GLOBAL__N_112gatherMedianIdmLi2EEEvNS_4cuda6detail10TensorInfoIT_T0_EENS5_IlS7_EENS5_IKS6_S7_EES7_S7_S7_b
    .private_segment_fixed_size: 0
    .sgpr_count:     98
    .sgpr_spill_count: 0
    .symbol:         _ZN2at6native12_GLOBAL__N_112gatherMedianIdmLi2EEEvNS_4cuda6detail10TensorInfoIT_T0_EENS5_IlS7_EENS5_IKS6_S7_EES7_S7_S7_b.kd
    .uniform_work_group_size: 1
    .uses_dynamic_stack: false
    .vgpr_count:     53
    .vgpr_spill_count: 0
    .wavefront_size: 32
    .workgroup_processor_mode: 1
  - .args:
      - .offset:         0
        .size:           416
        .value_kind:     by_value
      - .offset:         416
        .size:           416
        .value_kind:     by_value
      - .offset:         832
        .size:           416
        .value_kind:     by_value
      - .offset:         1248
        .size:           8
        .value_kind:     by_value
      - .offset:         1256
        .size:           8
        .value_kind:     by_value
      - .offset:         1264
        .size:           8
        .value_kind:     by_value
      - .offset:         1272
        .size:           1
        .value_kind:     by_value
      - .offset:         1280
        .size:           4
        .value_kind:     hidden_block_count_x
      - .offset:         1284
        .size:           4
        .value_kind:     hidden_block_count_y
      - .offset:         1288
        .size:           4
        .value_kind:     hidden_block_count_z
      - .offset:         1292
        .size:           2
        .value_kind:     hidden_group_size_x
      - .offset:         1294
        .size:           2
        .value_kind:     hidden_group_size_y
      - .offset:         1296
        .size:           2
        .value_kind:     hidden_group_size_z
      - .offset:         1298
        .size:           2
        .value_kind:     hidden_remainder_x
      - .offset:         1300
        .size:           2
        .value_kind:     hidden_remainder_y
      - .offset:         1302
        .size:           2
        .value_kind:     hidden_remainder_z
      - .offset:         1320
        .size:           8
        .value_kind:     hidden_global_offset_x
      - .offset:         1328
        .size:           8
        .value_kind:     hidden_global_offset_y
      - .offset:         1336
        .size:           8
        .value_kind:     hidden_global_offset_z
      - .offset:         1344
        .size:           2
        .value_kind:     hidden_grid_dims
    .group_segment_fixed_size: 5152
    .kernarg_segment_align: 8
    .kernarg_segment_size: 1536
    .language:       OpenCL C
    .language_version:
      - 2
      - 0
    .max_flat_workgroup_size: 1024
    .name:           _ZN2at6native12_GLOBAL__N_112gatherMedianIdmLi3EEEvNS_4cuda6detail10TensorInfoIT_T0_EENS5_IlS7_EENS5_IKS6_S7_EES7_S7_S7_b
    .private_segment_fixed_size: 0
    .sgpr_count:     107
    .sgpr_spill_count: 4
    .symbol:         _ZN2at6native12_GLOBAL__N_112gatherMedianIdmLi3EEEvNS_4cuda6detail10TensorInfoIT_T0_EENS5_IlS7_EENS5_IKS6_S7_EES7_S7_S7_b.kd
    .uniform_work_group_size: 1
    .uses_dynamic_stack: false
    .vgpr_count:     47
    .vgpr_spill_count: 0
    .wavefront_size: 32
    .workgroup_processor_mode: 1
  - .args:
      - .offset:         0
        .size:           416
        .value_kind:     by_value
      - .offset:         416
        .size:           416
        .value_kind:     by_value
      - .offset:         832
        .size:           416
        .value_kind:     by_value
      - .offset:         1248
        .size:           8
        .value_kind:     by_value
      - .offset:         1256
        .size:           8
        .value_kind:     by_value
      - .offset:         1264
        .size:           8
        .value_kind:     by_value
      - .offset:         1272
        .size:           1
        .value_kind:     by_value
      - .offset:         1280
        .size:           4
        .value_kind:     hidden_block_count_x
      - .offset:         1284
        .size:           4
        .value_kind:     hidden_block_count_y
      - .offset:         1288
        .size:           4
        .value_kind:     hidden_block_count_z
      - .offset:         1292
        .size:           2
        .value_kind:     hidden_group_size_x
      - .offset:         1294
        .size:           2
        .value_kind:     hidden_group_size_y
      - .offset:         1296
        .size:           2
        .value_kind:     hidden_group_size_z
      - .offset:         1298
        .size:           2
        .value_kind:     hidden_remainder_x
      - .offset:         1300
        .size:           2
        .value_kind:     hidden_remainder_y
      - .offset:         1302
        .size:           2
        .value_kind:     hidden_remainder_z
      - .offset:         1320
        .size:           8
        .value_kind:     hidden_global_offset_x
      - .offset:         1328
        .size:           8
        .value_kind:     hidden_global_offset_y
      - .offset:         1336
        .size:           8
        .value_kind:     hidden_global_offset_z
      - .offset:         1344
        .size:           2
        .value_kind:     hidden_grid_dims
    .group_segment_fixed_size: 5152
    .kernarg_segment_align: 8
    .kernarg_segment_size: 1536
    .language:       OpenCL C
    .language_version:
      - 2
      - 0
    .max_flat_workgroup_size: 1024
    .name:           _ZN2at6native12_GLOBAL__N_112gatherMedianIdmLin1EEEvNS_4cuda6detail10TensorInfoIT_T0_EENS5_IlS7_EENS5_IKS6_S7_EES7_S7_S7_b
    .private_segment_fixed_size: 0
    .sgpr_count:     102
    .sgpr_spill_count: 0
    .symbol:         _ZN2at6native12_GLOBAL__N_112gatherMedianIdmLin1EEEvNS_4cuda6detail10TensorInfoIT_T0_EENS5_IlS7_EENS5_IKS6_S7_EES7_S7_S7_b.kd
    .uniform_work_group_size: 1
    .uses_dynamic_stack: false
    .vgpr_count:     71
    .vgpr_spill_count: 0
    .wavefront_size: 32
    .workgroup_processor_mode: 1
  - .args:
      - .offset:         0
        .size:           216
        .value_kind:     by_value
      - .offset:         216
        .size:           216
        .value_kind:     by_value
      - .offset:         432
        .size:           216
        .value_kind:     by_value
      - .offset:         648
        .size:           4
        .value_kind:     by_value
      - .offset:         652
        .size:           4
        .value_kind:     by_value
      - .offset:         656
        .size:           4
        .value_kind:     by_value
      - .offset:         660
        .size:           1
        .value_kind:     by_value
      - .offset:         664
        .size:           4
        .value_kind:     hidden_block_count_x
      - .offset:         668
        .size:           4
        .value_kind:     hidden_block_count_y
      - .offset:         672
        .size:           4
        .value_kind:     hidden_block_count_z
      - .offset:         676
        .size:           2
        .value_kind:     hidden_group_size_x
      - .offset:         678
        .size:           2
        .value_kind:     hidden_group_size_y
      - .offset:         680
        .size:           2
        .value_kind:     hidden_group_size_z
      - .offset:         682
        .size:           2
        .value_kind:     hidden_remainder_x
      - .offset:         684
        .size:           2
        .value_kind:     hidden_remainder_y
      - .offset:         686
        .size:           2
        .value_kind:     hidden_remainder_z
      - .offset:         704
        .size:           8
        .value_kind:     hidden_global_offset_x
      - .offset:         712
        .size:           8
        .value_kind:     hidden_global_offset_y
      - .offset:         720
        .size:           8
        .value_kind:     hidden_global_offset_z
      - .offset:         728
        .size:           2
        .value_kind:     hidden_grid_dims
    .group_segment_fixed_size: 4120
    .kernarg_segment_align: 8
    .kernarg_segment_size: 920
    .language:       OpenCL C
    .language_version:
      - 2
      - 0
    .max_flat_workgroup_size: 1024
    .name:           _ZN2at6native12_GLOBAL__N_112gatherMedianIfjLi1EEEvNS_4cuda6detail10TensorInfoIT_T0_EENS5_IlS7_EENS5_IKS6_S7_EES7_S7_S7_b
    .private_segment_fixed_size: 0
    .sgpr_count:     79
    .sgpr_spill_count: 0
    .symbol:         _ZN2at6native12_GLOBAL__N_112gatherMedianIfjLi1EEEvNS_4cuda6detail10TensorInfoIT_T0_EENS5_IlS7_EENS5_IKS6_S7_EES7_S7_S7_b.kd
    .uniform_work_group_size: 1
    .uses_dynamic_stack: false
    .vgpr_count:     44
    .vgpr_spill_count: 0
    .wavefront_size: 32
    .workgroup_processor_mode: 1
  - .args:
      - .offset:         0
        .size:           216
        .value_kind:     by_value
      - .offset:         216
        .size:           216
        .value_kind:     by_value
      - .offset:         432
        .size:           216
        .value_kind:     by_value
      - .offset:         648
        .size:           4
        .value_kind:     by_value
      - .offset:         652
        .size:           4
        .value_kind:     by_value
      - .offset:         656
        .size:           4
        .value_kind:     by_value
      - .offset:         660
        .size:           1
        .value_kind:     by_value
      - .offset:         664
        .size:           4
        .value_kind:     hidden_block_count_x
      - .offset:         668
        .size:           4
        .value_kind:     hidden_block_count_y
      - .offset:         672
        .size:           4
        .value_kind:     hidden_block_count_z
      - .offset:         676
        .size:           2
        .value_kind:     hidden_group_size_x
      - .offset:         678
        .size:           2
        .value_kind:     hidden_group_size_y
      - .offset:         680
        .size:           2
        .value_kind:     hidden_group_size_z
      - .offset:         682
        .size:           2
        .value_kind:     hidden_remainder_x
      - .offset:         684
        .size:           2
        .value_kind:     hidden_remainder_y
      - .offset:         686
        .size:           2
        .value_kind:     hidden_remainder_z
      - .offset:         704
        .size:           8
        .value_kind:     hidden_global_offset_x
      - .offset:         712
        .size:           8
        .value_kind:     hidden_global_offset_y
      - .offset:         720
        .size:           8
        .value_kind:     hidden_global_offset_z
      - .offset:         728
        .size:           2
        .value_kind:     hidden_grid_dims
    .group_segment_fixed_size: 4120
    .kernarg_segment_align: 8
    .kernarg_segment_size: 920
    .language:       OpenCL C
    .language_version:
      - 2
      - 0
    .max_flat_workgroup_size: 1024
    .name:           _ZN2at6native12_GLOBAL__N_112gatherMedianIfjLi2EEEvNS_4cuda6detail10TensorInfoIT_T0_EENS5_IlS7_EENS5_IKS6_S7_EES7_S7_S7_b
    .private_segment_fixed_size: 0
    .sgpr_count:     85
    .sgpr_spill_count: 0
    .symbol:         _ZN2at6native12_GLOBAL__N_112gatherMedianIfjLi2EEEvNS_4cuda6detail10TensorInfoIT_T0_EENS5_IlS7_EENS5_IKS6_S7_EES7_S7_S7_b.kd
    .uniform_work_group_size: 1
    .uses_dynamic_stack: false
    .vgpr_count:     44
    .vgpr_spill_count: 0
    .wavefront_size: 32
    .workgroup_processor_mode: 1
  - .args:
      - .offset:         0
        .size:           216
        .value_kind:     by_value
      - .offset:         216
        .size:           216
        .value_kind:     by_value
      - .offset:         432
        .size:           216
        .value_kind:     by_value
      - .offset:         648
        .size:           4
        .value_kind:     by_value
      - .offset:         652
        .size:           4
        .value_kind:     by_value
      - .offset:         656
        .size:           4
        .value_kind:     by_value
      - .offset:         660
        .size:           1
        .value_kind:     by_value
      - .offset:         664
        .size:           4
        .value_kind:     hidden_block_count_x
      - .offset:         668
        .size:           4
        .value_kind:     hidden_block_count_y
      - .offset:         672
        .size:           4
        .value_kind:     hidden_block_count_z
      - .offset:         676
        .size:           2
        .value_kind:     hidden_group_size_x
      - .offset:         678
        .size:           2
        .value_kind:     hidden_group_size_y
      - .offset:         680
        .size:           2
        .value_kind:     hidden_group_size_z
      - .offset:         682
        .size:           2
        .value_kind:     hidden_remainder_x
      - .offset:         684
        .size:           2
        .value_kind:     hidden_remainder_y
      - .offset:         686
        .size:           2
        .value_kind:     hidden_remainder_z
      - .offset:         704
        .size:           8
        .value_kind:     hidden_global_offset_x
      - .offset:         712
        .size:           8
        .value_kind:     hidden_global_offset_y
      - .offset:         720
        .size:           8
        .value_kind:     hidden_global_offset_z
      - .offset:         728
        .size:           2
        .value_kind:     hidden_grid_dims
    .group_segment_fixed_size: 4120
    .kernarg_segment_align: 8
    .kernarg_segment_size: 920
    .language:       OpenCL C
    .language_version:
      - 2
      - 0
    .max_flat_workgroup_size: 1024
    .name:           _ZN2at6native12_GLOBAL__N_112gatherMedianIfjLi3EEEvNS_4cuda6detail10TensorInfoIT_T0_EENS5_IlS7_EENS5_IKS6_S7_EES7_S7_S7_b
    .private_segment_fixed_size: 0
    .sgpr_count:     91
    .sgpr_spill_count: 0
    .symbol:         _ZN2at6native12_GLOBAL__N_112gatherMedianIfjLi3EEEvNS_4cuda6detail10TensorInfoIT_T0_EENS5_IlS7_EENS5_IKS6_S7_EES7_S7_S7_b.kd
    .uniform_work_group_size: 1
    .uses_dynamic_stack: false
    .vgpr_count:     44
    .vgpr_spill_count: 0
    .wavefront_size: 32
    .workgroup_processor_mode: 1
  - .args:
      - .offset:         0
        .size:           216
        .value_kind:     by_value
      - .offset:         216
        .size:           216
        .value_kind:     by_value
      - .offset:         432
        .size:           216
        .value_kind:     by_value
      - .offset:         648
        .size:           4
        .value_kind:     by_value
      - .offset:         652
        .size:           4
        .value_kind:     by_value
      - .offset:         656
        .size:           4
        .value_kind:     by_value
      - .offset:         660
        .size:           1
        .value_kind:     by_value
      - .offset:         664
        .size:           4
        .value_kind:     hidden_block_count_x
      - .offset:         668
        .size:           4
        .value_kind:     hidden_block_count_y
      - .offset:         672
        .size:           4
        .value_kind:     hidden_block_count_z
      - .offset:         676
        .size:           2
        .value_kind:     hidden_group_size_x
      - .offset:         678
        .size:           2
        .value_kind:     hidden_group_size_y
      - .offset:         680
        .size:           2
        .value_kind:     hidden_group_size_z
      - .offset:         682
        .size:           2
        .value_kind:     hidden_remainder_x
      - .offset:         684
        .size:           2
        .value_kind:     hidden_remainder_y
      - .offset:         686
        .size:           2
        .value_kind:     hidden_remainder_z
      - .offset:         704
        .size:           8
        .value_kind:     hidden_global_offset_x
      - .offset:         712
        .size:           8
        .value_kind:     hidden_global_offset_y
      - .offset:         720
        .size:           8
        .value_kind:     hidden_global_offset_z
      - .offset:         728
        .size:           2
        .value_kind:     hidden_grid_dims
    .group_segment_fixed_size: 4120
    .kernarg_segment_align: 8
    .kernarg_segment_size: 920
    .language:       OpenCL C
    .language_version:
      - 2
      - 0
    .max_flat_workgroup_size: 1024
    .name:           _ZN2at6native12_GLOBAL__N_112gatherMedianIfjLin1EEEvNS_4cuda6detail10TensorInfoIT_T0_EENS5_IlS7_EENS5_IKS6_S7_EES7_S7_S7_b
    .private_segment_fixed_size: 0
    .sgpr_count:     82
    .sgpr_spill_count: 0
    .symbol:         _ZN2at6native12_GLOBAL__N_112gatherMedianIfjLin1EEEvNS_4cuda6detail10TensorInfoIT_T0_EENS5_IlS7_EENS5_IKS6_S7_EES7_S7_S7_b.kd
    .uniform_work_group_size: 1
    .uses_dynamic_stack: false
    .vgpr_count:     44
    .vgpr_spill_count: 0
    .wavefront_size: 32
    .workgroup_processor_mode: 1
  - .args:
      - .offset:         0
        .size:           416
        .value_kind:     by_value
      - .offset:         416
        .size:           416
        .value_kind:     by_value
      - .offset:         832
        .size:           416
        .value_kind:     by_value
      - .offset:         1248
        .size:           8
        .value_kind:     by_value
      - .offset:         1256
        .size:           8
        .value_kind:     by_value
      - .offset:         1264
        .size:           8
        .value_kind:     by_value
      - .offset:         1272
        .size:           1
        .value_kind:     by_value
      - .offset:         1280
        .size:           4
        .value_kind:     hidden_block_count_x
      - .offset:         1284
        .size:           4
        .value_kind:     hidden_block_count_y
      - .offset:         1288
        .size:           4
        .value_kind:     hidden_block_count_z
      - .offset:         1292
        .size:           2
        .value_kind:     hidden_group_size_x
      - .offset:         1294
        .size:           2
        .value_kind:     hidden_group_size_y
      - .offset:         1296
        .size:           2
        .value_kind:     hidden_group_size_z
      - .offset:         1298
        .size:           2
        .value_kind:     hidden_remainder_x
      - .offset:         1300
        .size:           2
        .value_kind:     hidden_remainder_y
      - .offset:         1302
        .size:           2
        .value_kind:     hidden_remainder_z
      - .offset:         1320
        .size:           8
        .value_kind:     hidden_global_offset_x
      - .offset:         1328
        .size:           8
        .value_kind:     hidden_global_offset_y
      - .offset:         1336
        .size:           8
        .value_kind:     hidden_global_offset_z
      - .offset:         1344
        .size:           2
        .value_kind:     hidden_grid_dims
    .group_segment_fixed_size: 5152
    .kernarg_segment_align: 8
    .kernarg_segment_size: 1536
    .language:       OpenCL C
    .language_version:
      - 2
      - 0
    .max_flat_workgroup_size: 1024
    .name:           _ZN2at6native12_GLOBAL__N_112gatherMedianIfmLi1EEEvNS_4cuda6detail10TensorInfoIT_T0_EENS5_IlS7_EENS5_IKS6_S7_EES7_S7_S7_b
    .private_segment_fixed_size: 0
    .sgpr_count:     92
    .sgpr_spill_count: 0
    .symbol:         _ZN2at6native12_GLOBAL__N_112gatherMedianIfmLi1EEEvNS_4cuda6detail10TensorInfoIT_T0_EENS5_IlS7_EENS5_IKS6_S7_EES7_S7_S7_b.kd
    .uniform_work_group_size: 1
    .uses_dynamic_stack: false
    .vgpr_count:     52
    .vgpr_spill_count: 0
    .wavefront_size: 32
    .workgroup_processor_mode: 1
  - .args:
      - .offset:         0
        .size:           416
        .value_kind:     by_value
      - .offset:         416
        .size:           416
        .value_kind:     by_value
      - .offset:         832
        .size:           416
        .value_kind:     by_value
      - .offset:         1248
        .size:           8
        .value_kind:     by_value
      - .offset:         1256
        .size:           8
        .value_kind:     by_value
      - .offset:         1264
        .size:           8
        .value_kind:     by_value
      - .offset:         1272
        .size:           1
        .value_kind:     by_value
      - .offset:         1280
        .size:           4
        .value_kind:     hidden_block_count_x
      - .offset:         1284
        .size:           4
        .value_kind:     hidden_block_count_y
      - .offset:         1288
        .size:           4
        .value_kind:     hidden_block_count_z
      - .offset:         1292
        .size:           2
        .value_kind:     hidden_group_size_x
      - .offset:         1294
        .size:           2
        .value_kind:     hidden_group_size_y
      - .offset:         1296
        .size:           2
        .value_kind:     hidden_group_size_z
      - .offset:         1298
        .size:           2
        .value_kind:     hidden_remainder_x
      - .offset:         1300
        .size:           2
        .value_kind:     hidden_remainder_y
      - .offset:         1302
        .size:           2
        .value_kind:     hidden_remainder_z
      - .offset:         1320
        .size:           8
        .value_kind:     hidden_global_offset_x
      - .offset:         1328
        .size:           8
        .value_kind:     hidden_global_offset_y
      - .offset:         1336
        .size:           8
        .value_kind:     hidden_global_offset_z
      - .offset:         1344
        .size:           2
        .value_kind:     hidden_grid_dims
    .group_segment_fixed_size: 5152
    .kernarg_segment_align: 8
    .kernarg_segment_size: 1536
    .language:       OpenCL C
    .language_version:
      - 2
      - 0
    .max_flat_workgroup_size: 1024
    .name:           _ZN2at6native12_GLOBAL__N_112gatherMedianIfmLi2EEEvNS_4cuda6detail10TensorInfoIT_T0_EENS5_IlS7_EENS5_IKS6_S7_EES7_S7_S7_b
    .private_segment_fixed_size: 0
    .sgpr_count:     98
    .sgpr_spill_count: 0
    .symbol:         _ZN2at6native12_GLOBAL__N_112gatherMedianIfmLi2EEEvNS_4cuda6detail10TensorInfoIT_T0_EENS5_IlS7_EENS5_IKS6_S7_EES7_S7_S7_b.kd
    .uniform_work_group_size: 1
    .uses_dynamic_stack: false
    .vgpr_count:     41
    .vgpr_spill_count: 0
    .wavefront_size: 32
    .workgroup_processor_mode: 1
  - .args:
      - .offset:         0
        .size:           416
        .value_kind:     by_value
      - .offset:         416
        .size:           416
        .value_kind:     by_value
      - .offset:         832
        .size:           416
        .value_kind:     by_value
      - .offset:         1248
        .size:           8
        .value_kind:     by_value
      - .offset:         1256
        .size:           8
        .value_kind:     by_value
      - .offset:         1264
        .size:           8
        .value_kind:     by_value
      - .offset:         1272
        .size:           1
        .value_kind:     by_value
      - .offset:         1280
        .size:           4
        .value_kind:     hidden_block_count_x
      - .offset:         1284
        .size:           4
        .value_kind:     hidden_block_count_y
      - .offset:         1288
        .size:           4
        .value_kind:     hidden_block_count_z
      - .offset:         1292
        .size:           2
        .value_kind:     hidden_group_size_x
      - .offset:         1294
        .size:           2
        .value_kind:     hidden_group_size_y
      - .offset:         1296
        .size:           2
        .value_kind:     hidden_group_size_z
      - .offset:         1298
        .size:           2
        .value_kind:     hidden_remainder_x
      - .offset:         1300
        .size:           2
        .value_kind:     hidden_remainder_y
      - .offset:         1302
        .size:           2
        .value_kind:     hidden_remainder_z
      - .offset:         1320
        .size:           8
        .value_kind:     hidden_global_offset_x
      - .offset:         1328
        .size:           8
        .value_kind:     hidden_global_offset_y
      - .offset:         1336
        .size:           8
        .value_kind:     hidden_global_offset_z
      - .offset:         1344
        .size:           2
        .value_kind:     hidden_grid_dims
    .group_segment_fixed_size: 5152
    .kernarg_segment_align: 8
    .kernarg_segment_size: 1536
    .language:       OpenCL C
    .language_version:
      - 2
      - 0
    .max_flat_workgroup_size: 1024
    .name:           _ZN2at6native12_GLOBAL__N_112gatherMedianIfmLi3EEEvNS_4cuda6detail10TensorInfoIT_T0_EENS5_IlS7_EENS5_IKS6_S7_EES7_S7_S7_b
    .private_segment_fixed_size: 0
    .sgpr_count:     107
    .sgpr_spill_count: 2
    .symbol:         _ZN2at6native12_GLOBAL__N_112gatherMedianIfmLi3EEEvNS_4cuda6detail10TensorInfoIT_T0_EENS5_IlS7_EENS5_IKS6_S7_EES7_S7_S7_b.kd
    .uniform_work_group_size: 1
    .uses_dynamic_stack: false
    .vgpr_count:     38
    .vgpr_spill_count: 0
    .wavefront_size: 32
    .workgroup_processor_mode: 1
  - .args:
      - .offset:         0
        .size:           416
        .value_kind:     by_value
      - .offset:         416
        .size:           416
        .value_kind:     by_value
      - .offset:         832
        .size:           416
        .value_kind:     by_value
      - .offset:         1248
        .size:           8
        .value_kind:     by_value
      - .offset:         1256
        .size:           8
        .value_kind:     by_value
      - .offset:         1264
        .size:           8
        .value_kind:     by_value
      - .offset:         1272
        .size:           1
        .value_kind:     by_value
      - .offset:         1280
        .size:           4
        .value_kind:     hidden_block_count_x
      - .offset:         1284
        .size:           4
        .value_kind:     hidden_block_count_y
      - .offset:         1288
        .size:           4
        .value_kind:     hidden_block_count_z
      - .offset:         1292
        .size:           2
        .value_kind:     hidden_group_size_x
      - .offset:         1294
        .size:           2
        .value_kind:     hidden_group_size_y
      - .offset:         1296
        .size:           2
        .value_kind:     hidden_group_size_z
      - .offset:         1298
        .size:           2
        .value_kind:     hidden_remainder_x
      - .offset:         1300
        .size:           2
        .value_kind:     hidden_remainder_y
      - .offset:         1302
        .size:           2
        .value_kind:     hidden_remainder_z
      - .offset:         1320
        .size:           8
        .value_kind:     hidden_global_offset_x
      - .offset:         1328
        .size:           8
        .value_kind:     hidden_global_offset_y
      - .offset:         1336
        .size:           8
        .value_kind:     hidden_global_offset_z
      - .offset:         1344
        .size:           2
        .value_kind:     hidden_grid_dims
    .group_segment_fixed_size: 5152
    .kernarg_segment_align: 8
    .kernarg_segment_size: 1536
    .language:       OpenCL C
    .language_version:
      - 2
      - 0
    .max_flat_workgroup_size: 1024
    .name:           _ZN2at6native12_GLOBAL__N_112gatherMedianIfmLin1EEEvNS_4cuda6detail10TensorInfoIT_T0_EENS5_IlS7_EENS5_IKS6_S7_EES7_S7_S7_b
    .private_segment_fixed_size: 0
    .sgpr_count:     102
    .sgpr_spill_count: 0
    .symbol:         _ZN2at6native12_GLOBAL__N_112gatherMedianIfmLin1EEEvNS_4cuda6detail10TensorInfoIT_T0_EENS5_IlS7_EENS5_IKS6_S7_EES7_S7_S7_b.kd
    .uniform_work_group_size: 1
    .uses_dynamic_stack: false
    .vgpr_count:     60
    .vgpr_spill_count: 0
    .wavefront_size: 32
    .workgroup_processor_mode: 1
  - .args:
      - .offset:         0
        .size:           216
        .value_kind:     by_value
      - .offset:         216
        .size:           216
        .value_kind:     by_value
      - .offset:         432
        .size:           216
        .value_kind:     by_value
      - .offset:         648
        .size:           4
        .value_kind:     by_value
      - .offset:         652
        .size:           4
        .value_kind:     by_value
      - .offset:         656
        .size:           4
        .value_kind:     by_value
      - .offset:         660
        .size:           1
        .value_kind:     by_value
      - .offset:         664
        .size:           4
        .value_kind:     hidden_block_count_x
      - .offset:         668
        .size:           4
        .value_kind:     hidden_block_count_y
      - .offset:         672
        .size:           4
        .value_kind:     hidden_block_count_z
      - .offset:         676
        .size:           2
        .value_kind:     hidden_group_size_x
      - .offset:         678
        .size:           2
        .value_kind:     hidden_group_size_y
      - .offset:         680
        .size:           2
        .value_kind:     hidden_group_size_z
      - .offset:         682
        .size:           2
        .value_kind:     hidden_remainder_x
      - .offset:         684
        .size:           2
        .value_kind:     hidden_remainder_y
      - .offset:         686
        .size:           2
        .value_kind:     hidden_remainder_z
      - .offset:         704
        .size:           8
        .value_kind:     hidden_global_offset_x
      - .offset:         712
        .size:           8
        .value_kind:     hidden_global_offset_y
      - .offset:         720
        .size:           8
        .value_kind:     hidden_global_offset_z
      - .offset:         728
        .size:           2
        .value_kind:     hidden_grid_dims
    .group_segment_fixed_size: 4120
    .kernarg_segment_align: 8
    .kernarg_segment_size: 920
    .language:       OpenCL C
    .language_version:
      - 2
      - 0
    .max_flat_workgroup_size: 1024
    .name:           _ZN2at6native12_GLOBAL__N_112gatherMedianIN3c104HalfEjLi1EEEvNS_4cuda6detail10TensorInfoIT_T0_EENS7_IlS9_EENS7_IKS8_S9_EES9_S9_S9_b
    .private_segment_fixed_size: 0
    .sgpr_count:     83
    .sgpr_spill_count: 0
    .symbol:         _ZN2at6native12_GLOBAL__N_112gatherMedianIN3c104HalfEjLi1EEEvNS_4cuda6detail10TensorInfoIT_T0_EENS7_IlS9_EENS7_IKS8_S9_EES9_S9_S9_b.kd
    .uniform_work_group_size: 1
    .uses_dynamic_stack: false
    .vgpr_count:     63
    .vgpr_spill_count: 0
    .wavefront_size: 32
    .workgroup_processor_mode: 1
  - .args:
      - .offset:         0
        .size:           216
        .value_kind:     by_value
      - .offset:         216
        .size:           216
        .value_kind:     by_value
      - .offset:         432
        .size:           216
        .value_kind:     by_value
      - .offset:         648
        .size:           4
        .value_kind:     by_value
      - .offset:         652
        .size:           4
        .value_kind:     by_value
      - .offset:         656
        .size:           4
        .value_kind:     by_value
      - .offset:         660
        .size:           1
        .value_kind:     by_value
      - .offset:         664
        .size:           4
        .value_kind:     hidden_block_count_x
      - .offset:         668
        .size:           4
        .value_kind:     hidden_block_count_y
      - .offset:         672
        .size:           4
        .value_kind:     hidden_block_count_z
      - .offset:         676
        .size:           2
        .value_kind:     hidden_group_size_x
      - .offset:         678
        .size:           2
        .value_kind:     hidden_group_size_y
      - .offset:         680
        .size:           2
        .value_kind:     hidden_group_size_z
      - .offset:         682
        .size:           2
        .value_kind:     hidden_remainder_x
      - .offset:         684
        .size:           2
        .value_kind:     hidden_remainder_y
      - .offset:         686
        .size:           2
        .value_kind:     hidden_remainder_z
      - .offset:         704
        .size:           8
        .value_kind:     hidden_global_offset_x
      - .offset:         712
        .size:           8
        .value_kind:     hidden_global_offset_y
      - .offset:         720
        .size:           8
        .value_kind:     hidden_global_offset_z
      - .offset:         728
        .size:           2
        .value_kind:     hidden_grid_dims
    .group_segment_fixed_size: 4120
    .kernarg_segment_align: 8
    .kernarg_segment_size: 920
    .language:       OpenCL C
    .language_version:
      - 2
      - 0
    .max_flat_workgroup_size: 1024
    .name:           _ZN2at6native12_GLOBAL__N_112gatherMedianIN3c104HalfEjLi2EEEvNS_4cuda6detail10TensorInfoIT_T0_EENS7_IlS9_EENS7_IKS8_S9_EES9_S9_S9_b
    .private_segment_fixed_size: 0
    .sgpr_count:     89
    .sgpr_spill_count: 0
    .symbol:         _ZN2at6native12_GLOBAL__N_112gatherMedianIN3c104HalfEjLi2EEEvNS_4cuda6detail10TensorInfoIT_T0_EENS7_IlS9_EENS7_IKS8_S9_EES9_S9_S9_b.kd
    .uniform_work_group_size: 1
    .uses_dynamic_stack: false
    .vgpr_count:     63
    .vgpr_spill_count: 0
    .wavefront_size: 32
    .workgroup_processor_mode: 1
  - .args:
      - .offset:         0
        .size:           216
        .value_kind:     by_value
      - .offset:         216
        .size:           216
        .value_kind:     by_value
      - .offset:         432
        .size:           216
        .value_kind:     by_value
      - .offset:         648
        .size:           4
        .value_kind:     by_value
      - .offset:         652
        .size:           4
        .value_kind:     by_value
      - .offset:         656
        .size:           4
        .value_kind:     by_value
      - .offset:         660
        .size:           1
        .value_kind:     by_value
      - .offset:         664
        .size:           4
        .value_kind:     hidden_block_count_x
      - .offset:         668
        .size:           4
        .value_kind:     hidden_block_count_y
      - .offset:         672
        .size:           4
        .value_kind:     hidden_block_count_z
      - .offset:         676
        .size:           2
        .value_kind:     hidden_group_size_x
      - .offset:         678
        .size:           2
        .value_kind:     hidden_group_size_y
      - .offset:         680
        .size:           2
        .value_kind:     hidden_group_size_z
      - .offset:         682
        .size:           2
        .value_kind:     hidden_remainder_x
      - .offset:         684
        .size:           2
        .value_kind:     hidden_remainder_y
      - .offset:         686
        .size:           2
        .value_kind:     hidden_remainder_z
      - .offset:         704
        .size:           8
        .value_kind:     hidden_global_offset_x
      - .offset:         712
        .size:           8
        .value_kind:     hidden_global_offset_y
      - .offset:         720
        .size:           8
        .value_kind:     hidden_global_offset_z
      - .offset:         728
        .size:           2
        .value_kind:     hidden_grid_dims
    .group_segment_fixed_size: 4120
    .kernarg_segment_align: 8
    .kernarg_segment_size: 920
    .language:       OpenCL C
    .language_version:
      - 2
      - 0
    .max_flat_workgroup_size: 1024
    .name:           _ZN2at6native12_GLOBAL__N_112gatherMedianIN3c104HalfEjLi3EEEvNS_4cuda6detail10TensorInfoIT_T0_EENS7_IlS9_EENS7_IKS8_S9_EES9_S9_S9_b
    .private_segment_fixed_size: 0
    .sgpr_count:     95
    .sgpr_spill_count: 0
    .symbol:         _ZN2at6native12_GLOBAL__N_112gatherMedianIN3c104HalfEjLi3EEEvNS_4cuda6detail10TensorInfoIT_T0_EENS7_IlS9_EENS7_IKS8_S9_EES9_S9_S9_b.kd
    .uniform_work_group_size: 1
    .uses_dynamic_stack: false
    .vgpr_count:     63
    .vgpr_spill_count: 0
    .wavefront_size: 32
    .workgroup_processor_mode: 1
  - .args:
      - .offset:         0
        .size:           216
        .value_kind:     by_value
      - .offset:         216
        .size:           216
        .value_kind:     by_value
      - .offset:         432
        .size:           216
        .value_kind:     by_value
      - .offset:         648
        .size:           4
        .value_kind:     by_value
      - .offset:         652
        .size:           4
        .value_kind:     by_value
      - .offset:         656
        .size:           4
        .value_kind:     by_value
      - .offset:         660
        .size:           1
        .value_kind:     by_value
      - .offset:         664
        .size:           4
        .value_kind:     hidden_block_count_x
      - .offset:         668
        .size:           4
        .value_kind:     hidden_block_count_y
      - .offset:         672
        .size:           4
        .value_kind:     hidden_block_count_z
      - .offset:         676
        .size:           2
        .value_kind:     hidden_group_size_x
      - .offset:         678
        .size:           2
        .value_kind:     hidden_group_size_y
      - .offset:         680
        .size:           2
        .value_kind:     hidden_group_size_z
      - .offset:         682
        .size:           2
        .value_kind:     hidden_remainder_x
      - .offset:         684
        .size:           2
        .value_kind:     hidden_remainder_y
      - .offset:         686
        .size:           2
        .value_kind:     hidden_remainder_z
      - .offset:         704
        .size:           8
        .value_kind:     hidden_global_offset_x
      - .offset:         712
        .size:           8
        .value_kind:     hidden_global_offset_y
      - .offset:         720
        .size:           8
        .value_kind:     hidden_global_offset_z
      - .offset:         728
        .size:           2
        .value_kind:     hidden_grid_dims
    .group_segment_fixed_size: 4120
    .kernarg_segment_align: 8
    .kernarg_segment_size: 920
    .language:       OpenCL C
    .language_version:
      - 2
      - 0
    .max_flat_workgroup_size: 1024
    .name:           _ZN2at6native12_GLOBAL__N_112gatherMedianIN3c104HalfEjLin1EEEvNS_4cuda6detail10TensorInfoIT_T0_EENS7_IlS9_EENS7_IKS8_S9_EES9_S9_S9_b
    .private_segment_fixed_size: 0
    .sgpr_count:     86
    .sgpr_spill_count: 0
    .symbol:         _ZN2at6native12_GLOBAL__N_112gatherMedianIN3c104HalfEjLin1EEEvNS_4cuda6detail10TensorInfoIT_T0_EENS7_IlS9_EENS7_IKS8_S9_EES9_S9_S9_b.kd
    .uniform_work_group_size: 1
    .uses_dynamic_stack: false
    .vgpr_count:     63
    .vgpr_spill_count: 0
    .wavefront_size: 32
    .workgroup_processor_mode: 1
  - .args:
      - .offset:         0
        .size:           416
        .value_kind:     by_value
      - .offset:         416
        .size:           416
        .value_kind:     by_value
      - .offset:         832
        .size:           416
        .value_kind:     by_value
      - .offset:         1248
        .size:           8
        .value_kind:     by_value
      - .offset:         1256
        .size:           8
        .value_kind:     by_value
      - .offset:         1264
        .size:           8
        .value_kind:     by_value
      - .offset:         1272
        .size:           1
        .value_kind:     by_value
      - .offset:         1280
        .size:           4
        .value_kind:     hidden_block_count_x
      - .offset:         1284
        .size:           4
        .value_kind:     hidden_block_count_y
      - .offset:         1288
        .size:           4
        .value_kind:     hidden_block_count_z
      - .offset:         1292
        .size:           2
        .value_kind:     hidden_group_size_x
      - .offset:         1294
        .size:           2
        .value_kind:     hidden_group_size_y
      - .offset:         1296
        .size:           2
        .value_kind:     hidden_group_size_z
      - .offset:         1298
        .size:           2
        .value_kind:     hidden_remainder_x
      - .offset:         1300
        .size:           2
        .value_kind:     hidden_remainder_y
      - .offset:         1302
        .size:           2
        .value_kind:     hidden_remainder_z
      - .offset:         1320
        .size:           8
        .value_kind:     hidden_global_offset_x
      - .offset:         1328
        .size:           8
        .value_kind:     hidden_global_offset_y
      - .offset:         1336
        .size:           8
        .value_kind:     hidden_global_offset_z
      - .offset:         1344
        .size:           2
        .value_kind:     hidden_grid_dims
    .group_segment_fixed_size: 5152
    .kernarg_segment_align: 8
    .kernarg_segment_size: 1536
    .language:       OpenCL C
    .language_version:
      - 2
      - 0
    .max_flat_workgroup_size: 1024
    .name:           _ZN2at6native12_GLOBAL__N_112gatherMedianIN3c104HalfEmLi1EEEvNS_4cuda6detail10TensorInfoIT_T0_EENS7_IlS9_EENS7_IKS8_S9_EES9_S9_S9_b
    .private_segment_fixed_size: 0
    .sgpr_count:     96
    .sgpr_spill_count: 0
    .symbol:         _ZN2at6native12_GLOBAL__N_112gatherMedianIN3c104HalfEmLi1EEEvNS_4cuda6detail10TensorInfoIT_T0_EENS7_IlS9_EENS7_IKS8_S9_EES9_S9_S9_b.kd
    .uniform_work_group_size: 1
    .uses_dynamic_stack: false
    .vgpr_count:     55
    .vgpr_spill_count: 0
    .wavefront_size: 32
    .workgroup_processor_mode: 1
  - .args:
      - .offset:         0
        .size:           416
        .value_kind:     by_value
      - .offset:         416
        .size:           416
        .value_kind:     by_value
      - .offset:         832
        .size:           416
        .value_kind:     by_value
      - .offset:         1248
        .size:           8
        .value_kind:     by_value
      - .offset:         1256
        .size:           8
        .value_kind:     by_value
      - .offset:         1264
        .size:           8
        .value_kind:     by_value
      - .offset:         1272
        .size:           1
        .value_kind:     by_value
      - .offset:         1280
        .size:           4
        .value_kind:     hidden_block_count_x
      - .offset:         1284
        .size:           4
        .value_kind:     hidden_block_count_y
      - .offset:         1288
        .size:           4
        .value_kind:     hidden_block_count_z
      - .offset:         1292
        .size:           2
        .value_kind:     hidden_group_size_x
      - .offset:         1294
        .size:           2
        .value_kind:     hidden_group_size_y
      - .offset:         1296
        .size:           2
        .value_kind:     hidden_group_size_z
      - .offset:         1298
        .size:           2
        .value_kind:     hidden_remainder_x
      - .offset:         1300
        .size:           2
        .value_kind:     hidden_remainder_y
      - .offset:         1302
        .size:           2
        .value_kind:     hidden_remainder_z
      - .offset:         1320
        .size:           8
        .value_kind:     hidden_global_offset_x
      - .offset:         1328
        .size:           8
        .value_kind:     hidden_global_offset_y
      - .offset:         1336
        .size:           8
        .value_kind:     hidden_global_offset_z
      - .offset:         1344
        .size:           2
        .value_kind:     hidden_grid_dims
    .group_segment_fixed_size: 5152
    .kernarg_segment_align: 8
    .kernarg_segment_size: 1536
    .language:       OpenCL C
    .language_version:
      - 2
      - 0
    .max_flat_workgroup_size: 1024
    .name:           _ZN2at6native12_GLOBAL__N_112gatherMedianIN3c104HalfEmLi2EEEvNS_4cuda6detail10TensorInfoIT_T0_EENS7_IlS9_EENS7_IKS8_S9_EES9_S9_S9_b
    .private_segment_fixed_size: 0
    .sgpr_count:     101
    .sgpr_spill_count: 0
    .symbol:         _ZN2at6native12_GLOBAL__N_112gatherMedianIN3c104HalfEmLi2EEEvNS_4cuda6detail10TensorInfoIT_T0_EENS7_IlS9_EENS7_IKS8_S9_EES9_S9_S9_b.kd
    .uniform_work_group_size: 1
    .uses_dynamic_stack: false
    .vgpr_count:     40
    .vgpr_spill_count: 0
    .wavefront_size: 32
    .workgroup_processor_mode: 1
  - .args:
      - .offset:         0
        .size:           416
        .value_kind:     by_value
      - .offset:         416
        .size:           416
        .value_kind:     by_value
      - .offset:         832
        .size:           416
        .value_kind:     by_value
      - .offset:         1248
        .size:           8
        .value_kind:     by_value
      - .offset:         1256
        .size:           8
        .value_kind:     by_value
      - .offset:         1264
        .size:           8
        .value_kind:     by_value
      - .offset:         1272
        .size:           1
        .value_kind:     by_value
      - .offset:         1280
        .size:           4
        .value_kind:     hidden_block_count_x
      - .offset:         1284
        .size:           4
        .value_kind:     hidden_block_count_y
      - .offset:         1288
        .size:           4
        .value_kind:     hidden_block_count_z
      - .offset:         1292
        .size:           2
        .value_kind:     hidden_group_size_x
      - .offset:         1294
        .size:           2
        .value_kind:     hidden_group_size_y
      - .offset:         1296
        .size:           2
        .value_kind:     hidden_group_size_z
      - .offset:         1298
        .size:           2
        .value_kind:     hidden_remainder_x
      - .offset:         1300
        .size:           2
        .value_kind:     hidden_remainder_y
      - .offset:         1302
        .size:           2
        .value_kind:     hidden_remainder_z
      - .offset:         1320
        .size:           8
        .value_kind:     hidden_global_offset_x
      - .offset:         1328
        .size:           8
        .value_kind:     hidden_global_offset_y
      - .offset:         1336
        .size:           8
        .value_kind:     hidden_global_offset_z
      - .offset:         1344
        .size:           2
        .value_kind:     hidden_grid_dims
    .group_segment_fixed_size: 5152
    .kernarg_segment_align: 8
    .kernarg_segment_size: 1536
    .language:       OpenCL C
    .language_version:
      - 2
      - 0
    .max_flat_workgroup_size: 1024
    .name:           _ZN2at6native12_GLOBAL__N_112gatherMedianIN3c104HalfEmLi3EEEvNS_4cuda6detail10TensorInfoIT_T0_EENS7_IlS9_EENS7_IKS8_S9_EES9_S9_S9_b
    .private_segment_fixed_size: 0
    .sgpr_count:     107
    .sgpr_spill_count: 8
    .symbol:         _ZN2at6native12_GLOBAL__N_112gatherMedianIN3c104HalfEmLi3EEEvNS_4cuda6detail10TensorInfoIT_T0_EENS7_IlS9_EENS7_IKS8_S9_EES9_S9_S9_b.kd
    .uniform_work_group_size: 1
    .uses_dynamic_stack: false
    .vgpr_count:     41
    .vgpr_spill_count: 0
    .wavefront_size: 32
    .workgroup_processor_mode: 1
  - .args:
      - .offset:         0
        .size:           416
        .value_kind:     by_value
      - .offset:         416
        .size:           416
        .value_kind:     by_value
      - .offset:         832
        .size:           416
        .value_kind:     by_value
      - .offset:         1248
        .size:           8
        .value_kind:     by_value
      - .offset:         1256
        .size:           8
        .value_kind:     by_value
      - .offset:         1264
        .size:           8
        .value_kind:     by_value
      - .offset:         1272
        .size:           1
        .value_kind:     by_value
      - .offset:         1280
        .size:           4
        .value_kind:     hidden_block_count_x
      - .offset:         1284
        .size:           4
        .value_kind:     hidden_block_count_y
      - .offset:         1288
        .size:           4
        .value_kind:     hidden_block_count_z
      - .offset:         1292
        .size:           2
        .value_kind:     hidden_group_size_x
      - .offset:         1294
        .size:           2
        .value_kind:     hidden_group_size_y
      - .offset:         1296
        .size:           2
        .value_kind:     hidden_group_size_z
      - .offset:         1298
        .size:           2
        .value_kind:     hidden_remainder_x
      - .offset:         1300
        .size:           2
        .value_kind:     hidden_remainder_y
      - .offset:         1302
        .size:           2
        .value_kind:     hidden_remainder_z
      - .offset:         1320
        .size:           8
        .value_kind:     hidden_global_offset_x
      - .offset:         1328
        .size:           8
        .value_kind:     hidden_global_offset_y
      - .offset:         1336
        .size:           8
        .value_kind:     hidden_global_offset_z
      - .offset:         1344
        .size:           2
        .value_kind:     hidden_grid_dims
    .group_segment_fixed_size: 5152
    .kernarg_segment_align: 8
    .kernarg_segment_size: 1536
    .language:       OpenCL C
    .language_version:
      - 2
      - 0
    .max_flat_workgroup_size: 1024
    .name:           _ZN2at6native12_GLOBAL__N_112gatherMedianIN3c104HalfEmLin1EEEvNS_4cuda6detail10TensorInfoIT_T0_EENS7_IlS9_EENS7_IKS8_S9_EES9_S9_S9_b
    .private_segment_fixed_size: 0
    .sgpr_count:     106
    .sgpr_spill_count: 0
    .symbol:         _ZN2at6native12_GLOBAL__N_112gatherMedianIN3c104HalfEmLin1EEEvNS_4cuda6detail10TensorInfoIT_T0_EENS7_IlS9_EENS7_IKS8_S9_EES9_S9_S9_b.kd
    .uniform_work_group_size: 1
    .uses_dynamic_stack: false
    .vgpr_count:     63
    .vgpr_spill_count: 0
    .wavefront_size: 32
    .workgroup_processor_mode: 1
  - .args:
      - .offset:         0
        .size:           216
        .value_kind:     by_value
      - .offset:         216
        .size:           216
        .value_kind:     by_value
      - .offset:         432
        .size:           216
        .value_kind:     by_value
      - .offset:         648
        .size:           4
        .value_kind:     by_value
      - .offset:         652
        .size:           4
        .value_kind:     by_value
      - .offset:         656
        .size:           4
        .value_kind:     by_value
      - .offset:         660
        .size:           1
        .value_kind:     by_value
      - .offset:         664
        .size:           4
        .value_kind:     hidden_block_count_x
      - .offset:         668
        .size:           4
        .value_kind:     hidden_block_count_y
      - .offset:         672
        .size:           4
        .value_kind:     hidden_block_count_z
      - .offset:         676
        .size:           2
        .value_kind:     hidden_group_size_x
      - .offset:         678
        .size:           2
        .value_kind:     hidden_group_size_y
      - .offset:         680
        .size:           2
        .value_kind:     hidden_group_size_z
      - .offset:         682
        .size:           2
        .value_kind:     hidden_remainder_x
      - .offset:         684
        .size:           2
        .value_kind:     hidden_remainder_y
      - .offset:         686
        .size:           2
        .value_kind:     hidden_remainder_z
      - .offset:         704
        .size:           8
        .value_kind:     hidden_global_offset_x
      - .offset:         712
        .size:           8
        .value_kind:     hidden_global_offset_y
      - .offset:         720
        .size:           8
        .value_kind:     hidden_global_offset_z
      - .offset:         728
        .size:           2
        .value_kind:     hidden_grid_dims
    .group_segment_fixed_size: 4120
    .kernarg_segment_align: 8
    .kernarg_segment_size: 920
    .language:       OpenCL C
    .language_version:
      - 2
      - 0
    .max_flat_workgroup_size: 1024
    .name:           _ZN2at6native12_GLOBAL__N_112gatherMedianIN3c108BFloat16EjLi1EEEvNS_4cuda6detail10TensorInfoIT_T0_EENS7_IlS9_EENS7_IKS8_S9_EES9_S9_S9_b
    .private_segment_fixed_size: 0
    .sgpr_count:     83
    .sgpr_spill_count: 0
    .symbol:         _ZN2at6native12_GLOBAL__N_112gatherMedianIN3c108BFloat16EjLi1EEEvNS_4cuda6detail10TensorInfoIT_T0_EENS7_IlS9_EENS7_IKS8_S9_EES9_S9_S9_b.kd
    .uniform_work_group_size: 1
    .uses_dynamic_stack: false
    .vgpr_count:     63
    .vgpr_spill_count: 0
    .wavefront_size: 32
    .workgroup_processor_mode: 1
  - .args:
      - .offset:         0
        .size:           216
        .value_kind:     by_value
      - .offset:         216
        .size:           216
        .value_kind:     by_value
      - .offset:         432
        .size:           216
        .value_kind:     by_value
      - .offset:         648
        .size:           4
        .value_kind:     by_value
      - .offset:         652
        .size:           4
        .value_kind:     by_value
      - .offset:         656
        .size:           4
        .value_kind:     by_value
      - .offset:         660
        .size:           1
        .value_kind:     by_value
      - .offset:         664
        .size:           4
        .value_kind:     hidden_block_count_x
      - .offset:         668
        .size:           4
        .value_kind:     hidden_block_count_y
      - .offset:         672
        .size:           4
        .value_kind:     hidden_block_count_z
      - .offset:         676
        .size:           2
        .value_kind:     hidden_group_size_x
      - .offset:         678
        .size:           2
        .value_kind:     hidden_group_size_y
      - .offset:         680
        .size:           2
        .value_kind:     hidden_group_size_z
      - .offset:         682
        .size:           2
        .value_kind:     hidden_remainder_x
      - .offset:         684
        .size:           2
        .value_kind:     hidden_remainder_y
      - .offset:         686
        .size:           2
        .value_kind:     hidden_remainder_z
      - .offset:         704
        .size:           8
        .value_kind:     hidden_global_offset_x
      - .offset:         712
        .size:           8
        .value_kind:     hidden_global_offset_y
      - .offset:         720
        .size:           8
        .value_kind:     hidden_global_offset_z
      - .offset:         728
        .size:           2
        .value_kind:     hidden_grid_dims
    .group_segment_fixed_size: 4120
    .kernarg_segment_align: 8
    .kernarg_segment_size: 920
    .language:       OpenCL C
    .language_version:
      - 2
      - 0
    .max_flat_workgroup_size: 1024
    .name:           _ZN2at6native12_GLOBAL__N_112gatherMedianIN3c108BFloat16EjLi2EEEvNS_4cuda6detail10TensorInfoIT_T0_EENS7_IlS9_EENS7_IKS8_S9_EES9_S9_S9_b
    .private_segment_fixed_size: 0
    .sgpr_count:     89
    .sgpr_spill_count: 0
    .symbol:         _ZN2at6native12_GLOBAL__N_112gatherMedianIN3c108BFloat16EjLi2EEEvNS_4cuda6detail10TensorInfoIT_T0_EENS7_IlS9_EENS7_IKS8_S9_EES9_S9_S9_b.kd
    .uniform_work_group_size: 1
    .uses_dynamic_stack: false
    .vgpr_count:     63
    .vgpr_spill_count: 0
    .wavefront_size: 32
    .workgroup_processor_mode: 1
  - .args:
      - .offset:         0
        .size:           216
        .value_kind:     by_value
      - .offset:         216
        .size:           216
        .value_kind:     by_value
      - .offset:         432
        .size:           216
        .value_kind:     by_value
      - .offset:         648
        .size:           4
        .value_kind:     by_value
      - .offset:         652
        .size:           4
        .value_kind:     by_value
      - .offset:         656
        .size:           4
        .value_kind:     by_value
      - .offset:         660
        .size:           1
        .value_kind:     by_value
      - .offset:         664
        .size:           4
        .value_kind:     hidden_block_count_x
      - .offset:         668
        .size:           4
        .value_kind:     hidden_block_count_y
      - .offset:         672
        .size:           4
        .value_kind:     hidden_block_count_z
      - .offset:         676
        .size:           2
        .value_kind:     hidden_group_size_x
      - .offset:         678
        .size:           2
        .value_kind:     hidden_group_size_y
      - .offset:         680
        .size:           2
        .value_kind:     hidden_group_size_z
      - .offset:         682
        .size:           2
        .value_kind:     hidden_remainder_x
      - .offset:         684
        .size:           2
        .value_kind:     hidden_remainder_y
      - .offset:         686
        .size:           2
        .value_kind:     hidden_remainder_z
      - .offset:         704
        .size:           8
        .value_kind:     hidden_global_offset_x
      - .offset:         712
        .size:           8
        .value_kind:     hidden_global_offset_y
      - .offset:         720
        .size:           8
        .value_kind:     hidden_global_offset_z
      - .offset:         728
        .size:           2
        .value_kind:     hidden_grid_dims
    .group_segment_fixed_size: 4120
    .kernarg_segment_align: 8
    .kernarg_segment_size: 920
    .language:       OpenCL C
    .language_version:
      - 2
      - 0
    .max_flat_workgroup_size: 1024
    .name:           _ZN2at6native12_GLOBAL__N_112gatherMedianIN3c108BFloat16EjLi3EEEvNS_4cuda6detail10TensorInfoIT_T0_EENS7_IlS9_EENS7_IKS8_S9_EES9_S9_S9_b
    .private_segment_fixed_size: 0
    .sgpr_count:     95
    .sgpr_spill_count: 0
    .symbol:         _ZN2at6native12_GLOBAL__N_112gatherMedianIN3c108BFloat16EjLi3EEEvNS_4cuda6detail10TensorInfoIT_T0_EENS7_IlS9_EENS7_IKS8_S9_EES9_S9_S9_b.kd
    .uniform_work_group_size: 1
    .uses_dynamic_stack: false
    .vgpr_count:     63
    .vgpr_spill_count: 0
    .wavefront_size: 32
    .workgroup_processor_mode: 1
  - .args:
      - .offset:         0
        .size:           216
        .value_kind:     by_value
      - .offset:         216
        .size:           216
        .value_kind:     by_value
      - .offset:         432
        .size:           216
        .value_kind:     by_value
      - .offset:         648
        .size:           4
        .value_kind:     by_value
      - .offset:         652
        .size:           4
        .value_kind:     by_value
      - .offset:         656
        .size:           4
        .value_kind:     by_value
      - .offset:         660
        .size:           1
        .value_kind:     by_value
      - .offset:         664
        .size:           4
        .value_kind:     hidden_block_count_x
      - .offset:         668
        .size:           4
        .value_kind:     hidden_block_count_y
      - .offset:         672
        .size:           4
        .value_kind:     hidden_block_count_z
      - .offset:         676
        .size:           2
        .value_kind:     hidden_group_size_x
      - .offset:         678
        .size:           2
        .value_kind:     hidden_group_size_y
      - .offset:         680
        .size:           2
        .value_kind:     hidden_group_size_z
      - .offset:         682
        .size:           2
        .value_kind:     hidden_remainder_x
      - .offset:         684
        .size:           2
        .value_kind:     hidden_remainder_y
      - .offset:         686
        .size:           2
        .value_kind:     hidden_remainder_z
      - .offset:         704
        .size:           8
        .value_kind:     hidden_global_offset_x
      - .offset:         712
        .size:           8
        .value_kind:     hidden_global_offset_y
      - .offset:         720
        .size:           8
        .value_kind:     hidden_global_offset_z
      - .offset:         728
        .size:           2
        .value_kind:     hidden_grid_dims
    .group_segment_fixed_size: 4120
    .kernarg_segment_align: 8
    .kernarg_segment_size: 920
    .language:       OpenCL C
    .language_version:
      - 2
      - 0
    .max_flat_workgroup_size: 1024
    .name:           _ZN2at6native12_GLOBAL__N_112gatherMedianIN3c108BFloat16EjLin1EEEvNS_4cuda6detail10TensorInfoIT_T0_EENS7_IlS9_EENS7_IKS8_S9_EES9_S9_S9_b
    .private_segment_fixed_size: 0
    .sgpr_count:     86
    .sgpr_spill_count: 0
    .symbol:         _ZN2at6native12_GLOBAL__N_112gatherMedianIN3c108BFloat16EjLin1EEEvNS_4cuda6detail10TensorInfoIT_T0_EENS7_IlS9_EENS7_IKS8_S9_EES9_S9_S9_b.kd
    .uniform_work_group_size: 1
    .uses_dynamic_stack: false
    .vgpr_count:     63
    .vgpr_spill_count: 0
    .wavefront_size: 32
    .workgroup_processor_mode: 1
  - .args:
      - .offset:         0
        .size:           416
        .value_kind:     by_value
      - .offset:         416
        .size:           416
        .value_kind:     by_value
      - .offset:         832
        .size:           416
        .value_kind:     by_value
      - .offset:         1248
        .size:           8
        .value_kind:     by_value
      - .offset:         1256
        .size:           8
        .value_kind:     by_value
      - .offset:         1264
        .size:           8
        .value_kind:     by_value
      - .offset:         1272
        .size:           1
        .value_kind:     by_value
      - .offset:         1280
        .size:           4
        .value_kind:     hidden_block_count_x
      - .offset:         1284
        .size:           4
        .value_kind:     hidden_block_count_y
      - .offset:         1288
        .size:           4
        .value_kind:     hidden_block_count_z
      - .offset:         1292
        .size:           2
        .value_kind:     hidden_group_size_x
      - .offset:         1294
        .size:           2
        .value_kind:     hidden_group_size_y
      - .offset:         1296
        .size:           2
        .value_kind:     hidden_group_size_z
      - .offset:         1298
        .size:           2
        .value_kind:     hidden_remainder_x
      - .offset:         1300
        .size:           2
        .value_kind:     hidden_remainder_y
      - .offset:         1302
        .size:           2
        .value_kind:     hidden_remainder_z
      - .offset:         1320
        .size:           8
        .value_kind:     hidden_global_offset_x
      - .offset:         1328
        .size:           8
        .value_kind:     hidden_global_offset_y
      - .offset:         1336
        .size:           8
        .value_kind:     hidden_global_offset_z
      - .offset:         1344
        .size:           2
        .value_kind:     hidden_grid_dims
    .group_segment_fixed_size: 5152
    .kernarg_segment_align: 8
    .kernarg_segment_size: 1536
    .language:       OpenCL C
    .language_version:
      - 2
      - 0
    .max_flat_workgroup_size: 1024
    .name:           _ZN2at6native12_GLOBAL__N_112gatherMedianIN3c108BFloat16EmLi1EEEvNS_4cuda6detail10TensorInfoIT_T0_EENS7_IlS9_EENS7_IKS8_S9_EES9_S9_S9_b
    .private_segment_fixed_size: 0
    .sgpr_count:     96
    .sgpr_spill_count: 0
    .symbol:         _ZN2at6native12_GLOBAL__N_112gatherMedianIN3c108BFloat16EmLi1EEEvNS_4cuda6detail10TensorInfoIT_T0_EENS7_IlS9_EENS7_IKS8_S9_EES9_S9_S9_b.kd
    .uniform_work_group_size: 1
    .uses_dynamic_stack: false
    .vgpr_count:     55
    .vgpr_spill_count: 0
    .wavefront_size: 32
    .workgroup_processor_mode: 1
  - .args:
      - .offset:         0
        .size:           416
        .value_kind:     by_value
      - .offset:         416
        .size:           416
        .value_kind:     by_value
      - .offset:         832
        .size:           416
        .value_kind:     by_value
      - .offset:         1248
        .size:           8
        .value_kind:     by_value
      - .offset:         1256
        .size:           8
        .value_kind:     by_value
      - .offset:         1264
        .size:           8
        .value_kind:     by_value
      - .offset:         1272
        .size:           1
        .value_kind:     by_value
      - .offset:         1280
        .size:           4
        .value_kind:     hidden_block_count_x
      - .offset:         1284
        .size:           4
        .value_kind:     hidden_block_count_y
      - .offset:         1288
        .size:           4
        .value_kind:     hidden_block_count_z
      - .offset:         1292
        .size:           2
        .value_kind:     hidden_group_size_x
      - .offset:         1294
        .size:           2
        .value_kind:     hidden_group_size_y
      - .offset:         1296
        .size:           2
        .value_kind:     hidden_group_size_z
      - .offset:         1298
        .size:           2
        .value_kind:     hidden_remainder_x
      - .offset:         1300
        .size:           2
        .value_kind:     hidden_remainder_y
      - .offset:         1302
        .size:           2
        .value_kind:     hidden_remainder_z
      - .offset:         1320
        .size:           8
        .value_kind:     hidden_global_offset_x
      - .offset:         1328
        .size:           8
        .value_kind:     hidden_global_offset_y
      - .offset:         1336
        .size:           8
        .value_kind:     hidden_global_offset_z
      - .offset:         1344
        .size:           2
        .value_kind:     hidden_grid_dims
    .group_segment_fixed_size: 5152
    .kernarg_segment_align: 8
    .kernarg_segment_size: 1536
    .language:       OpenCL C
    .language_version:
      - 2
      - 0
    .max_flat_workgroup_size: 1024
    .name:           _ZN2at6native12_GLOBAL__N_112gatherMedianIN3c108BFloat16EmLi2EEEvNS_4cuda6detail10TensorInfoIT_T0_EENS7_IlS9_EENS7_IKS8_S9_EES9_S9_S9_b
    .private_segment_fixed_size: 0
    .sgpr_count:     101
    .sgpr_spill_count: 0
    .symbol:         _ZN2at6native12_GLOBAL__N_112gatherMedianIN3c108BFloat16EmLi2EEEvNS_4cuda6detail10TensorInfoIT_T0_EENS7_IlS9_EENS7_IKS8_S9_EES9_S9_S9_b.kd
    .uniform_work_group_size: 1
    .uses_dynamic_stack: false
    .vgpr_count:     40
    .vgpr_spill_count: 0
    .wavefront_size: 32
    .workgroup_processor_mode: 1
  - .args:
      - .offset:         0
        .size:           416
        .value_kind:     by_value
      - .offset:         416
        .size:           416
        .value_kind:     by_value
      - .offset:         832
        .size:           416
        .value_kind:     by_value
      - .offset:         1248
        .size:           8
        .value_kind:     by_value
      - .offset:         1256
        .size:           8
        .value_kind:     by_value
      - .offset:         1264
        .size:           8
        .value_kind:     by_value
      - .offset:         1272
        .size:           1
        .value_kind:     by_value
      - .offset:         1280
        .size:           4
        .value_kind:     hidden_block_count_x
      - .offset:         1284
        .size:           4
        .value_kind:     hidden_block_count_y
      - .offset:         1288
        .size:           4
        .value_kind:     hidden_block_count_z
      - .offset:         1292
        .size:           2
        .value_kind:     hidden_group_size_x
      - .offset:         1294
        .size:           2
        .value_kind:     hidden_group_size_y
      - .offset:         1296
        .size:           2
        .value_kind:     hidden_group_size_z
      - .offset:         1298
        .size:           2
        .value_kind:     hidden_remainder_x
      - .offset:         1300
        .size:           2
        .value_kind:     hidden_remainder_y
      - .offset:         1302
        .size:           2
        .value_kind:     hidden_remainder_z
      - .offset:         1320
        .size:           8
        .value_kind:     hidden_global_offset_x
      - .offset:         1328
        .size:           8
        .value_kind:     hidden_global_offset_y
      - .offset:         1336
        .size:           8
        .value_kind:     hidden_global_offset_z
      - .offset:         1344
        .size:           2
        .value_kind:     hidden_grid_dims
    .group_segment_fixed_size: 5152
    .kernarg_segment_align: 8
    .kernarg_segment_size: 1536
    .language:       OpenCL C
    .language_version:
      - 2
      - 0
    .max_flat_workgroup_size: 1024
    .name:           _ZN2at6native12_GLOBAL__N_112gatherMedianIN3c108BFloat16EmLi3EEEvNS_4cuda6detail10TensorInfoIT_T0_EENS7_IlS9_EENS7_IKS8_S9_EES9_S9_S9_b
    .private_segment_fixed_size: 0
    .sgpr_count:     107
    .sgpr_spill_count: 8
    .symbol:         _ZN2at6native12_GLOBAL__N_112gatherMedianIN3c108BFloat16EmLi3EEEvNS_4cuda6detail10TensorInfoIT_T0_EENS7_IlS9_EENS7_IKS8_S9_EES9_S9_S9_b.kd
    .uniform_work_group_size: 1
    .uses_dynamic_stack: false
    .vgpr_count:     41
    .vgpr_spill_count: 0
    .wavefront_size: 32
    .workgroup_processor_mode: 1
  - .args:
      - .offset:         0
        .size:           416
        .value_kind:     by_value
      - .offset:         416
        .size:           416
        .value_kind:     by_value
      - .offset:         832
        .size:           416
        .value_kind:     by_value
      - .offset:         1248
        .size:           8
        .value_kind:     by_value
      - .offset:         1256
        .size:           8
        .value_kind:     by_value
      - .offset:         1264
        .size:           8
        .value_kind:     by_value
      - .offset:         1272
        .size:           1
        .value_kind:     by_value
      - .offset:         1280
        .size:           4
        .value_kind:     hidden_block_count_x
      - .offset:         1284
        .size:           4
        .value_kind:     hidden_block_count_y
      - .offset:         1288
        .size:           4
        .value_kind:     hidden_block_count_z
      - .offset:         1292
        .size:           2
        .value_kind:     hidden_group_size_x
      - .offset:         1294
        .size:           2
        .value_kind:     hidden_group_size_y
      - .offset:         1296
        .size:           2
        .value_kind:     hidden_group_size_z
      - .offset:         1298
        .size:           2
        .value_kind:     hidden_remainder_x
      - .offset:         1300
        .size:           2
        .value_kind:     hidden_remainder_y
      - .offset:         1302
        .size:           2
        .value_kind:     hidden_remainder_z
      - .offset:         1320
        .size:           8
        .value_kind:     hidden_global_offset_x
      - .offset:         1328
        .size:           8
        .value_kind:     hidden_global_offset_y
      - .offset:         1336
        .size:           8
        .value_kind:     hidden_global_offset_z
      - .offset:         1344
        .size:           2
        .value_kind:     hidden_grid_dims
    .group_segment_fixed_size: 5152
    .kernarg_segment_align: 8
    .kernarg_segment_size: 1536
    .language:       OpenCL C
    .language_version:
      - 2
      - 0
    .max_flat_workgroup_size: 1024
    .name:           _ZN2at6native12_GLOBAL__N_112gatherMedianIN3c108BFloat16EmLin1EEEvNS_4cuda6detail10TensorInfoIT_T0_EENS7_IlS9_EENS7_IKS8_S9_EES9_S9_S9_b
    .private_segment_fixed_size: 0
    .sgpr_count:     106
    .sgpr_spill_count: 0
    .symbol:         _ZN2at6native12_GLOBAL__N_112gatherMedianIN3c108BFloat16EmLin1EEEvNS_4cuda6detail10TensorInfoIT_T0_EENS7_IlS9_EENS7_IKS8_S9_EES9_S9_S9_b.kd
    .uniform_work_group_size: 1
    .uses_dynamic_stack: false
    .vgpr_count:     63
    .vgpr_spill_count: 0
    .wavefront_size: 32
    .workgroup_processor_mode: 1
amdhsa.target:   amdgcn-amd-amdhsa--gfx1201
amdhsa.version:
  - 1
  - 2
...

	.end_amdgpu_metadata
